;; amdgpu-corpus repo=huggingface/hf-rocm-kernels kind=compiled arch=gfx950 opt=O3
	.amdgcn_target "amdgcn-amd-amdhsa--gfx950"
	.amdhsa_code_object_version 6
	.section	.text._Z19_skinny_gemm_kernelILi1ELi1ELi1ELi8ELi4EEvPKhS1_P6__halfPKfiiiiiiii,"axG",@progbits,_Z19_skinny_gemm_kernelILi1ELi1ELi1ELi8ELi4EEvPKhS1_P6__halfPKfiiiiiiii,comdat
	.protected	_Z19_skinny_gemm_kernelILi1ELi1ELi1ELi8ELi4EEvPKhS1_P6__halfPKfiiiiiiii ; -- Begin function _Z19_skinny_gemm_kernelILi1ELi1ELi1ELi8ELi4EEvPKhS1_P6__halfPKfiiiiiiii
	.globl	_Z19_skinny_gemm_kernelILi1ELi1ELi1ELi8ELi4EEvPKhS1_P6__halfPKfiiiiiiii
	.p2align	8
	.type	_Z19_skinny_gemm_kernelILi1ELi1ELi1ELi8ELi4EEvPKhS1_P6__halfPKfiiiiiiii,@function
_Z19_skinny_gemm_kernelILi1ELi1ELi1ELi8ELi4EEvPKhS1_P6__halfPKfiiiiiiii: ; @_Z19_skinny_gemm_kernelILi1ELi1ELi1ELi8ELi4EEvPKhS1_P6__halfPKfiiiiiiii
; %bb.0:
	v_cmp_gt_u32_e32 vcc, 2, v0
	v_lshlrev_b32_e32 v1, 2, v0
	s_and_saveexec_b64 s[4:5], vcc
; %bb.1:
	v_mov_b32_e32 v2, 0
	ds_write_b32 v1, v2 offset:6144
; %bb.2:
	s_or_b64 exec, exec, s[4:5]
	s_load_dwordx8 s[8:15], s[0:1], 0x20
	s_waitcnt lgkmcnt(0)
	s_barrier
	s_add_i32 s3, s8, 7
	s_ashr_i32 s5, s3, 31
	s_add_i32 s4, s9, 15
	s_lshr_b32 s5, s5, 29
	s_ashr_i32 s6, s4, 31
	s_add_i32 s3, s3, s5
	s_ashr_i32 s33, s3, 3
	s_lshr_b32 s3, s6, 28
	s_add_i32 s4, s4, s3
	s_ashr_i32 s42, s4, 4
	s_mul_i32 s3, s42, s33
	s_mul_i32 s3, s3, s12
	s_add_i32 s4, s3, 0x12f
	s_mul_hi_i32 s4, s4, 0x6bca1af3
	s_lshr_b32 s5, s4, 31
	s_ashr_i32 s4, s4, 7
	s_add_i32 s4, s4, s5
	s_add_i32 s5, s2, 1
	s_mul_i32 s5, s4, s5
	v_cvt_f64_i32_e32 v[2:3], s3
	v_cvt_f64_u32_e32 v[4:5], s5
	v_min_f64 v[2:3], v[2:3], v[4:5]
	v_cvt_i32_f64_e32 v17, v[2:3]
	s_mul_i32 s43, s4, s2
	v_cmp_ge_i32_e32 vcc, s43, v17
	s_cbranch_vccnz .LBB0_41
; %bb.3:
	v_lshrrev_b32_e32 v2, 6, v0
	s_add_i32 s4, s14, s13
	s_load_dwordx8 s[16:23], s[0:1], 0x0
	v_cmp_le_i32_e64 s[0:1], s4, v2
	v_mov_b32_e32 v3, s13
	v_cmp_le_i32_e64 s[2:3], s13, v2
	v_mov_b32_e32 v4, s14
	v_cndmask_b32_e64 v4, 0, v4, s[0:1]
	v_cndmask_b32_e64 v3, 0, v3, s[2:3]
	s_abs_i32 s5, s12
	v_add_u32_e32 v3, v3, v4
	v_cvt_f32_u32_e32 v4, s5
	v_sub_u32_e32 v6, v2, v3
	s_ashr_i32 s6, s10, 31
	s_lshr_b32 s6, s6, 24
	v_rcp_iflag_f32_e32 v3, v4
	s_sub_i32 s26, 0, s5
	s_add_i32 s6, s10, s6
	s_ashr_i32 s6, s6, 8
	v_mul_f32_e32 v3, 0x4f7ffffe, v3
	v_cvt_u32_f32_e32 v3, v3
	s_abs_i32 s25, s6
	s_xor_b32 s24, s6, s12
	s_ashr_i32 s24, s24, 31
	v_readfirstlane_b32 s27, v3
	s_mul_i32 s26, s26, s27
	s_mul_hi_u32 s26, s27, s26
	s_add_i32 s27, s27, s26
	s_mul_hi_u32 s26, s25, s27
	s_mul_i32 s27, s26, s5
	s_sub_i32 s25, s25, s27
	s_add_i32 s27, s26, 1
	s_sub_i32 s28, s25, s5
	s_cmp_ge_u32 s25, s5
	s_cselect_b32 s26, s27, s26
	s_cselect_b32 s25, s28, s25
	s_add_i32 s27, s26, 1
	s_cmp_ge_u32 s25, s5
	s_cselect_b32 s5, s27, s26
	s_xor_b32 s5, s5, s24
	s_sub_i32 s44, s5, s24
	s_add_i32 s12, s12, -1
	s_mul_i32 s5, s44, s12
	s_add_i32 s4, s4, s15
	s_sub_i32 s45, s6, s5
	v_cmp_gt_i32_e64 s[4:5], s4, v2
	v_and_b32_e32 v2, 1, v0
	v_lshlrev_b32_e32 v3, 1, v0
	v_and_b32_e32 v3, 0x7c, v3
	v_lshlrev_b32_e32 v4, 8, v2
	v_lshlrev_b32_e32 v5, 4, v0
	s_movk_i32 s24, 0x1000
	s_movk_i32 s6, 0x7c
	v_and_b32_e32 v7, 0x200, v5
	v_or3_b32 v32, v3, v4, s24
	v_lshrrev_b32_e32 v3, 3, v0
	v_cmp_eq_u32_e32 vcc, 0, v2
	v_and_or_b32 v33, v1, s6, v7
	v_lshlrev_b32_e32 v1, 1, v2
	v_and_or_b32 v2, v3, 6, v2
	v_sub_u32_e32 v35, 8, v2
	v_mul_lo_u32 v18, s9, v2
	v_bfe_u32 v2, v0, 2, 4
	v_lshlrev_b32_e32 v4, 8, v0
	v_lshlrev_b32_e32 v7, 6, v0
	v_mul_lo_u32 v24, s11, v2
	v_and_b32_e32 v2, 60, v0
	v_and_b32_e32 v4, 0x200, v4
	;; [unrolled: 1-line block ×3, first 2 shown]
	s_abs_i32 s46, s33
	v_or3_b32 v36, v2, v4, v7
	v_cvt_f32_u32_e32 v7, s46
	v_lshlrev_b32_e32 v4, 7, v0
	v_and_b32_e32 v16, 14, v0
	v_bitop3_b32 v34, v0, 1, v0 bitop3:0xc
	v_sub_u32_e32 v1, v0, v1
	v_bfe_u32 v2, v0, 3, 3
	v_and_b32_e32 v4, 0x200, v4
	v_lshlrev_b32_e32 v0, 5, v0
	v_lshl_or_b32 v4, v2, 2, v4
	v_and_b32_e32 v0, 0x60, v0
	v_or3_b32 v37, v4, v0, s24
	v_rcp_iflag_f32_e32 v0, v7
	s_abs_i32 s47, s42
	v_mul_lo_u32 v39, s10, v2
	v_cvt_f32_u32_e32 v2, s47
	v_mul_f32_e32 v0, 0x4f7ffffe, v0
	v_cvt_u32_f32_e32 v0, v0
	s_sub_i32 s24, 0, s46
	v_rcp_iflag_f32_e32 v2, v2
	v_add_u32_e32 v1, 1, v1
	v_readfirstlane_b32 s25, v0
	s_mul_i32 s24, s24, s25
	v_mul_f32_e32 v0, 0x4f7ffffe, v2
	v_cvt_u32_f32_e32 v0, v0
	s_mul_hi_u32 s24, s25, s24
	s_add_i32 s49, s25, s24
	s_sub_i32 s24, 0, s47
	v_readfirstlane_b32 s25, v0
	v_mbcnt_lo_u32_b32 v0, -1, 0
	v_and_b32_e32 v1, 63, v1
	s_mul_i32 s24, s24, s25
	v_mbcnt_hi_u32_b32 v0, -1, v0
	v_mov_b32_e32 v8, 0xeeee
	v_mov_b32_e32 v9, 0x4444
	;; [unrolled: 1-line block ×3, first 2 shown]
	s_mul_hi_u32 s24, s25, s24
	v_and_or_b32 v0, v0, 64, v1
	v_cndmask_b32_e64 v30, 0, 1, s[0:1]
	s_mov_b32 s7, 0
	v_cndmask_b32_e32 v31, v8, v9, vcc
	v_ashrrev_i32_e32 v19, 31, v18
	v_and_b32_e32 v22, 48, v5
	v_ashrrev_i32_e32 v25, 31, v24
	v_mov_b32_e32 v23, v21
	v_bitop3_b32 v38, v3, 7, v3 bitop3:0xc
	v_and_b32_e32 v26, 0x70, v5
	v_mov_b32_e32 v27, v21
	s_lshl_b32 s6, s13, 8
	s_ashr_i32 s48, s33, 31
	s_ashr_i32 s50, s42, 31
	s_add_i32 s51, s25, s24
	v_lshlrev_b32_e32 v40, 2, v0
	v_mov_b32_e32 v41, v6
	s_branch .LBB0_7
.LBB0_4:                                ;   in Loop: Header=BB0_7 Depth=1
	s_or_b64 exec, exec, s[28:29]
.LBB0_5:                                ;   in Loop: Header=BB0_7 Depth=1
	s_or_b64 exec, exec, s[26:27]
	v_subrev_u32_e32 v41, s52, v41
.LBB0_6:                                ;   in Loop: Header=BB0_7 Depth=1
	s_or_b64 exec, exec, s[24:25]
	s_add_i32 s43, s43, 1
	v_cmp_ge_i32_e32 vcc, s43, v17
	s_cbranch_vccnz .LBB0_41
.LBB0_7:                                ; =>This Loop Header: Depth=1
                                        ;     Child Loop BB0_13 Depth 2
                                        ;       Child Loop BB0_15 Depth 3
                                        ;       Child Loop BB0_18 Depth 3
                                        ;     Child Loop BB0_28 Depth 2
                                        ;       Child Loop BB0_30 Depth 3
                                        ;     Child Loop BB0_38 Depth 2
                                        ;       Child Loop BB0_40 Depth 3
	s_abs_i32 s25, s43
	s_mul_hi_u32 s26, s25, s49
	s_mul_i32 s27, s26, s46
	s_ashr_i32 s24, s43, 31
	s_sub_i32 s25, s25, s27
	s_xor_b32 s24, s24, s48
	s_add_i32 s27, s26, 1
	s_sub_i32 s28, s25, s46
	s_cmp_ge_u32 s25, s46
	s_cselect_b32 s26, s27, s26
	s_cselect_b32 s25, s28, s25
	s_add_i32 s27, s26, 1
	s_cmp_ge_u32 s25, s46
	s_cselect_b32 s25, s27, s26
	s_xor_b32 s25, s25, s24
	s_sub_i32 s26, s25, s24
	s_abs_i32 s25, s26
	s_mul_i32 s24, s26, s33
	s_mul_hi_u32 s27, s25, s51
	s_sub_i32 s24, s43, s24
	s_mul_i32 s28, s27, s47
	s_lshl_b32 s53, s24, 3
	s_ashr_i32 s24, s26, 31
	s_sub_i32 s25, s25, s28
	s_xor_b32 s24, s24, s50
	s_add_i32 s28, s27, 1
	s_sub_i32 s29, s25, s47
	s_cmp_ge_u32 s25, s47
	s_cselect_b32 s27, s28, s27
	s_cselect_b32 s25, s29, s25
	s_add_i32 s28, s27, 1
	s_cmp_ge_u32 s25, s47
	s_cselect_b32 s25, s28, s27
	s_xor_b32 s25, s25, s24
	s_sub_i32 s27, s25, s24
	s_mul_i32 s24, s27, s44
	s_lshl_b32 s54, s24, 8
	s_cmp_eq_u32 s27, s12
	s_cselect_b32 s52, s45, s44
	s_sub_i32 s55, s53, s8
	s_add_i32 s55, s55, 8
	s_and_saveexec_b64 s[24:25], s[2:3]
	s_xor_b64 s[24:25], exec, s[24:25]
	s_cbranch_execz .LBB0_34
; %bb.8:                                ;   in Loop: Header=BB0_7 Depth=1
	s_mul_i32 s27, s27, s42
	s_sub_i32 s26, s26, s27
	s_lshl_b32 s26, s26, 4
	s_sub_i32 s27, s26, s9
	s_add_i32 s27, s27, 16
	s_max_i32 s28, s27, 0
	s_sub_i32 s26, s26, s28
	s_and_saveexec_b64 s[28:29], s[0:1]
	s_xor_b64 s[28:29], exec, s[28:29]
	s_cbranch_execz .LBB0_24
; %bb.9:                                ;   in Loop: Header=BB0_7 Depth=1
	s_and_saveexec_b64 s[30:31], s[4:5]
	s_cbranch_execz .LBB0_23
; %bb.10:                               ;   in Loop: Header=BB0_7 Depth=1
	s_waitcnt lgkmcnt(0)
	global_load_dword v12, v21, s[22:23]
	v_mov_b32_e32 v3, 0
	v_cmp_gt_i32_e32 vcc, s52, v41
	v_mov_b32_e32 v2, v3
	v_mov_b32_e32 v1, v3
	;; [unrolled: 1-line block ×3, first 2 shown]
	s_and_saveexec_b64 s[34:35], vcc
	s_cbranch_execz .LBB0_20
; %bb.11:                               ;   in Loop: Header=BB0_7 Depth=1
	v_mov_b32_e32 v0, 0
	s_mov_b64 s[36:37], 0
	v_mov_b32_e32 v1, v0
	v_mov_b32_e32 v2, v0
	;; [unrolled: 1-line block ×3, first 2 shown]
	s_branch .LBB0_13
.LBB0_12:                               ;   in Loop: Header=BB0_13 Depth=2
	s_or_b64 exec, exec, s[38:39]
	v_lshl_or_b32 v20, v13, 12, v33
	ds_read2_b32 v[42:43], v20 offset1:32
	ds_read2_b32 v[44:45], v20 offset0:64 offset1:96
	v_add_u32_e32 v28, 0x400, v20
	ds_read2_b32 v[46:47], v28 offset1:32
	ds_read2_b32 v[48:49], v28 offset0:64 offset1:96
	v_add_u32_e32 v41, s15, v41
	v_cmp_le_i32_e32 vcc, s52, v41
	s_waitcnt lgkmcnt(2)
	v_smfmac_f32_16x16x64_fp8_fp8 v[0:3], v[10:11], v[42:45], v31 cbsz:7 abid:1
	v_add_u32_e32 v10, 0x800, v20
	ds_read2_b32 v[42:43], v10 offset1:32
	ds_read2_b32 v[44:45], v10 offset0:64 offset1:96
	v_add_u32_e32 v10, 0xc00, v20
	s_waitcnt lgkmcnt(2)
	v_smfmac_f32_16x16x64_fp8_fp8 v[0:3], v[8:9], v[46:49], v31 cbsz:7 abid:1
	ds_read2_b32 v[8:9], v10 offset1:32
	ds_read2_b32 v[10:11], v10 offset0:64 offset1:96
	s_or_b64 s[36:37], vcc, s[36:37]
	ds_write_b32 v14, v15 offset:4
	s_waitcnt lgkmcnt(3)
	v_smfmac_f32_16x16x64_fp8_fp8 v[0:3], v[6:7], v[42:45], v31 cbsz:7 abid:1
	v_add_u32_e32 v6, s15, v13
	v_add_u32_e32 v7, 2, v30
	v_cmp_lt_i32_e32 vcc, 0, v6
	s_waitcnt lgkmcnt(1)
	v_smfmac_f32_16x16x64_fp8_fp8 v[0:3], v[4:5], v[8:11], v31 cbsz:7 abid:1
	v_cndmask_b32_e32 v30, v30, v7, vcc
	s_andn2_b64 exec, exec, s[36:37]
	s_cbranch_execz .LBB0_19
.LBB0_13:                               ;   Parent Loop BB0_7 Depth=1
                                        ; =>  This Loop Header: Depth=2
                                        ;       Child Loop BB0_15 Depth 3
                                        ;       Child Loop BB0_18 Depth 3
	v_cmp_lt_i32_e32 vcc, 0, v6
	s_nop 1
	v_subbrev_co_u32_e32 v13, vcc, 0, v6, vcc
	v_lshlrev_b32_e32 v4, 2, v13
	ds_read_b32 v5, v4 offset:6144
	v_add_u32_e32 v14, 0x1800, v4
	s_waitcnt lgkmcnt(0)
	v_cmp_ne_u32_e32 vcc, v5, v30
	s_and_saveexec_b64 s[38:39], vcc
	s_cbranch_execz .LBB0_16
; %bb.14:                               ;   in Loop: Header=BB0_13 Depth=2
	s_mov_b64 s[40:41], 0
.LBB0_15:                               ;   Parent Loop BB0_7 Depth=1
                                        ;     Parent Loop BB0_13 Depth=2
                                        ; =>    This Inner Loop Header: Depth=3
	;;#ASMSTART
	s_sleep 0
	;;#ASMEND
	ds_read_b32 v4, v14
	s_waitcnt lgkmcnt(0)
	v_cmp_eq_u32_e32 vcc, v4, v30
	s_or_b64 s[40:41], vcc, s[40:41]
	s_andn2_b64 exec, exec, s[40:41]
	s_cbranch_execnz .LBB0_15
.LBB0_16:                               ;   in Loop: Header=BB0_13 Depth=2
	s_or_b64 exec, exec, s[38:39]
	v_lshl_add_u32 v4, v13, 11, v32
	ds_read2_b32 v[10:11], v4 offset1:32
	ds_read2_b32 v[8:9], v4 offset0:128 offset1:160
	v_add_u32_e32 v4, 0x400, v4
	ds_read2_b32 v[6:7], v4 offset1:32
	ds_read2_b32 v[4:5], v4 offset0:128 offset1:160
	;;#ASMSTART
	s_waitcnt lgkmcnt(0)
	;;#ASMEND
	ds_read_b32 v20, v14 offset:4
	v_add_u32_e32 v15, 1, v30
	ds_write_b32 v14, v15
	s_waitcnt lgkmcnt(1)
	v_cmp_ne_u32_e32 vcc, v20, v30
	s_and_saveexec_b64 s[38:39], vcc
	s_cbranch_execz .LBB0_12
; %bb.17:                               ;   in Loop: Header=BB0_13 Depth=2
	s_mov_b64 s[40:41], 0
.LBB0_18:                               ;   Parent Loop BB0_7 Depth=1
                                        ;     Parent Loop BB0_13 Depth=2
                                        ; =>    This Inner Loop Header: Depth=3
	;;#ASMSTART
	s_sleep 0
	;;#ASMEND
	ds_read_b32 v20, v14 offset:4
	s_waitcnt lgkmcnt(0)
	v_cmp_eq_u32_e32 vcc, v20, v30
	s_or_b64 s[40:41], vcc, s[40:41]
	s_andn2_b64 exec, exec, s[40:41]
	s_cbranch_execnz .LBB0_18
	s_branch .LBB0_12
.LBB0_19:                               ;   in Loop: Header=BB0_7 Depth=1
	s_or_b64 exec, exec, s[36:37]
.LBB0_20:                               ;   in Loop: Header=BB0_7 Depth=1
	s_or_b64 exec, exec, s[34:35]
	v_cmp_le_i32_e32 vcc, s27, v16
	s_nop 1
	v_mov_b32_e32 v8, v1
	v_mov_b32_e32 v9, v2
	;; [unrolled: 1-line block ×3, first 2 shown]
	s_waitcnt vmcnt(0)
	v_cndmask_b32_e32 v4, 0, v12, vcc
	v_pk_add_f32 v[0:1], v[8:9], v[0:1]
	v_cmp_ne_u32_e32 vcc, 0, v34
	v_pk_mul_f32 v[0:1], v[4:5], v[0:1] op_sel_hi:[0,1]
	s_nop 0
	v_cndmask_b32_e32 v4, v0, v1, vcc
	v_cmp_eq_u32_e32 vcc, 2, v34
	s_nop 1
	v_cndmask_b32_e32 v2, v4, v2, vcc
	v_cmp_eq_u32_e32 vcc, 3, v34
	s_nop 1
	v_cndmask_b32_e32 v2, v2, v3, vcc
	ds_bpermute_b32 v2, v40, v2
	v_cmp_lt_i32_e32 vcc, s55, v35
	s_and_saveexec_b64 s[34:35], vcc
	s_cbranch_execz .LBB0_22
; %bb.21:                               ;   in Loop: Header=BB0_7 Depth=1
	s_mul_i32 s36, s53, s9
	s_ashr_i32 s37, s36, 31
	s_lshl_b64 s[36:37], s[36:37], 1
	v_cmp_ne_u32_e32 vcc, 0, v34
	s_add_u32 s38, s20, s36
	s_addc_u32 s39, s21, s37
	s_waitcnt lgkmcnt(0)
	v_cndmask_b32_e32 v1, v1, v2, vcc
	v_cmp_eq_u32_e32 vcc, 0, v34
	s_ashr_i32 s27, s26, 31
	s_lshl_b64 s[36:37], s[26:27], 1
	v_cndmask_b32_e32 v0, v0, v2, vcc
	v_cvt_f16_f32_e32 v2, v0
	v_cvt_f16_f32_sdwa v3, v1 dst_sel:WORD_1 dst_unused:UNUSED_PAD src0_sel:DWORD
	s_add_u32 s36, s38, s36
	s_addc_u32 s37, s39, s37
	v_lshl_add_u64 v[0:1], v[18:19], 1, s[36:37]
	v_lshlrev_b32_e32 v20, 1, v16
	v_lshl_add_u64 v[0:1], v[0:1], 0, v[20:21]
	v_or_b32_e32 v2, v3, v2
	;;#ASMSTART
	global_atomic_pk_add_f16 v[0:1], v2, off
	
	;;#ASMEND
.LBB0_22:                               ;   in Loop: Header=BB0_7 Depth=1
	s_or_b64 exec, exec, s[34:35]
	v_subrev_u32_e32 v41, s52, v41
.LBB0_23:                               ;   in Loop: Header=BB0_7 Depth=1
	s_or_b64 exec, exec, s[30:31]
.LBB0_24:                               ;   in Loop: Header=BB0_7 Depth=1
	s_andn2_saveexec_b64 s[28:29], s[28:29]
	s_cbranch_execz .LBB0_33
; %bb.25:                               ;   in Loop: Header=BB0_7 Depth=1
	v_cmp_gt_i32_e32 vcc, s52, v41
	s_and_saveexec_b64 s[30:31], vcc
	s_cbranch_execz .LBB0_32
; %bb.26:                               ;   in Loop: Header=BB0_7 Depth=1
	s_mul_i32 s26, s26, s11
	s_ashr_i32 s27, s26, 31
	s_waitcnt lgkmcnt(0)
	s_add_u32 s26, s18, s26
	s_addc_u32 s27, s19, s27
	s_ashr_i32 s34, s54, 31
	s_add_u32 s26, s26, s54
	s_addc_u32 s27, s27, s34
	v_lshl_add_u64 v[0:1], s[26:27], 0, v[24:25]
	v_lshl_add_u64 v[28:29], v[0:1], 0, v[22:23]
	s_mov_b64 s[26:27], 0
	s_branch .LBB0_28
.LBB0_27:                               ;   in Loop: Header=BB0_28 Depth=2
	s_or_b64 exec, exec, s[34:35]
	v_lshl_or_b32 v43, v20, 12, v36
	;;#ASMSTART
	s_waitcnt vmcnt(3)
	;;#ASMEND
	ds_write2_b32 v43, v12, v13 offset1:32
	ds_write2_b32 v43, v14, v15 offset0:64 offset1:96
	v_add_u32_e32 v12, 0x400, v43
	;;#ASMSTART
	s_waitcnt vmcnt(2)
	;;#ASMEND
	ds_write2_b32 v12, v8, v9 offset1:32
	ds_write2_b32 v12, v10, v11 offset0:64 offset1:96
	v_add_u32_e32 v8, 0x800, v43
	;; [unrolled: 6-line block ×3, first 2 shown]
	v_add_u32_e32 v41, s14, v41
	;;#ASMSTART
	s_waitcnt vmcnt(0)
	;;#ASMEND
	ds_write2_b32 v4, v0, v1 offset1:32
	ds_write2_b32 v4, v2, v3 offset0:64 offset1:96
	v_add_u32_e32 v0, 1, v30
	v_add_u32_e32 v6, s14, v20
	v_cmp_le_i32_e32 vcc, s52, v41
	ds_write_b32 v42, v0 offset:4
	v_add_u32_e32 v0, 2, v30
	s_or_b64 s[26:27], vcc, s[26:27]
	v_cmp_lt_i32_e32 vcc, 0, v6
	s_nop 1
	v_cndmask_b32_e32 v30, v30, v0, vcc
	s_andn2_b64 exec, exec, s[26:27]
	s_cbranch_execz .LBB0_31
.LBB0_28:                               ;   Parent Loop BB0_7 Depth=1
                                        ; =>  This Loop Header: Depth=2
                                        ;       Child Loop BB0_30 Depth 3
	v_cmp_lt_i32_e32 vcc, 0, v6
	v_lshlrev_b32_e32 v0, 8, v41
	v_ashrrev_i32_e32 v1, 31, v0
	v_subbrev_co_u32_e32 v20, vcc, 0, v6, vcc
	v_lshl_add_u64 v[0:1], v[28:29], 0, v[0:1]
	v_lshlrev_b32_e32 v42, 2, v20
	;;#ASMSTART
	global_load_dwordx4 v[12:15], v[0:1], off offset:0    sc0 sc1 nt  
	global_load_dwordx4 v[8:11], v[0:1], off offset:64   sc0 sc1 nt  
	global_load_dwordx4 v[4:7], v[0:1], off offset:128  sc0 sc1 nt  
	global_load_dwordx4 v[0:3], v[0:1], off offset:192  sc0 sc1 nt  
	
	;;#ASMEND
	ds_read_b32 v43, v42 offset:6148
	v_add_u32_e32 v42, 0x1800, v42
	s_waitcnt lgkmcnt(0)
	v_cmp_ne_u32_e32 vcc, v43, v30
	s_and_saveexec_b64 s[34:35], vcc
	s_cbranch_execz .LBB0_27
; %bb.29:                               ;   in Loop: Header=BB0_28 Depth=2
	s_mov_b64 s[36:37], 0
.LBB0_30:                               ;   Parent Loop BB0_7 Depth=1
                                        ;     Parent Loop BB0_28 Depth=2
                                        ; =>    This Inner Loop Header: Depth=3
	;;#ASMSTART
	s_sleep 0
	;;#ASMEND
	ds_read_b32 v43, v42 offset:4
	s_waitcnt lgkmcnt(0)
	v_cmp_eq_u32_e32 vcc, v43, v30
	s_or_b64 s[36:37], vcc, s[36:37]
	s_andn2_b64 exec, exec, s[36:37]
	s_cbranch_execnz .LBB0_30
	s_branch .LBB0_27
.LBB0_31:                               ;   in Loop: Header=BB0_7 Depth=1
	s_or_b64 exec, exec, s[26:27]
.LBB0_32:                               ;   in Loop: Header=BB0_7 Depth=1
	s_or_b64 exec, exec, s[30:31]
	v_subrev_u32_e32 v41, s52, v41
.LBB0_33:                               ;   in Loop: Header=BB0_7 Depth=1
	s_or_b64 exec, exec, s[28:29]
.LBB0_34:                               ;   in Loop: Header=BB0_7 Depth=1
	s_andn2_saveexec_b64 s[24:25], s[24:25]
	s_cbranch_execz .LBB0_6
; %bb.35:                               ;   in Loop: Header=BB0_7 Depth=1
	v_cmp_gt_i32_e32 vcc, s52, v41
	s_and_saveexec_b64 s[26:27], vcc
	s_cbranch_execz .LBB0_5
; %bb.36:                               ;   in Loop: Header=BB0_7 Depth=1
	s_mul_i32 s53, s53, s10
	s_ashr_i32 s28, s53, 31
	s_waitcnt lgkmcnt(0)
	s_add_u32 s29, s16, s53
	s_addc_u32 s30, s17, s28
	s_ashr_i32 s31, s54, 31
	v_cmp_le_i32_e32 vcc, s55, v38
	s_add_u32 s28, s29, s54
	s_addc_u32 s29, s30, s31
	v_cndmask_b32_e32 v0, 0, v39, vcc
	v_ashrrev_i32_e32 v1, 31, v0
	v_lshl_add_u64 v[0:1], s[28:29], 0, v[0:1]
	v_lshlrev_b32_e32 v2, 8, v41
	v_lshl_add_u64 v[0:1], v[0:1], 0, v[26:27]
	v_ashrrev_i32_e32 v3, 31, v2
	v_lshl_add_u64 v[8:9], v[0:1], 0, v[2:3]
	s_mov_b64 s[28:29], 0
	s_branch .LBB0_38
.LBB0_37:                               ;   in Loop: Header=BB0_38 Depth=2
	s_or_b64 exec, exec, s[30:31]
	;;#ASMSTART
	s_waitcnt vmcnt(1)
	v_pack_b32_f16 v12, v4, v5, op_sel:[0,0]
	v_pack_b32_f16 v13, v4, v5, op_sel:[1,1]
	;; [unrolled: 1-line block ×4, first 2 shown]
	v_swap_b32 v12, v4
	v_swap_b32 v13, v6
	;; [unrolled: 1-line block ×4, first 2 shown]
	;;#ASMEND
	v_add_u32_e32 v41, s13, v41
	v_lshl_add_u32 v12, v10, 11, v37
	ds_write2_b32 v12, v4, v5 offset1:32
	ds_write2_b32 v12, v6, v7 offset0:64 offset1:96
	;;#ASMSTART
	s_waitcnt vmcnt(0)
	v_pack_b32_f16 v4, v0, v1, op_sel:[0,0]
	v_pack_b32_f16 v5, v0, v1, op_sel:[1,1]
	;; [unrolled: 1-line block ×4, first 2 shown]
	v_swap_b32 v4, v0
	v_swap_b32 v5, v2
	;; [unrolled: 1-line block ×4, first 2 shown]
	;;#ASMEND
	v_cmp_le_i32_e32 vcc, s52, v41
	v_add_u32_e32 v4, 0x400, v12
	ds_write2_b32 v4, v0, v1 offset1:32
	ds_write2_b32 v4, v2, v3 offset0:64 offset1:96
	v_add_u32_e32 v0, 1, v30
	v_add_u32_e32 v6, s13, v10
	ds_write_b32 v11, v0
	v_add_u32_e32 v0, 2, v30
	s_or_b64 s[28:29], vcc, s[28:29]
	v_cmp_lt_i32_e32 vcc, 0, v6
	v_lshl_add_u64 v[8:9], v[8:9], 0, s[6:7]
	s_nop 0
	v_cndmask_b32_e32 v30, v30, v0, vcc
	s_andn2_b64 exec, exec, s[28:29]
	s_cbranch_execz .LBB0_4
.LBB0_38:                               ;   Parent Loop BB0_7 Depth=1
                                        ; =>  This Loop Header: Depth=2
                                        ;       Child Loop BB0_40 Depth 3
	v_cmp_lt_i32_e32 vcc, 0, v6
	s_nop 1
	v_subbrev_co_u32_e32 v10, vcc, 0, v6, vcc
	v_lshlrev_b32_e32 v11, 2, v10
	;;#ASMSTART
	global_load_dwordx4 v[4:7], v[8:9], off offset:0  
	global_load_dwordx4 v[0:3], v[8:9], off offset:128
	
	;;#ASMEND
	ds_read_b32 v12, v11 offset:6144
	v_add_u32_e32 v11, 0x1800, v11
	s_waitcnt lgkmcnt(0)
	v_cmp_ne_u32_e32 vcc, v12, v30
	s_and_saveexec_b64 s[30:31], vcc
	s_cbranch_execz .LBB0_37
; %bb.39:                               ;   in Loop: Header=BB0_38 Depth=2
	s_mov_b64 s[34:35], 0
.LBB0_40:                               ;   Parent Loop BB0_7 Depth=1
                                        ;     Parent Loop BB0_38 Depth=2
                                        ; =>    This Inner Loop Header: Depth=3
	;;#ASMSTART
	s_sleep 0
	;;#ASMEND
	ds_read_b32 v12, v11
	s_waitcnt lgkmcnt(0)
	v_cmp_eq_u32_e32 vcc, v12, v30
	s_or_b64 s[34:35], vcc, s[34:35]
	s_andn2_b64 exec, exec, s[34:35]
	s_cbranch_execnz .LBB0_40
	s_branch .LBB0_37
.LBB0_41:
	s_endpgm
	.section	.rodata,"a",@progbits
	.p2align	6, 0x0
	.amdhsa_kernel _Z19_skinny_gemm_kernelILi1ELi1ELi1ELi8ELi4EEvPKhS1_P6__halfPKfiiiiiiii
		.amdhsa_group_segment_fixed_size 6152
		.amdhsa_private_segment_fixed_size 0
		.amdhsa_kernarg_size 64
		.amdhsa_user_sgpr_count 2
		.amdhsa_user_sgpr_dispatch_ptr 0
		.amdhsa_user_sgpr_queue_ptr 0
		.amdhsa_user_sgpr_kernarg_segment_ptr 1
		.amdhsa_user_sgpr_dispatch_id 0
		.amdhsa_user_sgpr_kernarg_preload_length 0
		.amdhsa_user_sgpr_kernarg_preload_offset 0
		.amdhsa_user_sgpr_private_segment_size 0
		.amdhsa_uses_dynamic_stack 0
		.amdhsa_enable_private_segment 0
		.amdhsa_system_sgpr_workgroup_id_x 1
		.amdhsa_system_sgpr_workgroup_id_y 0
		.amdhsa_system_sgpr_workgroup_id_z 0
		.amdhsa_system_sgpr_workgroup_info 0
		.amdhsa_system_vgpr_workitem_id 0
		.amdhsa_next_free_vgpr 50
		.amdhsa_next_free_sgpr 56
		.amdhsa_accum_offset 52
		.amdhsa_reserve_vcc 1
		.amdhsa_float_round_mode_32 0
		.amdhsa_float_round_mode_16_64 0
		.amdhsa_float_denorm_mode_32 3
		.amdhsa_float_denorm_mode_16_64 3
		.amdhsa_dx10_clamp 1
		.amdhsa_ieee_mode 1
		.amdhsa_fp16_overflow 0
		.amdhsa_tg_split 0
		.amdhsa_exception_fp_ieee_invalid_op 0
		.amdhsa_exception_fp_denorm_src 0
		.amdhsa_exception_fp_ieee_div_zero 0
		.amdhsa_exception_fp_ieee_overflow 0
		.amdhsa_exception_fp_ieee_underflow 0
		.amdhsa_exception_fp_ieee_inexact 0
		.amdhsa_exception_int_div_zero 0
	.end_amdhsa_kernel
	.section	.text._Z19_skinny_gemm_kernelILi1ELi1ELi1ELi8ELi4EEvPKhS1_P6__halfPKfiiiiiiii,"axG",@progbits,_Z19_skinny_gemm_kernelILi1ELi1ELi1ELi8ELi4EEvPKhS1_P6__halfPKfiiiiiiii,comdat
.Lfunc_end0:
	.size	_Z19_skinny_gemm_kernelILi1ELi1ELi1ELi8ELi4EEvPKhS1_P6__halfPKfiiiiiiii, .Lfunc_end0-_Z19_skinny_gemm_kernelILi1ELi1ELi1ELi8ELi4EEvPKhS1_P6__halfPKfiiiiiiii
                                        ; -- End function
	.set _Z19_skinny_gemm_kernelILi1ELi1ELi1ELi8ELi4EEvPKhS1_P6__halfPKfiiiiiiii.num_vgpr, 50
	.set _Z19_skinny_gemm_kernelILi1ELi1ELi1ELi8ELi4EEvPKhS1_P6__halfPKfiiiiiiii.num_agpr, 0
	.set _Z19_skinny_gemm_kernelILi1ELi1ELi1ELi8ELi4EEvPKhS1_P6__halfPKfiiiiiiii.numbered_sgpr, 56
	.set _Z19_skinny_gemm_kernelILi1ELi1ELi1ELi8ELi4EEvPKhS1_P6__halfPKfiiiiiiii.num_named_barrier, 0
	.set _Z19_skinny_gemm_kernelILi1ELi1ELi1ELi8ELi4EEvPKhS1_P6__halfPKfiiiiiiii.private_seg_size, 0
	.set _Z19_skinny_gemm_kernelILi1ELi1ELi1ELi8ELi4EEvPKhS1_P6__halfPKfiiiiiiii.uses_vcc, 1
	.set _Z19_skinny_gemm_kernelILi1ELi1ELi1ELi8ELi4EEvPKhS1_P6__halfPKfiiiiiiii.uses_flat_scratch, 0
	.set _Z19_skinny_gemm_kernelILi1ELi1ELi1ELi8ELi4EEvPKhS1_P6__halfPKfiiiiiiii.has_dyn_sized_stack, 0
	.set _Z19_skinny_gemm_kernelILi1ELi1ELi1ELi8ELi4EEvPKhS1_P6__halfPKfiiiiiiii.has_recursion, 0
	.set _Z19_skinny_gemm_kernelILi1ELi1ELi1ELi8ELi4EEvPKhS1_P6__halfPKfiiiiiiii.has_indirect_call, 0
	.section	.AMDGPU.csdata,"",@progbits
; Kernel info:
; codeLenInByte = 2908
; TotalNumSgprs: 62
; NumVgprs: 50
; NumAgprs: 0
; TotalNumVgprs: 50
; ScratchSize: 0
; MemoryBound: 0
; FloatMode: 240
; IeeeMode: 1
; LDSByteSize: 6152 bytes/workgroup (compile time only)
; SGPRBlocks: 7
; VGPRBlocks: 6
; NumSGPRsForWavesPerEU: 62
; NumVGPRsForWavesPerEU: 50
; AccumOffset: 52
; Occupancy: 8
; WaveLimiterHint : 0
; COMPUTE_PGM_RSRC2:SCRATCH_EN: 0
; COMPUTE_PGM_RSRC2:USER_SGPR: 2
; COMPUTE_PGM_RSRC2:TRAP_HANDLER: 0
; COMPUTE_PGM_RSRC2:TGID_X_EN: 1
; COMPUTE_PGM_RSRC2:TGID_Y_EN: 0
; COMPUTE_PGM_RSRC2:TGID_Z_EN: 0
; COMPUTE_PGM_RSRC2:TIDIG_COMP_CNT: 0
; COMPUTE_PGM_RSRC3_GFX90A:ACCUM_OFFSET: 12
; COMPUTE_PGM_RSRC3_GFX90A:TG_SPLIT: 0
	.section	.text._Z19_skinny_gemm_kernelILi1ELi1ELi1ELi8ELi8EEvPKhS1_P6__halfPKfiiiiiiii,"axG",@progbits,_Z19_skinny_gemm_kernelILi1ELi1ELi1ELi8ELi8EEvPKhS1_P6__halfPKfiiiiiiii,comdat
	.protected	_Z19_skinny_gemm_kernelILi1ELi1ELi1ELi8ELi8EEvPKhS1_P6__halfPKfiiiiiiii ; -- Begin function _Z19_skinny_gemm_kernelILi1ELi1ELi1ELi8ELi8EEvPKhS1_P6__halfPKfiiiiiiii
	.globl	_Z19_skinny_gemm_kernelILi1ELi1ELi1ELi8ELi8EEvPKhS1_P6__halfPKfiiiiiiii
	.p2align	8
	.type	_Z19_skinny_gemm_kernelILi1ELi1ELi1ELi8ELi8EEvPKhS1_P6__halfPKfiiiiiiii,@function
_Z19_skinny_gemm_kernelILi1ELi1ELi1ELi8ELi8EEvPKhS1_P6__halfPKfiiiiiiii: ; @_Z19_skinny_gemm_kernelILi1ELi1ELi1ELi8ELi8EEvPKhS1_P6__halfPKfiiiiiiii
; %bb.0:
	v_cmp_gt_u32_e32 vcc, 2, v0
	v_lshlrev_b32_e32 v1, 2, v0
	s_and_saveexec_b64 s[4:5], vcc
; %bb.1:
	v_mov_b32_e32 v2, 0
	ds_write_b32 v1, v2 offset:12288
; %bb.2:
	s_or_b64 exec, exec, s[4:5]
	s_load_dwordx8 s[8:15], s[0:1], 0x20
	s_waitcnt lgkmcnt(0)
	s_barrier
	s_add_i32 s3, s8, 7
	s_ashr_i32 s5, s3, 31
	s_add_i32 s4, s9, 15
	s_lshr_b32 s5, s5, 29
	s_ashr_i32 s6, s4, 31
	s_add_i32 s3, s3, s5
	s_ashr_i32 s11, s3, 3
	s_lshr_b32 s3, s6, 28
	s_add_i32 s4, s4, s3
	s_ashr_i32 s33, s4, 4
	s_mul_i32 s3, s33, s11
	s_mul_i32 s3, s3, s12
	s_add_i32 s4, s3, 0x12f
	s_mul_hi_i32 s4, s4, 0x6bca1af3
	s_lshr_b32 s5, s4, 31
	s_ashr_i32 s4, s4, 7
	s_add_i32 s4, s4, s5
	s_add_i32 s5, s2, 1
	s_mul_i32 s5, s4, s5
	v_cvt_f64_i32_e32 v[2:3], s3
	v_cvt_f64_u32_e32 v[4:5], s5
	v_min_f64 v[2:3], v[2:3], v[4:5]
	v_cvt_i32_f64_e32 v9, v[2:3]
	s_mul_i32 s38, s4, s2
	v_cmp_ge_i32_e32 vcc, s38, v9
	s_cbranch_vccnz .LBB1_41
; %bb.3:
	v_lshrrev_b32_e32 v2, 6, v0
	s_add_i32 s4, s14, s13
	s_load_dwordx2 s[6:7], s[0:1], 0x0
	s_load_dwordx4 s[16:19], s[0:1], 0x10
	v_cmp_le_i32_e64 s[0:1], s4, v2
	v_mov_b32_e32 v3, s13
	v_cmp_le_i32_e64 s[2:3], s13, v2
	v_mov_b32_e32 v4, s14
	v_cndmask_b32_e64 v4, 0, v4, s[0:1]
	v_cndmask_b32_e64 v3, 0, v3, s[2:3]
	s_abs_i32 s5, s12
	v_add_u32_e32 v3, v3, v4
	v_cvt_f32_u32_e32 v4, s5
	v_sub_u32_e32 v6, v2, v3
	s_ashr_i32 s20, s10, 31
	s_lshr_b32 s20, s20, 23
	v_rcp_iflag_f32_e32 v3, v4
	s_sub_i32 s24, 0, s5
	s_add_i32 s20, s10, s20
	s_ashr_i32 s20, s20, 9
	v_mul_f32_e32 v3, 0x4f7ffffe, v3
	v_cvt_u32_f32_e32 v3, v3
	s_abs_i32 s23, s20
	s_xor_b32 s22, s20, s12
	s_ashr_i32 s22, s22, 31
	v_readfirstlane_b32 s25, v3
	s_mul_i32 s24, s24, s25
	s_mul_hi_u32 s24, s25, s24
	s_add_i32 s25, s25, s24
	s_mul_hi_u32 s24, s23, s25
	s_mul_i32 s25, s24, s5
	s_sub_i32 s23, s23, s25
	s_add_i32 s25, s24, 1
	s_sub_i32 s26, s23, s5
	s_cmp_ge_u32 s23, s5
	s_cselect_b32 s24, s25, s24
	s_cselect_b32 s23, s26, s23
	s_add_i32 s25, s24, 1
	s_cmp_ge_u32 s23, s5
	s_cselect_b32 s5, s25, s24
	s_xor_b32 s5, s5, s22
	s_sub_i32 s39, s5, s22
	s_add_i32 s12, s12, -1
	s_mul_i32 s5, s39, s12
	s_add_i32 s4, s4, s15
	s_sub_i32 s40, s20, s5
	v_cmp_gt_i32_e64 s[4:5], s4, v2
	v_and_b32_e32 v2, 1, v0
	v_lshlrev_b32_e32 v3, 1, v0
	v_and_b32_e32 v3, 0x7c, v3
	v_lshlrev_b32_e32 v4, 8, v2
	v_lshlrev_b32_e32 v5, 4, v0
	s_movk_i32 s22, 0x2000
	s_movk_i32 s20, 0x7c
	v_and_b32_e32 v7, 0x200, v5
	v_or3_b32 v30, v3, v4, s22
	v_lshrrev_b32_e32 v3, 3, v0
	v_mov_b32_e32 v8, 0xeeee
	v_mov_b32_e32 v10, 0x4444
	v_cmp_eq_u32_e32 vcc, 0, v2
	v_and_or_b32 v31, v1, s20, v7
	v_lshlrev_b32_e32 v1, 1, v2
	v_and_or_b32 v2, v3, 6, v2
	v_lshlrev_b32_e32 v4, 7, v0
	v_cndmask_b32_e32 v29, v8, v10, vcc
	v_and_b32_e32 v8, 14, v0
	v_bitop3_b32 v32, v0, 1, v0 bitop3:0xc
	v_sub_u32_e32 v1, v0, v1
	v_sub_u32_e32 v33, 8, v2
	v_mul_lo_u32 v10, s9, v2
	v_bfe_u32 v2, v0, 3, 3
	v_and_b32_e32 v4, 0x200, v4
	v_lshlrev_b32_e32 v0, 5, v0
	v_lshl_or_b32 v4, v2, 2, v4
	v_and_b32_e32 v0, 0x60, v0
	s_abs_i32 s41, s11
	v_or3_b32 v34, v4, v0, s22
	v_cvt_f32_u32_e32 v0, s41
	s_abs_i32 s43, s33
	v_mul_lo_u32 v36, s10, v2
	v_cvt_f32_u32_e32 v2, s43
	v_rcp_iflag_f32_e32 v0, v0
	s_sub_i32 s22, 0, s41
	v_add_u32_e32 v1, 1, v1
	v_rcp_iflag_f32_e32 v2, v2
	v_mul_f32_e32 v0, 0x4f7ffffe, v0
	v_cvt_u32_f32_e32 v0, v0
	v_and_b32_e32 v1, 63, v1
	v_mov_b32_e32 v13, 0
	v_cndmask_b32_e64 v28, 0, 1, s[0:1]
	v_readfirstlane_b32 s23, v0
	v_mul_f32_e32 v0, 0x4f7ffffe, v2
	v_cvt_u32_f32_e32 v0, v0
	s_mul_i32 s22, s22, s23
	s_mul_hi_u32 s22, s23, s22
	s_add_i32 s45, s23, s22
	s_sub_i32 s22, 0, s43
	v_readfirstlane_b32 s23, v0
	v_mbcnt_lo_u32_b32 v0, -1, 0
	s_mul_i32 s22, s22, s23
	v_mbcnt_hi_u32_b32 v0, -1, v0
	s_mul_hi_u32 s22, s23, s22
	v_and_or_b32 v0, v0, 64, v1
	s_mov_b32 s21, 0
	v_ashrrev_i32_e32 v11, 31, v10
	s_lshl_b32 s42, s39, 9
	v_bitop3_b32 v35, v3, 7, v3 bitop3:0xc
	v_and_b32_e32 v14, 0x70, v5
	v_mov_b32_e32 v15, v13
	s_lshl_b32 s20, s13, 9
	s_ashr_i32 s44, s11, 31
	s_ashr_i32 s46, s33, 31
	s_add_i32 s47, s23, s22
	v_lshlrev_b32_e32 v37, 2, v0
	v_lshlrev_b32_e32 v12, 1, v8
	v_mov_b32_e32 v38, v6
	s_branch .LBB1_7
.LBB1_4:                                ;   in Loop: Header=BB1_7 Depth=1
	s_or_b64 exec, exec, s[26:27]
.LBB1_5:                                ;   in Loop: Header=BB1_7 Depth=1
	s_or_b64 exec, exec, s[24:25]
	v_subrev_u32_e32 v38, s48, v38
.LBB1_6:                                ;   in Loop: Header=BB1_7 Depth=1
	s_or_b64 exec, exec, s[22:23]
	s_add_i32 s38, s38, 1
	v_cmp_ge_i32_e32 vcc, s38, v9
	s_cbranch_vccnz .LBB1_41
.LBB1_7:                                ; =>This Loop Header: Depth=1
                                        ;     Child Loop BB1_13 Depth 2
                                        ;       Child Loop BB1_15 Depth 3
                                        ;       Child Loop BB1_18 Depth 3
                                        ;     Child Loop BB1_28 Depth 2
                                        ;       Child Loop BB1_30 Depth 3
                                        ;     Child Loop BB1_38 Depth 2
                                        ;       Child Loop BB1_40 Depth 3
	s_abs_i32 s23, s38
	s_mul_hi_u32 s24, s23, s45
	s_mul_i32 s25, s24, s41
	s_ashr_i32 s22, s38, 31
	s_sub_i32 s23, s23, s25
	s_xor_b32 s22, s22, s44
	s_add_i32 s25, s24, 1
	s_sub_i32 s26, s23, s41
	s_cmp_ge_u32 s23, s41
	s_cselect_b32 s24, s25, s24
	s_cselect_b32 s23, s26, s23
	s_add_i32 s25, s24, 1
	s_cmp_ge_u32 s23, s41
	s_cselect_b32 s23, s25, s24
	s_xor_b32 s23, s23, s22
	s_sub_i32 s52, s23, s22
	s_abs_i32 s23, s52
	s_mul_i32 s22, s52, s11
	s_mul_hi_u32 s24, s23, s47
	s_sub_i32 s22, s38, s22
	s_mul_i32 s25, s24, s43
	s_lshl_b32 s49, s22, 3
	s_ashr_i32 s22, s52, 31
	s_sub_i32 s23, s23, s25
	s_xor_b32 s22, s22, s46
	s_add_i32 s25, s24, 1
	s_sub_i32 s26, s23, s43
	s_cmp_ge_u32 s23, s43
	s_cselect_b32 s24, s25, s24
	s_cselect_b32 s23, s26, s23
	s_add_i32 s25, s24, 1
	s_cmp_ge_u32 s23, s43
	s_cselect_b32 s23, s25, s24
	s_xor_b32 s23, s23, s22
	s_sub_i32 s51, s23, s22
	s_cmp_eq_u32 s51, s12
	s_cselect_b32 s48, s40, s39
	s_sub_i32 s50, s49, s8
	s_add_i32 s50, s50, 8
	s_and_saveexec_b64 s[22:23], s[2:3]
	s_xor_b64 s[22:23], exec, s[22:23]
	s_cbranch_execz .LBB1_34
; %bb.8:                                ;   in Loop: Header=BB1_7 Depth=1
	s_and_saveexec_b64 s[24:25], s[0:1]
	s_xor_b64 s[24:25], exec, s[24:25]
	s_cbranch_execz .LBB1_24
; %bb.9:                                ;   in Loop: Header=BB1_7 Depth=1
	s_and_saveexec_b64 s[26:27], s[4:5]
	s_cbranch_execz .LBB1_23
; %bb.10:                               ;   in Loop: Header=BB1_7 Depth=1
	s_waitcnt lgkmcnt(0)
	global_load_dword v39, v13, s[18:19]
	v_mov_b32_e32 v3, 0
	v_cmp_gt_i32_e32 vcc, s48, v38
	v_mov_b32_e32 v2, v3
	v_mov_b32_e32 v1, v3
	;; [unrolled: 1-line block ×3, first 2 shown]
	s_and_saveexec_b64 s[28:29], vcc
	s_cbranch_execz .LBB1_20
; %bb.11:                               ;   in Loop: Header=BB1_7 Depth=1
	v_mov_b32_e32 v0, 0
	s_mov_b64 s[30:31], 0
	v_mov_b32_e32 v1, v0
	v_mov_b32_e32 v2, v0
	;; [unrolled: 1-line block ×3, first 2 shown]
	s_branch .LBB1_13
.LBB1_12:                               ;   in Loop: Header=BB1_13 Depth=2
	s_or_b64 exec, exec, s[34:35]
	v_lshl_or_b32 v43, v40, 13, v31
	ds_read2_b32 v[44:45], v43 offset1:32
	ds_read2_b32 v[46:47], v43 offset0:64 offset1:96
	v_add_u32_e32 v50, 0x400, v43
	ds_read2_b32 v[48:49], v50 offset1:32
	ds_read2_b32 v[50:51], v50 offset0:64 offset1:96
	v_add_u32_e32 v38, s15, v38
	v_cmp_le_i32_e32 vcc, s48, v38
	s_waitcnt lgkmcnt(2)
	v_smfmac_f32_16x16x64_fp8_fp8 v[0:3], v[26:27], v[44:47], v29 cbsz:7 abid:1
	v_add_u32_e32 v26, 0x800, v43
	ds_read2_b32 v[44:45], v26 offset1:32
	ds_read2_b32 v[46:47], v26 offset0:64 offset1:96
	v_add_u32_e32 v26, 0xc00, v43
	s_waitcnt lgkmcnt(2)
	v_smfmac_f32_16x16x64_fp8_fp8 v[0:3], v[24:25], v[48:51], v29 cbsz:7 abid:1
	ds_read2_b32 v[24:25], v26 offset1:32
	ds_read2_b32 v[26:27], v26 offset0:64 offset1:96
	s_or_b64 s[30:31], vcc, s[30:31]
	s_waitcnt lgkmcnt(2)
	v_smfmac_f32_16x16x64_fp8_fp8 v[0:3], v[22:23], v[44:47], v29 cbsz:7 abid:1
	v_add_u32_e32 v22, 0x1000, v43
	ds_read2_b32 v[44:45], v22 offset1:32
	ds_read2_b32 v[46:47], v22 offset0:64 offset1:96
	v_add_u32_e32 v22, 0x1400, v43
	s_waitcnt lgkmcnt(2)
	v_smfmac_f32_16x16x64_fp8_fp8 v[0:3], v[20:21], v[24:27], v29 cbsz:7 abid:1
	ds_read2_b32 v[20:21], v22 offset1:32
	ds_read2_b32 v[22:23], v22 offset0:64 offset1:96
	s_waitcnt lgkmcnt(2)
	v_smfmac_f32_16x16x64_fp8_fp8 v[0:3], v[18:19], v[44:47], v29 cbsz:7 abid:1
	v_add_u32_e32 v18, 0x1800, v43
	ds_read2_b32 v[24:25], v18 offset1:32
	ds_read2_b32 v[26:27], v18 offset0:64 offset1:96
	v_add_u32_e32 v18, 0x1c00, v43
	s_waitcnt lgkmcnt(2)
	v_smfmac_f32_16x16x64_fp8_fp8 v[0:3], v[16:17], v[20:23], v29 cbsz:7 abid:1
	ds_read2_b32 v[16:17], v18 offset1:32
	ds_read2_b32 v[18:19], v18 offset0:64 offset1:96
	ds_write_b32 v41, v42 offset:4
	s_waitcnt lgkmcnt(3)
	v_smfmac_f32_16x16x64_fp8_fp8 v[0:3], v[6:7], v[24:27], v29 cbsz:7 abid:1
	v_add_u32_e32 v6, s15, v40
	v_add_u32_e32 v7, 2, v28
	v_cmp_lt_i32_e32 vcc, 0, v6
	s_waitcnt lgkmcnt(1)
	v_smfmac_f32_16x16x64_fp8_fp8 v[0:3], v[4:5], v[16:19], v29 cbsz:7 abid:1
	v_cndmask_b32_e32 v28, v28, v7, vcc
	s_andn2_b64 exec, exec, s[30:31]
	s_cbranch_execz .LBB1_19
.LBB1_13:                               ;   Parent Loop BB1_7 Depth=1
                                        ; =>  This Loop Header: Depth=2
                                        ;       Child Loop BB1_15 Depth 3
                                        ;       Child Loop BB1_18 Depth 3
	v_cmp_lt_i32_e32 vcc, 0, v6
	s_nop 1
	v_subbrev_co_u32_e32 v40, vcc, 0, v6, vcc
	v_lshlrev_b32_e32 v4, 2, v40
	ds_read_b32 v5, v4 offset:12288
	v_add_u32_e32 v41, 0x3000, v4
	s_waitcnt lgkmcnt(0)
	v_cmp_ne_u32_e32 vcc, v5, v28
	s_and_saveexec_b64 s[34:35], vcc
	s_cbranch_execz .LBB1_16
; %bb.14:                               ;   in Loop: Header=BB1_13 Depth=2
	s_mov_b64 s[36:37], 0
.LBB1_15:                               ;   Parent Loop BB1_7 Depth=1
                                        ;     Parent Loop BB1_13 Depth=2
                                        ; =>    This Inner Loop Header: Depth=3
	;;#ASMSTART
	s_sleep 0
	;;#ASMEND
	ds_read_b32 v4, v41
	s_waitcnt lgkmcnt(0)
	v_cmp_eq_u32_e32 vcc, v4, v28
	s_or_b64 s[36:37], vcc, s[36:37]
	s_andn2_b64 exec, exec, s[36:37]
	s_cbranch_execnz .LBB1_15
.LBB1_16:                               ;   in Loop: Header=BB1_13 Depth=2
	s_or_b64 exec, exec, s[34:35]
	v_lshl_add_u32 v4, v40, 12, v30
	v_add_u32_e32 v5, 0x400, v4
	ds_read2_b32 v[26:27], v4 offset1:32
	ds_read2_b32 v[24:25], v4 offset0:128 offset1:160
	ds_read2_b32 v[22:23], v5 offset1:32
	ds_read2_b32 v[20:21], v5 offset0:128 offset1:160
	v_add_u32_e32 v5, 0x800, v4
	v_add_u32_e32 v4, 0xc00, v4
	ds_read2_b32 v[18:19], v5 offset1:32
	ds_read2_b32 v[16:17], v5 offset0:128 offset1:160
	ds_read2_b32 v[6:7], v4 offset1:32
	ds_read2_b32 v[4:5], v4 offset0:128 offset1:160
	;;#ASMSTART
	s_waitcnt lgkmcnt(0)
	;;#ASMEND
	ds_read_b32 v43, v41 offset:4
	v_add_u32_e32 v42, 1, v28
	ds_write_b32 v41, v42
	s_waitcnt lgkmcnt(1)
	v_cmp_ne_u32_e32 vcc, v43, v28
	s_and_saveexec_b64 s[34:35], vcc
	s_cbranch_execz .LBB1_12
; %bb.17:                               ;   in Loop: Header=BB1_13 Depth=2
	s_mov_b64 s[36:37], 0
.LBB1_18:                               ;   Parent Loop BB1_7 Depth=1
                                        ;     Parent Loop BB1_13 Depth=2
                                        ; =>    This Inner Loop Header: Depth=3
	;;#ASMSTART
	s_sleep 0
	;;#ASMEND
	ds_read_b32 v43, v41 offset:4
	s_waitcnt lgkmcnt(0)
	v_cmp_eq_u32_e32 vcc, v43, v28
	s_or_b64 s[36:37], vcc, s[36:37]
	s_andn2_b64 exec, exec, s[36:37]
	s_cbranch_execnz .LBB1_18
	s_branch .LBB1_12
.LBB1_19:                               ;   in Loop: Header=BB1_7 Depth=1
	s_or_b64 exec, exec, s[30:31]
.LBB1_20:                               ;   in Loop: Header=BB1_7 Depth=1
	s_or_b64 exec, exec, s[28:29]
	s_mul_i32 s28, s51, s33
	s_sub_i32 s28, s52, s28
	s_lshl_b32 s30, s28, 4
	s_sub_i32 s31, s30, s9
	s_add_i32 s31, s31, 16
	v_cmp_le_i32_e32 vcc, s31, v8
	v_mov_b32_e32 v16, v1
	v_mov_b32_e32 v17, v2
	;; [unrolled: 1-line block ×3, first 2 shown]
	s_waitcnt vmcnt(0)
	v_cndmask_b32_e32 v4, 0, v39, vcc
	v_pk_add_f32 v[0:1], v[16:17], v[0:1]
	v_cmp_ne_u32_e32 vcc, 0, v32
	v_pk_mul_f32 v[0:1], v[4:5], v[0:1] op_sel_hi:[0,1]
	s_nop 0
	v_cndmask_b32_e32 v4, v0, v1, vcc
	v_cmp_eq_u32_e32 vcc, 2, v32
	s_nop 1
	v_cndmask_b32_e32 v2, v4, v2, vcc
	v_cmp_eq_u32_e32 vcc, 3, v32
	s_nop 1
	v_cndmask_b32_e32 v2, v2, v3, vcc
	ds_bpermute_b32 v2, v37, v2
	v_cmp_lt_i32_e32 vcc, s50, v33
	s_and_saveexec_b64 s[28:29], vcc
	s_cbranch_execz .LBB1_22
; %bb.21:                               ;   in Loop: Header=BB1_7 Depth=1
	s_mul_i32 s34, s49, s9
	s_max_i32 s31, s31, 0
	s_ashr_i32 s35, s34, 31
	s_sub_i32 s30, s30, s31
	s_lshl_b64 s[34:35], s[34:35], 1
	v_cmp_ne_u32_e32 vcc, 0, v32
	s_add_u32 s34, s16, s34
	s_addc_u32 s35, s17, s35
	s_waitcnt lgkmcnt(0)
	v_cndmask_b32_e32 v1, v1, v2, vcc
	v_cmp_eq_u32_e32 vcc, 0, v32
	s_ashr_i32 s31, s30, 31
	s_lshl_b64 s[30:31], s[30:31], 1
	v_cndmask_b32_e32 v0, v0, v2, vcc
	v_cvt_f16_f32_e32 v2, v0
	v_cvt_f16_f32_sdwa v3, v1 dst_sel:WORD_1 dst_unused:UNUSED_PAD src0_sel:DWORD
	s_add_u32 s30, s34, s30
	s_addc_u32 s31, s35, s31
	v_lshl_add_u64 v[0:1], v[10:11], 1, s[30:31]
	v_lshl_add_u64 v[0:1], v[0:1], 0, v[12:13]
	v_or_b32_e32 v2, v3, v2
	;;#ASMSTART
	global_atomic_pk_add_f16 v[0:1], v2, off
	
	;;#ASMEND
.LBB1_22:                               ;   in Loop: Header=BB1_7 Depth=1
	s_or_b64 exec, exec, s[28:29]
	v_subrev_u32_e32 v38, s48, v38
.LBB1_23:                               ;   in Loop: Header=BB1_7 Depth=1
	s_or_b64 exec, exec, s[26:27]
.LBB1_24:                               ;   in Loop: Header=BB1_7 Depth=1
	s_andn2_saveexec_b64 s[24:25], s[24:25]
	s_cbranch_execz .LBB1_33
; %bb.25:                               ;   in Loop: Header=BB1_7 Depth=1
	v_cmp_gt_i32_e32 vcc, s48, v38
	s_and_saveexec_b64 s[26:27], vcc
	s_cbranch_execz .LBB1_32
; %bb.26:                               ;   in Loop: Header=BB1_7 Depth=1
	s_mov_b64 s[28:29], 0
	s_branch .LBB1_28
.LBB1_27:                               ;   in Loop: Header=BB1_28 Depth=2
	s_or_b64 exec, exec, s[30:31]
	v_add_u32_e32 v38, s14, v38
	v_add_u32_e32 v6, s14, v0
	v_cmp_le_i32_e32 vcc, s48, v38
	v_add_u32_e32 v0, 2, v28
	s_or_b64 s[28:29], vcc, s[28:29]
	v_cmp_lt_i32_e32 vcc, 0, v6
	v_add_u32_e32 v2, 1, v28
	;;#ASMSTART
	s_waitcnt vmcnt(3)
	;;#ASMEND
	;;#ASMSTART
	s_waitcnt vmcnt(2)
	;;#ASMEND
	;; [unrolled: 3-line block ×4, first 2 shown]
	s_nop 0
	v_cndmask_b32_e32 v28, v28, v0, vcc
	ds_write_b32 v1, v2 offset:4
	s_andn2_b64 exec, exec, s[28:29]
	s_cbranch_execz .LBB1_31
.LBB1_28:                               ;   Parent Loop BB1_7 Depth=1
                                        ; =>  This Loop Header: Depth=2
                                        ;       Child Loop BB1_30 Depth 3
	v_cmp_lt_i32_e32 vcc, 0, v6
	s_nop 1
	v_subbrev_co_u32_e32 v0, vcc, 0, v6, vcc
	v_lshlrev_b32_e32 v1, 2, v0
	s_waitcnt lgkmcnt(0)
	ds_read_b32 v2, v1 offset:12292
	v_add_u32_e32 v1, 0x3000, v1
	s_waitcnt lgkmcnt(0)
	v_cmp_ne_u32_e32 vcc, v2, v28
	s_and_saveexec_b64 s[30:31], vcc
	s_cbranch_execz .LBB1_27
; %bb.29:                               ;   in Loop: Header=BB1_28 Depth=2
	s_mov_b64 s[34:35], 0
.LBB1_30:                               ;   Parent Loop BB1_7 Depth=1
                                        ;     Parent Loop BB1_28 Depth=2
                                        ; =>    This Inner Loop Header: Depth=3
	;;#ASMSTART
	s_sleep 0
	;;#ASMEND
	ds_read_b32 v2, v1 offset:4
	s_waitcnt lgkmcnt(0)
	v_cmp_eq_u32_e32 vcc, v2, v28
	s_or_b64 s[34:35], vcc, s[34:35]
	s_andn2_b64 exec, exec, s[34:35]
	s_cbranch_execnz .LBB1_30
	s_branch .LBB1_27
.LBB1_31:                               ;   in Loop: Header=BB1_7 Depth=1
	s_or_b64 exec, exec, s[28:29]
.LBB1_32:                               ;   in Loop: Header=BB1_7 Depth=1
	s_or_b64 exec, exec, s[26:27]
	v_subrev_u32_e32 v38, s48, v38
.LBB1_33:                               ;   in Loop: Header=BB1_7 Depth=1
	s_or_b64 exec, exec, s[24:25]
.LBB1_34:                               ;   in Loop: Header=BB1_7 Depth=1
	s_andn2_saveexec_b64 s[22:23], s[22:23]
	s_cbranch_execz .LBB1_6
; %bb.35:                               ;   in Loop: Header=BB1_7 Depth=1
	v_cmp_gt_i32_e32 vcc, s48, v38
	s_and_saveexec_b64 s[24:25], vcc
	s_cbranch_execz .LBB1_5
; %bb.36:                               ;   in Loop: Header=BB1_7 Depth=1
	s_mul_i32 s49, s49, s10
	s_ashr_i32 s26, s49, 31
	s_waitcnt lgkmcnt(0)
	s_add_u32 s27, s6, s49
	s_mul_i32 s51, s51, s42
	s_addc_u32 s28, s7, s26
	s_ashr_i32 s29, s51, 31
	v_cmp_le_i32_e32 vcc, s50, v35
	s_add_u32 s26, s27, s51
	s_addc_u32 s27, s28, s29
	v_cndmask_b32_e32 v0, 0, v36, vcc
	v_ashrrev_i32_e32 v1, 31, v0
	v_lshl_add_u64 v[0:1], s[26:27], 0, v[0:1]
	v_lshlrev_b32_e32 v2, 9, v38
	v_lshl_add_u64 v[0:1], v[0:1], 0, v[14:15]
	v_ashrrev_i32_e32 v3, 31, v2
	v_lshl_add_u64 v[16:17], v[0:1], 0, v[2:3]
	s_mov_b64 s[26:27], 0
	s_branch .LBB1_38
.LBB1_37:                               ;   in Loop: Header=BB1_38 Depth=2
	s_or_b64 exec, exec, s[28:29]
	;;#ASMSTART
	s_waitcnt vmcnt(1)
	v_pack_b32_f16 v20, v4, v5, op_sel:[0,0]
	v_pack_b32_f16 v21, v4, v5, op_sel:[1,1]
	;; [unrolled: 1-line block ×4, first 2 shown]
	v_swap_b32 v20, v4
	v_swap_b32 v21, v6
	;; [unrolled: 1-line block ×4, first 2 shown]
	;;#ASMEND
	v_add_u32_e32 v38, s13, v38
	v_lshl_add_u32 v20, v18, 12, v34
	ds_write2_b32 v20, v4, v5 offset1:32
	ds_write2_b32 v20, v6, v7 offset0:64 offset1:96
	;;#ASMSTART
	s_waitcnt vmcnt(0)
	v_pack_b32_f16 v4, v0, v1, op_sel:[0,0]
	v_pack_b32_f16 v5, v0, v1, op_sel:[1,1]
	;; [unrolled: 1-line block ×4, first 2 shown]
	v_swap_b32 v4, v0
	v_swap_b32 v5, v2
	;; [unrolled: 1-line block ×4, first 2 shown]
	;;#ASMEND
	v_cmp_le_i32_e32 vcc, s48, v38
	v_add_u32_e32 v4, 0x400, v20
	ds_write2_b32 v4, v0, v1 offset1:32
	ds_write2_b32 v4, v2, v3 offset0:64 offset1:96
	v_add_u32_e32 v0, 1, v28
	v_add_u32_e32 v6, s13, v18
	ds_write_b32 v19, v0
	v_add_u32_e32 v0, 2, v28
	s_or_b64 s[26:27], vcc, s[26:27]
	v_cmp_lt_i32_e32 vcc, 0, v6
	v_lshl_add_u64 v[16:17], v[16:17], 0, s[20:21]
	s_nop 0
	v_cndmask_b32_e32 v28, v28, v0, vcc
	s_andn2_b64 exec, exec, s[26:27]
	s_cbranch_execz .LBB1_4
.LBB1_38:                               ;   Parent Loop BB1_7 Depth=1
                                        ; =>  This Loop Header: Depth=2
                                        ;       Child Loop BB1_40 Depth 3
	v_cmp_lt_i32_e32 vcc, 0, v6
	s_nop 1
	v_subbrev_co_u32_e32 v18, vcc, 0, v6, vcc
	v_lshlrev_b32_e32 v19, 2, v18
	;;#ASMSTART
	global_load_dwordx4 v[4:7], v[16:17], off offset:0  
	global_load_dwordx4 v[0:3], v[16:17], off offset:128
	
	;;#ASMEND
	ds_read_b32 v20, v19 offset:12288
	v_add_u32_e32 v19, 0x3000, v19
	s_waitcnt lgkmcnt(0)
	v_cmp_ne_u32_e32 vcc, v20, v28
	s_and_saveexec_b64 s[28:29], vcc
	s_cbranch_execz .LBB1_37
; %bb.39:                               ;   in Loop: Header=BB1_38 Depth=2
	s_mov_b64 s[30:31], 0
.LBB1_40:                               ;   Parent Loop BB1_7 Depth=1
                                        ;     Parent Loop BB1_38 Depth=2
                                        ; =>    This Inner Loop Header: Depth=3
	;;#ASMSTART
	s_sleep 0
	;;#ASMEND
	ds_read_b32 v20, v19
	s_waitcnt lgkmcnt(0)
	v_cmp_eq_u32_e32 vcc, v20, v28
	s_or_b64 s[30:31], vcc, s[30:31]
	s_andn2_b64 exec, exec, s[30:31]
	s_cbranch_execnz .LBB1_40
	s_branch .LBB1_37
.LBB1_41:
	s_endpgm
	.section	.rodata,"a",@progbits
	.p2align	6, 0x0
	.amdhsa_kernel _Z19_skinny_gemm_kernelILi1ELi1ELi1ELi8ELi8EEvPKhS1_P6__halfPKfiiiiiiii
		.amdhsa_group_segment_fixed_size 12296
		.amdhsa_private_segment_fixed_size 0
		.amdhsa_kernarg_size 64
		.amdhsa_user_sgpr_count 2
		.amdhsa_user_sgpr_dispatch_ptr 0
		.amdhsa_user_sgpr_queue_ptr 0
		.amdhsa_user_sgpr_kernarg_segment_ptr 1
		.amdhsa_user_sgpr_dispatch_id 0
		.amdhsa_user_sgpr_kernarg_preload_length 0
		.amdhsa_user_sgpr_kernarg_preload_offset 0
		.amdhsa_user_sgpr_private_segment_size 0
		.amdhsa_uses_dynamic_stack 0
		.amdhsa_enable_private_segment 0
		.amdhsa_system_sgpr_workgroup_id_x 1
		.amdhsa_system_sgpr_workgroup_id_y 0
		.amdhsa_system_sgpr_workgroup_id_z 0
		.amdhsa_system_sgpr_workgroup_info 0
		.amdhsa_system_vgpr_workitem_id 0
		.amdhsa_next_free_vgpr 52
		.amdhsa_next_free_sgpr 53
		.amdhsa_accum_offset 52
		.amdhsa_reserve_vcc 1
		.amdhsa_float_round_mode_32 0
		.amdhsa_float_round_mode_16_64 0
		.amdhsa_float_denorm_mode_32 3
		.amdhsa_float_denorm_mode_16_64 3
		.amdhsa_dx10_clamp 1
		.amdhsa_ieee_mode 1
		.amdhsa_fp16_overflow 0
		.amdhsa_tg_split 0
		.amdhsa_exception_fp_ieee_invalid_op 0
		.amdhsa_exception_fp_denorm_src 0
		.amdhsa_exception_fp_ieee_div_zero 0
		.amdhsa_exception_fp_ieee_overflow 0
		.amdhsa_exception_fp_ieee_underflow 0
		.amdhsa_exception_fp_ieee_inexact 0
		.amdhsa_exception_int_div_zero 0
	.end_amdhsa_kernel
	.section	.text._Z19_skinny_gemm_kernelILi1ELi1ELi1ELi8ELi8EEvPKhS1_P6__halfPKfiiiiiiii,"axG",@progbits,_Z19_skinny_gemm_kernelILi1ELi1ELi1ELi8ELi8EEvPKhS1_P6__halfPKfiiiiiiii,comdat
.Lfunc_end1:
	.size	_Z19_skinny_gemm_kernelILi1ELi1ELi1ELi8ELi8EEvPKhS1_P6__halfPKfiiiiiiii, .Lfunc_end1-_Z19_skinny_gemm_kernelILi1ELi1ELi1ELi8ELi8EEvPKhS1_P6__halfPKfiiiiiiii
                                        ; -- End function
	.set _Z19_skinny_gemm_kernelILi1ELi1ELi1ELi8ELi8EEvPKhS1_P6__halfPKfiiiiiiii.num_vgpr, 52
	.set _Z19_skinny_gemm_kernelILi1ELi1ELi1ELi8ELi8EEvPKhS1_P6__halfPKfiiiiiiii.num_agpr, 0
	.set _Z19_skinny_gemm_kernelILi1ELi1ELi1ELi8ELi8EEvPKhS1_P6__halfPKfiiiiiiii.numbered_sgpr, 53
	.set _Z19_skinny_gemm_kernelILi1ELi1ELi1ELi8ELi8EEvPKhS1_P6__halfPKfiiiiiiii.num_named_barrier, 0
	.set _Z19_skinny_gemm_kernelILi1ELi1ELi1ELi8ELi8EEvPKhS1_P6__halfPKfiiiiiiii.private_seg_size, 0
	.set _Z19_skinny_gemm_kernelILi1ELi1ELi1ELi8ELi8EEvPKhS1_P6__halfPKfiiiiiiii.uses_vcc, 1
	.set _Z19_skinny_gemm_kernelILi1ELi1ELi1ELi8ELi8EEvPKhS1_P6__halfPKfiiiiiiii.uses_flat_scratch, 0
	.set _Z19_skinny_gemm_kernelILi1ELi1ELi1ELi8ELi8EEvPKhS1_P6__halfPKfiiiiiiii.has_dyn_sized_stack, 0
	.set _Z19_skinny_gemm_kernelILi1ELi1ELi1ELi8ELi8EEvPKhS1_P6__halfPKfiiiiiiii.has_recursion, 0
	.set _Z19_skinny_gemm_kernelILi1ELi1ELi1ELi8ELi8EEvPKhS1_P6__halfPKfiiiiiiii.has_indirect_call, 0
	.section	.AMDGPU.csdata,"",@progbits
; Kernel info:
; codeLenInByte = 2828
; TotalNumSgprs: 59
; NumVgprs: 52
; NumAgprs: 0
; TotalNumVgprs: 52
; ScratchSize: 0
; MemoryBound: 0
; FloatMode: 240
; IeeeMode: 1
; LDSByteSize: 12296 bytes/workgroup (compile time only)
; SGPRBlocks: 7
; VGPRBlocks: 6
; NumSGPRsForWavesPerEU: 59
; NumVGPRsForWavesPerEU: 52
; AccumOffset: 52
; Occupancy: 8
; WaveLimiterHint : 0
; COMPUTE_PGM_RSRC2:SCRATCH_EN: 0
; COMPUTE_PGM_RSRC2:USER_SGPR: 2
; COMPUTE_PGM_RSRC2:TRAP_HANDLER: 0
; COMPUTE_PGM_RSRC2:TGID_X_EN: 1
; COMPUTE_PGM_RSRC2:TGID_Y_EN: 0
; COMPUTE_PGM_RSRC2:TGID_Z_EN: 0
; COMPUTE_PGM_RSRC2:TIDIG_COMP_CNT: 0
; COMPUTE_PGM_RSRC3_GFX90A:ACCUM_OFFSET: 12
; COMPUTE_PGM_RSRC3_GFX90A:TG_SPLIT: 0
	.section	.text._Z19_skinny_gemm_kernelILi1ELi1ELi1ELi16ELi4EEvPKhS1_P6__halfPKfiiiiiiii,"axG",@progbits,_Z19_skinny_gemm_kernelILi1ELi1ELi1ELi16ELi4EEvPKhS1_P6__halfPKfiiiiiiii,comdat
	.protected	_Z19_skinny_gemm_kernelILi1ELi1ELi1ELi16ELi4EEvPKhS1_P6__halfPKfiiiiiiii ; -- Begin function _Z19_skinny_gemm_kernelILi1ELi1ELi1ELi16ELi4EEvPKhS1_P6__halfPKfiiiiiiii
	.globl	_Z19_skinny_gemm_kernelILi1ELi1ELi1ELi16ELi4EEvPKhS1_P6__halfPKfiiiiiiii
	.p2align	8
	.type	_Z19_skinny_gemm_kernelILi1ELi1ELi1ELi16ELi4EEvPKhS1_P6__halfPKfiiiiiiii,@function
_Z19_skinny_gemm_kernelILi1ELi1ELi1ELi16ELi4EEvPKhS1_P6__halfPKfiiiiiiii: ; @_Z19_skinny_gemm_kernelILi1ELi1ELi1ELi16ELi4EEvPKhS1_P6__halfPKfiiiiiiii
; %bb.0:
	v_cmp_gt_u32_e32 vcc, 2, v0
	v_lshlrev_b32_e32 v1, 2, v0
	s_and_saveexec_b64 s[4:5], vcc
; %bb.1:
	v_mov_b32_e32 v2, 0
	ds_write_b32 v1, v2 offset:4096
; %bb.2:
	s_or_b64 exec, exec, s[4:5]
	s_load_dwordx8 s[12:19], s[0:1], 0x20
	s_waitcnt lgkmcnt(0)
	s_barrier
	s_add_i32 s3, s12, 15
	s_ashr_i32 s5, s3, 31
	s_add_i32 s4, s13, 15
	s_lshr_b32 s5, s5, 28
	s_ashr_i32 s6, s4, 31
	s_add_i32 s3, s3, s5
	s_ashr_i32 s33, s3, 4
	s_lshr_b32 s3, s6, 28
	s_add_i32 s4, s4, s3
	s_ashr_i32 s42, s4, 4
	s_mul_i32 s3, s42, s33
	s_mul_i32 s3, s3, s16
	s_add_i32 s4, s3, 0x12f
	s_mul_hi_i32 s4, s4, 0x6bca1af3
	s_lshr_b32 s5, s4, 31
	s_ashr_i32 s4, s4, 7
	s_add_i32 s4, s4, s5
	s_add_i32 s5, s2, 1
	s_mul_i32 s5, s4, s5
	v_cvt_f64_i32_e32 v[2:3], s3
	v_cvt_f64_u32_e32 v[4:5], s5
	v_min_f64 v[2:3], v[2:3], v[4:5]
	v_cvt_i32_f64_e32 v9, v[2:3]
	s_mul_i32 s43, s4, s2
	v_cmp_ge_i32_e32 vcc, s43, v9
	s_cbranch_vccnz .LBB2_42
; %bb.3:
	v_lshrrev_b32_e32 v2, 6, v0
	s_add_i32 s4, s18, s17
	s_load_dwordx8 s[20:27], s[0:1], 0x0
	v_cmp_le_i32_e64 s[0:1], s4, v2
	v_mov_b32_e32 v3, s17
	v_cmp_le_i32_e64 s[2:3], s17, v2
	v_mov_b32_e32 v4, s18
	v_cndmask_b32_e64 v4, 0, v4, s[0:1]
	v_cndmask_b32_e64 v3, 0, v3, s[2:3]
	s_abs_i32 s5, s16
	v_add_u32_e32 v3, v3, v4
	v_cvt_f32_u32_e32 v4, s5
	v_sub_u32_e32 v18, v2, v3
	s_ashr_i32 s6, s14, 31
	s_lshr_b32 s6, s6, 25
	v_rcp_iflag_f32_e32 v3, v4
	s_sub_i32 s9, 0, s5
	s_add_i32 s6, s14, s6
	s_ashr_i32 s6, s6, 7
	v_mul_f32_e32 v3, 0x4f7ffffe, v3
	v_cvt_u32_f32_e32 v3, v3
	s_abs_i32 s8, s6
	s_xor_b32 s7, s6, s16
	s_ashr_i32 s7, s7, 31
	v_readfirstlane_b32 s10, v3
	s_mul_i32 s9, s9, s10
	s_mul_hi_u32 s9, s10, s9
	s_add_i32 s10, s10, s9
	s_mul_hi_u32 s9, s8, s10
	s_mul_i32 s10, s9, s5
	s_sub_i32 s8, s8, s10
	s_add_i32 s10, s9, 1
	s_sub_i32 s11, s8, s5
	s_cmp_ge_u32 s8, s5
	s_cselect_b32 s9, s10, s9
	s_cselect_b32 s8, s11, s8
	s_add_i32 s10, s9, 1
	s_cmp_ge_u32 s8, s5
	s_cselect_b32 s5, s10, s9
	s_xor_b32 s5, s5, s7
	s_sub_i32 s44, s5, s7
	s_add_i32 s16, s16, -1
	s_mul_i32 s5, s44, s16
	s_add_i32 s4, s4, s19
	s_sub_i32 s45, s6, s5
	v_cmp_gt_i32_e64 s[4:5], s4, v2
	v_lshlrev_b32_e32 v2, 1, v0
	v_lshlrev_b32_e32 v3, 4, v0
	v_and_b32_e32 v1, 60, v1
	v_and_b32_e32 v2, 64, v2
	;; [unrolled: 1-line block ×3, first 2 shown]
	s_abs_i32 s46, s33
	v_or3_b32 v21, v1, v2, v4
	v_and_b32_e32 v1, 1, v0
	v_cvt_f32_u32_e32 v6, s46
	v_lshlrev_b32_e32 v2, 1, v1
	v_lshrrev_b32_e32 v4, 2, v0
	v_and_b32_e32 v8, 14, v0
	v_sub_u32_e32 v2, v0, v2
	v_and_or_b32 v23, v4, 12, v1
	v_bitop3_b32 v24, v0, 1, v0 bitop3:0xc
	v_bitop3_b32 v25, v0, 3, 1 bitop3:0x6c
	v_and_b32_e32 v12, 48, v3
	v_bfe_u32 v1, v0, 2, 4
	v_and_b32_e32 v3, 60, v0
	v_lshlrev_b32_e32 v5, 8, v0
	v_lshlrev_b32_e32 v0, 6, v0
	v_and_b32_e32 v5, 0x200, v5
	v_and_b32_e32 v0, 64, v0
	v_or3_b32 v26, v3, v5, v0
	v_rcp_iflag_f32_e32 v0, v6
	s_abs_i32 s47, s42
	v_mul_lo_u32 v14, s15, v1
	v_mul_lo_u32 v29, s14, v1
	v_cvt_f32_u32_e32 v1, s47
	v_mul_f32_e32 v0, 0x4f7ffffe, v0
	v_cvt_u32_f32_e32 v0, v0
	v_mad_u64_u32 v[10:11], s[6:7], s13, v23, v[8:9]
	v_rcp_iflag_f32_e32 v1, v1
	v_readfirstlane_b32 s7, v0
	s_sub_i32 s6, 0, s46
	s_mul_i32 s6, s6, s7
	v_mul_f32_e32 v0, 0x4f7ffffe, v1
	v_cvt_u32_f32_e32 v0, v0
	s_mul_hi_u32 s6, s7, s6
	v_add_u32_e32 v2, 1, v2
	s_add_i32 s49, s7, s6
	s_sub_i32 s6, 0, s47
	v_readfirstlane_b32 s7, v0
	v_mbcnt_lo_u32_b32 v0, -1, 0
	v_and_b32_e32 v2, 63, v2
	s_mul_i32 s6, s6, s7
	v_mbcnt_hi_u32_b32 v0, -1, v0
	s_mul_hi_u32 s6, s7, s6
	v_and_or_b32 v0, v0, 64, v2
	v_cndmask_b32_e64 v20, 0, 1, s[0:1]
	v_or_b32_e32 v22, 0x800, v21
	v_ashrrev_i32_e32 v11, 31, v10
	s_ashr_i32 s11, s13, 31
	s_mov_b32 s10, s13
	v_ashrrev_i32_e32 v15, 31, v14
	v_mov_b32_e32 v13, 0
	v_or_b32_e32 v27, 0x800, v26
	v_bitop3_b32 v28, v4, 15, v4 bitop3:0xc
	s_ashr_i32 s48, s33, 31
	s_ashr_i32 s50, s42, 31
	s_add_i32 s51, s7, s6
	v_lshlrev_b32_e32 v30, 2, v0
	v_mov_b32_e32 v31, v18
	s_branch .LBB2_7
.LBB2_4:                                ;   in Loop: Header=BB2_7 Depth=1
	s_or_b64 exec, exec, s[28:29]
.LBB2_5:                                ;   in Loop: Header=BB2_7 Depth=1
	s_or_b64 exec, exec, s[8:9]
	v_subrev_u32_e32 v31, s52, v31
.LBB2_6:                                ;   in Loop: Header=BB2_7 Depth=1
	s_or_b64 exec, exec, s[6:7]
	s_add_i32 s43, s43, 1
	v_cmp_ge_i32_e32 vcc, s43, v9
	s_cbranch_vccnz .LBB2_42
.LBB2_7:                                ; =>This Loop Header: Depth=1
                                        ;     Child Loop BB2_13 Depth 2
                                        ;       Child Loop BB2_15 Depth 3
                                        ;       Child Loop BB2_18 Depth 3
                                        ;     Child Loop BB2_29 Depth 2
                                        ;       Child Loop BB2_31 Depth 3
                                        ;     Child Loop BB2_39 Depth 2
                                        ;       Child Loop BB2_41 Depth 3
	s_abs_i32 s7, s43
	s_mul_hi_u32 s8, s7, s49
	s_mul_i32 s9, s8, s46
	s_ashr_i32 s6, s43, 31
	s_sub_i32 s7, s7, s9
	s_xor_b32 s6, s6, s48
	s_add_i32 s9, s8, 1
	s_sub_i32 s28, s7, s46
	s_cmp_ge_u32 s7, s46
	s_cselect_b32 s8, s9, s8
	s_cselect_b32 s7, s28, s7
	s_add_i32 s9, s8, 1
	s_cmp_ge_u32 s7, s46
	s_cselect_b32 s7, s9, s8
	s_xor_b32 s7, s7, s6
	s_sub_i32 s6, s7, s6
	s_abs_i32 s8, s6
	s_mul_i32 s7, s6, s33
	s_mul_hi_u32 s9, s8, s51
	s_sub_i32 s7, s43, s7
	s_mul_i32 s28, s9, s47
	s_lshl_b32 s53, s7, 4
	s_ashr_i32 s7, s6, 31
	s_sub_i32 s8, s8, s28
	s_xor_b32 s7, s7, s50
	s_add_i32 s28, s9, 1
	s_sub_i32 s29, s8, s47
	s_cmp_ge_u32 s8, s47
	s_cselect_b32 s9, s28, s9
	s_cselect_b32 s8, s29, s8
	s_add_i32 s28, s9, 1
	s_cmp_ge_u32 s8, s47
	s_cselect_b32 s8, s28, s9
	s_xor_b32 s8, s8, s7
	s_sub_i32 s7, s8, s7
	s_mul_i32 s8, s7, s44
	s_lshl_b32 s54, s8, 7
	s_cmp_eq_u32 s7, s16
	s_cselect_b32 s52, s45, s44
	s_sub_i32 s55, s53, s12
	s_add_i32 s55, s55, 16
	s_and_saveexec_b64 s[8:9], s[2:3]
	s_xor_b64 s[28:29], exec, s[8:9]
	s_cbranch_execz .LBB2_35
; %bb.8:                                ;   in Loop: Header=BB2_7 Depth=1
	s_mul_i32 s7, s7, s42
	s_sub_i32 s6, s6, s7
	s_lshl_b32 s6, s6, 4
	s_sub_i32 s31, s6, s13
	s_add_i32 s31, s31, 16
	s_max_i32 s7, s31, 0
	s_sub_i32 s30, s6, s7
	s_and_saveexec_b64 s[6:7], s[0:1]
	s_xor_b64 s[34:35], exec, s[6:7]
	s_cbranch_execz .LBB2_25
; %bb.9:                                ;   in Loop: Header=BB2_7 Depth=1
	s_and_saveexec_b64 s[36:37], s[4:5]
	s_cbranch_execz .LBB2_24
; %bb.10:                               ;   in Loop: Header=BB2_7 Depth=1
	s_waitcnt lgkmcnt(0)
	global_load_dword v32, v13, s[26:27]
	v_mov_b32_e32 v3, 0
	v_cmp_gt_i32_e32 vcc, s52, v31
	v_mov_b32_e32 v2, v3
	v_mov_b32_e32 v1, v3
	;; [unrolled: 1-line block ×3, first 2 shown]
	s_and_saveexec_b64 s[6:7], vcc
	s_cbranch_execz .LBB2_20
; %bb.11:                               ;   in Loop: Header=BB2_7 Depth=1
	v_mov_b32_e32 v0, 0
	s_mov_b64 s[8:9], 0
	v_mov_b32_e32 v1, v0
	v_mov_b32_e32 v2, v0
	;; [unrolled: 1-line block ×3, first 2 shown]
	s_branch .LBB2_13
.LBB2_12:                               ;   in Loop: Header=BB2_13 Depth=2
	s_or_b64 exec, exec, s[38:39]
	v_add_u32_e32 v40, v21, v36
	ds_read2_b32 v[36:37], v40 offset1:32
	ds_read2_b32 v[38:39], v40 offset0:128 offset1:160
	v_add_u32_e32 v40, 0x400, v40
	v_add_u32_e32 v31, s19, v31
	v_cmp_le_i32_e32 vcc, s52, v31
	s_waitcnt lgkmcnt(1)
	v_mfma_f32_16x16x32_fp8_fp8 v[0:3], v[36:37], v[16:17], v[0:3]
	ds_read2_b32 v[16:17], v40 offset1:32
	ds_read2_b32 v[36:37], v40 offset0:128 offset1:160
	s_or_b64 s[8:9], vcc, s[8:9]
	s_waitcnt lgkmcnt(2)
	v_mfma_f32_16x16x32_fp8_fp8 v[0:3], v[38:39], v[18:19], v[0:3]
	v_add_u32_e32 v18, s19, v34
	v_add_u32_e32 v19, 2, v20
	v_cmp_lt_i32_e32 vcc, 0, v18
	;;#ASMSTART
	s_waitcnt lgkmcnt(0)
	;;#ASMEND
	s_waitcnt lgkmcnt(1)
	v_mfma_f32_16x16x32_fp8_fp8 v[0:3], v[16:17], v[6:7], v[0:3]
	v_cndmask_b32_e32 v20, v20, v19, vcc
	ds_write_b32 v33, v35
	s_waitcnt lgkmcnt(1)
	v_mfma_f32_16x16x32_fp8_fp8 v[0:3], v[36:37], v[4:5], v[0:3]
	s_andn2_b64 exec, exec, s[8:9]
	s_cbranch_execz .LBB2_19
.LBB2_13:                               ;   Parent Loop BB2_7 Depth=1
                                        ; =>  This Loop Header: Depth=2
                                        ;       Child Loop BB2_15 Depth 3
                                        ;       Child Loop BB2_18 Depth 3
	v_cmp_lt_i32_e32 vcc, 0, v18
	s_nop 1
	v_subbrev_co_u32_e32 v34, vcc, 0, v18, vcc
	v_lshlrev_b32_e32 v4, 2, v34
	ds_read_b32 v5, v4 offset:4100
	v_add_u32_e32 v33, 0x1000, v4
	s_waitcnt lgkmcnt(0)
	v_cmp_ne_u32_e32 vcc, v5, v20
	s_and_saveexec_b64 s[38:39], vcc
	s_cbranch_execz .LBB2_16
; %bb.14:                               ;   in Loop: Header=BB2_13 Depth=2
	s_mov_b64 s[40:41], 0
.LBB2_15:                               ;   Parent Loop BB2_7 Depth=1
                                        ;     Parent Loop BB2_13 Depth=2
                                        ; =>    This Inner Loop Header: Depth=3
	;;#ASMSTART
	s_sleep 0
	;;#ASMEND
	ds_read_b32 v4, v33 offset:4
	s_waitcnt lgkmcnt(0)
	v_cmp_eq_u32_e32 vcc, v4, v20
	s_or_b64 s[40:41], vcc, s[40:41]
	s_andn2_b64 exec, exec, s[40:41]
	s_cbranch_execnz .LBB2_15
.LBB2_16:                               ;   in Loop: Header=BB2_13 Depth=2
	s_or_b64 exec, exec, s[38:39]
	v_lshlrev_b32_e32 v36, 11, v34
	v_add_u32_e32 v4, v22, v36
	ds_read2_b32 v[16:17], v4 offset1:32
	ds_read2_b32 v[18:19], v4 offset0:128 offset1:160
	v_add_u32_e32 v4, 0x400, v4
	ds_read2_b32 v[6:7], v4 offset1:32
	ds_read2_b32 v[4:5], v4 offset0:128 offset1:160
	;;#ASMSTART
	s_waitcnt lgkmcnt(0)
	;;#ASMEND
	ds_read_b32 v37, v33
	v_add_u32_e32 v35, 1, v20
	ds_write_b32 v33, v35 offset:4
	s_waitcnt lgkmcnt(1)
	v_cmp_ne_u32_e32 vcc, v37, v20
	s_and_saveexec_b64 s[38:39], vcc
	s_cbranch_execz .LBB2_12
; %bb.17:                               ;   in Loop: Header=BB2_13 Depth=2
	s_mov_b64 s[40:41], 0
.LBB2_18:                               ;   Parent Loop BB2_7 Depth=1
                                        ;     Parent Loop BB2_13 Depth=2
                                        ; =>    This Inner Loop Header: Depth=3
	;;#ASMSTART
	s_sleep 0
	;;#ASMEND
	ds_read_b32 v37, v33
	s_waitcnt lgkmcnt(0)
	v_cmp_eq_u32_e32 vcc, v37, v20
	s_or_b64 s[40:41], vcc, s[40:41]
	s_andn2_b64 exec, exec, s[40:41]
	s_cbranch_execnz .LBB2_18
	s_branch .LBB2_12
.LBB2_19:                               ;   in Loop: Header=BB2_7 Depth=1
	s_or_b64 exec, exec, s[8:9]
.LBB2_20:                               ;   in Loop: Header=BB2_7 Depth=1
	s_or_b64 exec, exec, s[6:7]
	v_cmp_le_i32_e32 vcc, s31, v8
	v_cmp_eq_u32_e64 s[6:7], 3, v24
	s_waitcnt vmcnt(0)
	v_cndmask_b32_e32 v4, 0, v32, vcc
	v_pk_mul_f32 v[6:7], v[4:5], v[2:3] op_sel_hi:[0,1]
	v_pk_mul_f32 v[4:5], v[4:5], v[0:1] op_sel_hi:[0,1]
	v_cmp_eq_u32_e32 vcc, 1, v24
	s_nop 1
	v_cndmask_b32_e32 v0, v4, v5, vcc
	v_cmp_eq_u32_e32 vcc, 2, v24
	s_nop 1
	v_cndmask_b32_e32 v0, v0, v6, vcc
	v_cndmask_b32_e64 v0, v0, v7, s[6:7]
	ds_bpermute_b32 v1, v30, v0
	s_waitcnt lgkmcnt(0)
	v_cndmask_b32_e32 v3, v6, v1, vcc
	v_cmp_ne_u32_e32 vcc, 0, v24
	v_cndmask_b32_e64 v2, v7, v1, s[6:7]
	s_max_i32 s6, s55, 0
	v_cndmask_b32_e32 v0, v5, v1, vcc
	v_cmp_eq_u32_e32 vcc, 0, v24
	v_add_u32_e32 v5, s6, v23
	s_nop 0
	v_cndmask_b32_e32 v1, v4, v1, vcc
	v_cmp_eq_u32_e32 vcc, 1, v25
	s_nop 1
	v_cndmask_b32_e32 v4, v1, v0, vcc
	v_cmp_eq_u32_e32 vcc, 2, v25
	;; [unrolled: 3-line block ×3, first 2 shown]
	s_nop 1
	v_cndmask_b32_e32 v4, v4, v2, vcc
	ds_bpermute_b32 v4, v30, v4
	v_cmp_gt_u32_e32 vcc, 16, v5
	s_and_saveexec_b64 s[38:39], vcc
	s_cbranch_execz .LBB2_23
; %bb.21:                               ;   in Loop: Header=BB2_7 Depth=1
	v_cmp_eq_u32_e64 s[8:9], 1, v25
	v_cmp_eq_u32_e32 vcc, 3, v25
	v_cmp_eq_u32_e64 s[6:7], 2, v25
	s_waitcnt lgkmcnt(0)
	v_cndmask_b32_e64 v0, v0, v4, s[8:9]
	v_cmp_eq_u32_e64 s[8:9], 0, v25
	v_cvt_f16_f32_sdwa v7, v0 dst_sel:WORD_1 dst_unused:UNUSED_PAD src0_sel:DWORD
	s_nop 0
	v_cndmask_b32_e64 v1, v1, v4, s[8:9]
	s_mul_i32 s8, s53, s13
	s_ashr_i32 s9, s8, 31
	s_lshl_b64 s[8:9], s[8:9], 1
	s_add_u32 s40, s24, s8
	s_addc_u32 s41, s25, s9
	s_ashr_i32 s31, s30, 31
	s_lshl_b64 s[8:9], s[30:31], 1
	v_cvt_f16_f32_e32 v6, v1
	s_add_u32 s8, s40, s8
	s_addc_u32 s9, s41, s9
	v_lshl_add_u64 v[0:1], v[10:11], 1, s[8:9]
	v_cmp_gt_u32_e64 s[8:9], 14, v5
	v_or_b32_e32 v6, v7, v6
	;;#ASMSTART
	global_atomic_pk_add_f16 v[0:1], v6, off
	
	;;#ASMEND
	s_and_b64 exec, exec, s[8:9]
	s_cbranch_execz .LBB2_23
; %bb.22:                               ;   in Loop: Header=BB2_7 Depth=1
	v_cndmask_b32_e32 v2, v2, v4, vcc
	v_cndmask_b32_e64 v3, v3, v4, s[6:7]
	v_cvt_f16_f32_e32 v3, v3
	v_cvt_f16_f32_sdwa v2, v2 dst_sel:WORD_1 dst_unused:UNUSED_PAD src0_sel:DWORD
	v_lshl_add_u64 v[0:1], s[10:11], 2, v[0:1]
	v_or_b32_e32 v2, v2, v3
	;;#ASMSTART
	global_atomic_pk_add_f16 v[0:1], v2, off
	
	;;#ASMEND
.LBB2_23:                               ;   in Loop: Header=BB2_7 Depth=1
	s_or_b64 exec, exec, s[38:39]
	v_subrev_u32_e32 v31, s52, v31
.LBB2_24:                               ;   in Loop: Header=BB2_7 Depth=1
	s_or_b64 exec, exec, s[36:37]
.LBB2_25:                               ;   in Loop: Header=BB2_7 Depth=1
	s_andn2_saveexec_b64 s[6:7], s[34:35]
	s_cbranch_execz .LBB2_34
; %bb.26:                               ;   in Loop: Header=BB2_7 Depth=1
	v_cmp_gt_i32_e32 vcc, s52, v31
	s_and_saveexec_b64 s[8:9], vcc
	s_cbranch_execz .LBB2_33
; %bb.27:                               ;   in Loop: Header=BB2_7 Depth=1
	s_mul_i32 s30, s30, s15
	s_ashr_i32 s31, s30, 31
	s_waitcnt lgkmcnt(0)
	s_add_u32 s30, s22, s30
	s_addc_u32 s31, s23, s31
	s_ashr_i32 s34, s54, 31
	s_add_u32 s30, s30, s54
	s_addc_u32 s31, s31, s34
	v_lshl_add_u64 v[0:1], s[30:31], 0, v[14:15]
	v_lshl_add_u64 v[16:17], v[0:1], 0, v[12:13]
	s_mov_b64 s[30:31], 0
	s_branch .LBB2_29
.LBB2_28:                               ;   in Loop: Header=BB2_29 Depth=2
	s_or_b64 exec, exec, s[34:35]
	v_lshl_add_u32 v32, v18, 11, v27
	;;#ASMSTART
	s_waitcnt vmcnt(1)
	;;#ASMEND
	ds_write2_b32 v32, v4, v5 offset1:32
	ds_write2_b32 v32, v6, v7 offset0:64 offset1:96
	v_add_u32_e32 v4, 0x400, v32
	v_add_u32_e32 v31, s18, v31
	;;#ASMSTART
	s_waitcnt vmcnt(0)
	;;#ASMEND
	ds_write2_b32 v4, v0, v1 offset1:32
	ds_write2_b32 v4, v2, v3 offset0:64 offset1:96
	v_add_u32_e32 v0, 1, v20
	v_add_u32_e32 v18, s18, v18
	v_cmp_le_i32_e32 vcc, s52, v31
	ds_write_b32 v19, v0 offset:4
	v_add_u32_e32 v0, 2, v20
	s_or_b64 s[30:31], vcc, s[30:31]
	v_cmp_lt_i32_e32 vcc, 0, v18
	s_nop 1
	v_cndmask_b32_e32 v20, v20, v0, vcc
	s_andn2_b64 exec, exec, s[30:31]
	s_cbranch_execz .LBB2_32
.LBB2_29:                               ;   Parent Loop BB2_7 Depth=1
                                        ; =>  This Loop Header: Depth=2
                                        ;       Child Loop BB2_31 Depth 3
	v_cmp_lt_i32_e32 vcc, 0, v18
	v_lshlrev_b32_e32 v0, 7, v31
	v_ashrrev_i32_e32 v1, 31, v0
	v_subbrev_co_u32_e32 v18, vcc, 0, v18, vcc
	v_lshl_add_u64 v[0:1], v[16:17], 0, v[0:1]
	v_lshlrev_b32_e32 v19, 2, v18
	;;#ASMSTART
	global_load_dwordx4 v[4:7], v[0:1], off offset:0   sc0 sc1 nt  
	global_load_dwordx4 v[0:3], v[0:1], off offset:64  sc0 sc1 nt  
	
	;;#ASMEND
	ds_read_b32 v32, v19 offset:4100
	v_add_u32_e32 v19, 0x1000, v19
	s_waitcnt lgkmcnt(0)
	v_cmp_ne_u32_e32 vcc, v32, v20
	s_and_saveexec_b64 s[34:35], vcc
	s_cbranch_execz .LBB2_28
; %bb.30:                               ;   in Loop: Header=BB2_29 Depth=2
	s_mov_b64 s[36:37], 0
.LBB2_31:                               ;   Parent Loop BB2_7 Depth=1
                                        ;     Parent Loop BB2_29 Depth=2
                                        ; =>    This Inner Loop Header: Depth=3
	;;#ASMSTART
	s_sleep 0
	;;#ASMEND
	ds_read_b32 v32, v19 offset:4
	s_waitcnt lgkmcnt(0)
	v_cmp_eq_u32_e32 vcc, v32, v20
	s_or_b64 s[36:37], vcc, s[36:37]
	s_andn2_b64 exec, exec, s[36:37]
	s_cbranch_execnz .LBB2_31
	s_branch .LBB2_28
.LBB2_32:                               ;   in Loop: Header=BB2_7 Depth=1
	s_or_b64 exec, exec, s[30:31]
.LBB2_33:                               ;   in Loop: Header=BB2_7 Depth=1
	s_or_b64 exec, exec, s[8:9]
	v_subrev_u32_e32 v31, s52, v31
.LBB2_34:                               ;   in Loop: Header=BB2_7 Depth=1
	s_or_b64 exec, exec, s[6:7]
.LBB2_35:                               ;   in Loop: Header=BB2_7 Depth=1
	s_andn2_saveexec_b64 s[6:7], s[28:29]
	s_cbranch_execz .LBB2_6
; %bb.36:                               ;   in Loop: Header=BB2_7 Depth=1
	v_cmp_gt_i32_e32 vcc, s52, v31
	s_and_saveexec_b64 s[8:9], vcc
	s_cbranch_execz .LBB2_5
; %bb.37:                               ;   in Loop: Header=BB2_7 Depth=1
	s_mul_i32 s53, s53, s14
	s_ashr_i32 s28, s53, 31
	s_waitcnt lgkmcnt(0)
	s_add_u32 s29, s20, s53
	s_addc_u32 s30, s21, s28
	s_ashr_i32 s31, s54, 31
	v_cmp_le_i32_e32 vcc, s55, v28
	s_add_u32 s28, s29, s54
	s_addc_u32 s29, s30, s31
	v_cndmask_b32_e32 v0, 0, v29, vcc
	v_ashrrev_i32_e32 v1, 31, v0
	v_lshl_add_u64 v[0:1], s[28:29], 0, v[0:1]
	v_lshl_add_u64 v[16:17], v[0:1], 0, v[12:13]
	s_mov_b64 s[28:29], 0
	s_branch .LBB2_39
.LBB2_38:                               ;   in Loop: Header=BB2_39 Depth=2
	s_or_b64 exec, exec, s[30:31]
	v_lshl_or_b32 v32, v18, 11, v26
	;;#ASMSTART
	s_waitcnt vmcnt(1)
	;;#ASMEND
	ds_write2_b32 v32, v4, v5 offset1:32
	ds_write2_b32 v32, v6, v7 offset0:64 offset1:96
	v_add_u32_e32 v4, 0x400, v32
	v_add_u32_e32 v31, s17, v31
	;;#ASMSTART
	s_waitcnt vmcnt(0)
	;;#ASMEND
	ds_write2_b32 v4, v0, v1 offset1:32
	ds_write2_b32 v4, v2, v3 offset0:64 offset1:96
	v_add_u32_e32 v0, 1, v20
	v_add_u32_e32 v18, s17, v18
	v_cmp_le_i32_e32 vcc, s52, v31
	ds_write_b32 v19, v0
	v_add_u32_e32 v0, 2, v20
	s_or_b64 s[28:29], vcc, s[28:29]
	v_cmp_lt_i32_e32 vcc, 0, v18
	s_nop 1
	v_cndmask_b32_e32 v20, v20, v0, vcc
	s_andn2_b64 exec, exec, s[28:29]
	s_cbranch_execz .LBB2_4
.LBB2_39:                               ;   Parent Loop BB2_7 Depth=1
                                        ; =>  This Loop Header: Depth=2
                                        ;       Child Loop BB2_41 Depth 3
	v_cmp_lt_i32_e32 vcc, 0, v18
	v_lshlrev_b32_e32 v0, 7, v31
	v_ashrrev_i32_e32 v1, 31, v0
	v_subbrev_co_u32_e32 v18, vcc, 0, v18, vcc
	v_lshl_add_u64 v[0:1], v[16:17], 0, v[0:1]
	v_lshlrev_b32_e32 v19, 2, v18
	;;#ASMSTART
	global_load_dwordx4 v[4:7], v[0:1], off offset:0   
	global_load_dwordx4 v[0:3], v[0:1], off offset:64  
	
	;;#ASMEND
	ds_read_b32 v32, v19 offset:4096
	v_add_u32_e32 v19, 0x1000, v19
	s_waitcnt lgkmcnt(0)
	v_cmp_ne_u32_e32 vcc, v32, v20
	s_and_saveexec_b64 s[30:31], vcc
	s_cbranch_execz .LBB2_38
; %bb.40:                               ;   in Loop: Header=BB2_39 Depth=2
	s_mov_b64 s[34:35], 0
.LBB2_41:                               ;   Parent Loop BB2_7 Depth=1
                                        ;     Parent Loop BB2_39 Depth=2
                                        ; =>    This Inner Loop Header: Depth=3
	;;#ASMSTART
	s_sleep 0
	;;#ASMEND
	ds_read_b32 v32, v19
	s_waitcnt lgkmcnt(0)
	v_cmp_eq_u32_e32 vcc, v32, v20
	s_or_b64 s[34:35], vcc, s[34:35]
	s_andn2_b64 exec, exec, s[34:35]
	s_cbranch_execnz .LBB2_41
	s_branch .LBB2_38
.LBB2_42:
	s_endpgm
	.section	.rodata,"a",@progbits
	.p2align	6, 0x0
	.amdhsa_kernel _Z19_skinny_gemm_kernelILi1ELi1ELi1ELi16ELi4EEvPKhS1_P6__halfPKfiiiiiiii
		.amdhsa_group_segment_fixed_size 4104
		.amdhsa_private_segment_fixed_size 0
		.amdhsa_kernarg_size 64
		.amdhsa_user_sgpr_count 2
		.amdhsa_user_sgpr_dispatch_ptr 0
		.amdhsa_user_sgpr_queue_ptr 0
		.amdhsa_user_sgpr_kernarg_segment_ptr 1
		.amdhsa_user_sgpr_dispatch_id 0
		.amdhsa_user_sgpr_kernarg_preload_length 0
		.amdhsa_user_sgpr_kernarg_preload_offset 0
		.amdhsa_user_sgpr_private_segment_size 0
		.amdhsa_uses_dynamic_stack 0
		.amdhsa_enable_private_segment 0
		.amdhsa_system_sgpr_workgroup_id_x 1
		.amdhsa_system_sgpr_workgroup_id_y 0
		.amdhsa_system_sgpr_workgroup_id_z 0
		.amdhsa_system_sgpr_workgroup_info 0
		.amdhsa_system_vgpr_workitem_id 0
		.amdhsa_next_free_vgpr 41
		.amdhsa_next_free_sgpr 56
		.amdhsa_accum_offset 44
		.amdhsa_reserve_vcc 1
		.amdhsa_float_round_mode_32 0
		.amdhsa_float_round_mode_16_64 0
		.amdhsa_float_denorm_mode_32 3
		.amdhsa_float_denorm_mode_16_64 3
		.amdhsa_dx10_clamp 1
		.amdhsa_ieee_mode 1
		.amdhsa_fp16_overflow 0
		.amdhsa_tg_split 0
		.amdhsa_exception_fp_ieee_invalid_op 0
		.amdhsa_exception_fp_denorm_src 0
		.amdhsa_exception_fp_ieee_div_zero 0
		.amdhsa_exception_fp_ieee_overflow 0
		.amdhsa_exception_fp_ieee_underflow 0
		.amdhsa_exception_fp_ieee_inexact 0
		.amdhsa_exception_int_div_zero 0
	.end_amdhsa_kernel
	.section	.text._Z19_skinny_gemm_kernelILi1ELi1ELi1ELi16ELi4EEvPKhS1_P6__halfPKfiiiiiiii,"axG",@progbits,_Z19_skinny_gemm_kernelILi1ELi1ELi1ELi16ELi4EEvPKhS1_P6__halfPKfiiiiiiii,comdat
.Lfunc_end2:
	.size	_Z19_skinny_gemm_kernelILi1ELi1ELi1ELi16ELi4EEvPKhS1_P6__halfPKfiiiiiiii, .Lfunc_end2-_Z19_skinny_gemm_kernelILi1ELi1ELi1ELi16ELi4EEvPKhS1_P6__halfPKfiiiiiiii
                                        ; -- End function
	.set _Z19_skinny_gemm_kernelILi1ELi1ELi1ELi16ELi4EEvPKhS1_P6__halfPKfiiiiiiii.num_vgpr, 41
	.set _Z19_skinny_gemm_kernelILi1ELi1ELi1ELi16ELi4EEvPKhS1_P6__halfPKfiiiiiiii.num_agpr, 0
	.set _Z19_skinny_gemm_kernelILi1ELi1ELi1ELi16ELi4EEvPKhS1_P6__halfPKfiiiiiiii.numbered_sgpr, 56
	.set _Z19_skinny_gemm_kernelILi1ELi1ELi1ELi16ELi4EEvPKhS1_P6__halfPKfiiiiiiii.num_named_barrier, 0
	.set _Z19_skinny_gemm_kernelILi1ELi1ELi1ELi16ELi4EEvPKhS1_P6__halfPKfiiiiiiii.private_seg_size, 0
	.set _Z19_skinny_gemm_kernelILi1ELi1ELi1ELi16ELi4EEvPKhS1_P6__halfPKfiiiiiiii.uses_vcc, 1
	.set _Z19_skinny_gemm_kernelILi1ELi1ELi1ELi16ELi4EEvPKhS1_P6__halfPKfiiiiiiii.uses_flat_scratch, 0
	.set _Z19_skinny_gemm_kernelILi1ELi1ELi1ELi16ELi4EEvPKhS1_P6__halfPKfiiiiiiii.has_dyn_sized_stack, 0
	.set _Z19_skinny_gemm_kernelILi1ELi1ELi1ELi16ELi4EEvPKhS1_P6__halfPKfiiiiiiii.has_recursion, 0
	.set _Z19_skinny_gemm_kernelILi1ELi1ELi1ELi16ELi4EEvPKhS1_P6__halfPKfiiiiiiii.has_indirect_call, 0
	.section	.AMDGPU.csdata,"",@progbits
; Kernel info:
; codeLenInByte = 2568
; TotalNumSgprs: 62
; NumVgprs: 41
; NumAgprs: 0
; TotalNumVgprs: 41
; ScratchSize: 0
; MemoryBound: 0
; FloatMode: 240
; IeeeMode: 1
; LDSByteSize: 4104 bytes/workgroup (compile time only)
; SGPRBlocks: 7
; VGPRBlocks: 5
; NumSGPRsForWavesPerEU: 62
; NumVGPRsForWavesPerEU: 41
; AccumOffset: 44
; Occupancy: 8
; WaveLimiterHint : 0
; COMPUTE_PGM_RSRC2:SCRATCH_EN: 0
; COMPUTE_PGM_RSRC2:USER_SGPR: 2
; COMPUTE_PGM_RSRC2:TRAP_HANDLER: 0
; COMPUTE_PGM_RSRC2:TGID_X_EN: 1
; COMPUTE_PGM_RSRC2:TGID_Y_EN: 0
; COMPUTE_PGM_RSRC2:TGID_Z_EN: 0
; COMPUTE_PGM_RSRC2:TIDIG_COMP_CNT: 0
; COMPUTE_PGM_RSRC3_GFX90A:ACCUM_OFFSET: 10
; COMPUTE_PGM_RSRC3_GFX90A:TG_SPLIT: 0
	.section	.text._Z19_skinny_gemm_kernelILi1ELi1ELi1ELi16ELi8EEvPKhS1_P6__halfPKfiiiiiiii,"axG",@progbits,_Z19_skinny_gemm_kernelILi1ELi1ELi1ELi16ELi8EEvPKhS1_P6__halfPKfiiiiiiii,comdat
	.protected	_Z19_skinny_gemm_kernelILi1ELi1ELi1ELi16ELi8EEvPKhS1_P6__halfPKfiiiiiiii ; -- Begin function _Z19_skinny_gemm_kernelILi1ELi1ELi1ELi16ELi8EEvPKhS1_P6__halfPKfiiiiiiii
	.globl	_Z19_skinny_gemm_kernelILi1ELi1ELi1ELi16ELi8EEvPKhS1_P6__halfPKfiiiiiiii
	.p2align	8
	.type	_Z19_skinny_gemm_kernelILi1ELi1ELi1ELi16ELi8EEvPKhS1_P6__halfPKfiiiiiiii,@function
_Z19_skinny_gemm_kernelILi1ELi1ELi1ELi16ELi8EEvPKhS1_P6__halfPKfiiiiiiii: ; @_Z19_skinny_gemm_kernelILi1ELi1ELi1ELi16ELi8EEvPKhS1_P6__halfPKfiiiiiiii
; %bb.0:
	v_cmp_gt_u32_e32 vcc, 2, v0
	v_lshlrev_b32_e32 v1, 2, v0
	s_and_saveexec_b64 s[4:5], vcc
; %bb.1:
	v_mov_b32_e32 v2, 0
	ds_write_b32 v1, v2 offset:8192
; %bb.2:
	s_or_b64 exec, exec, s[4:5]
	s_load_dwordx8 s[12:19], s[0:1], 0x20
	s_waitcnt lgkmcnt(0)
	s_barrier
	s_add_i32 s3, s12, 15
	s_ashr_i32 s5, s3, 31
	s_add_i32 s4, s13, 15
	s_lshr_b32 s5, s5, 28
	s_ashr_i32 s6, s4, 31
	s_add_i32 s3, s3, s5
	s_ashr_i32 s33, s3, 4
	s_lshr_b32 s3, s6, 28
	s_add_i32 s4, s4, s3
	s_ashr_i32 s42, s4, 4
	s_mul_i32 s3, s42, s33
	s_mul_i32 s3, s3, s16
	s_add_i32 s4, s3, 0x12f
	s_mul_hi_i32 s4, s4, 0x6bca1af3
	s_lshr_b32 s5, s4, 31
	s_ashr_i32 s4, s4, 7
	s_add_i32 s4, s4, s5
	s_add_i32 s5, s2, 1
	s_mul_i32 s5, s4, s5
	v_cvt_f64_i32_e32 v[2:3], s3
	v_cvt_f64_u32_e32 v[4:5], s5
	v_min_f64 v[2:3], v[2:3], v[4:5]
	v_cvt_i32_f64_e32 v17, v[2:3]
	s_mul_i32 s43, s4, s2
	v_cmp_ge_i32_e32 vcc, s43, v17
	s_cbranch_vccnz .LBB3_42
; %bb.3:
	v_lshrrev_b32_e32 v2, 6, v0
	s_add_i32 s4, s18, s17
	s_load_dwordx8 s[20:27], s[0:1], 0x0
	v_cmp_le_i32_e64 s[0:1], s4, v2
	v_mov_b32_e32 v3, s17
	v_cmp_le_i32_e64 s[2:3], s17, v2
	v_mov_b32_e32 v4, s18
	v_cndmask_b32_e64 v4, 0, v4, s[0:1]
	v_cndmask_b32_e64 v3, 0, v3, s[2:3]
	s_abs_i32 s5, s16
	v_add_u32_e32 v3, v3, v4
	v_cvt_f32_u32_e32 v4, s5
	v_sub_u32_e32 v6, v2, v3
	s_ashr_i32 s6, s14, 31
	s_lshr_b32 s6, s6, 24
	v_rcp_iflag_f32_e32 v3, v4
	s_sub_i32 s9, 0, s5
	s_add_i32 s6, s14, s6
	s_ashr_i32 s6, s6, 8
	v_mul_f32_e32 v3, 0x4f7ffffe, v3
	v_cvt_u32_f32_e32 v3, v3
	s_abs_i32 s8, s6
	s_xor_b32 s7, s6, s16
	s_ashr_i32 s7, s7, 31
	v_readfirstlane_b32 s10, v3
	s_mul_i32 s9, s9, s10
	s_mul_hi_u32 s9, s10, s9
	s_add_i32 s10, s10, s9
	s_mul_hi_u32 s9, s8, s10
	s_mul_i32 s10, s9, s5
	s_sub_i32 s8, s8, s10
	s_add_i32 s10, s9, 1
	s_sub_i32 s11, s8, s5
	s_cmp_ge_u32 s8, s5
	s_cselect_b32 s9, s10, s9
	s_cselect_b32 s8, s11, s8
	s_add_i32 s10, s9, 1
	s_cmp_ge_u32 s8, s5
	s_cselect_b32 s5, s10, s9
	s_xor_b32 s5, s5, s7
	s_sub_i32 s44, s5, s7
	s_add_i32 s16, s16, -1
	s_mul_i32 s5, s44, s16
	s_add_i32 s4, s4, s19
	s_sub_i32 s45, s6, s5
	v_cmp_gt_i32_e64 s[4:5], s4, v2
	v_lshlrev_b32_e32 v2, 1, v0
	v_lshlrev_b32_e32 v3, 4, v0
	v_and_b32_e32 v1, 60, v1
	v_and_b32_e32 v2, 64, v2
	;; [unrolled: 1-line block ×3, first 2 shown]
	s_abs_i32 s46, s33
	v_or3_b32 v29, v1, v2, v4
	v_and_b32_e32 v1, 1, v0
	v_cvt_f32_u32_e32 v7, s46
	v_lshlrev_b32_e32 v2, 1, v1
	v_lshrrev_b32_e32 v4, 2, v0
	v_and_b32_e32 v16, 14, v0
	v_sub_u32_e32 v2, v0, v2
	v_and_or_b32 v31, v4, 12, v1
	v_bitop3_b32 v32, v0, 1, v0 bitop3:0xc
	v_bitop3_b32 v33, v0, 3, 1 bitop3:0x6c
	v_and_b32_e32 v20, 48, v3
	v_bfe_u32 v1, v0, 2, 4
	v_and_b32_e32 v3, 60, v0
	v_lshlrev_b32_e32 v5, 8, v0
	v_lshlrev_b32_e32 v0, 6, v0
	v_and_b32_e32 v5, 0x200, v5
	v_and_b32_e32 v0, 64, v0
	v_or3_b32 v34, v3, v5, v0
	v_rcp_iflag_f32_e32 v0, v7
	s_abs_i32 s47, s42
	v_mul_lo_u32 v22, s15, v1
	v_mul_lo_u32 v37, s14, v1
	v_cvt_f32_u32_e32 v1, s47
	v_mul_f32_e32 v0, 0x4f7ffffe, v0
	v_cvt_u32_f32_e32 v0, v0
	v_mad_u64_u32 v[18:19], s[6:7], s13, v31, v[16:17]
	v_rcp_iflag_f32_e32 v1, v1
	v_readfirstlane_b32 s7, v0
	s_sub_i32 s6, 0, s46
	s_mul_i32 s6, s6, s7
	v_mul_f32_e32 v0, 0x4f7ffffe, v1
	v_cvt_u32_f32_e32 v0, v0
	s_mul_hi_u32 s6, s7, s6
	v_add_u32_e32 v2, 1, v2
	s_add_i32 s49, s7, s6
	s_sub_i32 s6, 0, s47
	v_readfirstlane_b32 s7, v0
	v_mbcnt_lo_u32_b32 v0, -1, 0
	v_and_b32_e32 v2, 63, v2
	s_mul_i32 s6, s6, s7
	v_mbcnt_hi_u32_b32 v0, -1, v0
	s_mul_hi_u32 s6, s7, s6
	v_and_or_b32 v0, v0, 64, v2
	v_cndmask_b32_e64 v28, 0, 1, s[0:1]
	v_or_b32_e32 v30, 0x1000, v29
	v_ashrrev_i32_e32 v19, 31, v18
	s_ashr_i32 s11, s13, 31
	s_mov_b32 s10, s13
	v_ashrrev_i32_e32 v23, 31, v22
	v_mov_b32_e32 v21, 0
	v_or_b32_e32 v35, 0x1000, v34
	v_bitop3_b32 v36, v4, 15, v4 bitop3:0xc
	s_ashr_i32 s48, s33, 31
	s_ashr_i32 s50, s42, 31
	s_add_i32 s51, s7, s6
	v_lshlrev_b32_e32 v38, 2, v0
	v_mov_b32_e32 v39, v6
	s_branch .LBB3_7
.LBB3_4:                                ;   in Loop: Header=BB3_7 Depth=1
	s_or_b64 exec, exec, s[28:29]
.LBB3_5:                                ;   in Loop: Header=BB3_7 Depth=1
	s_or_b64 exec, exec, s[8:9]
	v_subrev_u32_e32 v39, s52, v39
.LBB3_6:                                ;   in Loop: Header=BB3_7 Depth=1
	s_or_b64 exec, exec, s[6:7]
	s_add_i32 s43, s43, 1
	v_cmp_ge_i32_e32 vcc, s43, v17
	s_cbranch_vccnz .LBB3_42
.LBB3_7:                                ; =>This Loop Header: Depth=1
                                        ;     Child Loop BB3_13 Depth 2
                                        ;       Child Loop BB3_15 Depth 3
                                        ;       Child Loop BB3_18 Depth 3
                                        ;     Child Loop BB3_29 Depth 2
                                        ;       Child Loop BB3_31 Depth 3
                                        ;     Child Loop BB3_39 Depth 2
                                        ;       Child Loop BB3_41 Depth 3
	s_abs_i32 s7, s43
	s_mul_hi_u32 s8, s7, s49
	s_mul_i32 s9, s8, s46
	s_ashr_i32 s6, s43, 31
	s_sub_i32 s7, s7, s9
	s_xor_b32 s6, s6, s48
	s_add_i32 s9, s8, 1
	s_sub_i32 s28, s7, s46
	s_cmp_ge_u32 s7, s46
	s_cselect_b32 s8, s9, s8
	s_cselect_b32 s7, s28, s7
	s_add_i32 s9, s8, 1
	s_cmp_ge_u32 s7, s46
	s_cselect_b32 s7, s9, s8
	s_xor_b32 s7, s7, s6
	s_sub_i32 s6, s7, s6
	s_abs_i32 s8, s6
	s_mul_i32 s7, s6, s33
	s_mul_hi_u32 s9, s8, s51
	s_sub_i32 s7, s43, s7
	s_mul_i32 s28, s9, s47
	s_lshl_b32 s53, s7, 4
	s_ashr_i32 s7, s6, 31
	s_sub_i32 s8, s8, s28
	s_xor_b32 s7, s7, s50
	s_add_i32 s28, s9, 1
	s_sub_i32 s29, s8, s47
	s_cmp_ge_u32 s8, s47
	s_cselect_b32 s9, s28, s9
	s_cselect_b32 s8, s29, s8
	s_add_i32 s28, s9, 1
	s_cmp_ge_u32 s8, s47
	s_cselect_b32 s8, s28, s9
	s_xor_b32 s8, s8, s7
	s_sub_i32 s7, s8, s7
	s_mul_i32 s8, s7, s44
	s_lshl_b32 s54, s8, 8
	s_cmp_eq_u32 s7, s16
	s_cselect_b32 s52, s45, s44
	s_sub_i32 s55, s53, s12
	s_add_i32 s55, s55, 16
	s_and_saveexec_b64 s[8:9], s[2:3]
	s_xor_b64 s[28:29], exec, s[8:9]
	s_cbranch_execz .LBB3_35
; %bb.8:                                ;   in Loop: Header=BB3_7 Depth=1
	s_mul_i32 s7, s7, s42
	s_sub_i32 s6, s6, s7
	s_lshl_b32 s6, s6, 4
	s_sub_i32 s31, s6, s13
	s_add_i32 s31, s31, 16
	s_max_i32 s7, s31, 0
	s_sub_i32 s30, s6, s7
	s_and_saveexec_b64 s[6:7], s[0:1]
	s_xor_b64 s[34:35], exec, s[6:7]
	s_cbranch_execz .LBB3_25
; %bb.9:                                ;   in Loop: Header=BB3_7 Depth=1
	s_and_saveexec_b64 s[36:37], s[4:5]
	s_cbranch_execz .LBB3_24
; %bb.10:                               ;   in Loop: Header=BB3_7 Depth=1
	s_waitcnt lgkmcnt(0)
	global_load_dword v40, v21, s[26:27]
	v_mov_b32_e32 v3, 0
	v_cmp_gt_i32_e32 vcc, s52, v39
	v_mov_b32_e32 v2, v3
	v_mov_b32_e32 v1, v3
	;; [unrolled: 1-line block ×3, first 2 shown]
	s_and_saveexec_b64 s[6:7], vcc
	s_cbranch_execz .LBB3_20
; %bb.11:                               ;   in Loop: Header=BB3_7 Depth=1
	v_mov_b32_e32 v0, 0
	s_mov_b64 s[8:9], 0
	v_mov_b32_e32 v1, v0
	v_mov_b32_e32 v2, v0
	;; [unrolled: 1-line block ×3, first 2 shown]
	s_branch .LBB3_13
.LBB3_12:                               ;   in Loop: Header=BB3_13 Depth=2
	s_or_b64 exec, exec, s[38:39]
	v_add_u32_e32 v48, v29, v44
	ds_read2_b32 v[44:45], v48 offset1:32
	ds_read2_b32 v[46:47], v48 offset0:128 offset1:160
	v_add_u32_e32 v49, 0x400, v48
	v_add_u32_e32 v39, s19, v39
	v_cmp_le_i32_e32 vcc, s52, v39
	s_waitcnt lgkmcnt(1)
	v_mfma_f32_16x16x32_fp8_fp8 v[0:3], v[44:45], v[6:7], v[0:3]
	ds_read2_b32 v[6:7], v49 offset1:32
	v_add_u32_e32 v44, 0x800, v48
	s_or_b64 s[8:9], vcc, s[8:9]
	s_waitcnt lgkmcnt(1)
	v_mfma_f32_16x16x32_fp8_fp8 v[0:3], v[46:47], v[8:9], v[0:3]
	ds_read2_b32 v[8:9], v49 offset0:128 offset1:160
	s_waitcnt lgkmcnt(1)
	v_mfma_f32_16x16x32_fp8_fp8 v[0:3], v[6:7], v[12:13], v[0:3]
	ds_read2_b32 v[6:7], v44 offset1:32
	s_waitcnt lgkmcnt(1)
	v_mfma_f32_16x16x32_fp8_fp8 v[0:3], v[8:9], v[14:15], v[0:3]
	ds_read2_b32 v[8:9], v44 offset0:128 offset1:160
	v_add_u32_e32 v14, 0xc00, v48
	ds_read2_b32 v[12:13], v14 offset1:32
	s_waitcnt lgkmcnt(2)
	v_mfma_f32_16x16x32_fp8_fp8 v[0:3], v[6:7], v[24:25], v[0:3]
	v_add_u32_e32 v6, s19, v42
	v_add_u32_e32 v7, 2, v28
	v_cmp_lt_i32_e32 vcc, 0, v6
	s_waitcnt lgkmcnt(1)
	v_mfma_f32_16x16x32_fp8_fp8 v[0:3], v[8:9], v[26:27], v[0:3]
	ds_read2_b32 v[8:9], v14 offset0:128 offset1:160
	v_cndmask_b32_e32 v28, v28, v7, vcc
	;;#ASMSTART
	s_waitcnt lgkmcnt(0)
	;;#ASMEND
	s_waitcnt lgkmcnt(1)
	v_mfma_f32_16x16x32_fp8_fp8 v[0:3], v[12:13], v[10:11], v[0:3]
	ds_write_b32 v41, v43
	s_waitcnt lgkmcnt(1)
	v_mfma_f32_16x16x32_fp8_fp8 v[0:3], v[8:9], v[4:5], v[0:3]
	s_andn2_b64 exec, exec, s[8:9]
	s_cbranch_execz .LBB3_19
.LBB3_13:                               ;   Parent Loop BB3_7 Depth=1
                                        ; =>  This Loop Header: Depth=2
                                        ;       Child Loop BB3_15 Depth 3
                                        ;       Child Loop BB3_18 Depth 3
	v_cmp_lt_i32_e32 vcc, 0, v6
	s_nop 1
	v_subbrev_co_u32_e32 v42, vcc, 0, v6, vcc
	v_lshlrev_b32_e32 v4, 2, v42
	ds_read_b32 v5, v4 offset:8196
	v_add_u32_e32 v41, 0x2000, v4
	s_waitcnt lgkmcnt(0)
	v_cmp_ne_u32_e32 vcc, v5, v28
	s_and_saveexec_b64 s[38:39], vcc
	s_cbranch_execz .LBB3_16
; %bb.14:                               ;   in Loop: Header=BB3_13 Depth=2
	s_mov_b64 s[40:41], 0
.LBB3_15:                               ;   Parent Loop BB3_7 Depth=1
                                        ;     Parent Loop BB3_13 Depth=2
                                        ; =>    This Inner Loop Header: Depth=3
	;;#ASMSTART
	s_sleep 0
	;;#ASMEND
	ds_read_b32 v4, v41 offset:4
	s_waitcnt lgkmcnt(0)
	v_cmp_eq_u32_e32 vcc, v4, v28
	s_or_b64 s[40:41], vcc, s[40:41]
	s_andn2_b64 exec, exec, s[40:41]
	s_cbranch_execnz .LBB3_15
.LBB3_16:                               ;   in Loop: Header=BB3_13 Depth=2
	s_or_b64 exec, exec, s[38:39]
	v_lshlrev_b32_e32 v44, 12, v42
	v_add_u32_e32 v4, v30, v44
	v_add_u32_e32 v5, 0x400, v4
	ds_read2_b32 v[6:7], v4 offset1:32
	ds_read2_b32 v[8:9], v4 offset0:128 offset1:160
	ds_read2_b32 v[12:13], v5 offset1:32
	ds_read2_b32 v[14:15], v5 offset0:128 offset1:160
	v_add_u32_e32 v5, 0x800, v4
	v_add_u32_e32 v4, 0xc00, v4
	ds_read2_b32 v[24:25], v5 offset1:32
	ds_read2_b32 v[26:27], v5 offset0:128 offset1:160
	ds_read2_b32 v[10:11], v4 offset1:32
	ds_read2_b32 v[4:5], v4 offset0:128 offset1:160
	;;#ASMSTART
	s_waitcnt lgkmcnt(0)
	;;#ASMEND
	ds_read_b32 v45, v41
	v_add_u32_e32 v43, 1, v28
	ds_write_b32 v41, v43 offset:4
	s_waitcnt lgkmcnt(1)
	v_cmp_ne_u32_e32 vcc, v45, v28
	s_and_saveexec_b64 s[38:39], vcc
	s_cbranch_execz .LBB3_12
; %bb.17:                               ;   in Loop: Header=BB3_13 Depth=2
	s_mov_b64 s[40:41], 0
.LBB3_18:                               ;   Parent Loop BB3_7 Depth=1
                                        ;     Parent Loop BB3_13 Depth=2
                                        ; =>    This Inner Loop Header: Depth=3
	;;#ASMSTART
	s_sleep 0
	;;#ASMEND
	ds_read_b32 v45, v41
	s_waitcnt lgkmcnt(0)
	v_cmp_eq_u32_e32 vcc, v45, v28
	s_or_b64 s[40:41], vcc, s[40:41]
	s_andn2_b64 exec, exec, s[40:41]
	s_cbranch_execnz .LBB3_18
	s_branch .LBB3_12
.LBB3_19:                               ;   in Loop: Header=BB3_7 Depth=1
	s_or_b64 exec, exec, s[8:9]
.LBB3_20:                               ;   in Loop: Header=BB3_7 Depth=1
	s_or_b64 exec, exec, s[6:7]
	v_cmp_le_i32_e32 vcc, s31, v16
	v_cmp_eq_u32_e64 s[6:7], 3, v32
	s_waitcnt vmcnt(0)
	v_cndmask_b32_e32 v4, 0, v40, vcc
	v_pk_mul_f32 v[8:9], v[4:5], v[2:3] op_sel_hi:[0,1]
	v_pk_mul_f32 v[4:5], v[4:5], v[0:1] op_sel_hi:[0,1]
	v_cmp_eq_u32_e32 vcc, 1, v32
	s_nop 1
	v_cndmask_b32_e32 v0, v4, v5, vcc
	v_cmp_eq_u32_e32 vcc, 2, v32
	s_nop 1
	v_cndmask_b32_e32 v0, v0, v8, vcc
	v_cndmask_b32_e64 v0, v0, v9, s[6:7]
	ds_bpermute_b32 v1, v38, v0
	s_waitcnt lgkmcnt(0)
	v_cndmask_b32_e32 v3, v8, v1, vcc
	v_cmp_ne_u32_e32 vcc, 0, v32
	v_cndmask_b32_e64 v2, v9, v1, s[6:7]
	s_max_i32 s6, s55, 0
	v_cndmask_b32_e32 v0, v5, v1, vcc
	v_cmp_eq_u32_e32 vcc, 0, v32
	v_add_u32_e32 v5, s6, v31
	s_nop 0
	v_cndmask_b32_e32 v1, v4, v1, vcc
	v_cmp_eq_u32_e32 vcc, 1, v33
	s_nop 1
	v_cndmask_b32_e32 v4, v1, v0, vcc
	v_cmp_eq_u32_e32 vcc, 2, v33
	;; [unrolled: 3-line block ×3, first 2 shown]
	s_nop 1
	v_cndmask_b32_e32 v4, v4, v2, vcc
	ds_bpermute_b32 v4, v38, v4
	v_cmp_gt_u32_e32 vcc, 16, v5
	s_and_saveexec_b64 s[38:39], vcc
	s_cbranch_execz .LBB3_23
; %bb.21:                               ;   in Loop: Header=BB3_7 Depth=1
	v_cmp_eq_u32_e64 s[8:9], 1, v33
	v_cmp_eq_u32_e32 vcc, 3, v33
	v_cmp_eq_u32_e64 s[6:7], 2, v33
	s_waitcnt lgkmcnt(0)
	v_cndmask_b32_e64 v0, v0, v4, s[8:9]
	v_cmp_eq_u32_e64 s[8:9], 0, v33
	v_cvt_f16_f32_sdwa v8, v0 dst_sel:WORD_1 dst_unused:UNUSED_PAD src0_sel:DWORD
	s_nop 0
	v_cndmask_b32_e64 v1, v1, v4, s[8:9]
	s_mul_i32 s8, s53, s13
	s_ashr_i32 s9, s8, 31
	s_lshl_b64 s[8:9], s[8:9], 1
	s_add_u32 s40, s24, s8
	s_addc_u32 s41, s25, s9
	s_ashr_i32 s31, s30, 31
	s_lshl_b64 s[8:9], s[30:31], 1
	v_cvt_f16_f32_e32 v7, v1
	s_add_u32 s8, s40, s8
	s_addc_u32 s9, s41, s9
	v_lshl_add_u64 v[0:1], v[18:19], 1, s[8:9]
	v_cmp_gt_u32_e64 s[8:9], 14, v5
	v_or_b32_e32 v7, v8, v7
	;;#ASMSTART
	global_atomic_pk_add_f16 v[0:1], v7, off
	
	;;#ASMEND
	s_and_b64 exec, exec, s[8:9]
	s_cbranch_execz .LBB3_23
; %bb.22:                               ;   in Loop: Header=BB3_7 Depth=1
	v_cndmask_b32_e32 v2, v2, v4, vcc
	v_cndmask_b32_e64 v3, v3, v4, s[6:7]
	v_cvt_f16_f32_e32 v3, v3
	v_cvt_f16_f32_sdwa v2, v2 dst_sel:WORD_1 dst_unused:UNUSED_PAD src0_sel:DWORD
	v_lshl_add_u64 v[0:1], s[10:11], 2, v[0:1]
	v_or_b32_e32 v2, v2, v3
	;;#ASMSTART
	global_atomic_pk_add_f16 v[0:1], v2, off
	
	;;#ASMEND
.LBB3_23:                               ;   in Loop: Header=BB3_7 Depth=1
	s_or_b64 exec, exec, s[38:39]
	v_subrev_u32_e32 v39, s52, v39
.LBB3_24:                               ;   in Loop: Header=BB3_7 Depth=1
	s_or_b64 exec, exec, s[36:37]
.LBB3_25:                               ;   in Loop: Header=BB3_7 Depth=1
	s_andn2_saveexec_b64 s[6:7], s[34:35]
	s_cbranch_execz .LBB3_34
; %bb.26:                               ;   in Loop: Header=BB3_7 Depth=1
	v_cmp_gt_i32_e32 vcc, s52, v39
	s_and_saveexec_b64 s[8:9], vcc
	s_cbranch_execz .LBB3_33
; %bb.27:                               ;   in Loop: Header=BB3_7 Depth=1
	s_mul_i32 s30, s30, s15
	s_ashr_i32 s31, s30, 31
	s_waitcnt lgkmcnt(0)
	s_add_u32 s30, s22, s30
	s_addc_u32 s31, s23, s31
	s_ashr_i32 s34, s54, 31
	s_add_u32 s30, s30, s54
	s_addc_u32 s31, s31, s34
	v_lshl_add_u64 v[0:1], s[30:31], 0, v[22:23]
	v_lshl_add_u64 v[24:25], v[0:1], 0, v[20:21]
	s_mov_b64 s[30:31], 0
	s_branch .LBB3_29
.LBB3_28:                               ;   in Loop: Header=BB3_29 Depth=2
	s_or_b64 exec, exec, s[34:35]
	v_lshl_add_u32 v40, v26, 12, v35
	;;#ASMSTART
	s_waitcnt vmcnt(3)
	;;#ASMEND
	ds_write2_b32 v40, v12, v13 offset1:32
	ds_write2_b32 v40, v14, v15 offset0:64 offset1:96
	v_add_u32_e32 v12, 0x400, v40
	;;#ASMSTART
	s_waitcnt vmcnt(2)
	;;#ASMEND
	ds_write2_b32 v12, v8, v9 offset1:32
	ds_write2_b32 v12, v10, v11 offset0:64 offset1:96
	v_add_u32_e32 v8, 0x800, v40
	;;#ASMSTART
	s_waitcnt vmcnt(1)
	;;#ASMEND
	ds_write2_b32 v8, v4, v5 offset1:32
	ds_write2_b32 v8, v6, v7 offset0:64 offset1:96
	v_add_u32_e32 v4, 0xc00, v40
	v_add_u32_e32 v39, s18, v39
	;;#ASMSTART
	s_waitcnt vmcnt(0)
	;;#ASMEND
	ds_write2_b32 v4, v0, v1 offset1:32
	ds_write2_b32 v4, v2, v3 offset0:64 offset1:96
	v_add_u32_e32 v0, 1, v28
	v_add_u32_e32 v6, s18, v26
	v_cmp_le_i32_e32 vcc, s52, v39
	ds_write_b32 v27, v0 offset:4
	v_add_u32_e32 v0, 2, v28
	s_or_b64 s[30:31], vcc, s[30:31]
	v_cmp_lt_i32_e32 vcc, 0, v6
	s_nop 1
	v_cndmask_b32_e32 v28, v28, v0, vcc
	s_andn2_b64 exec, exec, s[30:31]
	s_cbranch_execz .LBB3_32
.LBB3_29:                               ;   Parent Loop BB3_7 Depth=1
                                        ; =>  This Loop Header: Depth=2
                                        ;       Child Loop BB3_31 Depth 3
	v_cmp_lt_i32_e32 vcc, 0, v6
	v_lshlrev_b32_e32 v0, 8, v39
	v_ashrrev_i32_e32 v1, 31, v0
	v_subbrev_co_u32_e32 v26, vcc, 0, v6, vcc
	v_lshl_add_u64 v[0:1], v[24:25], 0, v[0:1]
	v_lshlrev_b32_e32 v27, 2, v26
	;;#ASMSTART
	global_load_dwordx4 v[12:15], v[0:1], off offset:0    sc0 sc1 nt  
	global_load_dwordx4 v[8:11], v[0:1], off offset:64   sc0 sc1 nt  
	global_load_dwordx4 v[4:7], v[0:1], off offset:128  sc0 sc1 nt  
	global_load_dwordx4 v[0:3], v[0:1], off offset:192  sc0 sc1 nt  
	
	;;#ASMEND
	ds_read_b32 v40, v27 offset:8196
	v_add_u32_e32 v27, 0x2000, v27
	s_waitcnt lgkmcnt(0)
	v_cmp_ne_u32_e32 vcc, v40, v28
	s_and_saveexec_b64 s[34:35], vcc
	s_cbranch_execz .LBB3_28
; %bb.30:                               ;   in Loop: Header=BB3_29 Depth=2
	s_mov_b64 s[36:37], 0
.LBB3_31:                               ;   Parent Loop BB3_7 Depth=1
                                        ;     Parent Loop BB3_29 Depth=2
                                        ; =>    This Inner Loop Header: Depth=3
	;;#ASMSTART
	s_sleep 0
	;;#ASMEND
	ds_read_b32 v40, v27 offset:4
	s_waitcnt lgkmcnt(0)
	v_cmp_eq_u32_e32 vcc, v40, v28
	s_or_b64 s[36:37], vcc, s[36:37]
	s_andn2_b64 exec, exec, s[36:37]
	s_cbranch_execnz .LBB3_31
	s_branch .LBB3_28
.LBB3_32:                               ;   in Loop: Header=BB3_7 Depth=1
	s_or_b64 exec, exec, s[30:31]
.LBB3_33:                               ;   in Loop: Header=BB3_7 Depth=1
	s_or_b64 exec, exec, s[8:9]
	v_subrev_u32_e32 v39, s52, v39
.LBB3_34:                               ;   in Loop: Header=BB3_7 Depth=1
	s_or_b64 exec, exec, s[6:7]
.LBB3_35:                               ;   in Loop: Header=BB3_7 Depth=1
	s_andn2_saveexec_b64 s[6:7], s[28:29]
	s_cbranch_execz .LBB3_6
; %bb.36:                               ;   in Loop: Header=BB3_7 Depth=1
	v_cmp_gt_i32_e32 vcc, s52, v39
	s_and_saveexec_b64 s[8:9], vcc
	s_cbranch_execz .LBB3_5
; %bb.37:                               ;   in Loop: Header=BB3_7 Depth=1
	s_mul_i32 s53, s53, s14
	s_ashr_i32 s28, s53, 31
	s_waitcnt lgkmcnt(0)
	s_add_u32 s29, s20, s53
	s_addc_u32 s30, s21, s28
	s_ashr_i32 s31, s54, 31
	v_cmp_le_i32_e32 vcc, s55, v36
	s_add_u32 s28, s29, s54
	s_addc_u32 s29, s30, s31
	v_cndmask_b32_e32 v0, 0, v37, vcc
	v_ashrrev_i32_e32 v1, 31, v0
	v_lshl_add_u64 v[0:1], s[28:29], 0, v[0:1]
	v_lshl_add_u64 v[24:25], v[0:1], 0, v[20:21]
	s_mov_b64 s[28:29], 0
	s_branch .LBB3_39
.LBB3_38:                               ;   in Loop: Header=BB3_39 Depth=2
	s_or_b64 exec, exec, s[30:31]
	v_lshl_or_b32 v40, v26, 12, v34
	;;#ASMSTART
	s_waitcnt vmcnt(3)
	;;#ASMEND
	ds_write2_b32 v40, v12, v13 offset1:32
	ds_write2_b32 v40, v14, v15 offset0:64 offset1:96
	v_add_u32_e32 v12, 0x400, v40
	;;#ASMSTART
	s_waitcnt vmcnt(2)
	;;#ASMEND
	ds_write2_b32 v12, v8, v9 offset1:32
	ds_write2_b32 v12, v10, v11 offset0:64 offset1:96
	v_add_u32_e32 v8, 0x800, v40
	;; [unrolled: 6-line block ×3, first 2 shown]
	v_add_u32_e32 v39, s17, v39
	;;#ASMSTART
	s_waitcnt vmcnt(0)
	;;#ASMEND
	ds_write2_b32 v4, v0, v1 offset1:32
	ds_write2_b32 v4, v2, v3 offset0:64 offset1:96
	v_add_u32_e32 v0, 1, v28
	v_add_u32_e32 v6, s17, v26
	v_cmp_le_i32_e32 vcc, s52, v39
	ds_write_b32 v27, v0
	v_add_u32_e32 v0, 2, v28
	s_or_b64 s[28:29], vcc, s[28:29]
	v_cmp_lt_i32_e32 vcc, 0, v6
	s_nop 1
	v_cndmask_b32_e32 v28, v28, v0, vcc
	s_andn2_b64 exec, exec, s[28:29]
	s_cbranch_execz .LBB3_4
.LBB3_39:                               ;   Parent Loop BB3_7 Depth=1
                                        ; =>  This Loop Header: Depth=2
                                        ;       Child Loop BB3_41 Depth 3
	v_cmp_lt_i32_e32 vcc, 0, v6
	v_lshlrev_b32_e32 v0, 8, v39
	v_ashrrev_i32_e32 v1, 31, v0
	v_subbrev_co_u32_e32 v26, vcc, 0, v6, vcc
	v_lshl_add_u64 v[0:1], v[24:25], 0, v[0:1]
	v_lshlrev_b32_e32 v27, 2, v26
	;;#ASMSTART
	global_load_dwordx4 v[12:15], v[0:1], off offset:0    
	global_load_dwordx4 v[8:11], v[0:1], off offset:64   
	global_load_dwordx4 v[4:7], v[0:1], off offset:128  
	global_load_dwordx4 v[0:3], v[0:1], off offset:192  
	
	;;#ASMEND
	ds_read_b32 v40, v27 offset:8192
	v_add_u32_e32 v27, 0x2000, v27
	s_waitcnt lgkmcnt(0)
	v_cmp_ne_u32_e32 vcc, v40, v28
	s_and_saveexec_b64 s[30:31], vcc
	s_cbranch_execz .LBB3_38
; %bb.40:                               ;   in Loop: Header=BB3_39 Depth=2
	s_mov_b64 s[34:35], 0
.LBB3_41:                               ;   Parent Loop BB3_7 Depth=1
                                        ;     Parent Loop BB3_39 Depth=2
                                        ; =>    This Inner Loop Header: Depth=3
	;;#ASMSTART
	s_sleep 0
	;;#ASMEND
	ds_read_b32 v40, v27
	s_waitcnt lgkmcnt(0)
	v_cmp_eq_u32_e32 vcc, v40, v28
	s_or_b64 s[34:35], vcc, s[34:35]
	s_andn2_b64 exec, exec, s[34:35]
	s_cbranch_execnz .LBB3_41
	s_branch .LBB3_38
.LBB3_42:
	s_endpgm
	.section	.rodata,"a",@progbits
	.p2align	6, 0x0
	.amdhsa_kernel _Z19_skinny_gemm_kernelILi1ELi1ELi1ELi16ELi8EEvPKhS1_P6__halfPKfiiiiiiii
		.amdhsa_group_segment_fixed_size 8200
		.amdhsa_private_segment_fixed_size 0
		.amdhsa_kernarg_size 64
		.amdhsa_user_sgpr_count 2
		.amdhsa_user_sgpr_dispatch_ptr 0
		.amdhsa_user_sgpr_queue_ptr 0
		.amdhsa_user_sgpr_kernarg_segment_ptr 1
		.amdhsa_user_sgpr_dispatch_id 0
		.amdhsa_user_sgpr_kernarg_preload_length 0
		.amdhsa_user_sgpr_kernarg_preload_offset 0
		.amdhsa_user_sgpr_private_segment_size 0
		.amdhsa_uses_dynamic_stack 0
		.amdhsa_enable_private_segment 0
		.amdhsa_system_sgpr_workgroup_id_x 1
		.amdhsa_system_sgpr_workgroup_id_y 0
		.amdhsa_system_sgpr_workgroup_id_z 0
		.amdhsa_system_sgpr_workgroup_info 0
		.amdhsa_system_vgpr_workitem_id 0
		.amdhsa_next_free_vgpr 50
		.amdhsa_next_free_sgpr 56
		.amdhsa_accum_offset 52
		.amdhsa_reserve_vcc 1
		.amdhsa_float_round_mode_32 0
		.amdhsa_float_round_mode_16_64 0
		.amdhsa_float_denorm_mode_32 3
		.amdhsa_float_denorm_mode_16_64 3
		.amdhsa_dx10_clamp 1
		.amdhsa_ieee_mode 1
		.amdhsa_fp16_overflow 0
		.amdhsa_tg_split 0
		.amdhsa_exception_fp_ieee_invalid_op 0
		.amdhsa_exception_fp_denorm_src 0
		.amdhsa_exception_fp_ieee_div_zero 0
		.amdhsa_exception_fp_ieee_overflow 0
		.amdhsa_exception_fp_ieee_underflow 0
		.amdhsa_exception_fp_ieee_inexact 0
		.amdhsa_exception_int_div_zero 0
	.end_amdhsa_kernel
	.section	.text._Z19_skinny_gemm_kernelILi1ELi1ELi1ELi16ELi8EEvPKhS1_P6__halfPKfiiiiiiii,"axG",@progbits,_Z19_skinny_gemm_kernelILi1ELi1ELi1ELi16ELi8EEvPKhS1_P6__halfPKfiiiiiiii,comdat
.Lfunc_end3:
	.size	_Z19_skinny_gemm_kernelILi1ELi1ELi1ELi16ELi8EEvPKhS1_P6__halfPKfiiiiiiii, .Lfunc_end3-_Z19_skinny_gemm_kernelILi1ELi1ELi1ELi16ELi8EEvPKhS1_P6__halfPKfiiiiiiii
                                        ; -- End function
	.set _Z19_skinny_gemm_kernelILi1ELi1ELi1ELi16ELi8EEvPKhS1_P6__halfPKfiiiiiiii.num_vgpr, 50
	.set _Z19_skinny_gemm_kernelILi1ELi1ELi1ELi16ELi8EEvPKhS1_P6__halfPKfiiiiiiii.num_agpr, 0
	.set _Z19_skinny_gemm_kernelILi1ELi1ELi1ELi16ELi8EEvPKhS1_P6__halfPKfiiiiiiii.numbered_sgpr, 56
	.set _Z19_skinny_gemm_kernelILi1ELi1ELi1ELi16ELi8EEvPKhS1_P6__halfPKfiiiiiiii.num_named_barrier, 0
	.set _Z19_skinny_gemm_kernelILi1ELi1ELi1ELi16ELi8EEvPKhS1_P6__halfPKfiiiiiiii.private_seg_size, 0
	.set _Z19_skinny_gemm_kernelILi1ELi1ELi1ELi16ELi8EEvPKhS1_P6__halfPKfiiiiiiii.uses_vcc, 1
	.set _Z19_skinny_gemm_kernelILi1ELi1ELi1ELi16ELi8EEvPKhS1_P6__halfPKfiiiiiiii.uses_flat_scratch, 0
	.set _Z19_skinny_gemm_kernelILi1ELi1ELi1ELi16ELi8EEvPKhS1_P6__halfPKfiiiiiiii.has_dyn_sized_stack, 0
	.set _Z19_skinny_gemm_kernelILi1ELi1ELi1ELi16ELi8EEvPKhS1_P6__halfPKfiiiiiiii.has_recursion, 0
	.set _Z19_skinny_gemm_kernelILi1ELi1ELi1ELi16ELi8EEvPKhS1_P6__halfPKfiiiiiiii.has_indirect_call, 0
	.section	.AMDGPU.csdata,"",@progbits
; Kernel info:
; codeLenInByte = 2936
; TotalNumSgprs: 62
; NumVgprs: 50
; NumAgprs: 0
; TotalNumVgprs: 50
; ScratchSize: 0
; MemoryBound: 0
; FloatMode: 240
; IeeeMode: 1
; LDSByteSize: 8200 bytes/workgroup (compile time only)
; SGPRBlocks: 7
; VGPRBlocks: 6
; NumSGPRsForWavesPerEU: 62
; NumVGPRsForWavesPerEU: 50
; AccumOffset: 52
; Occupancy: 8
; WaveLimiterHint : 0
; COMPUTE_PGM_RSRC2:SCRATCH_EN: 0
; COMPUTE_PGM_RSRC2:USER_SGPR: 2
; COMPUTE_PGM_RSRC2:TRAP_HANDLER: 0
; COMPUTE_PGM_RSRC2:TGID_X_EN: 1
; COMPUTE_PGM_RSRC2:TGID_Y_EN: 0
; COMPUTE_PGM_RSRC2:TGID_Z_EN: 0
; COMPUTE_PGM_RSRC2:TIDIG_COMP_CNT: 0
; COMPUTE_PGM_RSRC3_GFX90A:ACCUM_OFFSET: 12
; COMPUTE_PGM_RSRC3_GFX90A:TG_SPLIT: 0
	.section	.text._Z19_skinny_gemm_kernelILi1ELi1ELi1ELi32ELi4EEvPKhS1_P6__halfPKfiiiiiiii,"axG",@progbits,_Z19_skinny_gemm_kernelILi1ELi1ELi1ELi32ELi4EEvPKhS1_P6__halfPKfiiiiiiii,comdat
	.protected	_Z19_skinny_gemm_kernelILi1ELi1ELi1ELi32ELi4EEvPKhS1_P6__halfPKfiiiiiiii ; -- Begin function _Z19_skinny_gemm_kernelILi1ELi1ELi1ELi32ELi4EEvPKhS1_P6__halfPKfiiiiiiii
	.globl	_Z19_skinny_gemm_kernelILi1ELi1ELi1ELi32ELi4EEvPKhS1_P6__halfPKfiiiiiiii
	.p2align	8
	.type	_Z19_skinny_gemm_kernelILi1ELi1ELi1ELi32ELi4EEvPKhS1_P6__halfPKfiiiiiiii,@function
_Z19_skinny_gemm_kernelILi1ELi1ELi1ELi32ELi4EEvPKhS1_P6__halfPKfiiiiiiii: ; @_Z19_skinny_gemm_kernelILi1ELi1ELi1ELi32ELi4EEvPKhS1_P6__halfPKfiiiiiiii
; %bb.0:
	v_cmp_gt_u32_e32 vcc, 2, v0
	s_and_saveexec_b64 s[4:5], vcc
; %bb.1:
	v_lshlrev_b32_e32 v1, 2, v0
	v_mov_b32_e32 v2, 0
	ds_write_b32 v1, v2 offset:4096
; %bb.2:
	s_or_b64 exec, exec, s[4:5]
	s_load_dwordx8 s[36:43], s[0:1], 0x20
	s_waitcnt lgkmcnt(0)
	s_barrier
	s_add_i32 s3, s36, 31
	s_ashr_i32 s5, s3, 31
	s_add_i32 s4, s37, 31
	s_lshr_b32 s5, s5, 27
	s_ashr_i32 s6, s4, 31
	s_add_i32 s3, s3, s5
	s_ashr_i32 s33, s3, 5
	s_lshr_b32 s3, s6, 27
	s_add_i32 s4, s4, s3
	s_ashr_i32 s62, s4, 5
	s_mul_i32 s3, s62, s33
	s_mul_i32 s3, s3, s40
	s_add_i32 s4, s3, 0x12f
	s_mul_hi_i32 s4, s4, 0x6bca1af3
	s_lshr_b32 s5, s4, 31
	s_ashr_i32 s4, s4, 7
	s_add_i32 s4, s4, s5
	s_add_i32 s5, s2, 1
	s_mul_i32 s5, s4, s5
	v_cvt_f64_i32_e32 v[2:3], s3
	v_cvt_f64_u32_e32 v[4:5], s5
	v_min_f64 v[2:3], v[2:3], v[4:5]
	v_cvt_i32_f64_e32 v46, v[2:3]
	s_mul_i32 s63, s4, s2
	v_cmp_ge_i32_e32 vcc, s63, v46
	s_cbranch_vccnz .LBB4_48
; %bb.3:
	v_lshrrev_b32_e32 v1, 6, v0
	s_add_i32 s4, s42, s41
	s_load_dwordx8 s[44:51], s[0:1], 0x0
	v_cmp_le_i32_e64 s[0:1], s4, v1
	v_mov_b32_e32 v2, s41
	v_cmp_le_i32_e64 s[2:3], s41, v1
	v_mov_b32_e32 v3, s42
	v_cndmask_b32_e64 v3, 0, v3, s[0:1]
	v_cndmask_b32_e64 v2, 0, v2, s[2:3]
	s_abs_i32 s5, s40
	v_add_u32_e32 v2, v2, v3
	v_cvt_f32_u32_e32 v3, s5
	v_sub_u32_e32 v40, v1, v2
	s_ashr_i32 s6, s38, 31
	s_lshr_b32 s6, s6, 26
	v_rcp_iflag_f32_e32 v2, v3
	s_sub_i32 s9, 0, s5
	s_add_i32 s6, s38, s6
	s_ashr_i32 s6, s6, 6
	v_mul_f32_e32 v2, 0x4f7ffffe, v2
	v_cvt_u32_f32_e32 v2, v2
	s_abs_i32 s8, s6
	s_xor_b32 s7, s6, s40
	s_ashr_i32 s7, s7, 31
	v_readfirstlane_b32 s10, v2
	s_mul_i32 s9, s9, s10
	s_mul_hi_u32 s9, s10, s9
	s_add_i32 s10, s10, s9
	s_mul_hi_u32 s9, s8, s10
	s_mul_i32 s10, s9, s5
	s_sub_i32 s8, s8, s10
	s_add_i32 s10, s9, 1
	s_sub_i32 s11, s8, s5
	s_cmp_ge_u32 s8, s5
	s_cselect_b32 s9, s10, s9
	s_cselect_b32 s8, s11, s8
	s_add_i32 s10, s9, 1
	s_cmp_ge_u32 s8, s5
	s_cselect_b32 s5, s10, s9
	s_xor_b32 s5, s5, s7
	s_sub_i32 s64, s5, s7
	s_add_i32 s40, s40, -1
	s_mul_i32 s5, s64, s40
	s_add_i32 s4, s4, s43
	v_and_b32_e32 v48, 31, v0
	v_lshrrev_b32_e32 v2, 3, v0
	s_sub_i32 s65, s6, s5
	v_cmp_gt_i32_e64 s[4:5], s4, v1
	v_lshlrev_b32_e32 v1, 2, v48
	v_and_b32_e32 v3, 4, v2
	v_and_b32_e32 v5, 1, v0
	v_lshlrev_b32_e32 v2, 6, v3
	v_or_b32_e32 v4, 0x800, v1
	v_or_b32_e32 v3, v3, v5
	;; [unrolled: 1-line block ×4, first 2 shown]
	v_lshlrev_b32_e32 v2, 1, v5
	v_or_b32_e32 v5, 2, v3
	v_sub_u32_e32 v60, 32, v5
	v_or_b32_e32 v5, 8, v3
	v_sub_u32_e32 v61, 32, v5
	;; [unrolled: 2-line block ×5, first 2 shown]
	v_mul_lo_u32 v18, s37, v3
	v_sub_u32_e32 v64, 32, v5
	v_or_b32_e32 v5, 24, v3
	v_or_b32_e32 v3, 26, v3
	v_sub_u32_e32 v66, 32, v3
	v_lshrrev_b32_e32 v3, 1, v0
	s_abs_i32 s66, s33
	v_and_b32_e32 v34, 16, v3
	v_cvt_f32_u32_e32 v3, s66
	v_sub_u32_e32 v65, 32, v5
	v_lshlrev_b32_e32 v5, 4, v0
	v_and_b32_e32 v5, 0x200, v5
	v_rcp_iflag_f32_e32 v3, v3
	s_abs_i32 s67, s62
	v_or_b32_e32 v70, v1, v5
	v_cvt_f32_u32_e32 v1, s67
	v_sub_u32_e32 v2, v0, v2
	v_add_u32_e32 v2, 1, v2
	s_lshl_b32 s6, s37, 1
	v_and_b32_e32 v6, 63, v2
	v_bitop3_b32 v51, v0, 1, v0 bitop3:0xc
	v_bitop3_b32 v52, v0, 3, 1 bitop3:0x6c
	;; [unrolled: 1-line block ×8, first 2 shown]
	v_and_b32_e32 v2, 30, v0
	v_add_u32_e32 v20, s6, v18
	s_mul_i32 s7, s37, 6
	v_bitop3_b32 v68, v0, 31, v0 bitop3:0xc
	v_mul_f32_e32 v0, 0x4f7ffffe, v3
	v_add_u32_e32 v22, s7, v20
	v_cvt_u32_f32_e32 v0, v0
	v_rcp_iflag_f32_e32 v1, v1
	v_add_u32_e32 v24, s6, v22
	v_add_u32_e32 v26, s7, v24
	;; [unrolled: 1-line block ×4, first 2 shown]
	v_readfirstlane_b32 s7, v0
	v_mul_f32_e32 v0, 0x4f7ffffe, v1
	v_cvt_u32_f32_e32 v0, v0
	v_add_u32_e32 v32, s6, v30
	s_sub_i32 s6, 0, s66
	s_mul_i32 s6, s6, s7
	s_mul_hi_u32 s6, s7, s6
	s_add_i32 s69, s7, s6
	s_sub_i32 s6, 0, s67
	v_readfirstlane_b32 s7, v0
	v_mbcnt_lo_u32_b32 v0, -1, 0
	s_mul_i32 s6, s6, s7
	v_mbcnt_hi_u32_b32 v0, -1, v0
	v_mov_b32_e32 v17, 0
	v_mul_lo_u32 v36, s39, v48
	s_mul_hi_u32 s6, s7, s6
	v_and_or_b32 v0, v0, 64, v6
	v_cndmask_b32_e64 v47, 0, 1, s[0:1]
	v_ashrrev_i32_e32 v19, 31, v18
	v_ashrrev_i32_e32 v21, 31, v20
	;; [unrolled: 1-line block ×9, first 2 shown]
	v_mov_b32_e32 v35, v17
	v_or_b32_e32 v67, v4, v5
	v_mul_lo_u32 v69, s38, v48
	s_ashr_i32 s68, s33, 31
	s_ashr_i32 s70, s62, 31
	s_add_i32 s71, s7, s6
	v_lshlrev_b32_e32 v16, 1, v2
	v_lshlrev_b32_e32 v71, 2, v0
	v_mov_b32_e32 v72, v40
	s_branch .LBB4_7
.LBB4_4:                                ;   in Loop: Header=BB4_7 Depth=1
	s_or_b64 exec, exec, s[10:11]
.LBB4_5:                                ;   in Loop: Header=BB4_7 Depth=1
	s_or_b64 exec, exec, s[8:9]
	v_subrev_u32_e32 v72, s72, v72
.LBB4_6:                                ;   in Loop: Header=BB4_7 Depth=1
	s_or_b64 exec, exec, s[6:7]
	s_add_i32 s63, s63, 1
	v_cmp_ge_i32_e32 vcc, s63, v46
	s_cbranch_vccnz .LBB4_48
.LBB4_7:                                ; =>This Loop Header: Depth=1
                                        ;     Child Loop BB4_13 Depth 2
                                        ;       Child Loop BB4_15 Depth 3
                                        ;       Child Loop BB4_18 Depth 3
                                        ;     Child Loop BB4_35 Depth 2
                                        ;       Child Loop BB4_37 Depth 3
                                        ;     Child Loop BB4_45 Depth 2
                                        ;       Child Loop BB4_47 Depth 3
	s_abs_i32 s7, s63
	s_mul_hi_u32 s8, s7, s69
	s_mul_i32 s9, s8, s66
	s_ashr_i32 s6, s63, 31
	s_sub_i32 s7, s7, s9
	s_xor_b32 s6, s6, s68
	s_add_i32 s9, s8, 1
	s_sub_i32 s10, s7, s66
	s_cmp_ge_u32 s7, s66
	s_cselect_b32 s8, s9, s8
	s_cselect_b32 s7, s10, s7
	s_add_i32 s9, s8, 1
	s_cmp_ge_u32 s7, s66
	s_cselect_b32 s7, s9, s8
	s_xor_b32 s7, s7, s6
	s_sub_i32 s6, s7, s6
	s_abs_i32 s8, s6
	s_mul_i32 s7, s6, s33
	s_mul_hi_u32 s9, s8, s71
	s_sub_i32 s7, s63, s7
	s_mul_i32 s10, s9, s67
	s_lshl_b32 s73, s7, 5
	s_ashr_i32 s7, s6, 31
	s_sub_i32 s8, s8, s10
	s_xor_b32 s7, s7, s70
	s_add_i32 s10, s9, 1
	s_sub_i32 s11, s8, s67
	s_cmp_ge_u32 s8, s67
	s_cselect_b32 s9, s10, s9
	s_cselect_b32 s8, s11, s8
	s_add_i32 s10, s9, 1
	s_cmp_ge_u32 s8, s67
	s_cselect_b32 s8, s10, s9
	s_xor_b32 s8, s8, s7
	s_sub_i32 s7, s8, s7
	s_mul_i32 s8, s7, s64
	s_lshl_b32 s74, s8, 6
	s_cmp_eq_u32 s7, s40
	s_cselect_b32 s72, s65, s64
	s_sub_i32 s75, s73, s36
	s_add_i32 s75, s75, 32
	s_and_saveexec_b64 s[8:9], s[2:3]
	s_xor_b64 s[52:53], exec, s[8:9]
	s_cbranch_execz .LBB4_41
; %bb.8:                                ;   in Loop: Header=BB4_7 Depth=1
	s_mul_i32 s7, s7, s62
	s_sub_i32 s6, s6, s7
	s_lshl_b32 s6, s6, 5
	s_sub_i32 s14, s6, s37
	s_add_i32 s14, s14, 32
	s_max_i32 s7, s14, 0
	s_sub_i32 s54, s6, s7
	s_and_saveexec_b64 s[6:7], s[0:1]
	s_xor_b64 s[56:57], exec, s[6:7]
	s_cbranch_execz .LBB4_31
; %bb.9:                                ;   in Loop: Header=BB4_7 Depth=1
	s_and_saveexec_b64 s[58:59], s[4:5]
	s_cbranch_execz .LBB4_30
; %bb.10:                               ;   in Loop: Header=BB4_7 Depth=1
	s_waitcnt lgkmcnt(0)
	global_load_dword v73, v17, s[50:51]
	v_mov_b32_e32 v15, 0
	v_cmp_gt_i32_e32 vcc, s72, v72
	v_mov_b32_e32 v14, v15
	v_mov_b32_e32 v13, v15
	;; [unrolled: 1-line block ×15, first 2 shown]
	s_and_saveexec_b64 s[6:7], vcc
	s_cbranch_execz .LBB4_20
; %bb.11:                               ;   in Loop: Header=BB4_7 Depth=1
	v_mov_b32_e32 v0, 0
	s_mov_b64 s[8:9], 0
	v_mov_b32_e32 v1, v0
	v_mov_b32_e32 v2, v0
	;; [unrolled: 1-line block ×15, first 2 shown]
	s_branch .LBB4_13
.LBB4_12:                               ;   in Loop: Header=BB4_13 Depth=2
	s_or_b64 exec, exec, s[10:11]
	v_add_u32_e32 v77, v50, v77
	ds_read2_b32 v[78:79], v77 offset1:32
	v_add_u32_e32 v72, s43, v72
	s_waitcnt lgkmcnt(0)
	v_mfma_f32_32x32x16_fp8_fp8 v[0:15], v[44:45], v[78:79], v[0:15]
	ds_read2_b32 v[44:45], v77 offset0:128 offset1:160
	s_waitcnt lgkmcnt(0)
	v_mfma_f32_32x32x16_fp8_fp8 v[0:15], v[42:43], v[44:45], v[0:15]
	v_add_u32_e32 v44, 0x400, v77
	ds_read2_b32 v[42:43], v44 offset1:32
	ds_read2_b32 v[44:45], v44 offset0:128 offset1:160
	ds_write_b32 v75, v76 offset:4100
	s_waitcnt lgkmcnt(2)
	v_mfma_f32_32x32x16_fp8_fp8 v[0:15], v[40:41], v[42:43], v[0:15]
	v_add_u32_e32 v40, s43, v74
	v_add_u32_e32 v41, 2, v47
	v_cmp_lt_i32_e32 vcc, 0, v40
	s_nop 1
	v_cndmask_b32_e32 v47, v47, v41, vcc
	v_cmp_le_i32_e32 vcc, s72, v72
	s_waitcnt lgkmcnt(1)
	v_mfma_f32_32x32x16_fp8_fp8 v[0:15], v[38:39], v[44:45], v[0:15]
	s_or_b64 s[8:9], vcc, s[8:9]
	s_andn2_b64 exec, exec, s[8:9]
	s_cbranch_execz .LBB4_19
.LBB4_13:                               ;   Parent Loop BB4_7 Depth=1
                                        ; =>  This Loop Header: Depth=2
                                        ;       Child Loop BB4_15 Depth 3
                                        ;       Child Loop BB4_18 Depth 3
	v_cmp_lt_i32_e32 vcc, 0, v40
	s_nop 1
	v_subbrev_co_u32_e32 v74, vcc, 0, v40, vcc
	v_lshlrev_b32_e32 v75, 3, v74
	ds_read_b32 v38, v75 offset:4096
	s_waitcnt lgkmcnt(0)
	v_cmp_ne_u32_e32 vcc, v38, v47
	s_and_saveexec_b64 s[10:11], vcc
	s_cbranch_execz .LBB4_16
; %bb.14:                               ;   in Loop: Header=BB4_13 Depth=2
	s_mov_b64 s[12:13], 0
.LBB4_15:                               ;   Parent Loop BB4_7 Depth=1
                                        ;     Parent Loop BB4_13 Depth=2
                                        ; =>    This Inner Loop Header: Depth=3
	;;#ASMSTART
	s_sleep 0
	;;#ASMEND
	ds_read_b32 v38, v75 offset:4096
	s_waitcnt lgkmcnt(0)
	v_cmp_eq_u32_e32 vcc, v38, v47
	s_or_b64 s[12:13], vcc, s[12:13]
	s_andn2_b64 exec, exec, s[12:13]
	s_cbranch_execnz .LBB4_15
.LBB4_16:                               ;   in Loop: Header=BB4_13 Depth=2
	s_or_b64 exec, exec, s[10:11]
	v_lshlrev_b32_e32 v77, 11, v74
	v_or_b32_e32 v38, v49, v77
	ds_read2_b32 v[44:45], v38 offset1:32
	ds_read2_b32 v[42:43], v38 offset0:128 offset1:160
	v_add_u32_e32 v38, 0x400, v38
	ds_read2_b32 v[40:41], v38 offset1:32
	ds_read_b32 v78, v75 offset:4100
	ds_read2_b32 v[38:39], v38 offset0:128 offset1:160
	v_add_u32_e32 v76, 1, v47
	ds_write_b32 v75, v76 offset:4096
	s_waitcnt lgkmcnt(2)
	v_cmp_ne_u32_e32 vcc, v78, v47
	s_and_saveexec_b64 s[10:11], vcc
	s_cbranch_execz .LBB4_12
; %bb.17:                               ;   in Loop: Header=BB4_13 Depth=2
	s_mov_b64 s[12:13], 0
.LBB4_18:                               ;   Parent Loop BB4_7 Depth=1
                                        ;     Parent Loop BB4_13 Depth=2
                                        ; =>    This Inner Loop Header: Depth=3
	;;#ASMSTART
	s_sleep 0
	;;#ASMEND
	ds_read_b32 v78, v75 offset:4100
	s_waitcnt lgkmcnt(0)
	v_cmp_eq_u32_e32 vcc, v78, v47
	s_or_b64 s[12:13], vcc, s[12:13]
	s_andn2_b64 exec, exec, s[12:13]
	s_cbranch_execnz .LBB4_18
	s_branch .LBB4_12
.LBB4_19:                               ;   in Loop: Header=BB4_7 Depth=1
	s_or_b64 exec, exec, s[8:9]
.LBB4_20:                               ;   in Loop: Header=BB4_7 Depth=1
	s_or_b64 exec, exec, s[6:7]
	v_cmp_le_i32_e32 vcc, s14, v48
	v_cmp_eq_u32_e64 s[6:7], 3, v51
	v_cmp_eq_u32_e64 s[8:9], 4, v51
	s_waitcnt vmcnt(0)
	v_cndmask_b32_e32 v38, 0, v73, vcc
	s_nop 1
	v_pk_mul_f32 v[0:1], v[38:39], v[0:1] op_sel_hi:[0,1]
	v_cmp_eq_u32_e32 vcc, 1, v51
	v_pk_mul_f32 v[14:15], v[38:39], v[14:15] op_sel_hi:[0,1]
	v_pk_mul_f32 v[12:13], v[38:39], v[12:13] op_sel_hi:[0,1]
	;; [unrolled: 1-line block ×7, first 2 shown]
	v_cndmask_b32_e32 v38, v0, v1, vcc
	v_cmp_eq_u32_e32 vcc, 2, v51
	v_cmp_eq_u32_e64 s[10:11], 5, v51
	v_cmp_eq_u32_e64 s[12:13], 6, v51
	v_cndmask_b32_e32 v38, v38, v2, vcc
	v_cndmask_b32_e64 v38, v38, v3, s[6:7]
	v_cndmask_b32_e64 v38, v38, v4, s[8:9]
	;; [unrolled: 1-line block ×4, first 2 shown]
	v_cmp_eq_u32_e64 s[14:15], 7, v51
	v_cmp_eq_u32_e64 s[16:17], 8, v51
	v_cmp_eq_u32_e64 s[18:19], 9, v51
	v_cndmask_b32_e64 v38, v38, v7, s[14:15]
	v_cndmask_b32_e64 v38, v38, v8, s[16:17]
	v_cndmask_b32_e64 v38, v38, v9, s[18:19]
	v_cmp_eq_u32_e64 s[20:21], 10, v51
	v_cmp_eq_u32_e64 s[22:23], 11, v51
	v_cmp_eq_u32_e64 s[24:25], 12, v51
	v_cndmask_b32_e64 v38, v38, v10, s[20:21]
	v_cndmask_b32_e64 v38, v38, v11, s[22:23]
	v_cndmask_b32_e64 v38, v38, v12, s[24:25]
	;; [unrolled: 6-line block ×3, first 2 shown]
	ds_bpermute_b32 v38, v71, v38
	v_cmp_eq_u32_e64 s[34:35], 15, v52
	s_waitcnt lgkmcnt(0)
	v_cndmask_b32_e32 v2, v2, v38, vcc
	v_cmp_ne_u32_e32 vcc, 0, v51
	v_cndmask_b32_e64 v15, v15, v38, s[30:31]
	v_cndmask_b32_e64 v14, v14, v38, s[28:29]
	v_cndmask_b32_e32 v1, v1, v38, vcc
	v_cmp_eq_u32_e32 vcc, 0, v51
	v_cndmask_b32_e64 v13, v13, v38, s[26:27]
	v_cndmask_b32_e64 v12, v12, v38, s[24:25]
	v_cndmask_b32_e32 v0, v0, v38, vcc
	v_cmp_eq_u32_e32 vcc, 1, v52
	v_cndmask_b32_e64 v11, v11, v38, s[22:23]
	v_cndmask_b32_e64 v10, v10, v38, s[20:21]
	;; [unrolled: 1-line block ×9, first 2 shown]
	v_cndmask_b32_e32 v38, v0, v1, vcc
	v_cmp_eq_u32_e64 s[6:7], 2, v52
	v_cmp_eq_u32_e64 s[8:9], 3, v52
	v_cmp_eq_u32_e64 s[10:11], 4, v52
	v_cndmask_b32_e64 v38, v38, v2, s[6:7]
	v_cndmask_b32_e64 v38, v38, v3, s[8:9]
	v_cndmask_b32_e64 v38, v38, v4, s[10:11]
	v_cmp_eq_u32_e64 s[12:13], 5, v52
	v_cmp_eq_u32_e64 s[14:15], 6, v52
	v_cmp_eq_u32_e64 s[16:17], 7, v52
	v_cndmask_b32_e64 v38, v38, v5, s[12:13]
	v_cndmask_b32_e64 v38, v38, v6, s[14:15]
	v_cndmask_b32_e64 v38, v38, v7, s[16:17]
	v_cmp_eq_u32_e64 s[18:19], 8, v52
	v_cmp_eq_u32_e64 s[20:21], 9, v52
	v_cmp_eq_u32_e64 s[22:23], 10, v52
	v_cndmask_b32_e64 v38, v38, v8, s[18:19]
	v_cndmask_b32_e64 v38, v38, v9, s[20:21]
	v_cndmask_b32_e64 v38, v38, v10, s[22:23]
	v_cmp_eq_u32_e64 s[24:25], 11, v52
	v_cmp_eq_u32_e64 s[26:27], 12, v52
	v_cmp_eq_u32_e64 s[28:29], 13, v52
	v_cndmask_b32_e64 v38, v38, v11, s[24:25]
	v_cndmask_b32_e64 v38, v38, v12, s[26:27]
	v_cndmask_b32_e64 v38, v38, v13, s[28:29]
	v_cmp_eq_u32_e64 s[30:31], 14, v52
	s_nop 1
	v_cndmask_b32_e64 v38, v38, v14, s[30:31]
	v_cndmask_b32_e64 v38, v38, v15, s[34:35]
	ds_bpermute_b32 v38, v71, v38
	s_waitcnt lgkmcnt(0)
	v_cndmask_b32_e32 v1, v1, v38, vcc
	v_cmp_eq_u32_e32 vcc, 0, v52
	v_cndmask_b32_e64 v15, v15, v38, s[34:35]
	v_cndmask_b32_e64 v14, v14, v38, s[30:31]
	v_cndmask_b32_e32 v0, v0, v38, vcc
	v_cmp_eq_u32_e32 vcc, 1, v53
	v_cndmask_b32_e64 v13, v13, v38, s[28:29]
	v_cndmask_b32_e64 v12, v12, v38, s[26:27]
	v_cndmask_b32_e64 v11, v11, v38, s[24:25]
	v_cndmask_b32_e64 v10, v10, v38, s[22:23]
	v_cndmask_b32_e64 v9, v9, v38, s[20:21]
	v_cndmask_b32_e64 v8, v8, v38, s[18:19]
	v_cndmask_b32_e64 v7, v7, v38, s[16:17]
	v_cndmask_b32_e64 v6, v6, v38, s[14:15]
	v_cndmask_b32_e64 v5, v5, v38, s[12:13]
	v_cndmask_b32_e64 v4, v4, v38, s[10:11]
	v_cndmask_b32_e64 v3, v3, v38, s[8:9]
	v_cndmask_b32_e64 v2, v2, v38, s[6:7]
	v_cndmask_b32_e32 v38, v0, v1, vcc
	v_cmp_eq_u32_e64 s[6:7], 2, v53
	v_cmp_eq_u32_e64 s[8:9], 3, v53
	v_cmp_eq_u32_e64 s[10:11], 4, v53
	v_cndmask_b32_e64 v38, v38, v2, s[6:7]
	v_cndmask_b32_e64 v38, v38, v3, s[8:9]
	v_cndmask_b32_e64 v38, v38, v4, s[10:11]
	v_cmp_eq_u32_e64 s[12:13], 5, v53
	v_cmp_eq_u32_e64 s[14:15], 6, v53
	v_cmp_eq_u32_e64 s[16:17], 7, v53
	v_cndmask_b32_e64 v38, v38, v5, s[12:13]
	v_cndmask_b32_e64 v38, v38, v6, s[14:15]
	v_cndmask_b32_e64 v38, v38, v7, s[16:17]
	v_cmp_eq_u32_e64 s[18:19], 8, v53
	v_cmp_eq_u32_e64 s[20:21], 9, v53
	v_cmp_eq_u32_e64 s[22:23], 10, v53
	v_cndmask_b32_e64 v38, v38, v8, s[18:19]
	v_cndmask_b32_e64 v38, v38, v9, s[20:21]
	v_cndmask_b32_e64 v38, v38, v10, s[22:23]
	v_cmp_eq_u32_e64 s[24:25], 11, v53
	v_cmp_eq_u32_e64 s[26:27], 12, v53
	v_cmp_eq_u32_e64 s[28:29], 13, v53
	v_cndmask_b32_e64 v38, v38, v11, s[24:25]
	v_cndmask_b32_e64 v38, v38, v12, s[26:27]
	v_cndmask_b32_e64 v38, v38, v13, s[28:29]
	v_cmp_eq_u32_e64 s[30:31], 14, v53
	v_cmp_eq_u32_e64 s[34:35], 15, v53
	s_nop 0
	v_cndmask_b32_e64 v38, v38, v14, s[30:31]
	v_cndmask_b32_e64 v38, v38, v15, s[34:35]
	ds_bpermute_b32 v38, v71, v38
	s_waitcnt lgkmcnt(0)
	v_cndmask_b32_e32 v1, v1, v38, vcc
	v_cmp_eq_u32_e32 vcc, 0, v53
	v_cndmask_b32_e64 v15, v15, v38, s[34:35]
	v_cndmask_b32_e64 v14, v14, v38, s[30:31]
	v_cndmask_b32_e32 v0, v0, v38, vcc
	v_cmp_eq_u32_e32 vcc, 1, v54
	v_cndmask_b32_e64 v13, v13, v38, s[28:29]
	v_cndmask_b32_e64 v12, v12, v38, s[26:27]
	v_cndmask_b32_e64 v11, v11, v38, s[24:25]
	v_cndmask_b32_e64 v10, v10, v38, s[22:23]
	v_cndmask_b32_e64 v9, v9, v38, s[20:21]
	v_cndmask_b32_e64 v8, v8, v38, s[18:19]
	v_cndmask_b32_e64 v7, v7, v38, s[16:17]
	v_cndmask_b32_e64 v6, v6, v38, s[14:15]
	v_cndmask_b32_e64 v5, v5, v38, s[12:13]
	v_cndmask_b32_e64 v4, v4, v38, s[10:11]
	v_cndmask_b32_e64 v3, v3, v38, s[8:9]
	v_cndmask_b32_e64 v2, v2, v38, s[6:7]
	v_cndmask_b32_e32 v38, v0, v1, vcc
	v_cmp_eq_u32_e64 s[6:7], 2, v54
	v_cmp_eq_u32_e64 s[8:9], 3, v54
	v_cmp_eq_u32_e64 s[10:11], 4, v54
	v_cndmask_b32_e64 v38, v38, v2, s[6:7]
	v_cndmask_b32_e64 v38, v38, v3, s[8:9]
	v_cndmask_b32_e64 v38, v38, v4, s[10:11]
	v_cmp_eq_u32_e64 s[12:13], 5, v54
	v_cmp_eq_u32_e64 s[14:15], 6, v54
	v_cmp_eq_u32_e64 s[16:17], 7, v54
	v_cndmask_b32_e64 v38, v38, v5, s[12:13]
	v_cndmask_b32_e64 v38, v38, v6, s[14:15]
	v_cndmask_b32_e64 v38, v38, v7, s[16:17]
	v_cmp_eq_u32_e64 s[18:19], 8, v54
	v_cmp_eq_u32_e64 s[20:21], 9, v54
	v_cmp_eq_u32_e64 s[22:23], 10, v54
	v_cndmask_b32_e64 v38, v38, v8, s[18:19]
	v_cndmask_b32_e64 v38, v38, v9, s[20:21]
	v_cndmask_b32_e64 v38, v38, v10, s[22:23]
	v_cmp_eq_u32_e64 s[24:25], 11, v54
	v_cmp_eq_u32_e64 s[26:27], 12, v54
	v_cmp_eq_u32_e64 s[28:29], 13, v54
	v_cndmask_b32_e64 v38, v38, v11, s[24:25]
	v_cndmask_b32_e64 v38, v38, v12, s[26:27]
	v_cndmask_b32_e64 v38, v38, v13, s[28:29]
	v_cmp_eq_u32_e64 s[30:31], 14, v54
	;; [unrolled: 50-line block ×4, first 2 shown]
	v_cmp_eq_u32_e64 s[34:35], 15, v56
	s_nop 0
	v_cndmask_b32_e64 v38, v38, v14, s[30:31]
	v_cndmask_b32_e64 v38, v38, v15, s[34:35]
	ds_bpermute_b32 v38, v71, v38
	s_waitcnt lgkmcnt(0)
	v_cndmask_b32_e32 v1, v1, v38, vcc
	v_cmp_eq_u32_e32 vcc, 0, v56
	v_cndmask_b32_e64 v15, v15, v38, s[34:35]
	v_cndmask_b32_e64 v14, v14, v38, s[30:31]
	;; [unrolled: 1-line block ×14, first 2 shown]
	v_cndmask_b32_e32 v38, v0, v38, vcc
	v_cmp_eq_u32_e32 vcc, 1, v57
	v_cmp_eq_u32_e64 s[6:7], 2, v57
	v_cmp_eq_u32_e64 s[8:9], 3, v57
	v_cndmask_b32_e32 v0, v38, v1, vcc
	v_cndmask_b32_e64 v0, v0, v74, s[6:7]
	v_cndmask_b32_e64 v0, v0, v73, s[8:9]
	v_cmp_eq_u32_e64 s[10:11], 4, v57
	v_cmp_eq_u32_e64 s[12:13], 5, v57
	v_cmp_eq_u32_e64 s[14:15], 6, v57
	v_cndmask_b32_e64 v0, v0, v45, s[10:11]
	v_cndmask_b32_e64 v0, v0, v44, s[12:13]
	v_cndmask_b32_e64 v0, v0, v43, s[14:15]
	v_cmp_eq_u32_e64 s[16:17], 7, v57
	v_cmp_eq_u32_e64 s[18:19], 8, v57
	v_cmp_eq_u32_e64 s[20:21], 9, v57
	v_cndmask_b32_e64 v0, v0, v42, s[16:17]
	;; [unrolled: 6-line block ×4, first 2 shown]
	v_cndmask_b32_e64 v0, v0, v14, s[30:31]
	v_cndmask_b32_e64 v0, v0, v15, s[34:35]
	ds_bpermute_b32 v75, v71, v0
	s_waitcnt lgkmcnt(0)
	v_cndmask_b32_e32 v0, v1, v75, vcc
	v_cmp_eq_u32_e32 vcc, 0, v57
	v_cndmask_b32_e64 v4, v15, v75, s[34:35]
	v_cndmask_b32_e64 v15, v74, v75, s[6:7]
	v_cndmask_b32_e32 v1, v38, v75, vcc
	v_cmp_eq_u32_e32 vcc, 1, v58
	v_cndmask_b32_e64 v5, v14, v75, s[30:31]
	v_cndmask_b32_e64 v14, v73, v75, s[8:9]
	;; [unrolled: 4-line block ×7, first 2 shown]
	v_cndmask_b32_e32 v38, v38, v13, vcc
	v_cmp_eq_u32_e32 vcc, 7, v58
	s_nop 1
	v_cndmask_b32_e32 v38, v38, v12, vcc
	v_cmp_eq_u32_e32 vcc, 8, v58
	s_nop 1
	;; [unrolled: 3-line block ×9, first 2 shown]
	v_cndmask_b32_e32 v38, v38, v4, vcc
	ds_bpermute_b32 v38, v71, v38
	v_cmp_lt_i32_e32 vcc, s75, v59
	s_and_saveexec_b64 s[60:61], vcc
	s_cbranch_execz .LBB4_29
; %bb.21:                               ;   in Loop: Header=BB4_7 Depth=1
	s_mul_i32 s6, s73, s37
	s_ashr_i32 s7, s6, 31
	s_lshl_b64 s[6:7], s[6:7], 1
	v_cmp_eq_u32_e64 s[30:31], 1, v58
	s_add_u32 s8, s48, s6
	s_addc_u32 s9, s49, s7
	s_waitcnt lgkmcnt(0)
	v_cndmask_b32_e64 v0, v0, v38, s[30:31]
	v_cmp_eq_u32_e64 s[30:31], 0, v58
	s_ashr_i32 s55, s54, 31
	s_lshl_b64 s[6:7], s[54:55], 1
	v_cndmask_b32_e64 v1, v1, v38, s[30:31]
	v_cvt_f16_f32_e32 v39, v1
	v_cvt_f16_f32_sdwa v41, v0 dst_sel:WORD_1 dst_unused:UNUSED_PAD src0_sel:DWORD
	s_add_u32 s34, s8, s6
	s_addc_u32 s35, s9, s7
	v_cmp_eq_u32_e64 s[8:9], 15, v58
	v_cmp_eq_u32_e64 s[10:11], 14, v58
	;; [unrolled: 1-line block ×10, first 2 shown]
	v_cmp_eq_u32_e32 vcc, 5, v58
	v_cmp_eq_u32_e64 s[6:7], 4, v58
	v_cmp_eq_u32_e64 s[28:29], 3, v58
	;; [unrolled: 1-line block ×3, first 2 shown]
	v_lshl_add_u64 v[0:1], s[34:35], 0, v[16:17]
	v_cmp_lt_i32_e64 s[34:35], s75, v60
	v_lshl_add_u64 v[42:43], v[18:19], 1, v[0:1]
	v_or_b32_e32 v39, v41, v39
	;;#ASMSTART
	global_atomic_pk_add_f16 v[42:43], v39, off
	
	;;#ASMEND
	s_and_b64 exec, exec, s[34:35]
	s_cbranch_execz .LBB4_29
; %bb.22:                               ;   in Loop: Header=BB4_7 Depth=1
	v_cndmask_b32_e64 v14, v14, v38, s[28:29]
	v_cndmask_b32_e64 v15, v15, v38, s[30:31]
	v_cvt_f16_f32_e32 v39, v15
	v_cvt_f16_f32_sdwa v41, v14 dst_sel:WORD_1 dst_unused:UNUSED_PAD src0_sel:DWORD
	v_cndmask_b32_e64 v4, v4, v38, s[8:9]
	v_cndmask_b32_e64 v5, v5, v38, s[10:11]
	;; [unrolled: 1-line block ×10, first 2 shown]
	v_cndmask_b32_e32 v2, v2, v38, vcc
	v_cndmask_b32_e64 v3, v3, v38, s[6:7]
	v_cmp_lt_i32_e32 vcc, s75, v61
	v_lshl_add_u64 v[14:15], v[20:21], 1, v[0:1]
	v_or_b32_e32 v38, v41, v39
	;;#ASMSTART
	global_atomic_pk_add_f16 v[14:15], v38, off
	
	;;#ASMEND
	s_and_b64 exec, exec, vcc
	s_cbranch_execz .LBB4_29
; %bb.23:                               ;   in Loop: Header=BB4_7 Depth=1
	v_cvt_f16_f32_e32 v14, v3
	v_cvt_f16_f32_sdwa v15, v2 dst_sel:WORD_1 dst_unused:UNUSED_PAD src0_sel:DWORD
	v_cmp_lt_i32_e32 vcc, s75, v62
	v_lshl_add_u64 v[2:3], v[22:23], 1, v[0:1]
	v_or_b32_e32 v14, v15, v14
	;;#ASMSTART
	global_atomic_pk_add_f16 v[2:3], v14, off
	
	;;#ASMEND
	s_and_b64 exec, exec, vcc
	s_cbranch_execz .LBB4_29
; %bb.24:                               ;   in Loop: Header=BB4_7 Depth=1
	v_cvt_f16_f32_e32 v13, v13
	v_cvt_f16_f32_sdwa v12, v12 dst_sel:WORD_1 dst_unused:UNUSED_PAD src0_sel:DWORD
	;; [unrolled: 12-line block ×6, first 2 shown]
	v_lshl_add_u64 v[0:1], v[32:33], 1, v[0:1]
	v_or_b32_e32 v2, v3, v2
	;;#ASMSTART
	global_atomic_pk_add_f16 v[0:1], v2, off
	
	;;#ASMEND
.LBB4_29:                               ;   in Loop: Header=BB4_7 Depth=1
	s_or_b64 exec, exec, s[60:61]
	v_subrev_u32_e32 v72, s72, v72
.LBB4_30:                               ;   in Loop: Header=BB4_7 Depth=1
	s_or_b64 exec, exec, s[58:59]
.LBB4_31:                               ;   in Loop: Header=BB4_7 Depth=1
	s_andn2_saveexec_b64 s[6:7], s[56:57]
	s_cbranch_execz .LBB4_40
; %bb.32:                               ;   in Loop: Header=BB4_7 Depth=1
	v_cmp_gt_i32_e32 vcc, s72, v72
	s_and_saveexec_b64 s[8:9], vcc
	s_cbranch_execz .LBB4_39
; %bb.33:                               ;   in Loop: Header=BB4_7 Depth=1
	s_mul_i32 s10, s54, s39
	s_ashr_i32 s11, s10, 31
	s_waitcnt lgkmcnt(0)
	s_add_u32 s10, s46, s10
	s_addc_u32 s11, s47, s11
	s_ashr_i32 s12, s74, 31
	s_add_u32 s10, s10, s74
	s_addc_u32 s11, s11, s12
	v_lshl_add_u64 v[0:1], s[10:11], 0, v[36:37]
	v_lshl_add_u64 v[8:9], v[0:1], 0, v[34:35]
	s_mov_b64 s[10:11], 0
	s_branch .LBB4_35
.LBB4_34:                               ;   in Loop: Header=BB4_35 Depth=2
	s_or_b64 exec, exec, s[12:13]
	v_lshl_add_u32 v12, v10, 11, v67
	;;#ASMSTART
	s_waitcnt vmcnt(1)
	;;#ASMEND
	ds_write2_b32 v12, v4, v5 offset1:32
	ds_write2_b32 v12, v6, v7 offset0:64 offset1:96
	v_add_u32_e32 v4, 0x400, v12
	v_add_u32_e32 v72, s42, v72
	;;#ASMSTART
	s_waitcnt vmcnt(0)
	;;#ASMEND
	ds_write2_b32 v4, v0, v1 offset1:32
	ds_write2_b32 v4, v2, v3 offset0:64 offset1:96
	v_add_u32_e32 v0, 1, v47
	v_add_u32_e32 v40, s42, v10
	v_cmp_le_i32_e32 vcc, s72, v72
	ds_write_b32 v11, v0 offset:4
	v_add_u32_e32 v0, 2, v47
	s_or_b64 s[10:11], vcc, s[10:11]
	v_cmp_lt_i32_e32 vcc, 0, v40
	s_nop 1
	v_cndmask_b32_e32 v47, v47, v0, vcc
	s_andn2_b64 exec, exec, s[10:11]
	s_cbranch_execz .LBB4_38
.LBB4_35:                               ;   Parent Loop BB4_7 Depth=1
                                        ; =>  This Loop Header: Depth=2
                                        ;       Child Loop BB4_37 Depth 3
	v_cmp_lt_i32_e32 vcc, 0, v40
	v_lshlrev_b32_e32 v0, 6, v72
	v_ashrrev_i32_e32 v1, 31, v0
	v_subbrev_co_u32_e32 v10, vcc, 0, v40, vcc
	v_lshl_add_u64 v[0:1], v[8:9], 0, v[0:1]
	v_lshlrev_b32_e32 v11, 2, v10
	;;#ASMSTART
	global_load_dwordx4 v[4:7], v[0:1], off offset:0   sc0 sc1 nt  
	global_load_dwordx4 v[0:3], v[0:1], off offset:32  sc0 sc1 nt  
	
	;;#ASMEND
	ds_read_b32 v12, v11 offset:4100
	v_add_u32_e32 v11, 0x1000, v11
	s_waitcnt lgkmcnt(0)
	v_cmp_ne_u32_e32 vcc, v12, v47
	s_and_saveexec_b64 s[12:13], vcc
	s_cbranch_execz .LBB4_34
; %bb.36:                               ;   in Loop: Header=BB4_35 Depth=2
	s_mov_b64 s[14:15], 0
.LBB4_37:                               ;   Parent Loop BB4_7 Depth=1
                                        ;     Parent Loop BB4_35 Depth=2
                                        ; =>    This Inner Loop Header: Depth=3
	;;#ASMSTART
	s_sleep 0
	;;#ASMEND
	ds_read_b32 v12, v11 offset:4
	s_waitcnt lgkmcnt(0)
	v_cmp_eq_u32_e32 vcc, v12, v47
	s_or_b64 s[14:15], vcc, s[14:15]
	s_andn2_b64 exec, exec, s[14:15]
	s_cbranch_execnz .LBB4_37
	s_branch .LBB4_34
.LBB4_38:                               ;   in Loop: Header=BB4_7 Depth=1
	s_or_b64 exec, exec, s[10:11]
.LBB4_39:                               ;   in Loop: Header=BB4_7 Depth=1
	s_or_b64 exec, exec, s[8:9]
	v_subrev_u32_e32 v72, s72, v72
.LBB4_40:                               ;   in Loop: Header=BB4_7 Depth=1
	s_or_b64 exec, exec, s[6:7]
.LBB4_41:                               ;   in Loop: Header=BB4_7 Depth=1
	s_andn2_saveexec_b64 s[6:7], s[52:53]
	s_cbranch_execz .LBB4_6
; %bb.42:                               ;   in Loop: Header=BB4_7 Depth=1
	v_cmp_gt_i32_e32 vcc, s72, v72
	s_and_saveexec_b64 s[8:9], vcc
	s_cbranch_execz .LBB4_5
; %bb.43:                               ;   in Loop: Header=BB4_7 Depth=1
	s_mul_i32 s73, s73, s38
	s_ashr_i32 s10, s73, 31
	s_waitcnt lgkmcnt(0)
	s_add_u32 s11, s44, s73
	s_addc_u32 s12, s45, s10
	s_ashr_i32 s13, s74, 31
	v_cmp_le_i32_e32 vcc, s75, v68
	s_add_u32 s10, s11, s74
	s_addc_u32 s11, s12, s13
	v_cndmask_b32_e32 v0, 0, v69, vcc
	v_ashrrev_i32_e32 v1, 31, v0
	v_lshl_add_u64 v[0:1], s[10:11], 0, v[0:1]
	v_lshl_add_u64 v[8:9], v[0:1], 0, v[34:35]
	s_mov_b64 s[10:11], 0
	s_branch .LBB4_45
.LBB4_44:                               ;   in Loop: Header=BB4_45 Depth=2
	s_or_b64 exec, exec, s[12:13]
	v_lshl_or_b32 v12, v10, 11, v70
	;;#ASMSTART
	s_waitcnt vmcnt(1)
	;;#ASMEND
	ds_write2_b32 v12, v4, v5 offset1:32
	ds_write2_b32 v12, v6, v7 offset0:64 offset1:96
	v_add_u32_e32 v4, 0x400, v12
	v_add_u32_e32 v72, s41, v72
	;;#ASMSTART
	s_waitcnt vmcnt(0)
	;;#ASMEND
	ds_write2_b32 v4, v0, v1 offset1:32
	ds_write2_b32 v4, v2, v3 offset0:64 offset1:96
	v_add_u32_e32 v0, 1, v47
	v_add_u32_e32 v40, s41, v10
	v_cmp_le_i32_e32 vcc, s72, v72
	ds_write_b32 v11, v0
	v_add_u32_e32 v0, 2, v47
	s_or_b64 s[10:11], vcc, s[10:11]
	v_cmp_lt_i32_e32 vcc, 0, v40
	s_nop 1
	v_cndmask_b32_e32 v47, v47, v0, vcc
	s_andn2_b64 exec, exec, s[10:11]
	s_cbranch_execz .LBB4_4
.LBB4_45:                               ;   Parent Loop BB4_7 Depth=1
                                        ; =>  This Loop Header: Depth=2
                                        ;       Child Loop BB4_47 Depth 3
	v_cmp_lt_i32_e32 vcc, 0, v40
	v_lshlrev_b32_e32 v0, 6, v72
	v_ashrrev_i32_e32 v1, 31, v0
	v_subbrev_co_u32_e32 v10, vcc, 0, v40, vcc
	v_lshl_add_u64 v[0:1], v[8:9], 0, v[0:1]
	v_lshlrev_b32_e32 v11, 2, v10
	;;#ASMSTART
	global_load_dwordx4 v[4:7], v[0:1], off offset:0   
	global_load_dwordx4 v[0:3], v[0:1], off offset:32  
	
	;;#ASMEND
	ds_read_b32 v12, v11 offset:4096
	v_add_u32_e32 v11, 0x1000, v11
	s_waitcnt lgkmcnt(0)
	v_cmp_ne_u32_e32 vcc, v12, v47
	s_and_saveexec_b64 s[12:13], vcc
	s_cbranch_execz .LBB4_44
; %bb.46:                               ;   in Loop: Header=BB4_45 Depth=2
	s_mov_b64 s[14:15], 0
.LBB4_47:                               ;   Parent Loop BB4_7 Depth=1
                                        ;     Parent Loop BB4_45 Depth=2
                                        ; =>    This Inner Loop Header: Depth=3
	;;#ASMSTART
	s_sleep 0
	;;#ASMEND
	ds_read_b32 v12, v11
	s_waitcnt lgkmcnt(0)
	v_cmp_eq_u32_e32 vcc, v12, v47
	s_or_b64 s[14:15], vcc, s[14:15]
	s_andn2_b64 exec, exec, s[14:15]
	s_cbranch_execnz .LBB4_47
	s_branch .LBB4_44
.LBB4_48:
	s_endpgm
	.section	.rodata,"a",@progbits
	.p2align	6, 0x0
	.amdhsa_kernel _Z19_skinny_gemm_kernelILi1ELi1ELi1ELi32ELi4EEvPKhS1_P6__halfPKfiiiiiiii
		.amdhsa_group_segment_fixed_size 4104
		.amdhsa_private_segment_fixed_size 0
		.amdhsa_kernarg_size 64
		.amdhsa_user_sgpr_count 2
		.amdhsa_user_sgpr_dispatch_ptr 0
		.amdhsa_user_sgpr_queue_ptr 0
		.amdhsa_user_sgpr_kernarg_segment_ptr 1
		.amdhsa_user_sgpr_dispatch_id 0
		.amdhsa_user_sgpr_kernarg_preload_length 0
		.amdhsa_user_sgpr_kernarg_preload_offset 0
		.amdhsa_user_sgpr_private_segment_size 0
		.amdhsa_uses_dynamic_stack 0
		.amdhsa_enable_private_segment 0
		.amdhsa_system_sgpr_workgroup_id_x 1
		.amdhsa_system_sgpr_workgroup_id_y 0
		.amdhsa_system_sgpr_workgroup_id_z 0
		.amdhsa_system_sgpr_workgroup_info 0
		.amdhsa_system_vgpr_workitem_id 0
		.amdhsa_next_free_vgpr 80
		.amdhsa_next_free_sgpr 76
		.amdhsa_accum_offset 80
		.amdhsa_reserve_vcc 1
		.amdhsa_float_round_mode_32 0
		.amdhsa_float_round_mode_16_64 0
		.amdhsa_float_denorm_mode_32 3
		.amdhsa_float_denorm_mode_16_64 3
		.amdhsa_dx10_clamp 1
		.amdhsa_ieee_mode 1
		.amdhsa_fp16_overflow 0
		.amdhsa_tg_split 0
		.amdhsa_exception_fp_ieee_invalid_op 0
		.amdhsa_exception_fp_denorm_src 0
		.amdhsa_exception_fp_ieee_div_zero 0
		.amdhsa_exception_fp_ieee_overflow 0
		.amdhsa_exception_fp_ieee_underflow 0
		.amdhsa_exception_fp_ieee_inexact 0
		.amdhsa_exception_int_div_zero 0
	.end_amdhsa_kernel
	.section	.text._Z19_skinny_gemm_kernelILi1ELi1ELi1ELi32ELi4EEvPKhS1_P6__halfPKfiiiiiiii,"axG",@progbits,_Z19_skinny_gemm_kernelILi1ELi1ELi1ELi32ELi4EEvPKhS1_P6__halfPKfiiiiiiii,comdat
.Lfunc_end4:
	.size	_Z19_skinny_gemm_kernelILi1ELi1ELi1ELi32ELi4EEvPKhS1_P6__halfPKfiiiiiiii, .Lfunc_end4-_Z19_skinny_gemm_kernelILi1ELi1ELi1ELi32ELi4EEvPKhS1_P6__halfPKfiiiiiiii
                                        ; -- End function
	.set _Z19_skinny_gemm_kernelILi1ELi1ELi1ELi32ELi4EEvPKhS1_P6__halfPKfiiiiiiii.num_vgpr, 80
	.set _Z19_skinny_gemm_kernelILi1ELi1ELi1ELi32ELi4EEvPKhS1_P6__halfPKfiiiiiiii.num_agpr, 0
	.set _Z19_skinny_gemm_kernelILi1ELi1ELi1ELi32ELi4EEvPKhS1_P6__halfPKfiiiiiiii.numbered_sgpr, 76
	.set _Z19_skinny_gemm_kernelILi1ELi1ELi1ELi32ELi4EEvPKhS1_P6__halfPKfiiiiiiii.num_named_barrier, 0
	.set _Z19_skinny_gemm_kernelILi1ELi1ELi1ELi32ELi4EEvPKhS1_P6__halfPKfiiiiiiii.private_seg_size, 0
	.set _Z19_skinny_gemm_kernelILi1ELi1ELi1ELi32ELi4EEvPKhS1_P6__halfPKfiiiiiiii.uses_vcc, 1
	.set _Z19_skinny_gemm_kernelILi1ELi1ELi1ELi32ELi4EEvPKhS1_P6__halfPKfiiiiiiii.uses_flat_scratch, 0
	.set _Z19_skinny_gemm_kernelILi1ELi1ELi1ELi32ELi4EEvPKhS1_P6__halfPKfiiiiiiii.has_dyn_sized_stack, 0
	.set _Z19_skinny_gemm_kernelILi1ELi1ELi1ELi32ELi4EEvPKhS1_P6__halfPKfiiiiiiii.has_recursion, 0
	.set _Z19_skinny_gemm_kernelILi1ELi1ELi1ELi32ELi4EEvPKhS1_P6__halfPKfiiiiiiii.has_indirect_call, 0
	.section	.AMDGPU.csdata,"",@progbits
; Kernel info:
; codeLenInByte = 5940
; TotalNumSgprs: 82
; NumVgprs: 80
; NumAgprs: 0
; TotalNumVgprs: 80
; ScratchSize: 0
; MemoryBound: 0
; FloatMode: 240
; IeeeMode: 1
; LDSByteSize: 4104 bytes/workgroup (compile time only)
; SGPRBlocks: 10
; VGPRBlocks: 9
; NumSGPRsForWavesPerEU: 82
; NumVGPRsForWavesPerEU: 80
; AccumOffset: 80
; Occupancy: 6
; WaveLimiterHint : 0
; COMPUTE_PGM_RSRC2:SCRATCH_EN: 0
; COMPUTE_PGM_RSRC2:USER_SGPR: 2
; COMPUTE_PGM_RSRC2:TRAP_HANDLER: 0
; COMPUTE_PGM_RSRC2:TGID_X_EN: 1
; COMPUTE_PGM_RSRC2:TGID_Y_EN: 0
; COMPUTE_PGM_RSRC2:TGID_Z_EN: 0
; COMPUTE_PGM_RSRC2:TIDIG_COMP_CNT: 0
; COMPUTE_PGM_RSRC3_GFX90A:ACCUM_OFFSET: 19
; COMPUTE_PGM_RSRC3_GFX90A:TG_SPLIT: 0
	.section	.text._Z19_skinny_gemm_kernelILi1ELi1ELi1ELi32ELi8EEvPKhS1_P6__halfPKfiiiiiiii,"axG",@progbits,_Z19_skinny_gemm_kernelILi1ELi1ELi1ELi32ELi8EEvPKhS1_P6__halfPKfiiiiiiii,comdat
	.protected	_Z19_skinny_gemm_kernelILi1ELi1ELi1ELi32ELi8EEvPKhS1_P6__halfPKfiiiiiiii ; -- Begin function _Z19_skinny_gemm_kernelILi1ELi1ELi1ELi32ELi8EEvPKhS1_P6__halfPKfiiiiiiii
	.globl	_Z19_skinny_gemm_kernelILi1ELi1ELi1ELi32ELi8EEvPKhS1_P6__halfPKfiiiiiiii
	.p2align	8
	.type	_Z19_skinny_gemm_kernelILi1ELi1ELi1ELi32ELi8EEvPKhS1_P6__halfPKfiiiiiiii,@function
_Z19_skinny_gemm_kernelILi1ELi1ELi1ELi32ELi8EEvPKhS1_P6__halfPKfiiiiiiii: ; @_Z19_skinny_gemm_kernelILi1ELi1ELi1ELi32ELi8EEvPKhS1_P6__halfPKfiiiiiiii
; %bb.0:
	v_cmp_gt_u32_e32 vcc, 2, v0
	s_and_saveexec_b64 s[4:5], vcc
; %bb.1:
	v_lshlrev_b32_e32 v1, 2, v0
	v_mov_b32_e32 v2, 0
	ds_write_b32 v1, v2 offset:8192
; %bb.2:
	s_or_b64 exec, exec, s[4:5]
	s_load_dwordx8 s[36:43], s[0:1], 0x20
	s_waitcnt lgkmcnt(0)
	s_barrier
	s_add_i32 s3, s36, 31
	s_ashr_i32 s5, s3, 31
	s_add_i32 s4, s37, 31
	s_lshr_b32 s5, s5, 27
	s_ashr_i32 s6, s4, 31
	s_add_i32 s3, s3, s5
	s_ashr_i32 s33, s3, 5
	s_lshr_b32 s3, s6, 27
	s_add_i32 s4, s4, s3
	s_ashr_i32 s62, s4, 5
	s_mul_i32 s3, s62, s33
	s_mul_i32 s3, s3, s40
	s_add_i32 s4, s3, 0x12f
	s_mul_hi_i32 s4, s4, 0x6bca1af3
	s_lshr_b32 s5, s4, 31
	s_ashr_i32 s4, s4, 7
	s_add_i32 s4, s4, s5
	s_add_i32 s5, s2, 1
	s_mul_i32 s5, s4, s5
	v_cvt_f64_i32_e32 v[2:3], s3
	v_cvt_f64_u32_e32 v[4:5], s5
	v_min_f64 v[2:3], v[2:3], v[4:5]
	v_cvt_i32_f64_e32 v54, v[2:3]
	s_mul_i32 s63, s4, s2
	v_cmp_ge_i32_e32 vcc, s63, v54
	s_cbranch_vccnz .LBB5_48
; %bb.3:
	v_lshrrev_b32_e32 v1, 6, v0
	s_add_i32 s4, s42, s41
	s_load_dwordx8 s[44:51], s[0:1], 0x0
	v_cmp_le_i32_e64 s[0:1], s4, v1
	v_mov_b32_e32 v2, s41
	v_cmp_le_i32_e64 s[2:3], s41, v1
	v_mov_b32_e32 v3, s42
	v_cndmask_b32_e64 v3, 0, v3, s[0:1]
	v_cndmask_b32_e64 v2, 0, v2, s[2:3]
	s_abs_i32 s5, s40
	v_add_u32_e32 v2, v2, v3
	v_cvt_f32_u32_e32 v3, s5
	v_sub_u32_e32 v40, v1, v2
	s_ashr_i32 s6, s38, 31
	s_lshr_b32 s6, s6, 25
	v_rcp_iflag_f32_e32 v2, v3
	s_sub_i32 s9, 0, s5
	s_add_i32 s6, s38, s6
	s_ashr_i32 s6, s6, 7
	v_mul_f32_e32 v2, 0x4f7ffffe, v2
	v_cvt_u32_f32_e32 v2, v2
	s_abs_i32 s8, s6
	s_xor_b32 s7, s6, s40
	s_ashr_i32 s7, s7, 31
	v_readfirstlane_b32 s10, v2
	s_mul_i32 s9, s9, s10
	s_mul_hi_u32 s9, s10, s9
	s_add_i32 s10, s10, s9
	s_mul_hi_u32 s9, s8, s10
	s_mul_i32 s10, s9, s5
	s_sub_i32 s8, s8, s10
	s_add_i32 s10, s9, 1
	s_sub_i32 s11, s8, s5
	s_cmp_ge_u32 s8, s5
	s_cselect_b32 s9, s10, s9
	s_cselect_b32 s8, s11, s8
	s_add_i32 s10, s9, 1
	s_cmp_ge_u32 s8, s5
	s_cselect_b32 s5, s10, s9
	s_xor_b32 s5, s5, s7
	s_sub_i32 s64, s5, s7
	s_add_i32 s40, s40, -1
	s_mul_i32 s5, s64, s40
	s_add_i32 s4, s4, s43
	v_and_b32_e32 v56, 31, v0
	v_lshrrev_b32_e32 v2, 3, v0
	s_sub_i32 s65, s6, s5
	v_cmp_gt_i32_e64 s[4:5], s4, v1
	v_lshlrev_b32_e32 v1, 2, v56
	v_and_b32_e32 v3, 4, v2
	v_and_b32_e32 v5, 1, v0
	v_lshlrev_b32_e32 v2, 6, v3
	v_or_b32_e32 v4, 0x1000, v1
	v_or_b32_e32 v3, v3, v5
	;; [unrolled: 1-line block ×4, first 2 shown]
	v_lshlrev_b32_e32 v2, 1, v5
	v_or_b32_e32 v5, 2, v3
	v_sub_u32_e32 v68, 32, v5
	v_or_b32_e32 v5, 8, v3
	v_sub_u32_e32 v69, 32, v5
	;; [unrolled: 2-line block ×5, first 2 shown]
	v_mul_lo_u32 v18, s37, v3
	v_sub_u32_e32 v72, 32, v5
	v_or_b32_e32 v5, 24, v3
	v_or_b32_e32 v3, 26, v3
	v_sub_u32_e32 v74, 32, v3
	v_lshrrev_b32_e32 v3, 1, v0
	s_abs_i32 s66, s33
	v_and_b32_e32 v34, 16, v3
	v_cvt_f32_u32_e32 v3, s66
	v_sub_u32_e32 v73, 32, v5
	v_lshlrev_b32_e32 v5, 4, v0
	v_and_b32_e32 v5, 0x200, v5
	v_rcp_iflag_f32_e32 v3, v3
	s_abs_i32 s67, s62
	v_or_b32_e32 v78, v1, v5
	v_cvt_f32_u32_e32 v1, s67
	v_sub_u32_e32 v2, v0, v2
	v_add_u32_e32 v2, 1, v2
	s_lshl_b32 s6, s37, 1
	v_and_b32_e32 v6, 63, v2
	v_bitop3_b32 v59, v0, 1, v0 bitop3:0xc
	v_bitop3_b32 v60, v0, 3, 1 bitop3:0x6c
	;; [unrolled: 1-line block ×8, first 2 shown]
	v_and_b32_e32 v2, 30, v0
	v_add_u32_e32 v20, s6, v18
	s_mul_i32 s7, s37, 6
	v_bitop3_b32 v76, v0, 31, v0 bitop3:0xc
	v_mul_f32_e32 v0, 0x4f7ffffe, v3
	v_add_u32_e32 v22, s7, v20
	v_cvt_u32_f32_e32 v0, v0
	v_rcp_iflag_f32_e32 v1, v1
	v_add_u32_e32 v24, s6, v22
	v_add_u32_e32 v26, s7, v24
	;; [unrolled: 1-line block ×4, first 2 shown]
	v_readfirstlane_b32 s7, v0
	v_mul_f32_e32 v0, 0x4f7ffffe, v1
	v_cvt_u32_f32_e32 v0, v0
	v_add_u32_e32 v32, s6, v30
	s_sub_i32 s6, 0, s66
	s_mul_i32 s6, s6, s7
	s_mul_hi_u32 s6, s7, s6
	s_add_i32 s69, s7, s6
	s_sub_i32 s6, 0, s67
	v_readfirstlane_b32 s7, v0
	v_mbcnt_lo_u32_b32 v0, -1, 0
	s_mul_i32 s6, s6, s7
	v_mbcnt_hi_u32_b32 v0, -1, v0
	v_mov_b32_e32 v17, 0
	v_mul_lo_u32 v36, s39, v56
	s_mul_hi_u32 s6, s7, s6
	v_and_or_b32 v0, v0, 64, v6
	v_cndmask_b32_e64 v55, 0, 1, s[0:1]
	v_ashrrev_i32_e32 v19, 31, v18
	v_ashrrev_i32_e32 v21, 31, v20
	;; [unrolled: 1-line block ×9, first 2 shown]
	v_mov_b32_e32 v35, v17
	v_or_b32_e32 v75, v4, v5
	v_mul_lo_u32 v77, s38, v56
	s_ashr_i32 s68, s33, 31
	s_ashr_i32 s70, s62, 31
	s_add_i32 s71, s7, s6
	v_lshlrev_b32_e32 v16, 1, v2
	v_lshlrev_b32_e32 v79, 2, v0
	v_mov_b32_e32 v80, v40
	s_branch .LBB5_7
.LBB5_4:                                ;   in Loop: Header=BB5_7 Depth=1
	s_or_b64 exec, exec, s[10:11]
.LBB5_5:                                ;   in Loop: Header=BB5_7 Depth=1
	s_or_b64 exec, exec, s[8:9]
	v_subrev_u32_e32 v80, s72, v80
.LBB5_6:                                ;   in Loop: Header=BB5_7 Depth=1
	s_or_b64 exec, exec, s[6:7]
	s_add_i32 s63, s63, 1
	v_cmp_ge_i32_e32 vcc, s63, v54
	s_cbranch_vccnz .LBB5_48
.LBB5_7:                                ; =>This Loop Header: Depth=1
                                        ;     Child Loop BB5_13 Depth 2
                                        ;       Child Loop BB5_15 Depth 3
                                        ;       Child Loop BB5_18 Depth 3
                                        ;     Child Loop BB5_35 Depth 2
                                        ;       Child Loop BB5_37 Depth 3
                                        ;     Child Loop BB5_45 Depth 2
                                        ;       Child Loop BB5_47 Depth 3
	s_abs_i32 s7, s63
	s_mul_hi_u32 s8, s7, s69
	s_mul_i32 s9, s8, s66
	s_ashr_i32 s6, s63, 31
	s_sub_i32 s7, s7, s9
	s_xor_b32 s6, s6, s68
	s_add_i32 s9, s8, 1
	s_sub_i32 s10, s7, s66
	s_cmp_ge_u32 s7, s66
	s_cselect_b32 s8, s9, s8
	s_cselect_b32 s7, s10, s7
	s_add_i32 s9, s8, 1
	s_cmp_ge_u32 s7, s66
	s_cselect_b32 s7, s9, s8
	s_xor_b32 s7, s7, s6
	s_sub_i32 s6, s7, s6
	s_abs_i32 s8, s6
	s_mul_i32 s7, s6, s33
	s_mul_hi_u32 s9, s8, s71
	s_sub_i32 s7, s63, s7
	s_mul_i32 s10, s9, s67
	s_lshl_b32 s73, s7, 5
	s_ashr_i32 s7, s6, 31
	s_sub_i32 s8, s8, s10
	s_xor_b32 s7, s7, s70
	s_add_i32 s10, s9, 1
	s_sub_i32 s11, s8, s67
	s_cmp_ge_u32 s8, s67
	s_cselect_b32 s9, s10, s9
	s_cselect_b32 s8, s11, s8
	s_add_i32 s10, s9, 1
	s_cmp_ge_u32 s8, s67
	s_cselect_b32 s8, s10, s9
	s_xor_b32 s8, s8, s7
	s_sub_i32 s7, s8, s7
	s_mul_i32 s8, s7, s64
	s_lshl_b32 s74, s8, 7
	s_cmp_eq_u32 s7, s40
	s_cselect_b32 s72, s65, s64
	s_sub_i32 s75, s73, s36
	s_add_i32 s75, s75, 32
	s_and_saveexec_b64 s[8:9], s[2:3]
	s_xor_b64 s[52:53], exec, s[8:9]
	s_cbranch_execz .LBB5_41
; %bb.8:                                ;   in Loop: Header=BB5_7 Depth=1
	s_mul_i32 s7, s7, s62
	s_sub_i32 s6, s6, s7
	s_lshl_b32 s6, s6, 5
	s_sub_i32 s14, s6, s37
	s_add_i32 s14, s14, 32
	s_max_i32 s7, s14, 0
	s_sub_i32 s54, s6, s7
	s_and_saveexec_b64 s[6:7], s[0:1]
	s_xor_b64 s[56:57], exec, s[6:7]
	s_cbranch_execz .LBB5_31
; %bb.9:                                ;   in Loop: Header=BB5_7 Depth=1
	s_and_saveexec_b64 s[58:59], s[4:5]
	s_cbranch_execz .LBB5_30
; %bb.10:                               ;   in Loop: Header=BB5_7 Depth=1
	s_waitcnt lgkmcnt(0)
	global_load_dword v81, v17, s[50:51]
	v_mov_b32_e32 v15, 0
	v_cmp_gt_i32_e32 vcc, s72, v80
	v_mov_b32_e32 v14, v15
	v_mov_b32_e32 v13, v15
	;; [unrolled: 1-line block ×15, first 2 shown]
	s_and_saveexec_b64 s[6:7], vcc
	s_cbranch_execz .LBB5_20
; %bb.11:                               ;   in Loop: Header=BB5_7 Depth=1
	v_mov_b32_e32 v0, 0
	s_mov_b64 s[8:9], 0
	v_mov_b32_e32 v1, v0
	v_mov_b32_e32 v2, v0
	;; [unrolled: 1-line block ×15, first 2 shown]
	s_branch .LBB5_13
.LBB5_12:                               ;   in Loop: Header=BB5_13 Depth=2
	s_or_b64 exec, exec, s[10:11]
	v_add_u32_e32 v85, v58, v85
	ds_read2_b32 v[86:87], v85 offset1:32
	v_add_u32_e32 v80, s43, v80
	s_waitcnt lgkmcnt(0)
	v_mfma_f32_32x32x16_fp8_fp8 v[0:15], v[52:53], v[86:87], v[0:15]
	ds_read2_b32 v[52:53], v85 offset0:128 offset1:160
	s_waitcnt lgkmcnt(0)
	v_mfma_f32_32x32x16_fp8_fp8 v[0:15], v[50:51], v[52:53], v[0:15]
	v_add_u32_e32 v52, 0x400, v85
	ds_read2_b32 v[50:51], v52 offset1:32
	s_waitcnt lgkmcnt(0)
	v_mfma_f32_32x32x16_fp8_fp8 v[0:15], v[48:49], v[50:51], v[0:15]
	ds_read2_b32 v[48:49], v52 offset0:128 offset1:160
	s_waitcnt lgkmcnt(0)
	v_mfma_f32_32x32x16_fp8_fp8 v[0:15], v[46:47], v[48:49], v[0:15]
	v_add_u32_e32 v48, 0x800, v85
	ds_read2_b32 v[46:47], v48 offset1:32
	;; [unrolled: 7-line block ×3, first 2 shown]
	ds_read2_b32 v[44:45], v44 offset0:128 offset1:160
	ds_write_b32 v83, v84 offset:8196
	s_waitcnt lgkmcnt(2)
	v_mfma_f32_32x32x16_fp8_fp8 v[0:15], v[40:41], v[42:43], v[0:15]
	v_add_u32_e32 v40, s43, v82
	v_add_u32_e32 v41, 2, v55
	v_cmp_lt_i32_e32 vcc, 0, v40
	s_nop 1
	v_cndmask_b32_e32 v55, v55, v41, vcc
	v_cmp_le_i32_e32 vcc, s72, v80
	s_waitcnt lgkmcnt(1)
	v_mfma_f32_32x32x16_fp8_fp8 v[0:15], v[38:39], v[44:45], v[0:15]
	s_or_b64 s[8:9], vcc, s[8:9]
	s_andn2_b64 exec, exec, s[8:9]
	s_cbranch_execz .LBB5_19
.LBB5_13:                               ;   Parent Loop BB5_7 Depth=1
                                        ; =>  This Loop Header: Depth=2
                                        ;       Child Loop BB5_15 Depth 3
                                        ;       Child Loop BB5_18 Depth 3
	v_cmp_lt_i32_e32 vcc, 0, v40
	s_nop 1
	v_subbrev_co_u32_e32 v82, vcc, 0, v40, vcc
	v_lshlrev_b32_e32 v83, 3, v82
	ds_read_b32 v38, v83 offset:8192
	s_waitcnt lgkmcnt(0)
	v_cmp_ne_u32_e32 vcc, v38, v55
	s_and_saveexec_b64 s[10:11], vcc
	s_cbranch_execz .LBB5_16
; %bb.14:                               ;   in Loop: Header=BB5_13 Depth=2
	s_mov_b64 s[12:13], 0
.LBB5_15:                               ;   Parent Loop BB5_7 Depth=1
                                        ;     Parent Loop BB5_13 Depth=2
                                        ; =>    This Inner Loop Header: Depth=3
	;;#ASMSTART
	s_sleep 0
	;;#ASMEND
	ds_read_b32 v38, v83 offset:8192
	s_waitcnt lgkmcnt(0)
	v_cmp_eq_u32_e32 vcc, v38, v55
	s_or_b64 s[12:13], vcc, s[12:13]
	s_andn2_b64 exec, exec, s[12:13]
	s_cbranch_execnz .LBB5_15
.LBB5_16:                               ;   in Loop: Header=BB5_13 Depth=2
	s_or_b64 exec, exec, s[10:11]
	v_lshlrev_b32_e32 v85, 12, v82
	v_or_b32_e32 v38, v57, v85
	v_add_u32_e32 v39, 0x400, v38
	ds_read2_b32 v[52:53], v38 offset1:32
	ds_read2_b32 v[50:51], v38 offset0:128 offset1:160
	ds_read2_b32 v[48:49], v39 offset1:32
	ds_read2_b32 v[46:47], v39 offset0:128 offset1:160
	v_add_u32_e32 v39, 0x800, v38
	v_add_u32_e32 v38, 0xc00, v38
	ds_read2_b32 v[44:45], v39 offset1:32
	ds_read2_b32 v[42:43], v39 offset0:128 offset1:160
	ds_read2_b32 v[40:41], v38 offset1:32
	ds_read_b32 v86, v83 offset:8196
	ds_read2_b32 v[38:39], v38 offset0:128 offset1:160
	v_add_u32_e32 v84, 1, v55
	ds_write_b32 v83, v84 offset:8192
	s_waitcnt lgkmcnt(2)
	v_cmp_ne_u32_e32 vcc, v86, v55
	s_and_saveexec_b64 s[10:11], vcc
	s_cbranch_execz .LBB5_12
; %bb.17:                               ;   in Loop: Header=BB5_13 Depth=2
	s_mov_b64 s[12:13], 0
.LBB5_18:                               ;   Parent Loop BB5_7 Depth=1
                                        ;     Parent Loop BB5_13 Depth=2
                                        ; =>    This Inner Loop Header: Depth=3
	;;#ASMSTART
	s_sleep 0
	;;#ASMEND
	ds_read_b32 v86, v83 offset:8196
	s_waitcnt lgkmcnt(0)
	v_cmp_eq_u32_e32 vcc, v86, v55
	s_or_b64 s[12:13], vcc, s[12:13]
	s_andn2_b64 exec, exec, s[12:13]
	s_cbranch_execnz .LBB5_18
	s_branch .LBB5_12
.LBB5_19:                               ;   in Loop: Header=BB5_7 Depth=1
	s_or_b64 exec, exec, s[8:9]
.LBB5_20:                               ;   in Loop: Header=BB5_7 Depth=1
	s_or_b64 exec, exec, s[6:7]
	v_cmp_le_i32_e32 vcc, s14, v56
	v_cmp_eq_u32_e64 s[6:7], 3, v59
	v_cmp_eq_u32_e64 s[8:9], 4, v59
	s_waitcnt vmcnt(0)
	v_cndmask_b32_e32 v38, 0, v81, vcc
	s_nop 1
	v_pk_mul_f32 v[0:1], v[38:39], v[0:1] op_sel_hi:[0,1]
	v_cmp_eq_u32_e32 vcc, 1, v59
	v_pk_mul_f32 v[14:15], v[38:39], v[14:15] op_sel_hi:[0,1]
	v_pk_mul_f32 v[12:13], v[38:39], v[12:13] op_sel_hi:[0,1]
	;; [unrolled: 1-line block ×7, first 2 shown]
	v_cndmask_b32_e32 v38, v0, v1, vcc
	v_cmp_eq_u32_e32 vcc, 2, v59
	v_cmp_eq_u32_e64 s[10:11], 5, v59
	v_cmp_eq_u32_e64 s[12:13], 6, v59
	v_cndmask_b32_e32 v38, v38, v2, vcc
	v_cndmask_b32_e64 v38, v38, v3, s[6:7]
	v_cndmask_b32_e64 v38, v38, v4, s[8:9]
	v_cndmask_b32_e64 v38, v38, v5, s[10:11]
	v_cndmask_b32_e64 v38, v38, v6, s[12:13]
	v_cmp_eq_u32_e64 s[14:15], 7, v59
	v_cmp_eq_u32_e64 s[16:17], 8, v59
	v_cmp_eq_u32_e64 s[18:19], 9, v59
	v_cndmask_b32_e64 v38, v38, v7, s[14:15]
	v_cndmask_b32_e64 v38, v38, v8, s[16:17]
	v_cndmask_b32_e64 v38, v38, v9, s[18:19]
	v_cmp_eq_u32_e64 s[20:21], 10, v59
	v_cmp_eq_u32_e64 s[22:23], 11, v59
	v_cmp_eq_u32_e64 s[24:25], 12, v59
	v_cndmask_b32_e64 v38, v38, v10, s[20:21]
	v_cndmask_b32_e64 v38, v38, v11, s[22:23]
	v_cndmask_b32_e64 v38, v38, v12, s[24:25]
	;; [unrolled: 6-line block ×3, first 2 shown]
	ds_bpermute_b32 v38, v79, v38
	v_cmp_eq_u32_e64 s[34:35], 15, v60
	s_waitcnt lgkmcnt(0)
	v_cndmask_b32_e32 v2, v2, v38, vcc
	v_cmp_ne_u32_e32 vcc, 0, v59
	v_cndmask_b32_e64 v15, v15, v38, s[30:31]
	v_cndmask_b32_e64 v14, v14, v38, s[28:29]
	v_cndmask_b32_e32 v1, v1, v38, vcc
	v_cmp_eq_u32_e32 vcc, 0, v59
	v_cndmask_b32_e64 v13, v13, v38, s[26:27]
	v_cndmask_b32_e64 v12, v12, v38, s[24:25]
	v_cndmask_b32_e32 v0, v0, v38, vcc
	v_cmp_eq_u32_e32 vcc, 1, v60
	v_cndmask_b32_e64 v11, v11, v38, s[22:23]
	v_cndmask_b32_e64 v10, v10, v38, s[20:21]
	;; [unrolled: 1-line block ×9, first 2 shown]
	v_cndmask_b32_e32 v38, v0, v1, vcc
	v_cmp_eq_u32_e64 s[6:7], 2, v60
	v_cmp_eq_u32_e64 s[8:9], 3, v60
	v_cmp_eq_u32_e64 s[10:11], 4, v60
	v_cndmask_b32_e64 v38, v38, v2, s[6:7]
	v_cndmask_b32_e64 v38, v38, v3, s[8:9]
	v_cndmask_b32_e64 v38, v38, v4, s[10:11]
	v_cmp_eq_u32_e64 s[12:13], 5, v60
	v_cmp_eq_u32_e64 s[14:15], 6, v60
	v_cmp_eq_u32_e64 s[16:17], 7, v60
	v_cndmask_b32_e64 v38, v38, v5, s[12:13]
	v_cndmask_b32_e64 v38, v38, v6, s[14:15]
	v_cndmask_b32_e64 v38, v38, v7, s[16:17]
	;; [unrolled: 6-line block ×4, first 2 shown]
	v_cmp_eq_u32_e64 s[30:31], 14, v60
	s_nop 1
	v_cndmask_b32_e64 v38, v38, v14, s[30:31]
	v_cndmask_b32_e64 v38, v38, v15, s[34:35]
	ds_bpermute_b32 v38, v79, v38
	s_waitcnt lgkmcnt(0)
	v_cndmask_b32_e32 v1, v1, v38, vcc
	v_cmp_eq_u32_e32 vcc, 0, v60
	v_cndmask_b32_e64 v15, v15, v38, s[34:35]
	v_cndmask_b32_e64 v14, v14, v38, s[30:31]
	v_cndmask_b32_e32 v0, v0, v38, vcc
	v_cmp_eq_u32_e32 vcc, 1, v61
	v_cndmask_b32_e64 v13, v13, v38, s[28:29]
	v_cndmask_b32_e64 v12, v12, v38, s[26:27]
	v_cndmask_b32_e64 v11, v11, v38, s[24:25]
	v_cndmask_b32_e64 v10, v10, v38, s[22:23]
	v_cndmask_b32_e64 v9, v9, v38, s[20:21]
	v_cndmask_b32_e64 v8, v8, v38, s[18:19]
	v_cndmask_b32_e64 v7, v7, v38, s[16:17]
	v_cndmask_b32_e64 v6, v6, v38, s[14:15]
	v_cndmask_b32_e64 v5, v5, v38, s[12:13]
	v_cndmask_b32_e64 v4, v4, v38, s[10:11]
	v_cndmask_b32_e64 v3, v3, v38, s[8:9]
	v_cndmask_b32_e64 v2, v2, v38, s[6:7]
	v_cndmask_b32_e32 v38, v0, v1, vcc
	v_cmp_eq_u32_e64 s[6:7], 2, v61
	v_cmp_eq_u32_e64 s[8:9], 3, v61
	v_cmp_eq_u32_e64 s[10:11], 4, v61
	v_cndmask_b32_e64 v38, v38, v2, s[6:7]
	v_cndmask_b32_e64 v38, v38, v3, s[8:9]
	v_cndmask_b32_e64 v38, v38, v4, s[10:11]
	v_cmp_eq_u32_e64 s[12:13], 5, v61
	v_cmp_eq_u32_e64 s[14:15], 6, v61
	v_cmp_eq_u32_e64 s[16:17], 7, v61
	v_cndmask_b32_e64 v38, v38, v5, s[12:13]
	v_cndmask_b32_e64 v38, v38, v6, s[14:15]
	v_cndmask_b32_e64 v38, v38, v7, s[16:17]
	v_cmp_eq_u32_e64 s[18:19], 8, v61
	v_cmp_eq_u32_e64 s[20:21], 9, v61
	v_cmp_eq_u32_e64 s[22:23], 10, v61
	v_cndmask_b32_e64 v38, v38, v8, s[18:19]
	v_cndmask_b32_e64 v38, v38, v9, s[20:21]
	v_cndmask_b32_e64 v38, v38, v10, s[22:23]
	v_cmp_eq_u32_e64 s[24:25], 11, v61
	v_cmp_eq_u32_e64 s[26:27], 12, v61
	v_cmp_eq_u32_e64 s[28:29], 13, v61
	v_cndmask_b32_e64 v38, v38, v11, s[24:25]
	v_cndmask_b32_e64 v38, v38, v12, s[26:27]
	v_cndmask_b32_e64 v38, v38, v13, s[28:29]
	v_cmp_eq_u32_e64 s[30:31], 14, v61
	v_cmp_eq_u32_e64 s[34:35], 15, v61
	s_nop 0
	v_cndmask_b32_e64 v38, v38, v14, s[30:31]
	v_cndmask_b32_e64 v38, v38, v15, s[34:35]
	ds_bpermute_b32 v38, v79, v38
	s_waitcnt lgkmcnt(0)
	v_cndmask_b32_e32 v1, v1, v38, vcc
	v_cmp_eq_u32_e32 vcc, 0, v61
	v_cndmask_b32_e64 v15, v15, v38, s[34:35]
	v_cndmask_b32_e64 v14, v14, v38, s[30:31]
	v_cndmask_b32_e32 v0, v0, v38, vcc
	v_cmp_eq_u32_e32 vcc, 1, v62
	v_cndmask_b32_e64 v13, v13, v38, s[28:29]
	v_cndmask_b32_e64 v12, v12, v38, s[26:27]
	v_cndmask_b32_e64 v11, v11, v38, s[24:25]
	v_cndmask_b32_e64 v10, v10, v38, s[22:23]
	v_cndmask_b32_e64 v9, v9, v38, s[20:21]
	v_cndmask_b32_e64 v8, v8, v38, s[18:19]
	v_cndmask_b32_e64 v7, v7, v38, s[16:17]
	v_cndmask_b32_e64 v6, v6, v38, s[14:15]
	v_cndmask_b32_e64 v5, v5, v38, s[12:13]
	v_cndmask_b32_e64 v4, v4, v38, s[10:11]
	v_cndmask_b32_e64 v3, v3, v38, s[8:9]
	v_cndmask_b32_e64 v2, v2, v38, s[6:7]
	v_cndmask_b32_e32 v38, v0, v1, vcc
	v_cmp_eq_u32_e64 s[6:7], 2, v62
	v_cmp_eq_u32_e64 s[8:9], 3, v62
	v_cmp_eq_u32_e64 s[10:11], 4, v62
	v_cndmask_b32_e64 v38, v38, v2, s[6:7]
	v_cndmask_b32_e64 v38, v38, v3, s[8:9]
	v_cndmask_b32_e64 v38, v38, v4, s[10:11]
	v_cmp_eq_u32_e64 s[12:13], 5, v62
	v_cmp_eq_u32_e64 s[14:15], 6, v62
	v_cmp_eq_u32_e64 s[16:17], 7, v62
	v_cndmask_b32_e64 v38, v38, v5, s[12:13]
	v_cndmask_b32_e64 v38, v38, v6, s[14:15]
	v_cndmask_b32_e64 v38, v38, v7, s[16:17]
	v_cmp_eq_u32_e64 s[18:19], 8, v62
	v_cmp_eq_u32_e64 s[20:21], 9, v62
	v_cmp_eq_u32_e64 s[22:23], 10, v62
	v_cndmask_b32_e64 v38, v38, v8, s[18:19]
	v_cndmask_b32_e64 v38, v38, v9, s[20:21]
	v_cndmask_b32_e64 v38, v38, v10, s[22:23]
	v_cmp_eq_u32_e64 s[24:25], 11, v62
	v_cmp_eq_u32_e64 s[26:27], 12, v62
	v_cmp_eq_u32_e64 s[28:29], 13, v62
	v_cndmask_b32_e64 v38, v38, v11, s[24:25]
	v_cndmask_b32_e64 v38, v38, v12, s[26:27]
	v_cndmask_b32_e64 v38, v38, v13, s[28:29]
	v_cmp_eq_u32_e64 s[30:31], 14, v62
	;; [unrolled: 50-line block ×4, first 2 shown]
	v_cmp_eq_u32_e64 s[34:35], 15, v64
	s_nop 0
	v_cndmask_b32_e64 v38, v38, v14, s[30:31]
	v_cndmask_b32_e64 v38, v38, v15, s[34:35]
	ds_bpermute_b32 v38, v79, v38
	s_waitcnt lgkmcnt(0)
	v_cndmask_b32_e32 v1, v1, v38, vcc
	v_cmp_eq_u32_e32 vcc, 0, v64
	v_cndmask_b32_e64 v15, v15, v38, s[34:35]
	v_cndmask_b32_e64 v14, v14, v38, s[30:31]
	;; [unrolled: 1-line block ×14, first 2 shown]
	v_cndmask_b32_e32 v38, v0, v38, vcc
	v_cmp_eq_u32_e32 vcc, 1, v65
	v_cmp_eq_u32_e64 s[6:7], 2, v65
	v_cmp_eq_u32_e64 s[8:9], 3, v65
	v_cndmask_b32_e32 v0, v38, v1, vcc
	v_cndmask_b32_e64 v0, v0, v47, s[6:7]
	v_cndmask_b32_e64 v0, v0, v46, s[8:9]
	v_cmp_eq_u32_e64 s[10:11], 4, v65
	v_cmp_eq_u32_e64 s[12:13], 5, v65
	v_cmp_eq_u32_e64 s[14:15], 6, v65
	v_cndmask_b32_e64 v0, v0, v45, s[10:11]
	v_cndmask_b32_e64 v0, v0, v44, s[12:13]
	v_cndmask_b32_e64 v0, v0, v43, s[14:15]
	v_cmp_eq_u32_e64 s[16:17], 7, v65
	v_cmp_eq_u32_e64 s[18:19], 8, v65
	v_cmp_eq_u32_e64 s[20:21], 9, v65
	v_cndmask_b32_e64 v0, v0, v42, s[16:17]
	;; [unrolled: 6-line block ×4, first 2 shown]
	v_cndmask_b32_e64 v0, v0, v14, s[30:31]
	v_cndmask_b32_e64 v0, v0, v15, s[34:35]
	ds_bpermute_b32 v48, v79, v0
	s_waitcnt lgkmcnt(0)
	v_cndmask_b32_e32 v0, v1, v48, vcc
	v_cmp_eq_u32_e32 vcc, 0, v65
	v_cndmask_b32_e64 v4, v15, v48, s[34:35]
	v_cndmask_b32_e64 v15, v47, v48, s[6:7]
	v_cndmask_b32_e32 v1, v38, v48, vcc
	v_cmp_eq_u32_e32 vcc, 1, v66
	v_cndmask_b32_e64 v5, v14, v48, s[30:31]
	v_cndmask_b32_e64 v14, v46, v48, s[8:9]
	;; [unrolled: 4-line block ×7, first 2 shown]
	v_cndmask_b32_e32 v38, v38, v13, vcc
	v_cmp_eq_u32_e32 vcc, 7, v66
	s_nop 1
	v_cndmask_b32_e32 v38, v38, v12, vcc
	v_cmp_eq_u32_e32 vcc, 8, v66
	s_nop 1
	;; [unrolled: 3-line block ×9, first 2 shown]
	v_cndmask_b32_e32 v38, v38, v4, vcc
	ds_bpermute_b32 v38, v79, v38
	v_cmp_lt_i32_e32 vcc, s75, v67
	s_and_saveexec_b64 s[60:61], vcc
	s_cbranch_execz .LBB5_29
; %bb.21:                               ;   in Loop: Header=BB5_7 Depth=1
	s_mul_i32 s6, s73, s37
	s_ashr_i32 s7, s6, 31
	s_lshl_b64 s[6:7], s[6:7], 1
	v_cmp_eq_u32_e64 s[30:31], 1, v66
	s_add_u32 s8, s48, s6
	s_addc_u32 s9, s49, s7
	s_waitcnt lgkmcnt(0)
	v_cndmask_b32_e64 v0, v0, v38, s[30:31]
	v_cmp_eq_u32_e64 s[30:31], 0, v66
	s_ashr_i32 s55, s54, 31
	s_lshl_b64 s[6:7], s[54:55], 1
	v_cndmask_b32_e64 v1, v1, v38, s[30:31]
	v_cvt_f16_f32_e32 v39, v1
	v_cvt_f16_f32_sdwa v41, v0 dst_sel:WORD_1 dst_unused:UNUSED_PAD src0_sel:DWORD
	s_add_u32 s34, s8, s6
	s_addc_u32 s35, s9, s7
	v_cmp_eq_u32_e64 s[8:9], 15, v66
	v_cmp_eq_u32_e64 s[10:11], 14, v66
	;; [unrolled: 1-line block ×10, first 2 shown]
	v_cmp_eq_u32_e32 vcc, 5, v66
	v_cmp_eq_u32_e64 s[6:7], 4, v66
	v_cmp_eq_u32_e64 s[28:29], 3, v66
	;; [unrolled: 1-line block ×3, first 2 shown]
	v_lshl_add_u64 v[0:1], s[34:35], 0, v[16:17]
	v_cmp_lt_i32_e64 s[34:35], s75, v68
	v_lshl_add_u64 v[42:43], v[18:19], 1, v[0:1]
	v_or_b32_e32 v39, v41, v39
	;;#ASMSTART
	global_atomic_pk_add_f16 v[42:43], v39, off
	
	;;#ASMEND
	s_and_b64 exec, exec, s[34:35]
	s_cbranch_execz .LBB5_29
; %bb.22:                               ;   in Loop: Header=BB5_7 Depth=1
	v_cndmask_b32_e64 v14, v14, v38, s[28:29]
	v_cndmask_b32_e64 v15, v15, v38, s[30:31]
	v_cvt_f16_f32_e32 v39, v15
	v_cvt_f16_f32_sdwa v41, v14 dst_sel:WORD_1 dst_unused:UNUSED_PAD src0_sel:DWORD
	v_cndmask_b32_e64 v4, v4, v38, s[8:9]
	v_cndmask_b32_e64 v5, v5, v38, s[10:11]
	;; [unrolled: 1-line block ×10, first 2 shown]
	v_cndmask_b32_e32 v2, v2, v38, vcc
	v_cndmask_b32_e64 v3, v3, v38, s[6:7]
	v_cmp_lt_i32_e32 vcc, s75, v69
	v_lshl_add_u64 v[14:15], v[20:21], 1, v[0:1]
	v_or_b32_e32 v38, v41, v39
	;;#ASMSTART
	global_atomic_pk_add_f16 v[14:15], v38, off
	
	;;#ASMEND
	s_and_b64 exec, exec, vcc
	s_cbranch_execz .LBB5_29
; %bb.23:                               ;   in Loop: Header=BB5_7 Depth=1
	v_cvt_f16_f32_e32 v14, v3
	v_cvt_f16_f32_sdwa v15, v2 dst_sel:WORD_1 dst_unused:UNUSED_PAD src0_sel:DWORD
	v_cmp_lt_i32_e32 vcc, s75, v70
	v_lshl_add_u64 v[2:3], v[22:23], 1, v[0:1]
	v_or_b32_e32 v14, v15, v14
	;;#ASMSTART
	global_atomic_pk_add_f16 v[2:3], v14, off
	
	;;#ASMEND
	s_and_b64 exec, exec, vcc
	s_cbranch_execz .LBB5_29
; %bb.24:                               ;   in Loop: Header=BB5_7 Depth=1
	v_cvt_f16_f32_e32 v13, v13
	v_cvt_f16_f32_sdwa v12, v12 dst_sel:WORD_1 dst_unused:UNUSED_PAD src0_sel:DWORD
	;; [unrolled: 12-line block ×6, first 2 shown]
	v_lshl_add_u64 v[0:1], v[32:33], 1, v[0:1]
	v_or_b32_e32 v2, v3, v2
	;;#ASMSTART
	global_atomic_pk_add_f16 v[0:1], v2, off
	
	;;#ASMEND
.LBB5_29:                               ;   in Loop: Header=BB5_7 Depth=1
	s_or_b64 exec, exec, s[60:61]
	v_subrev_u32_e32 v80, s72, v80
.LBB5_30:                               ;   in Loop: Header=BB5_7 Depth=1
	s_or_b64 exec, exec, s[58:59]
.LBB5_31:                               ;   in Loop: Header=BB5_7 Depth=1
	s_andn2_saveexec_b64 s[6:7], s[56:57]
	s_cbranch_execz .LBB5_40
; %bb.32:                               ;   in Loop: Header=BB5_7 Depth=1
	v_cmp_gt_i32_e32 vcc, s72, v80
	s_and_saveexec_b64 s[8:9], vcc
	s_cbranch_execz .LBB5_39
; %bb.33:                               ;   in Loop: Header=BB5_7 Depth=1
	s_mul_i32 s10, s54, s39
	s_ashr_i32 s11, s10, 31
	s_waitcnt lgkmcnt(0)
	s_add_u32 s10, s46, s10
	s_addc_u32 s11, s47, s11
	s_ashr_i32 s12, s74, 31
	s_add_u32 s10, s10, s74
	s_addc_u32 s11, s11, s12
	v_lshl_add_u64 v[0:1], s[10:11], 0, v[36:37]
	v_lshl_add_u64 v[38:39], v[0:1], 0, v[34:35]
	s_mov_b64 s[10:11], 0
	s_branch .LBB5_35
.LBB5_34:                               ;   in Loop: Header=BB5_35 Depth=2
	s_or_b64 exec, exec, s[12:13]
	v_lshl_add_u32 v42, v40, 12, v75
	;;#ASMSTART
	s_waitcnt vmcnt(3)
	;;#ASMEND
	ds_write2_b32 v42, v12, v13 offset1:32
	ds_write2_b32 v42, v14, v15 offset0:64 offset1:96
	v_add_u32_e32 v12, 0x400, v42
	;;#ASMSTART
	s_waitcnt vmcnt(2)
	;;#ASMEND
	ds_write2_b32 v12, v8, v9 offset1:32
	ds_write2_b32 v12, v10, v11 offset0:64 offset1:96
	v_add_u32_e32 v8, 0x800, v42
	;;#ASMSTART
	s_waitcnt vmcnt(1)
	;;#ASMEND
	ds_write2_b32 v8, v4, v5 offset1:32
	ds_write2_b32 v8, v6, v7 offset0:64 offset1:96
	v_add_u32_e32 v4, 0xc00, v42
	v_add_u32_e32 v80, s42, v80
	;;#ASMSTART
	s_waitcnt vmcnt(0)
	;;#ASMEND
	ds_write2_b32 v4, v0, v1 offset1:32
	ds_write2_b32 v4, v2, v3 offset0:64 offset1:96
	v_add_u32_e32 v0, 1, v55
	v_add_u32_e32 v40, s42, v40
	v_cmp_le_i32_e32 vcc, s72, v80
	ds_write_b32 v41, v0 offset:4
	v_add_u32_e32 v0, 2, v55
	s_or_b64 s[10:11], vcc, s[10:11]
	v_cmp_lt_i32_e32 vcc, 0, v40
	s_nop 1
	v_cndmask_b32_e32 v55, v55, v0, vcc
	s_andn2_b64 exec, exec, s[10:11]
	s_cbranch_execz .LBB5_38
.LBB5_35:                               ;   Parent Loop BB5_7 Depth=1
                                        ; =>  This Loop Header: Depth=2
                                        ;       Child Loop BB5_37 Depth 3
	v_cmp_lt_i32_e32 vcc, 0, v40
	v_lshlrev_b32_e32 v0, 7, v80
	v_ashrrev_i32_e32 v1, 31, v0
	v_subbrev_co_u32_e32 v40, vcc, 0, v40, vcc
	v_lshl_add_u64 v[0:1], v[38:39], 0, v[0:1]
	v_lshlrev_b32_e32 v41, 2, v40
	;;#ASMSTART
	global_load_dwordx4 v[12:15], v[0:1], off offset:0   sc0 sc1 nt  
	global_load_dwordx4 v[8:11], v[0:1], off offset:32  sc0 sc1 nt  
	global_load_dwordx4 v[4:7], v[0:1], off offset:64  sc0 sc1 nt  
	;; [unrolled: 1-line block ×3, first 2 shown]
	
	;;#ASMEND
	ds_read_b32 v42, v41 offset:8196
	v_add_u32_e32 v41, 0x2000, v41
	s_waitcnt lgkmcnt(0)
	v_cmp_ne_u32_e32 vcc, v42, v55
	s_and_saveexec_b64 s[12:13], vcc
	s_cbranch_execz .LBB5_34
; %bb.36:                               ;   in Loop: Header=BB5_35 Depth=2
	s_mov_b64 s[14:15], 0
.LBB5_37:                               ;   Parent Loop BB5_7 Depth=1
                                        ;     Parent Loop BB5_35 Depth=2
                                        ; =>    This Inner Loop Header: Depth=3
	;;#ASMSTART
	s_sleep 0
	;;#ASMEND
	ds_read_b32 v42, v41 offset:4
	s_waitcnt lgkmcnt(0)
	v_cmp_eq_u32_e32 vcc, v42, v55
	s_or_b64 s[14:15], vcc, s[14:15]
	s_andn2_b64 exec, exec, s[14:15]
	s_cbranch_execnz .LBB5_37
	s_branch .LBB5_34
.LBB5_38:                               ;   in Loop: Header=BB5_7 Depth=1
	s_or_b64 exec, exec, s[10:11]
.LBB5_39:                               ;   in Loop: Header=BB5_7 Depth=1
	s_or_b64 exec, exec, s[8:9]
	v_subrev_u32_e32 v80, s72, v80
.LBB5_40:                               ;   in Loop: Header=BB5_7 Depth=1
	s_or_b64 exec, exec, s[6:7]
.LBB5_41:                               ;   in Loop: Header=BB5_7 Depth=1
	s_andn2_saveexec_b64 s[6:7], s[52:53]
	s_cbranch_execz .LBB5_6
; %bb.42:                               ;   in Loop: Header=BB5_7 Depth=1
	v_cmp_gt_i32_e32 vcc, s72, v80
	s_and_saveexec_b64 s[8:9], vcc
	s_cbranch_execz .LBB5_5
; %bb.43:                               ;   in Loop: Header=BB5_7 Depth=1
	s_mul_i32 s73, s73, s38
	s_ashr_i32 s10, s73, 31
	s_waitcnt lgkmcnt(0)
	s_add_u32 s11, s44, s73
	s_addc_u32 s12, s45, s10
	s_ashr_i32 s13, s74, 31
	v_cmp_le_i32_e32 vcc, s75, v76
	s_add_u32 s10, s11, s74
	s_addc_u32 s11, s12, s13
	v_cndmask_b32_e32 v0, 0, v77, vcc
	v_ashrrev_i32_e32 v1, 31, v0
	v_lshl_add_u64 v[0:1], s[10:11], 0, v[0:1]
	v_lshl_add_u64 v[38:39], v[0:1], 0, v[34:35]
	s_mov_b64 s[10:11], 0
	s_branch .LBB5_45
.LBB5_44:                               ;   in Loop: Header=BB5_45 Depth=2
	s_or_b64 exec, exec, s[12:13]
	v_lshl_or_b32 v42, v40, 12, v78
	;;#ASMSTART
	s_waitcnt vmcnt(3)
	;;#ASMEND
	ds_write2_b32 v42, v12, v13 offset1:32
	ds_write2_b32 v42, v14, v15 offset0:64 offset1:96
	v_add_u32_e32 v12, 0x400, v42
	;;#ASMSTART
	s_waitcnt vmcnt(2)
	;;#ASMEND
	ds_write2_b32 v12, v8, v9 offset1:32
	ds_write2_b32 v12, v10, v11 offset0:64 offset1:96
	v_add_u32_e32 v8, 0x800, v42
	;; [unrolled: 6-line block ×3, first 2 shown]
	v_add_u32_e32 v80, s41, v80
	;;#ASMSTART
	s_waitcnt vmcnt(0)
	;;#ASMEND
	ds_write2_b32 v4, v0, v1 offset1:32
	ds_write2_b32 v4, v2, v3 offset0:64 offset1:96
	v_add_u32_e32 v0, 1, v55
	v_add_u32_e32 v40, s41, v40
	v_cmp_le_i32_e32 vcc, s72, v80
	ds_write_b32 v41, v0
	v_add_u32_e32 v0, 2, v55
	s_or_b64 s[10:11], vcc, s[10:11]
	v_cmp_lt_i32_e32 vcc, 0, v40
	s_nop 1
	v_cndmask_b32_e32 v55, v55, v0, vcc
	s_andn2_b64 exec, exec, s[10:11]
	s_cbranch_execz .LBB5_4
.LBB5_45:                               ;   Parent Loop BB5_7 Depth=1
                                        ; =>  This Loop Header: Depth=2
                                        ;       Child Loop BB5_47 Depth 3
	v_cmp_lt_i32_e32 vcc, 0, v40
	v_lshlrev_b32_e32 v0, 7, v80
	v_ashrrev_i32_e32 v1, 31, v0
	v_subbrev_co_u32_e32 v40, vcc, 0, v40, vcc
	v_lshl_add_u64 v[0:1], v[38:39], 0, v[0:1]
	v_lshlrev_b32_e32 v41, 2, v40
	;;#ASMSTART
	global_load_dwordx4 v[12:15], v[0:1], off offset:0   
	global_load_dwordx4 v[8:11], v[0:1], off offset:32  
	;; [unrolled: 1-line block ×4, first 2 shown]
	
	;;#ASMEND
	ds_read_b32 v42, v41 offset:8192
	v_add_u32_e32 v41, 0x2000, v41
	s_waitcnt lgkmcnt(0)
	v_cmp_ne_u32_e32 vcc, v42, v55
	s_and_saveexec_b64 s[12:13], vcc
	s_cbranch_execz .LBB5_44
; %bb.46:                               ;   in Loop: Header=BB5_45 Depth=2
	s_mov_b64 s[14:15], 0
.LBB5_47:                               ;   Parent Loop BB5_7 Depth=1
                                        ;     Parent Loop BB5_45 Depth=2
                                        ; =>    This Inner Loop Header: Depth=3
	;;#ASMSTART
	s_sleep 0
	;;#ASMEND
	ds_read_b32 v42, v41
	s_waitcnt lgkmcnt(0)
	v_cmp_eq_u32_e32 vcc, v42, v55
	s_or_b64 s[14:15], vcc, s[14:15]
	s_andn2_b64 exec, exec, s[14:15]
	s_cbranch_execnz .LBB5_47
	s_branch .LBB5_44
.LBB5_48:
	s_endpgm
	.section	.rodata,"a",@progbits
	.p2align	6, 0x0
	.amdhsa_kernel _Z19_skinny_gemm_kernelILi1ELi1ELi1ELi32ELi8EEvPKhS1_P6__halfPKfiiiiiiii
		.amdhsa_group_segment_fixed_size 8200
		.amdhsa_private_segment_fixed_size 0
		.amdhsa_kernarg_size 64
		.amdhsa_user_sgpr_count 2
		.amdhsa_user_sgpr_dispatch_ptr 0
		.amdhsa_user_sgpr_queue_ptr 0
		.amdhsa_user_sgpr_kernarg_segment_ptr 1
		.amdhsa_user_sgpr_dispatch_id 0
		.amdhsa_user_sgpr_kernarg_preload_length 0
		.amdhsa_user_sgpr_kernarg_preload_offset 0
		.amdhsa_user_sgpr_private_segment_size 0
		.amdhsa_uses_dynamic_stack 0
		.amdhsa_enable_private_segment 0
		.amdhsa_system_sgpr_workgroup_id_x 1
		.amdhsa_system_sgpr_workgroup_id_y 0
		.amdhsa_system_sgpr_workgroup_id_z 0
		.amdhsa_system_sgpr_workgroup_info 0
		.amdhsa_system_vgpr_workitem_id 0
		.amdhsa_next_free_vgpr 88
		.amdhsa_next_free_sgpr 76
		.amdhsa_accum_offset 88
		.amdhsa_reserve_vcc 1
		.amdhsa_float_round_mode_32 0
		.amdhsa_float_round_mode_16_64 0
		.amdhsa_float_denorm_mode_32 3
		.amdhsa_float_denorm_mode_16_64 3
		.amdhsa_dx10_clamp 1
		.amdhsa_ieee_mode 1
		.amdhsa_fp16_overflow 0
		.amdhsa_tg_split 0
		.amdhsa_exception_fp_ieee_invalid_op 0
		.amdhsa_exception_fp_denorm_src 0
		.amdhsa_exception_fp_ieee_div_zero 0
		.amdhsa_exception_fp_ieee_overflow 0
		.amdhsa_exception_fp_ieee_underflow 0
		.amdhsa_exception_fp_ieee_inexact 0
		.amdhsa_exception_int_div_zero 0
	.end_amdhsa_kernel
	.section	.text._Z19_skinny_gemm_kernelILi1ELi1ELi1ELi32ELi8EEvPKhS1_P6__halfPKfiiiiiiii,"axG",@progbits,_Z19_skinny_gemm_kernelILi1ELi1ELi1ELi32ELi8EEvPKhS1_P6__halfPKfiiiiiiii,comdat
.Lfunc_end5:
	.size	_Z19_skinny_gemm_kernelILi1ELi1ELi1ELi32ELi8EEvPKhS1_P6__halfPKfiiiiiiii, .Lfunc_end5-_Z19_skinny_gemm_kernelILi1ELi1ELi1ELi32ELi8EEvPKhS1_P6__halfPKfiiiiiiii
                                        ; -- End function
	.set _Z19_skinny_gemm_kernelILi1ELi1ELi1ELi32ELi8EEvPKhS1_P6__halfPKfiiiiiiii.num_vgpr, 88
	.set _Z19_skinny_gemm_kernelILi1ELi1ELi1ELi32ELi8EEvPKhS1_P6__halfPKfiiiiiiii.num_agpr, 0
	.set _Z19_skinny_gemm_kernelILi1ELi1ELi1ELi32ELi8EEvPKhS1_P6__halfPKfiiiiiiii.numbered_sgpr, 76
	.set _Z19_skinny_gemm_kernelILi1ELi1ELi1ELi32ELi8EEvPKhS1_P6__halfPKfiiiiiiii.num_named_barrier, 0
	.set _Z19_skinny_gemm_kernelILi1ELi1ELi1ELi32ELi8EEvPKhS1_P6__halfPKfiiiiiiii.private_seg_size, 0
	.set _Z19_skinny_gemm_kernelILi1ELi1ELi1ELi32ELi8EEvPKhS1_P6__halfPKfiiiiiiii.uses_vcc, 1
	.set _Z19_skinny_gemm_kernelILi1ELi1ELi1ELi32ELi8EEvPKhS1_P6__halfPKfiiiiiiii.uses_flat_scratch, 0
	.set _Z19_skinny_gemm_kernelILi1ELi1ELi1ELi32ELi8EEvPKhS1_P6__halfPKfiiiiiiii.has_dyn_sized_stack, 0
	.set _Z19_skinny_gemm_kernelILi1ELi1ELi1ELi32ELi8EEvPKhS1_P6__halfPKfiiiiiiii.has_recursion, 0
	.set _Z19_skinny_gemm_kernelILi1ELi1ELi1ELi32ELi8EEvPKhS1_P6__halfPKfiiiiiiii.has_indirect_call, 0
	.section	.AMDGPU.csdata,"",@progbits
; Kernel info:
; codeLenInByte = 6308
; TotalNumSgprs: 82
; NumVgprs: 88
; NumAgprs: 0
; TotalNumVgprs: 88
; ScratchSize: 0
; MemoryBound: 0
; FloatMode: 240
; IeeeMode: 1
; LDSByteSize: 8200 bytes/workgroup (compile time only)
; SGPRBlocks: 10
; VGPRBlocks: 10
; NumSGPRsForWavesPerEU: 82
; NumVGPRsForWavesPerEU: 88
; AccumOffset: 88
; Occupancy: 5
; WaveLimiterHint : 0
; COMPUTE_PGM_RSRC2:SCRATCH_EN: 0
; COMPUTE_PGM_RSRC2:USER_SGPR: 2
; COMPUTE_PGM_RSRC2:TRAP_HANDLER: 0
; COMPUTE_PGM_RSRC2:TGID_X_EN: 1
; COMPUTE_PGM_RSRC2:TGID_Y_EN: 0
; COMPUTE_PGM_RSRC2:TGID_Z_EN: 0
; COMPUTE_PGM_RSRC2:TIDIG_COMP_CNT: 0
; COMPUTE_PGM_RSRC3_GFX90A:ACCUM_OFFSET: 21
; COMPUTE_PGM_RSRC3_GFX90A:TG_SPLIT: 0
	.section	.text._Z19_skinny_gemm_kernelILi1ELi1ELi2ELi8ELi4EEvPKhS1_P6__halfPKfiiiiiiii,"axG",@progbits,_Z19_skinny_gemm_kernelILi1ELi1ELi2ELi8ELi4EEvPKhS1_P6__halfPKfiiiiiiii,comdat
	.protected	_Z19_skinny_gemm_kernelILi1ELi1ELi2ELi8ELi4EEvPKhS1_P6__halfPKfiiiiiiii ; -- Begin function _Z19_skinny_gemm_kernelILi1ELi1ELi2ELi8ELi4EEvPKhS1_P6__halfPKfiiiiiiii
	.globl	_Z19_skinny_gemm_kernelILi1ELi1ELi2ELi8ELi4EEvPKhS1_P6__halfPKfiiiiiiii
	.p2align	8
	.type	_Z19_skinny_gemm_kernelILi1ELi1ELi2ELi8ELi4EEvPKhS1_P6__halfPKfiiiiiiii,@function
_Z19_skinny_gemm_kernelILi1ELi1ELi2ELi8ELi4EEvPKhS1_P6__halfPKfiiiiiiii: ; @_Z19_skinny_gemm_kernelILi1ELi1ELi2ELi8ELi4EEvPKhS1_P6__halfPKfiiiiiiii
; %bb.0:
	v_cmp_gt_u32_e32 vcc, 4, v0
	v_lshlrev_b32_e32 v1, 2, v0
	s_and_saveexec_b64 s[4:5], vcc
; %bb.1:
	v_mov_b32_e32 v2, 0
	ds_write_b32 v1, v2 offset:12288
; %bb.2:
	s_or_b64 exec, exec, s[4:5]
	s_load_dwordx8 s[8:15], s[0:1], 0x20
	s_waitcnt lgkmcnt(0)
	s_barrier
	s_add_i32 s3, s8, 7
	s_ashr_i32 s5, s3, 31
	s_add_i32 s4, s9, 15
	s_lshr_b32 s5, s5, 29
	s_ashr_i32 s6, s4, 31
	s_add_i32 s3, s3, s5
	s_ashr_i32 s33, s3, 3
	s_lshr_b32 s3, s6, 28
	s_add_i32 s4, s4, s3
	s_ashr_i32 s42, s4, 4
	s_mul_i32 s3, s42, s33
	s_mul_i32 s3, s3, s12
	s_add_i32 s4, s3, 0x12f
	s_mul_hi_i32 s4, s4, 0x6bca1af3
	s_lshr_b32 s5, s4, 31
	s_ashr_i32 s4, s4, 7
	s_add_i32 s4, s4, s5
	s_add_i32 s5, s2, 1
	s_mul_i32 s5, s4, s5
	v_cvt_f64_i32_e32 v[2:3], s3
	v_cvt_f64_u32_e32 v[4:5], s5
	v_min_f64 v[2:3], v[2:3], v[4:5]
	v_cvt_i32_f64_e32 v17, v[2:3]
	s_mul_i32 s43, s4, s2
	v_cmp_ge_i32_e32 vcc, s43, v17
	s_cbranch_vccnz .LBB6_41
; %bb.3:
	v_lshrrev_b32_e32 v2, 6, v0
	s_add_i32 s4, s14, s13
	s_load_dwordx8 s[16:23], s[0:1], 0x0
	v_cmp_le_i32_e64 s[0:1], s4, v2
	v_mov_b32_e32 v3, s13
	v_cmp_le_i32_e64 s[2:3], s13, v2
	v_mov_b32_e32 v4, s14
	v_cndmask_b32_e64 v4, 0, v4, s[0:1]
	v_cndmask_b32_e64 v3, 0, v3, s[2:3]
	s_abs_i32 s5, s12
	v_add_u32_e32 v3, v3, v4
	v_cvt_f32_u32_e32 v4, s5
	v_sub_u32_e32 v6, v2, v3
	s_ashr_i32 s6, s10, 31
	s_lshr_b32 s6, s6, 24
	v_rcp_iflag_f32_e32 v3, v4
	s_sub_i32 s26, 0, s5
	s_add_i32 s6, s10, s6
	s_ashr_i32 s6, s6, 8
	v_mul_f32_e32 v3, 0x4f7ffffe, v3
	v_cvt_u32_f32_e32 v3, v3
	s_abs_i32 s25, s6
	s_xor_b32 s24, s6, s12
	s_ashr_i32 s24, s24, 31
	v_readfirstlane_b32 s27, v3
	s_mul_i32 s26, s26, s27
	s_mul_hi_u32 s26, s27, s26
	s_add_i32 s27, s27, s26
	s_mul_hi_u32 s26, s25, s27
	s_mul_i32 s27, s26, s5
	s_sub_i32 s25, s25, s27
	s_add_i32 s27, s26, 1
	s_sub_i32 s28, s25, s5
	s_cmp_ge_u32 s25, s5
	s_cselect_b32 s26, s27, s26
	s_cselect_b32 s25, s28, s25
	s_add_i32 s27, s26, 1
	s_cmp_ge_u32 s25, s5
	s_cselect_b32 s5, s27, s26
	s_xor_b32 s5, s5, s24
	s_sub_i32 s44, s5, s24
	s_add_i32 s12, s12, -1
	s_mul_i32 s5, s44, s12
	s_add_i32 s4, s4, s15
	s_sub_i32 s45, s6, s5
	v_cmp_gt_i32_e64 s[4:5], s4, v2
	v_and_b32_e32 v2, 1, v0
	v_lshlrev_b32_e32 v3, 1, v0
	v_and_b32_e32 v3, 0x7c, v3
	v_lshlrev_b32_e32 v4, 8, v2
	v_lshlrev_b32_e32 v5, 4, v0
	s_movk_i32 s24, 0x2000
	s_movk_i32 s6, 0x7c
	v_and_b32_e32 v7, 0x200, v5
	v_or3_b32 v32, v3, v4, s24
	v_lshrrev_b32_e32 v3, 3, v0
	v_cmp_eq_u32_e32 vcc, 0, v2
	v_and_or_b32 v33, v1, s6, v7
	v_lshlrev_b32_e32 v1, 1, v2
	v_and_or_b32 v2, v3, 6, v2
	v_sub_u32_e32 v35, 8, v2
	v_mul_lo_u32 v18, s9, v2
	v_bfe_u32 v2, v0, 2, 4
	v_lshlrev_b32_e32 v4, 8, v0
	v_lshlrev_b32_e32 v7, 6, v0
	v_mul_lo_u32 v24, s11, v2
	v_and_b32_e32 v2, 60, v0
	v_and_b32_e32 v4, 0x200, v4
	;; [unrolled: 1-line block ×3, first 2 shown]
	s_abs_i32 s46, s33
	v_or3_b32 v36, v2, v4, v7
	v_cvt_f32_u32_e32 v7, s46
	v_lshlrev_b32_e32 v4, 7, v0
	v_and_b32_e32 v16, 14, v0
	v_bitop3_b32 v34, v0, 1, v0 bitop3:0xc
	v_sub_u32_e32 v1, v0, v1
	v_bfe_u32 v2, v0, 3, 3
	v_and_b32_e32 v4, 0x200, v4
	v_lshlrev_b32_e32 v0, 5, v0
	v_lshl_or_b32 v4, v2, 2, v4
	v_and_b32_e32 v0, 0x60, v0
	v_or3_b32 v37, v4, v0, s24
	v_rcp_iflag_f32_e32 v0, v7
	s_abs_i32 s47, s42
	v_mul_lo_u32 v39, s10, v2
	v_cvt_f32_u32_e32 v2, s47
	v_mul_f32_e32 v0, 0x4f7ffffe, v0
	v_cvt_u32_f32_e32 v0, v0
	s_sub_i32 s24, 0, s46
	v_rcp_iflag_f32_e32 v2, v2
	v_add_u32_e32 v1, 1, v1
	v_readfirstlane_b32 s25, v0
	s_mul_i32 s24, s24, s25
	v_mul_f32_e32 v0, 0x4f7ffffe, v2
	v_cvt_u32_f32_e32 v0, v0
	s_mul_hi_u32 s24, s25, s24
	s_add_i32 s49, s25, s24
	s_sub_i32 s24, 0, s47
	v_readfirstlane_b32 s25, v0
	v_mbcnt_lo_u32_b32 v0, -1, 0
	v_and_b32_e32 v1, 63, v1
	s_mul_i32 s24, s24, s25
	v_mbcnt_hi_u32_b32 v0, -1, v0
	v_mov_b32_e32 v8, 0xeeee
	v_mov_b32_e32 v9, 0x4444
	;; [unrolled: 1-line block ×3, first 2 shown]
	s_mul_hi_u32 s24, s25, s24
	v_and_or_b32 v0, v0, 64, v1
	v_cndmask_b32_e64 v30, 0, 1, s[0:1]
	s_mov_b32 s7, 0
	v_cndmask_b32_e32 v31, v8, v9, vcc
	v_ashrrev_i32_e32 v19, 31, v18
	v_and_b32_e32 v22, 48, v5
	v_ashrrev_i32_e32 v25, 31, v24
	v_mov_b32_e32 v23, v21
	v_bitop3_b32 v38, v3, 7, v3 bitop3:0xc
	v_and_b32_e32 v26, 0x70, v5
	v_mov_b32_e32 v27, v21
	s_lshl_b32 s6, s13, 8
	s_ashr_i32 s48, s33, 31
	s_ashr_i32 s50, s42, 31
	s_add_i32 s51, s25, s24
	v_lshlrev_b32_e32 v40, 2, v0
	v_lshlrev_b32_e32 v20, 1, v16
	v_mov_b32_e32 v41, v6
	s_branch .LBB6_7
.LBB6_4:                                ;   in Loop: Header=BB6_7 Depth=1
	s_or_b64 exec, exec, s[28:29]
.LBB6_5:                                ;   in Loop: Header=BB6_7 Depth=1
	s_or_b64 exec, exec, s[26:27]
	v_subrev_u32_e32 v41, s52, v41
.LBB6_6:                                ;   in Loop: Header=BB6_7 Depth=1
	s_or_b64 exec, exec, s[24:25]
	s_add_i32 s43, s43, 1
	v_cmp_ge_i32_e32 vcc, s43, v17
	s_cbranch_vccnz .LBB6_41
.LBB6_7:                                ; =>This Loop Header: Depth=1
                                        ;     Child Loop BB6_13 Depth 2
                                        ;       Child Loop BB6_15 Depth 3
                                        ;       Child Loop BB6_18 Depth 3
                                        ;     Child Loop BB6_28 Depth 2
                                        ;       Child Loop BB6_30 Depth 3
                                        ;     Child Loop BB6_38 Depth 2
                                        ;       Child Loop BB6_40 Depth 3
	s_abs_i32 s25, s43
	s_mul_hi_u32 s26, s25, s49
	s_mul_i32 s27, s26, s46
	s_ashr_i32 s24, s43, 31
	s_sub_i32 s25, s25, s27
	s_xor_b32 s24, s24, s48
	s_add_i32 s27, s26, 1
	s_sub_i32 s28, s25, s46
	s_cmp_ge_u32 s25, s46
	s_cselect_b32 s26, s27, s26
	s_cselect_b32 s25, s28, s25
	s_add_i32 s27, s26, 1
	s_cmp_ge_u32 s25, s46
	s_cselect_b32 s25, s27, s26
	s_xor_b32 s25, s25, s24
	s_sub_i32 s26, s25, s24
	s_abs_i32 s25, s26
	s_mul_i32 s24, s26, s33
	s_mul_hi_u32 s27, s25, s51
	s_sub_i32 s24, s43, s24
	s_mul_i32 s28, s27, s47
	s_lshl_b32 s53, s24, 3
	s_ashr_i32 s24, s26, 31
	s_sub_i32 s25, s25, s28
	s_xor_b32 s24, s24, s50
	s_add_i32 s28, s27, 1
	s_sub_i32 s29, s25, s47
	s_cmp_ge_u32 s25, s47
	s_cselect_b32 s27, s28, s27
	s_cselect_b32 s25, s29, s25
	s_add_i32 s28, s27, 1
	s_cmp_ge_u32 s25, s47
	s_cselect_b32 s25, s28, s27
	s_xor_b32 s25, s25, s24
	s_sub_i32 s27, s25, s24
	s_mul_i32 s24, s27, s44
	s_lshl_b32 s54, s24, 8
	s_cmp_eq_u32 s27, s12
	s_cselect_b32 s52, s45, s44
	s_sub_i32 s55, s53, s8
	s_add_i32 s55, s55, 8
	s_and_saveexec_b64 s[24:25], s[2:3]
	s_xor_b64 s[24:25], exec, s[24:25]
	s_cbranch_execz .LBB6_34
; %bb.8:                                ;   in Loop: Header=BB6_7 Depth=1
	s_mul_i32 s27, s27, s42
	s_sub_i32 s26, s26, s27
	s_lshl_b32 s26, s26, 4
	s_sub_i32 s27, s26, s9
	s_add_i32 s27, s27, 16
	s_max_i32 s28, s27, 0
	s_sub_i32 s26, s26, s28
	s_and_saveexec_b64 s[28:29], s[0:1]
	s_xor_b64 s[28:29], exec, s[28:29]
	s_cbranch_execz .LBB6_24
; %bb.9:                                ;   in Loop: Header=BB6_7 Depth=1
	s_and_saveexec_b64 s[30:31], s[4:5]
	s_cbranch_execz .LBB6_23
; %bb.10:                               ;   in Loop: Header=BB6_7 Depth=1
	s_waitcnt lgkmcnt(0)
	global_load_dword v12, v21, s[22:23]
	v_mov_b32_e32 v3, 0
	v_cmp_gt_i32_e32 vcc, s52, v41
	v_mov_b32_e32 v2, v3
	v_mov_b32_e32 v1, v3
	;; [unrolled: 1-line block ×3, first 2 shown]
	s_and_saveexec_b64 s[34:35], vcc
	s_cbranch_execz .LBB6_20
; %bb.11:                               ;   in Loop: Header=BB6_7 Depth=1
	v_mov_b32_e32 v0, 0
	s_mov_b64 s[36:37], 0
	v_mov_b32_e32 v1, v0
	v_mov_b32_e32 v2, v0
	;; [unrolled: 1-line block ×3, first 2 shown]
	s_branch .LBB6_13
.LBB6_12:                               ;   in Loop: Header=BB6_13 Depth=2
	s_or_b64 exec, exec, s[38:39]
	v_lshl_or_b32 v28, v13, 12, v33
	ds_read2_b32 v[42:43], v28 offset1:32
	ds_read2_b32 v[44:45], v28 offset0:64 offset1:96
	v_add_u32_e32 v29, 0x400, v28
	ds_read2_b32 v[46:47], v29 offset1:32
	ds_read2_b32 v[48:49], v29 offset0:64 offset1:96
	v_add_u32_e32 v41, s15, v41
	v_cmp_le_i32_e32 vcc, s52, v41
	s_waitcnt lgkmcnt(2)
	v_smfmac_f32_16x16x64_fp8_fp8 v[0:3], v[10:11], v[42:45], v31 cbsz:7 abid:1
	v_add_u32_e32 v10, 0x800, v28
	ds_read2_b32 v[42:43], v10 offset1:32
	ds_read2_b32 v[44:45], v10 offset0:64 offset1:96
	v_add_u32_e32 v10, 0xc00, v28
	s_waitcnt lgkmcnt(2)
	v_smfmac_f32_16x16x64_fp8_fp8 v[0:3], v[8:9], v[46:49], v31 cbsz:7 abid:1
	ds_read2_b32 v[8:9], v10 offset1:32
	ds_read2_b32 v[10:11], v10 offset0:64 offset1:96
	s_or_b64 s[36:37], vcc, s[36:37]
	ds_write_b32 v14, v15 offset:8
	s_waitcnt lgkmcnt(3)
	v_smfmac_f32_16x16x64_fp8_fp8 v[0:3], v[6:7], v[42:45], v31 cbsz:7 abid:1
	v_add_u32_e32 v6, s15, v13
	v_add_u32_e32 v7, 2, v30
	v_cmp_lt_i32_e32 vcc, 1, v6
	s_waitcnt lgkmcnt(1)
	v_smfmac_f32_16x16x64_fp8_fp8 v[0:3], v[4:5], v[8:11], v31 cbsz:7 abid:1
	v_cndmask_b32_e32 v30, v30, v7, vcc
	s_andn2_b64 exec, exec, s[36:37]
	s_cbranch_execz .LBB6_19
.LBB6_13:                               ;   Parent Loop BB6_7 Depth=1
                                        ; =>  This Loop Header: Depth=2
                                        ;       Child Loop BB6_15 Depth 3
                                        ;       Child Loop BB6_18 Depth 3
	v_cmp_gt_i32_e32 vcc, 2, v6
	s_nop 1
	v_cndmask_b32_e64 v4, -2, 0, vcc
	v_add_u32_e32 v13, v4, v6
	v_lshlrev_b32_e32 v4, 2, v13
	ds_read_b32 v5, v4 offset:12288
	v_add_u32_e32 v14, 0x3000, v4
	s_waitcnt lgkmcnt(0)
	v_cmp_ne_u32_e32 vcc, v5, v30
	s_and_saveexec_b64 s[38:39], vcc
	s_cbranch_execz .LBB6_16
; %bb.14:                               ;   in Loop: Header=BB6_13 Depth=2
	s_mov_b64 s[40:41], 0
.LBB6_15:                               ;   Parent Loop BB6_7 Depth=1
                                        ;     Parent Loop BB6_13 Depth=2
                                        ; =>    This Inner Loop Header: Depth=3
	;;#ASMSTART
	s_sleep 0
	;;#ASMEND
	ds_read_b32 v4, v14
	s_waitcnt lgkmcnt(0)
	v_cmp_eq_u32_e32 vcc, v4, v30
	s_or_b64 s[40:41], vcc, s[40:41]
	s_andn2_b64 exec, exec, s[40:41]
	s_cbranch_execnz .LBB6_15
.LBB6_16:                               ;   in Loop: Header=BB6_13 Depth=2
	s_or_b64 exec, exec, s[38:39]
	v_lshl_add_u32 v4, v13, 11, v32
	ds_read2_b32 v[10:11], v4 offset1:32
	ds_read2_b32 v[8:9], v4 offset0:128 offset1:160
	v_add_u32_e32 v4, 0x400, v4
	ds_read2_b32 v[6:7], v4 offset1:32
	ds_read2_b32 v[4:5], v4 offset0:128 offset1:160
	;;#ASMSTART
	s_waitcnt lgkmcnt(0)
	;;#ASMEND
	ds_read_b32 v28, v14 offset:8
	v_add_u32_e32 v15, 1, v30
	ds_write_b32 v14, v15
	s_waitcnt lgkmcnt(1)
	v_cmp_ne_u32_e32 vcc, v28, v30
	s_and_saveexec_b64 s[38:39], vcc
	s_cbranch_execz .LBB6_12
; %bb.17:                               ;   in Loop: Header=BB6_13 Depth=2
	s_mov_b64 s[40:41], 0
.LBB6_18:                               ;   Parent Loop BB6_7 Depth=1
                                        ;     Parent Loop BB6_13 Depth=2
                                        ; =>    This Inner Loop Header: Depth=3
	;;#ASMSTART
	s_sleep 0
	;;#ASMEND
	ds_read_b32 v28, v14 offset:8
	s_waitcnt lgkmcnt(0)
	v_cmp_eq_u32_e32 vcc, v28, v30
	s_or_b64 s[40:41], vcc, s[40:41]
	s_andn2_b64 exec, exec, s[40:41]
	s_cbranch_execnz .LBB6_18
	s_branch .LBB6_12
.LBB6_19:                               ;   in Loop: Header=BB6_7 Depth=1
	s_or_b64 exec, exec, s[36:37]
.LBB6_20:                               ;   in Loop: Header=BB6_7 Depth=1
	s_or_b64 exec, exec, s[34:35]
	v_cmp_le_i32_e32 vcc, s27, v16
	s_nop 1
	v_mov_b32_e32 v8, v1
	v_mov_b32_e32 v9, v2
	;; [unrolled: 1-line block ×3, first 2 shown]
	s_waitcnt vmcnt(0)
	v_cndmask_b32_e32 v4, 0, v12, vcc
	v_pk_add_f32 v[0:1], v[8:9], v[0:1]
	v_cmp_ne_u32_e32 vcc, 0, v34
	v_pk_mul_f32 v[0:1], v[4:5], v[0:1] op_sel_hi:[0,1]
	s_nop 0
	v_cndmask_b32_e32 v4, v0, v1, vcc
	v_cmp_eq_u32_e32 vcc, 2, v34
	s_nop 1
	v_cndmask_b32_e32 v2, v4, v2, vcc
	v_cmp_eq_u32_e32 vcc, 3, v34
	s_nop 1
	v_cndmask_b32_e32 v2, v2, v3, vcc
	ds_bpermute_b32 v2, v40, v2
	v_cmp_lt_i32_e32 vcc, s55, v35
	s_and_saveexec_b64 s[34:35], vcc
	s_cbranch_execz .LBB6_22
; %bb.21:                               ;   in Loop: Header=BB6_7 Depth=1
	s_mul_i32 s36, s53, s9
	s_ashr_i32 s37, s36, 31
	s_lshl_b64 s[36:37], s[36:37], 1
	v_cmp_ne_u32_e32 vcc, 0, v34
	s_add_u32 s38, s20, s36
	s_addc_u32 s39, s21, s37
	s_waitcnt lgkmcnt(0)
	v_cndmask_b32_e32 v1, v1, v2, vcc
	v_cmp_eq_u32_e32 vcc, 0, v34
	s_ashr_i32 s27, s26, 31
	s_lshl_b64 s[36:37], s[26:27], 1
	v_cndmask_b32_e32 v0, v0, v2, vcc
	v_cvt_f16_f32_e32 v2, v0
	v_cvt_f16_f32_sdwa v3, v1 dst_sel:WORD_1 dst_unused:UNUSED_PAD src0_sel:DWORD
	s_add_u32 s36, s38, s36
	s_addc_u32 s37, s39, s37
	v_lshl_add_u64 v[0:1], v[18:19], 1, s[36:37]
	v_lshl_add_u64 v[0:1], v[0:1], 0, v[20:21]
	v_or_b32_e32 v2, v3, v2
	;;#ASMSTART
	global_atomic_pk_add_f16 v[0:1], v2, off
	
	;;#ASMEND
.LBB6_22:                               ;   in Loop: Header=BB6_7 Depth=1
	s_or_b64 exec, exec, s[34:35]
	v_subrev_u32_e32 v41, s52, v41
.LBB6_23:                               ;   in Loop: Header=BB6_7 Depth=1
	s_or_b64 exec, exec, s[30:31]
.LBB6_24:                               ;   in Loop: Header=BB6_7 Depth=1
	s_andn2_saveexec_b64 s[28:29], s[28:29]
	s_cbranch_execz .LBB6_33
; %bb.25:                               ;   in Loop: Header=BB6_7 Depth=1
	v_cmp_gt_i32_e32 vcc, s52, v41
	s_and_saveexec_b64 s[30:31], vcc
	s_cbranch_execz .LBB6_32
; %bb.26:                               ;   in Loop: Header=BB6_7 Depth=1
	s_mul_i32 s26, s26, s11
	s_ashr_i32 s27, s26, 31
	s_waitcnt lgkmcnt(0)
	s_add_u32 s26, s18, s26
	s_addc_u32 s27, s19, s27
	s_ashr_i32 s34, s54, 31
	s_add_u32 s26, s26, s54
	s_addc_u32 s27, s27, s34
	v_lshl_add_u64 v[0:1], s[26:27], 0, v[24:25]
	v_lshl_add_u64 v[28:29], v[0:1], 0, v[22:23]
	s_mov_b64 s[26:27], 0
	s_branch .LBB6_28
.LBB6_27:                               ;   in Loop: Header=BB6_28 Depth=2
	s_or_b64 exec, exec, s[34:35]
	v_lshl_or_b32 v44, v42, 12, v36
	;;#ASMSTART
	s_waitcnt vmcnt(3)
	;;#ASMEND
	ds_write2_b32 v44, v12, v13 offset1:32
	ds_write2_b32 v44, v14, v15 offset0:64 offset1:96
	v_add_u32_e32 v12, 0x400, v44
	;;#ASMSTART
	s_waitcnt vmcnt(2)
	;;#ASMEND
	ds_write2_b32 v12, v8, v9 offset1:32
	ds_write2_b32 v12, v10, v11 offset0:64 offset1:96
	v_add_u32_e32 v8, 0x800, v44
	;; [unrolled: 6-line block ×3, first 2 shown]
	v_add_u32_e32 v41, s14, v41
	;;#ASMSTART
	s_waitcnt vmcnt(0)
	;;#ASMEND
	ds_write2_b32 v4, v0, v1 offset1:32
	ds_write2_b32 v4, v2, v3 offset0:64 offset1:96
	v_add_u32_e32 v0, 1, v30
	v_add_u32_e32 v6, s14, v42
	v_cmp_le_i32_e32 vcc, s52, v41
	ds_write_b32 v43, v0 offset:8
	v_add_u32_e32 v0, 2, v30
	s_or_b64 s[26:27], vcc, s[26:27]
	v_cmp_lt_i32_e32 vcc, 1, v6
	s_nop 1
	v_cndmask_b32_e32 v30, v30, v0, vcc
	s_andn2_b64 exec, exec, s[26:27]
	s_cbranch_execz .LBB6_31
.LBB6_28:                               ;   Parent Loop BB6_7 Depth=1
                                        ; =>  This Loop Header: Depth=2
                                        ;       Child Loop BB6_30 Depth 3
	v_cmp_gt_i32_e32 vcc, 2, v6
	s_nop 1
	v_cndmask_b32_e64 v0, -2, 0, vcc
	v_add_u32_e32 v42, v0, v6
	v_lshlrev_b32_e32 v0, 8, v41
	v_ashrrev_i32_e32 v1, 31, v0
	v_lshl_add_u64 v[0:1], v[28:29], 0, v[0:1]
	v_lshlrev_b32_e32 v43, 2, v42
	;;#ASMSTART
	global_load_dwordx4 v[12:15], v[0:1], off offset:0    sc0 sc1 nt  
	global_load_dwordx4 v[8:11], v[0:1], off offset:64   sc0 sc1 nt  
	global_load_dwordx4 v[4:7], v[0:1], off offset:128  sc0 sc1 nt  
	global_load_dwordx4 v[0:3], v[0:1], off offset:192  sc0 sc1 nt  
	
	;;#ASMEND
	ds_read_b32 v44, v43 offset:12296
	v_add_u32_e32 v43, 0x3000, v43
	s_waitcnt lgkmcnt(0)
	v_cmp_ne_u32_e32 vcc, v44, v30
	s_and_saveexec_b64 s[34:35], vcc
	s_cbranch_execz .LBB6_27
; %bb.29:                               ;   in Loop: Header=BB6_28 Depth=2
	s_mov_b64 s[36:37], 0
.LBB6_30:                               ;   Parent Loop BB6_7 Depth=1
                                        ;     Parent Loop BB6_28 Depth=2
                                        ; =>    This Inner Loop Header: Depth=3
	;;#ASMSTART
	s_sleep 0
	;;#ASMEND
	ds_read_b32 v44, v43 offset:8
	s_waitcnt lgkmcnt(0)
	v_cmp_eq_u32_e32 vcc, v44, v30
	s_or_b64 s[36:37], vcc, s[36:37]
	s_andn2_b64 exec, exec, s[36:37]
	s_cbranch_execnz .LBB6_30
	s_branch .LBB6_27
.LBB6_31:                               ;   in Loop: Header=BB6_7 Depth=1
	s_or_b64 exec, exec, s[26:27]
.LBB6_32:                               ;   in Loop: Header=BB6_7 Depth=1
	s_or_b64 exec, exec, s[30:31]
	v_subrev_u32_e32 v41, s52, v41
.LBB6_33:                               ;   in Loop: Header=BB6_7 Depth=1
	s_or_b64 exec, exec, s[28:29]
.LBB6_34:                               ;   in Loop: Header=BB6_7 Depth=1
	s_andn2_saveexec_b64 s[24:25], s[24:25]
	s_cbranch_execz .LBB6_6
; %bb.35:                               ;   in Loop: Header=BB6_7 Depth=1
	v_cmp_gt_i32_e32 vcc, s52, v41
	s_and_saveexec_b64 s[26:27], vcc
	s_cbranch_execz .LBB6_5
; %bb.36:                               ;   in Loop: Header=BB6_7 Depth=1
	s_mul_i32 s53, s53, s10
	s_ashr_i32 s28, s53, 31
	s_waitcnt lgkmcnt(0)
	s_add_u32 s29, s16, s53
	s_addc_u32 s30, s17, s28
	s_ashr_i32 s31, s54, 31
	v_cmp_le_i32_e32 vcc, s55, v38
	s_add_u32 s28, s29, s54
	s_addc_u32 s29, s30, s31
	v_cndmask_b32_e32 v0, 0, v39, vcc
	v_ashrrev_i32_e32 v1, 31, v0
	v_lshl_add_u64 v[0:1], s[28:29], 0, v[0:1]
	v_lshlrev_b32_e32 v2, 8, v41
	v_lshl_add_u64 v[0:1], v[0:1], 0, v[26:27]
	v_ashrrev_i32_e32 v3, 31, v2
	v_lshl_add_u64 v[8:9], v[0:1], 0, v[2:3]
	s_mov_b64 s[28:29], 0
	s_branch .LBB6_38
.LBB6_37:                               ;   in Loop: Header=BB6_38 Depth=2
	s_or_b64 exec, exec, s[30:31]
	;;#ASMSTART
	s_waitcnt vmcnt(1)
	v_pack_b32_f16 v12, v4, v5, op_sel:[0,0]
	v_pack_b32_f16 v13, v4, v5, op_sel:[1,1]
	;; [unrolled: 1-line block ×4, first 2 shown]
	v_swap_b32 v12, v4
	v_swap_b32 v13, v6
	;; [unrolled: 1-line block ×4, first 2 shown]
	;;#ASMEND
	v_add_u32_e32 v41, s13, v41
	v_lshl_add_u32 v12, v10, 11, v37
	ds_write2_b32 v12, v4, v5 offset1:32
	ds_write2_b32 v12, v6, v7 offset0:64 offset1:96
	;;#ASMSTART
	s_waitcnt vmcnt(0)
	v_pack_b32_f16 v4, v0, v1, op_sel:[0,0]
	v_pack_b32_f16 v5, v0, v1, op_sel:[1,1]
	;; [unrolled: 1-line block ×4, first 2 shown]
	v_swap_b32 v4, v0
	v_swap_b32 v5, v2
	;; [unrolled: 1-line block ×4, first 2 shown]
	;;#ASMEND
	v_cmp_le_i32_e32 vcc, s52, v41
	v_add_u32_e32 v4, 0x400, v12
	ds_write2_b32 v4, v0, v1 offset1:32
	ds_write2_b32 v4, v2, v3 offset0:64 offset1:96
	v_add_u32_e32 v0, 1, v30
	v_add_u32_e32 v6, s13, v10
	ds_write_b32 v11, v0
	v_add_u32_e32 v0, 2, v30
	s_or_b64 s[28:29], vcc, s[28:29]
	v_cmp_lt_i32_e32 vcc, 1, v6
	v_lshl_add_u64 v[8:9], v[8:9], 0, s[6:7]
	s_nop 0
	v_cndmask_b32_e32 v30, v30, v0, vcc
	s_andn2_b64 exec, exec, s[28:29]
	s_cbranch_execz .LBB6_4
.LBB6_38:                               ;   Parent Loop BB6_7 Depth=1
                                        ; =>  This Loop Header: Depth=2
                                        ;       Child Loop BB6_40 Depth 3
	v_cmp_gt_i32_e32 vcc, 2, v6
	s_nop 1
	v_cndmask_b32_e64 v0, -2, 0, vcc
	v_add_u32_e32 v10, v0, v6
	v_lshlrev_b32_e32 v11, 2, v10
	;;#ASMSTART
	global_load_dwordx4 v[4:7], v[8:9], off offset:0  
	global_load_dwordx4 v[0:3], v[8:9], off offset:128
	
	;;#ASMEND
	ds_read_b32 v12, v11 offset:12288
	v_add_u32_e32 v11, 0x3000, v11
	s_waitcnt lgkmcnt(0)
	v_cmp_ne_u32_e32 vcc, v12, v30
	s_and_saveexec_b64 s[30:31], vcc
	s_cbranch_execz .LBB6_37
; %bb.39:                               ;   in Loop: Header=BB6_38 Depth=2
	s_mov_b64 s[34:35], 0
.LBB6_40:                               ;   Parent Loop BB6_7 Depth=1
                                        ;     Parent Loop BB6_38 Depth=2
                                        ; =>    This Inner Loop Header: Depth=3
	;;#ASMSTART
	s_sleep 0
	;;#ASMEND
	ds_read_b32 v12, v11
	s_waitcnt lgkmcnt(0)
	v_cmp_eq_u32_e32 vcc, v12, v30
	s_or_b64 s[34:35], vcc, s[34:35]
	s_andn2_b64 exec, exec, s[34:35]
	s_cbranch_execnz .LBB6_40
	s_branch .LBB6_37
.LBB6_41:
	s_endpgm
	.section	.rodata,"a",@progbits
	.p2align	6, 0x0
	.amdhsa_kernel _Z19_skinny_gemm_kernelILi1ELi1ELi2ELi8ELi4EEvPKhS1_P6__halfPKfiiiiiiii
		.amdhsa_group_segment_fixed_size 12304
		.amdhsa_private_segment_fixed_size 0
		.amdhsa_kernarg_size 64
		.amdhsa_user_sgpr_count 2
		.amdhsa_user_sgpr_dispatch_ptr 0
		.amdhsa_user_sgpr_queue_ptr 0
		.amdhsa_user_sgpr_kernarg_segment_ptr 1
		.amdhsa_user_sgpr_dispatch_id 0
		.amdhsa_user_sgpr_kernarg_preload_length 0
		.amdhsa_user_sgpr_kernarg_preload_offset 0
		.amdhsa_user_sgpr_private_segment_size 0
		.amdhsa_uses_dynamic_stack 0
		.amdhsa_enable_private_segment 0
		.amdhsa_system_sgpr_workgroup_id_x 1
		.amdhsa_system_sgpr_workgroup_id_y 0
		.amdhsa_system_sgpr_workgroup_id_z 0
		.amdhsa_system_sgpr_workgroup_info 0
		.amdhsa_system_vgpr_workitem_id 0
		.amdhsa_next_free_vgpr 50
		.amdhsa_next_free_sgpr 56
		.amdhsa_accum_offset 52
		.amdhsa_reserve_vcc 1
		.amdhsa_float_round_mode_32 0
		.amdhsa_float_round_mode_16_64 0
		.amdhsa_float_denorm_mode_32 3
		.amdhsa_float_denorm_mode_16_64 3
		.amdhsa_dx10_clamp 1
		.amdhsa_ieee_mode 1
		.amdhsa_fp16_overflow 0
		.amdhsa_tg_split 0
		.amdhsa_exception_fp_ieee_invalid_op 0
		.amdhsa_exception_fp_denorm_src 0
		.amdhsa_exception_fp_ieee_div_zero 0
		.amdhsa_exception_fp_ieee_overflow 0
		.amdhsa_exception_fp_ieee_underflow 0
		.amdhsa_exception_fp_ieee_inexact 0
		.amdhsa_exception_int_div_zero 0
	.end_amdhsa_kernel
	.section	.text._Z19_skinny_gemm_kernelILi1ELi1ELi2ELi8ELi4EEvPKhS1_P6__halfPKfiiiiiiii,"axG",@progbits,_Z19_skinny_gemm_kernelILi1ELi1ELi2ELi8ELi4EEvPKhS1_P6__halfPKfiiiiiiii,comdat
.Lfunc_end6:
	.size	_Z19_skinny_gemm_kernelILi1ELi1ELi2ELi8ELi4EEvPKhS1_P6__halfPKfiiiiiiii, .Lfunc_end6-_Z19_skinny_gemm_kernelILi1ELi1ELi2ELi8ELi4EEvPKhS1_P6__halfPKfiiiiiiii
                                        ; -- End function
	.set _Z19_skinny_gemm_kernelILi1ELi1ELi2ELi8ELi4EEvPKhS1_P6__halfPKfiiiiiiii.num_vgpr, 50
	.set _Z19_skinny_gemm_kernelILi1ELi1ELi2ELi8ELi4EEvPKhS1_P6__halfPKfiiiiiiii.num_agpr, 0
	.set _Z19_skinny_gemm_kernelILi1ELi1ELi2ELi8ELi4EEvPKhS1_P6__halfPKfiiiiiiii.numbered_sgpr, 56
	.set _Z19_skinny_gemm_kernelILi1ELi1ELi2ELi8ELi4EEvPKhS1_P6__halfPKfiiiiiiii.num_named_barrier, 0
	.set _Z19_skinny_gemm_kernelILi1ELi1ELi2ELi8ELi4EEvPKhS1_P6__halfPKfiiiiiiii.private_seg_size, 0
	.set _Z19_skinny_gemm_kernelILi1ELi1ELi2ELi8ELi4EEvPKhS1_P6__halfPKfiiiiiiii.uses_vcc, 1
	.set _Z19_skinny_gemm_kernelILi1ELi1ELi2ELi8ELi4EEvPKhS1_P6__halfPKfiiiiiiii.uses_flat_scratch, 0
	.set _Z19_skinny_gemm_kernelILi1ELi1ELi2ELi8ELi4EEvPKhS1_P6__halfPKfiiiiiiii.has_dyn_sized_stack, 0
	.set _Z19_skinny_gemm_kernelILi1ELi1ELi2ELi8ELi4EEvPKhS1_P6__halfPKfiiiiiiii.has_recursion, 0
	.set _Z19_skinny_gemm_kernelILi1ELi1ELi2ELi8ELi4EEvPKhS1_P6__halfPKfiiiiiiii.has_indirect_call, 0
	.section	.AMDGPU.csdata,"",@progbits
; Kernel info:
; codeLenInByte = 2936
; TotalNumSgprs: 62
; NumVgprs: 50
; NumAgprs: 0
; TotalNumVgprs: 50
; ScratchSize: 0
; MemoryBound: 0
; FloatMode: 240
; IeeeMode: 1
; LDSByteSize: 12304 bytes/workgroup (compile time only)
; SGPRBlocks: 7
; VGPRBlocks: 6
; NumSGPRsForWavesPerEU: 62
; NumVGPRsForWavesPerEU: 50
; AccumOffset: 52
; Occupancy: 8
; WaveLimiterHint : 0
; COMPUTE_PGM_RSRC2:SCRATCH_EN: 0
; COMPUTE_PGM_RSRC2:USER_SGPR: 2
; COMPUTE_PGM_RSRC2:TRAP_HANDLER: 0
; COMPUTE_PGM_RSRC2:TGID_X_EN: 1
; COMPUTE_PGM_RSRC2:TGID_Y_EN: 0
; COMPUTE_PGM_RSRC2:TGID_Z_EN: 0
; COMPUTE_PGM_RSRC2:TIDIG_COMP_CNT: 0
; COMPUTE_PGM_RSRC3_GFX90A:ACCUM_OFFSET: 12
; COMPUTE_PGM_RSRC3_GFX90A:TG_SPLIT: 0
	.section	.text._Z19_skinny_gemm_kernelILi1ELi1ELi2ELi8ELi8EEvPKhS1_P6__halfPKfiiiiiiii,"axG",@progbits,_Z19_skinny_gemm_kernelILi1ELi1ELi2ELi8ELi8EEvPKhS1_P6__halfPKfiiiiiiii,comdat
	.protected	_Z19_skinny_gemm_kernelILi1ELi1ELi2ELi8ELi8EEvPKhS1_P6__halfPKfiiiiiiii ; -- Begin function _Z19_skinny_gemm_kernelILi1ELi1ELi2ELi8ELi8EEvPKhS1_P6__halfPKfiiiiiiii
	.globl	_Z19_skinny_gemm_kernelILi1ELi1ELi2ELi8ELi8EEvPKhS1_P6__halfPKfiiiiiiii
	.p2align	8
	.type	_Z19_skinny_gemm_kernelILi1ELi1ELi2ELi8ELi8EEvPKhS1_P6__halfPKfiiiiiiii,@function
_Z19_skinny_gemm_kernelILi1ELi1ELi2ELi8ELi8EEvPKhS1_P6__halfPKfiiiiiiii: ; @_Z19_skinny_gemm_kernelILi1ELi1ELi2ELi8ELi8EEvPKhS1_P6__halfPKfiiiiiiii
; %bb.0:
	v_cmp_gt_u32_e32 vcc, 4, v0
	v_lshlrev_b32_e32 v1, 2, v0
	s_and_saveexec_b64 s[4:5], vcc
; %bb.1:
	v_mov_b32_e32 v2, 0
	ds_write_b32 v1, v2 offset:24576
; %bb.2:
	s_or_b64 exec, exec, s[4:5]
	s_load_dwordx8 s[8:15], s[0:1], 0x20
	s_waitcnt lgkmcnt(0)
	s_barrier
	s_add_i32 s3, s8, 7
	s_ashr_i32 s5, s3, 31
	s_add_i32 s4, s9, 15
	s_lshr_b32 s5, s5, 29
	s_ashr_i32 s6, s4, 31
	s_add_i32 s3, s3, s5
	s_ashr_i32 s11, s3, 3
	s_lshr_b32 s3, s6, 28
	s_add_i32 s4, s4, s3
	s_ashr_i32 s33, s4, 4
	s_mul_i32 s3, s33, s11
	s_mul_i32 s3, s3, s12
	s_add_i32 s4, s3, 0x12f
	s_mul_hi_i32 s4, s4, 0x6bca1af3
	s_lshr_b32 s5, s4, 31
	s_ashr_i32 s4, s4, 7
	s_add_i32 s4, s4, s5
	s_add_i32 s5, s2, 1
	s_mul_i32 s5, s4, s5
	v_cvt_f64_i32_e32 v[2:3], s3
	v_cvt_f64_u32_e32 v[4:5], s5
	v_min_f64 v[2:3], v[2:3], v[4:5]
	v_cvt_i32_f64_e32 v9, v[2:3]
	s_mul_i32 s38, s4, s2
	v_cmp_ge_i32_e32 vcc, s38, v9
	s_cbranch_vccnz .LBB7_41
; %bb.3:
	v_lshrrev_b32_e32 v2, 6, v0
	s_add_i32 s4, s14, s13
	s_load_dwordx2 s[6:7], s[0:1], 0x0
	s_load_dwordx4 s[16:19], s[0:1], 0x10
	v_cmp_le_i32_e64 s[0:1], s4, v2
	v_mov_b32_e32 v3, s13
	v_cmp_le_i32_e64 s[2:3], s13, v2
	v_mov_b32_e32 v4, s14
	v_cndmask_b32_e64 v4, 0, v4, s[0:1]
	v_cndmask_b32_e64 v3, 0, v3, s[2:3]
	s_abs_i32 s5, s12
	v_add_u32_e32 v3, v3, v4
	v_cvt_f32_u32_e32 v4, s5
	v_sub_u32_e32 v6, v2, v3
	s_ashr_i32 s20, s10, 31
	s_lshr_b32 s20, s20, 23
	v_rcp_iflag_f32_e32 v3, v4
	s_sub_i32 s24, 0, s5
	s_add_i32 s20, s10, s20
	s_ashr_i32 s20, s20, 9
	v_mul_f32_e32 v3, 0x4f7ffffe, v3
	v_cvt_u32_f32_e32 v3, v3
	s_abs_i32 s23, s20
	s_xor_b32 s22, s20, s12
	s_ashr_i32 s22, s22, 31
	v_readfirstlane_b32 s25, v3
	s_mul_i32 s24, s24, s25
	s_mul_hi_u32 s24, s25, s24
	s_add_i32 s25, s25, s24
	s_mul_hi_u32 s24, s23, s25
	s_mul_i32 s25, s24, s5
	s_sub_i32 s23, s23, s25
	s_add_i32 s25, s24, 1
	s_sub_i32 s26, s23, s5
	s_cmp_ge_u32 s23, s5
	s_cselect_b32 s24, s25, s24
	s_cselect_b32 s23, s26, s23
	s_add_i32 s25, s24, 1
	s_cmp_ge_u32 s23, s5
	s_cselect_b32 s5, s25, s24
	s_xor_b32 s5, s5, s22
	s_sub_i32 s39, s5, s22
	s_add_i32 s12, s12, -1
	s_mul_i32 s5, s39, s12
	s_add_i32 s4, s4, s15
	s_sub_i32 s40, s20, s5
	v_cmp_gt_i32_e64 s[4:5], s4, v2
	v_and_b32_e32 v2, 1, v0
	v_lshlrev_b32_e32 v3, 1, v0
	v_and_b32_e32 v3, 0x7c, v3
	v_lshlrev_b32_e32 v4, 8, v2
	v_lshlrev_b32_e32 v5, 4, v0
	s_movk_i32 s22, 0x4000
	s_movk_i32 s20, 0x7c
	v_and_b32_e32 v7, 0x200, v5
	v_or3_b32 v30, v3, v4, s22
	v_lshrrev_b32_e32 v3, 3, v0
	v_mov_b32_e32 v8, 0xeeee
	v_mov_b32_e32 v10, 0x4444
	v_cmp_eq_u32_e32 vcc, 0, v2
	v_and_or_b32 v31, v1, s20, v7
	v_lshlrev_b32_e32 v1, 1, v2
	v_and_or_b32 v2, v3, 6, v2
	v_lshlrev_b32_e32 v4, 7, v0
	v_cndmask_b32_e32 v29, v8, v10, vcc
	v_and_b32_e32 v8, 14, v0
	v_bitop3_b32 v32, v0, 1, v0 bitop3:0xc
	v_sub_u32_e32 v1, v0, v1
	v_sub_u32_e32 v33, 8, v2
	v_mul_lo_u32 v10, s9, v2
	v_bfe_u32 v2, v0, 3, 3
	v_and_b32_e32 v4, 0x200, v4
	v_lshlrev_b32_e32 v0, 5, v0
	v_lshl_or_b32 v4, v2, 2, v4
	v_and_b32_e32 v0, 0x60, v0
	s_abs_i32 s41, s11
	v_or3_b32 v34, v4, v0, s22
	v_cvt_f32_u32_e32 v0, s41
	s_abs_i32 s43, s33
	v_mul_lo_u32 v36, s10, v2
	v_cvt_f32_u32_e32 v2, s43
	v_rcp_iflag_f32_e32 v0, v0
	s_sub_i32 s22, 0, s41
	v_add_u32_e32 v1, 1, v1
	v_rcp_iflag_f32_e32 v2, v2
	v_mul_f32_e32 v0, 0x4f7ffffe, v0
	v_cvt_u32_f32_e32 v0, v0
	v_and_b32_e32 v1, 63, v1
	v_mov_b32_e32 v13, 0
	v_cndmask_b32_e64 v28, 0, 1, s[0:1]
	v_readfirstlane_b32 s23, v0
	v_mul_f32_e32 v0, 0x4f7ffffe, v2
	v_cvt_u32_f32_e32 v0, v0
	s_mul_i32 s22, s22, s23
	s_mul_hi_u32 s22, s23, s22
	s_add_i32 s45, s23, s22
	s_sub_i32 s22, 0, s43
	v_readfirstlane_b32 s23, v0
	v_mbcnt_lo_u32_b32 v0, -1, 0
	s_mul_i32 s22, s22, s23
	v_mbcnt_hi_u32_b32 v0, -1, v0
	s_mul_hi_u32 s22, s23, s22
	v_and_or_b32 v0, v0, 64, v1
	s_mov_b32 s21, 0
	v_ashrrev_i32_e32 v11, 31, v10
	s_lshl_b32 s42, s39, 9
	v_bitop3_b32 v35, v3, 7, v3 bitop3:0xc
	v_and_b32_e32 v14, 0x70, v5
	v_mov_b32_e32 v15, v13
	s_lshl_b32 s20, s13, 9
	s_ashr_i32 s44, s11, 31
	s_ashr_i32 s46, s33, 31
	s_add_i32 s47, s23, s22
	v_lshlrev_b32_e32 v37, 2, v0
	v_lshlrev_b32_e32 v12, 1, v8
	v_mov_b32_e32 v38, v6
	s_branch .LBB7_7
.LBB7_4:                                ;   in Loop: Header=BB7_7 Depth=1
	s_or_b64 exec, exec, s[26:27]
.LBB7_5:                                ;   in Loop: Header=BB7_7 Depth=1
	s_or_b64 exec, exec, s[24:25]
	v_subrev_u32_e32 v38, s48, v38
.LBB7_6:                                ;   in Loop: Header=BB7_7 Depth=1
	s_or_b64 exec, exec, s[22:23]
	s_add_i32 s38, s38, 1
	v_cmp_ge_i32_e32 vcc, s38, v9
	s_cbranch_vccnz .LBB7_41
.LBB7_7:                                ; =>This Loop Header: Depth=1
                                        ;     Child Loop BB7_13 Depth 2
                                        ;       Child Loop BB7_15 Depth 3
                                        ;       Child Loop BB7_18 Depth 3
                                        ;     Child Loop BB7_28 Depth 2
                                        ;       Child Loop BB7_30 Depth 3
                                        ;     Child Loop BB7_38 Depth 2
                                        ;       Child Loop BB7_40 Depth 3
	s_abs_i32 s23, s38
	s_mul_hi_u32 s24, s23, s45
	s_mul_i32 s25, s24, s41
	s_ashr_i32 s22, s38, 31
	s_sub_i32 s23, s23, s25
	s_xor_b32 s22, s22, s44
	s_add_i32 s25, s24, 1
	s_sub_i32 s26, s23, s41
	s_cmp_ge_u32 s23, s41
	s_cselect_b32 s24, s25, s24
	s_cselect_b32 s23, s26, s23
	s_add_i32 s25, s24, 1
	s_cmp_ge_u32 s23, s41
	s_cselect_b32 s23, s25, s24
	s_xor_b32 s23, s23, s22
	s_sub_i32 s52, s23, s22
	s_abs_i32 s23, s52
	s_mul_i32 s22, s52, s11
	s_mul_hi_u32 s24, s23, s47
	s_sub_i32 s22, s38, s22
	s_mul_i32 s25, s24, s43
	s_lshl_b32 s49, s22, 3
	s_ashr_i32 s22, s52, 31
	s_sub_i32 s23, s23, s25
	s_xor_b32 s22, s22, s46
	s_add_i32 s25, s24, 1
	s_sub_i32 s26, s23, s43
	s_cmp_ge_u32 s23, s43
	s_cselect_b32 s24, s25, s24
	s_cselect_b32 s23, s26, s23
	s_add_i32 s25, s24, 1
	s_cmp_ge_u32 s23, s43
	s_cselect_b32 s23, s25, s24
	s_xor_b32 s23, s23, s22
	s_sub_i32 s51, s23, s22
	s_cmp_eq_u32 s51, s12
	s_cselect_b32 s48, s40, s39
	s_sub_i32 s50, s49, s8
	s_add_i32 s50, s50, 8
	s_and_saveexec_b64 s[22:23], s[2:3]
	s_xor_b64 s[22:23], exec, s[22:23]
	s_cbranch_execz .LBB7_34
; %bb.8:                                ;   in Loop: Header=BB7_7 Depth=1
	s_and_saveexec_b64 s[24:25], s[0:1]
	s_xor_b64 s[24:25], exec, s[24:25]
	s_cbranch_execz .LBB7_24
; %bb.9:                                ;   in Loop: Header=BB7_7 Depth=1
	s_and_saveexec_b64 s[26:27], s[4:5]
	s_cbranch_execz .LBB7_23
; %bb.10:                               ;   in Loop: Header=BB7_7 Depth=1
	s_waitcnt lgkmcnt(0)
	global_load_dword v39, v13, s[18:19]
	v_mov_b32_e32 v3, 0
	v_cmp_gt_i32_e32 vcc, s48, v38
	v_mov_b32_e32 v2, v3
	v_mov_b32_e32 v1, v3
	;; [unrolled: 1-line block ×3, first 2 shown]
	s_and_saveexec_b64 s[28:29], vcc
	s_cbranch_execz .LBB7_20
; %bb.11:                               ;   in Loop: Header=BB7_7 Depth=1
	v_mov_b32_e32 v0, 0
	s_mov_b64 s[30:31], 0
	v_mov_b32_e32 v1, v0
	v_mov_b32_e32 v2, v0
	;; [unrolled: 1-line block ×3, first 2 shown]
	s_branch .LBB7_13
.LBB7_12:                               ;   in Loop: Header=BB7_13 Depth=2
	s_or_b64 exec, exec, s[34:35]
	v_lshl_or_b32 v43, v40, 13, v31
	ds_read2_b32 v[44:45], v43 offset1:32
	ds_read2_b32 v[46:47], v43 offset0:64 offset1:96
	v_add_u32_e32 v50, 0x400, v43
	ds_read2_b32 v[48:49], v50 offset1:32
	ds_read2_b32 v[50:51], v50 offset0:64 offset1:96
	v_add_u32_e32 v38, s15, v38
	v_cmp_le_i32_e32 vcc, s48, v38
	s_waitcnt lgkmcnt(2)
	v_smfmac_f32_16x16x64_fp8_fp8 v[0:3], v[26:27], v[44:47], v29 cbsz:7 abid:1
	v_add_u32_e32 v26, 0x800, v43
	ds_read2_b32 v[44:45], v26 offset1:32
	ds_read2_b32 v[46:47], v26 offset0:64 offset1:96
	v_add_u32_e32 v26, 0xc00, v43
	s_waitcnt lgkmcnt(2)
	v_smfmac_f32_16x16x64_fp8_fp8 v[0:3], v[24:25], v[48:51], v29 cbsz:7 abid:1
	ds_read2_b32 v[24:25], v26 offset1:32
	ds_read2_b32 v[26:27], v26 offset0:64 offset1:96
	s_or_b64 s[30:31], vcc, s[30:31]
	s_waitcnt lgkmcnt(2)
	v_smfmac_f32_16x16x64_fp8_fp8 v[0:3], v[22:23], v[44:47], v29 cbsz:7 abid:1
	v_add_u32_e32 v22, 0x1000, v43
	ds_read2_b32 v[44:45], v22 offset1:32
	ds_read2_b32 v[46:47], v22 offset0:64 offset1:96
	v_add_u32_e32 v22, 0x1400, v43
	s_waitcnt lgkmcnt(2)
	v_smfmac_f32_16x16x64_fp8_fp8 v[0:3], v[20:21], v[24:27], v29 cbsz:7 abid:1
	ds_read2_b32 v[20:21], v22 offset1:32
	ds_read2_b32 v[22:23], v22 offset0:64 offset1:96
	s_waitcnt lgkmcnt(2)
	v_smfmac_f32_16x16x64_fp8_fp8 v[0:3], v[18:19], v[44:47], v29 cbsz:7 abid:1
	v_add_u32_e32 v18, 0x1800, v43
	ds_read2_b32 v[24:25], v18 offset1:32
	ds_read2_b32 v[26:27], v18 offset0:64 offset1:96
	v_add_u32_e32 v18, 0x1c00, v43
	s_waitcnt lgkmcnt(2)
	v_smfmac_f32_16x16x64_fp8_fp8 v[0:3], v[16:17], v[20:23], v29 cbsz:7 abid:1
	ds_read2_b32 v[16:17], v18 offset1:32
	ds_read2_b32 v[18:19], v18 offset0:64 offset1:96
	ds_write_b32 v41, v42 offset:8
	s_waitcnt lgkmcnt(3)
	v_smfmac_f32_16x16x64_fp8_fp8 v[0:3], v[6:7], v[24:27], v29 cbsz:7 abid:1
	v_add_u32_e32 v6, s15, v40
	v_add_u32_e32 v7, 2, v28
	v_cmp_lt_i32_e32 vcc, 1, v6
	s_waitcnt lgkmcnt(1)
	v_smfmac_f32_16x16x64_fp8_fp8 v[0:3], v[4:5], v[16:19], v29 cbsz:7 abid:1
	v_cndmask_b32_e32 v28, v28, v7, vcc
	s_andn2_b64 exec, exec, s[30:31]
	s_cbranch_execz .LBB7_19
.LBB7_13:                               ;   Parent Loop BB7_7 Depth=1
                                        ; =>  This Loop Header: Depth=2
                                        ;       Child Loop BB7_15 Depth 3
                                        ;       Child Loop BB7_18 Depth 3
	v_cmp_gt_i32_e32 vcc, 2, v6
	s_nop 1
	v_cndmask_b32_e64 v4, -2, 0, vcc
	v_add_u32_e32 v40, v4, v6
	v_lshlrev_b32_e32 v4, 2, v40
	ds_read_b32 v5, v4 offset:24576
	v_add_u32_e32 v41, 0x6000, v4
	s_waitcnt lgkmcnt(0)
	v_cmp_ne_u32_e32 vcc, v5, v28
	s_and_saveexec_b64 s[34:35], vcc
	s_cbranch_execz .LBB7_16
; %bb.14:                               ;   in Loop: Header=BB7_13 Depth=2
	s_mov_b64 s[36:37], 0
.LBB7_15:                               ;   Parent Loop BB7_7 Depth=1
                                        ;     Parent Loop BB7_13 Depth=2
                                        ; =>    This Inner Loop Header: Depth=3
	;;#ASMSTART
	s_sleep 0
	;;#ASMEND
	ds_read_b32 v4, v41
	s_waitcnt lgkmcnt(0)
	v_cmp_eq_u32_e32 vcc, v4, v28
	s_or_b64 s[36:37], vcc, s[36:37]
	s_andn2_b64 exec, exec, s[36:37]
	s_cbranch_execnz .LBB7_15
.LBB7_16:                               ;   in Loop: Header=BB7_13 Depth=2
	s_or_b64 exec, exec, s[34:35]
	v_lshl_add_u32 v4, v40, 12, v30
	v_add_u32_e32 v5, 0x400, v4
	ds_read2_b32 v[26:27], v4 offset1:32
	ds_read2_b32 v[24:25], v4 offset0:128 offset1:160
	ds_read2_b32 v[22:23], v5 offset1:32
	ds_read2_b32 v[20:21], v5 offset0:128 offset1:160
	v_add_u32_e32 v5, 0x800, v4
	v_add_u32_e32 v4, 0xc00, v4
	ds_read2_b32 v[18:19], v5 offset1:32
	ds_read2_b32 v[16:17], v5 offset0:128 offset1:160
	ds_read2_b32 v[6:7], v4 offset1:32
	ds_read2_b32 v[4:5], v4 offset0:128 offset1:160
	;;#ASMSTART
	s_waitcnt lgkmcnt(0)
	;;#ASMEND
	ds_read_b32 v43, v41 offset:8
	v_add_u32_e32 v42, 1, v28
	ds_write_b32 v41, v42
	s_waitcnt lgkmcnt(1)
	v_cmp_ne_u32_e32 vcc, v43, v28
	s_and_saveexec_b64 s[34:35], vcc
	s_cbranch_execz .LBB7_12
; %bb.17:                               ;   in Loop: Header=BB7_13 Depth=2
	s_mov_b64 s[36:37], 0
.LBB7_18:                               ;   Parent Loop BB7_7 Depth=1
                                        ;     Parent Loop BB7_13 Depth=2
                                        ; =>    This Inner Loop Header: Depth=3
	;;#ASMSTART
	s_sleep 0
	;;#ASMEND
	ds_read_b32 v43, v41 offset:8
	s_waitcnt lgkmcnt(0)
	v_cmp_eq_u32_e32 vcc, v43, v28
	s_or_b64 s[36:37], vcc, s[36:37]
	s_andn2_b64 exec, exec, s[36:37]
	s_cbranch_execnz .LBB7_18
	s_branch .LBB7_12
.LBB7_19:                               ;   in Loop: Header=BB7_7 Depth=1
	s_or_b64 exec, exec, s[30:31]
.LBB7_20:                               ;   in Loop: Header=BB7_7 Depth=1
	s_or_b64 exec, exec, s[28:29]
	s_mul_i32 s28, s51, s33
	s_sub_i32 s28, s52, s28
	s_lshl_b32 s30, s28, 4
	s_sub_i32 s31, s30, s9
	s_add_i32 s31, s31, 16
	v_cmp_le_i32_e32 vcc, s31, v8
	v_mov_b32_e32 v16, v1
	v_mov_b32_e32 v17, v2
	;; [unrolled: 1-line block ×3, first 2 shown]
	s_waitcnt vmcnt(0)
	v_cndmask_b32_e32 v4, 0, v39, vcc
	v_pk_add_f32 v[0:1], v[16:17], v[0:1]
	v_cmp_ne_u32_e32 vcc, 0, v32
	v_pk_mul_f32 v[0:1], v[4:5], v[0:1] op_sel_hi:[0,1]
	s_nop 0
	v_cndmask_b32_e32 v4, v0, v1, vcc
	v_cmp_eq_u32_e32 vcc, 2, v32
	s_nop 1
	v_cndmask_b32_e32 v2, v4, v2, vcc
	v_cmp_eq_u32_e32 vcc, 3, v32
	s_nop 1
	v_cndmask_b32_e32 v2, v2, v3, vcc
	ds_bpermute_b32 v2, v37, v2
	v_cmp_lt_i32_e32 vcc, s50, v33
	s_and_saveexec_b64 s[28:29], vcc
	s_cbranch_execz .LBB7_22
; %bb.21:                               ;   in Loop: Header=BB7_7 Depth=1
	s_mul_i32 s34, s49, s9
	s_max_i32 s31, s31, 0
	s_ashr_i32 s35, s34, 31
	s_sub_i32 s30, s30, s31
	s_lshl_b64 s[34:35], s[34:35], 1
	v_cmp_ne_u32_e32 vcc, 0, v32
	s_add_u32 s34, s16, s34
	s_addc_u32 s35, s17, s35
	s_waitcnt lgkmcnt(0)
	v_cndmask_b32_e32 v1, v1, v2, vcc
	v_cmp_eq_u32_e32 vcc, 0, v32
	s_ashr_i32 s31, s30, 31
	s_lshl_b64 s[30:31], s[30:31], 1
	v_cndmask_b32_e32 v0, v0, v2, vcc
	v_cvt_f16_f32_e32 v2, v0
	v_cvt_f16_f32_sdwa v3, v1 dst_sel:WORD_1 dst_unused:UNUSED_PAD src0_sel:DWORD
	s_add_u32 s30, s34, s30
	s_addc_u32 s31, s35, s31
	v_lshl_add_u64 v[0:1], v[10:11], 1, s[30:31]
	v_lshl_add_u64 v[0:1], v[0:1], 0, v[12:13]
	v_or_b32_e32 v2, v3, v2
	;;#ASMSTART
	global_atomic_pk_add_f16 v[0:1], v2, off
	
	;;#ASMEND
.LBB7_22:                               ;   in Loop: Header=BB7_7 Depth=1
	s_or_b64 exec, exec, s[28:29]
	v_subrev_u32_e32 v38, s48, v38
.LBB7_23:                               ;   in Loop: Header=BB7_7 Depth=1
	s_or_b64 exec, exec, s[26:27]
.LBB7_24:                               ;   in Loop: Header=BB7_7 Depth=1
	s_andn2_saveexec_b64 s[24:25], s[24:25]
	s_cbranch_execz .LBB7_33
; %bb.25:                               ;   in Loop: Header=BB7_7 Depth=1
	v_cmp_gt_i32_e32 vcc, s48, v38
	s_and_saveexec_b64 s[26:27], vcc
	s_cbranch_execz .LBB7_32
; %bb.26:                               ;   in Loop: Header=BB7_7 Depth=1
	s_mov_b64 s[28:29], 0
	s_branch .LBB7_28
.LBB7_27:                               ;   in Loop: Header=BB7_28 Depth=2
	s_or_b64 exec, exec, s[30:31]
	v_add_u32_e32 v38, s14, v38
	v_add_u32_e32 v6, s14, v0
	v_cmp_le_i32_e32 vcc, s48, v38
	v_add_u32_e32 v0, 2, v28
	s_or_b64 s[28:29], vcc, s[28:29]
	v_cmp_lt_i32_e32 vcc, 1, v6
	v_add_u32_e32 v2, 1, v28
	;;#ASMSTART
	s_waitcnt vmcnt(3)
	;;#ASMEND
	;;#ASMSTART
	s_waitcnt vmcnt(2)
	;;#ASMEND
	;; [unrolled: 3-line block ×4, first 2 shown]
	s_nop 0
	v_cndmask_b32_e32 v28, v28, v0, vcc
	ds_write_b32 v1, v2 offset:8
	s_andn2_b64 exec, exec, s[28:29]
	s_cbranch_execz .LBB7_31
.LBB7_28:                               ;   Parent Loop BB7_7 Depth=1
                                        ; =>  This Loop Header: Depth=2
                                        ;       Child Loop BB7_30 Depth 3
	v_cmp_gt_i32_e32 vcc, 2, v6
	s_nop 1
	v_cndmask_b32_e64 v0, -2, 0, vcc
	v_add_u32_e32 v0, v0, v6
	v_lshlrev_b32_e32 v1, 2, v0
	s_waitcnt lgkmcnt(0)
	ds_read_b32 v2, v1 offset:24584
	v_add_u32_e32 v1, 0x6000, v1
	s_waitcnt lgkmcnt(0)
	v_cmp_ne_u32_e32 vcc, v2, v28
	s_and_saveexec_b64 s[30:31], vcc
	s_cbranch_execz .LBB7_27
; %bb.29:                               ;   in Loop: Header=BB7_28 Depth=2
	s_mov_b64 s[34:35], 0
.LBB7_30:                               ;   Parent Loop BB7_7 Depth=1
                                        ;     Parent Loop BB7_28 Depth=2
                                        ; =>    This Inner Loop Header: Depth=3
	;;#ASMSTART
	s_sleep 0
	;;#ASMEND
	ds_read_b32 v2, v1 offset:8
	s_waitcnt lgkmcnt(0)
	v_cmp_eq_u32_e32 vcc, v2, v28
	s_or_b64 s[34:35], vcc, s[34:35]
	s_andn2_b64 exec, exec, s[34:35]
	s_cbranch_execnz .LBB7_30
	s_branch .LBB7_27
.LBB7_31:                               ;   in Loop: Header=BB7_7 Depth=1
	s_or_b64 exec, exec, s[28:29]
.LBB7_32:                               ;   in Loop: Header=BB7_7 Depth=1
	s_or_b64 exec, exec, s[26:27]
	v_subrev_u32_e32 v38, s48, v38
.LBB7_33:                               ;   in Loop: Header=BB7_7 Depth=1
	s_or_b64 exec, exec, s[24:25]
.LBB7_34:                               ;   in Loop: Header=BB7_7 Depth=1
	s_andn2_saveexec_b64 s[22:23], s[22:23]
	s_cbranch_execz .LBB7_6
; %bb.35:                               ;   in Loop: Header=BB7_7 Depth=1
	v_cmp_gt_i32_e32 vcc, s48, v38
	s_and_saveexec_b64 s[24:25], vcc
	s_cbranch_execz .LBB7_5
; %bb.36:                               ;   in Loop: Header=BB7_7 Depth=1
	s_mul_i32 s49, s49, s10
	s_ashr_i32 s26, s49, 31
	s_waitcnt lgkmcnt(0)
	s_add_u32 s27, s6, s49
	s_mul_i32 s51, s51, s42
	s_addc_u32 s28, s7, s26
	s_ashr_i32 s29, s51, 31
	v_cmp_le_i32_e32 vcc, s50, v35
	s_add_u32 s26, s27, s51
	s_addc_u32 s27, s28, s29
	v_cndmask_b32_e32 v0, 0, v36, vcc
	v_ashrrev_i32_e32 v1, 31, v0
	v_lshl_add_u64 v[0:1], s[26:27], 0, v[0:1]
	v_lshlrev_b32_e32 v2, 9, v38
	v_lshl_add_u64 v[0:1], v[0:1], 0, v[14:15]
	v_ashrrev_i32_e32 v3, 31, v2
	v_lshl_add_u64 v[16:17], v[0:1], 0, v[2:3]
	s_mov_b64 s[26:27], 0
	s_branch .LBB7_38
.LBB7_37:                               ;   in Loop: Header=BB7_38 Depth=2
	s_or_b64 exec, exec, s[28:29]
	;;#ASMSTART
	s_waitcnt vmcnt(1)
	v_pack_b32_f16 v20, v4, v5, op_sel:[0,0]
	v_pack_b32_f16 v21, v4, v5, op_sel:[1,1]
	;; [unrolled: 1-line block ×4, first 2 shown]
	v_swap_b32 v20, v4
	v_swap_b32 v21, v6
	;; [unrolled: 1-line block ×4, first 2 shown]
	;;#ASMEND
	v_add_u32_e32 v38, s13, v38
	v_lshl_add_u32 v20, v18, 12, v34
	ds_write2_b32 v20, v4, v5 offset1:32
	ds_write2_b32 v20, v6, v7 offset0:64 offset1:96
	;;#ASMSTART
	s_waitcnt vmcnt(0)
	v_pack_b32_f16 v4, v0, v1, op_sel:[0,0]
	v_pack_b32_f16 v5, v0, v1, op_sel:[1,1]
	;; [unrolled: 1-line block ×4, first 2 shown]
	v_swap_b32 v4, v0
	v_swap_b32 v5, v2
	;; [unrolled: 1-line block ×4, first 2 shown]
	;;#ASMEND
	v_cmp_le_i32_e32 vcc, s48, v38
	v_add_u32_e32 v4, 0x400, v20
	ds_write2_b32 v4, v0, v1 offset1:32
	ds_write2_b32 v4, v2, v3 offset0:64 offset1:96
	v_add_u32_e32 v0, 1, v28
	v_add_u32_e32 v6, s13, v18
	ds_write_b32 v19, v0
	v_add_u32_e32 v0, 2, v28
	s_or_b64 s[26:27], vcc, s[26:27]
	v_cmp_lt_i32_e32 vcc, 1, v6
	v_lshl_add_u64 v[16:17], v[16:17], 0, s[20:21]
	s_nop 0
	v_cndmask_b32_e32 v28, v28, v0, vcc
	s_andn2_b64 exec, exec, s[26:27]
	s_cbranch_execz .LBB7_4
.LBB7_38:                               ;   Parent Loop BB7_7 Depth=1
                                        ; =>  This Loop Header: Depth=2
                                        ;       Child Loop BB7_40 Depth 3
	v_cmp_gt_i32_e32 vcc, 2, v6
	s_nop 1
	v_cndmask_b32_e64 v0, -2, 0, vcc
	v_add_u32_e32 v18, v0, v6
	v_lshlrev_b32_e32 v19, 2, v18
	;;#ASMSTART
	global_load_dwordx4 v[4:7], v[16:17], off offset:0  
	global_load_dwordx4 v[0:3], v[16:17], off offset:128
	
	;;#ASMEND
	ds_read_b32 v20, v19 offset:24576
	v_add_u32_e32 v19, 0x6000, v19
	s_waitcnt lgkmcnt(0)
	v_cmp_ne_u32_e32 vcc, v20, v28
	s_and_saveexec_b64 s[28:29], vcc
	s_cbranch_execz .LBB7_37
; %bb.39:                               ;   in Loop: Header=BB7_38 Depth=2
	s_mov_b64 s[30:31], 0
.LBB7_40:                               ;   Parent Loop BB7_7 Depth=1
                                        ;     Parent Loop BB7_38 Depth=2
                                        ; =>    This Inner Loop Header: Depth=3
	;;#ASMSTART
	s_sleep 0
	;;#ASMEND
	ds_read_b32 v20, v19
	s_waitcnt lgkmcnt(0)
	v_cmp_eq_u32_e32 vcc, v20, v28
	s_or_b64 s[30:31], vcc, s[30:31]
	s_andn2_b64 exec, exec, s[30:31]
	s_cbranch_execnz .LBB7_40
	s_branch .LBB7_37
.LBB7_41:
	s_endpgm
	.section	.rodata,"a",@progbits
	.p2align	6, 0x0
	.amdhsa_kernel _Z19_skinny_gemm_kernelILi1ELi1ELi2ELi8ELi8EEvPKhS1_P6__halfPKfiiiiiiii
		.amdhsa_group_segment_fixed_size 24592
		.amdhsa_private_segment_fixed_size 0
		.amdhsa_kernarg_size 64
		.amdhsa_user_sgpr_count 2
		.amdhsa_user_sgpr_dispatch_ptr 0
		.amdhsa_user_sgpr_queue_ptr 0
		.amdhsa_user_sgpr_kernarg_segment_ptr 1
		.amdhsa_user_sgpr_dispatch_id 0
		.amdhsa_user_sgpr_kernarg_preload_length 0
		.amdhsa_user_sgpr_kernarg_preload_offset 0
		.amdhsa_user_sgpr_private_segment_size 0
		.amdhsa_uses_dynamic_stack 0
		.amdhsa_enable_private_segment 0
		.amdhsa_system_sgpr_workgroup_id_x 1
		.amdhsa_system_sgpr_workgroup_id_y 0
		.amdhsa_system_sgpr_workgroup_id_z 0
		.amdhsa_system_sgpr_workgroup_info 0
		.amdhsa_system_vgpr_workitem_id 0
		.amdhsa_next_free_vgpr 52
		.amdhsa_next_free_sgpr 53
		.amdhsa_accum_offset 52
		.amdhsa_reserve_vcc 1
		.amdhsa_float_round_mode_32 0
		.amdhsa_float_round_mode_16_64 0
		.amdhsa_float_denorm_mode_32 3
		.amdhsa_float_denorm_mode_16_64 3
		.amdhsa_dx10_clamp 1
		.amdhsa_ieee_mode 1
		.amdhsa_fp16_overflow 0
		.amdhsa_tg_split 0
		.amdhsa_exception_fp_ieee_invalid_op 0
		.amdhsa_exception_fp_denorm_src 0
		.amdhsa_exception_fp_ieee_div_zero 0
		.amdhsa_exception_fp_ieee_overflow 0
		.amdhsa_exception_fp_ieee_underflow 0
		.amdhsa_exception_fp_ieee_inexact 0
		.amdhsa_exception_int_div_zero 0
	.end_amdhsa_kernel
	.section	.text._Z19_skinny_gemm_kernelILi1ELi1ELi2ELi8ELi8EEvPKhS1_P6__halfPKfiiiiiiii,"axG",@progbits,_Z19_skinny_gemm_kernelILi1ELi1ELi2ELi8ELi8EEvPKhS1_P6__halfPKfiiiiiiii,comdat
.Lfunc_end7:
	.size	_Z19_skinny_gemm_kernelILi1ELi1ELi2ELi8ELi8EEvPKhS1_P6__halfPKfiiiiiiii, .Lfunc_end7-_Z19_skinny_gemm_kernelILi1ELi1ELi2ELi8ELi8EEvPKhS1_P6__halfPKfiiiiiiii
                                        ; -- End function
	.set _Z19_skinny_gemm_kernelILi1ELi1ELi2ELi8ELi8EEvPKhS1_P6__halfPKfiiiiiiii.num_vgpr, 52
	.set _Z19_skinny_gemm_kernelILi1ELi1ELi2ELi8ELi8EEvPKhS1_P6__halfPKfiiiiiiii.num_agpr, 0
	.set _Z19_skinny_gemm_kernelILi1ELi1ELi2ELi8ELi8EEvPKhS1_P6__halfPKfiiiiiiii.numbered_sgpr, 53
	.set _Z19_skinny_gemm_kernelILi1ELi1ELi2ELi8ELi8EEvPKhS1_P6__halfPKfiiiiiiii.num_named_barrier, 0
	.set _Z19_skinny_gemm_kernelILi1ELi1ELi2ELi8ELi8EEvPKhS1_P6__halfPKfiiiiiiii.private_seg_size, 0
	.set _Z19_skinny_gemm_kernelILi1ELi1ELi2ELi8ELi8EEvPKhS1_P6__halfPKfiiiiiiii.uses_vcc, 1
	.set _Z19_skinny_gemm_kernelILi1ELi1ELi2ELi8ELi8EEvPKhS1_P6__halfPKfiiiiiiii.uses_flat_scratch, 0
	.set _Z19_skinny_gemm_kernelILi1ELi1ELi2ELi8ELi8EEvPKhS1_P6__halfPKfiiiiiiii.has_dyn_sized_stack, 0
	.set _Z19_skinny_gemm_kernelILi1ELi1ELi2ELi8ELi8EEvPKhS1_P6__halfPKfiiiiiiii.has_recursion, 0
	.set _Z19_skinny_gemm_kernelILi1ELi1ELi2ELi8ELi8EEvPKhS1_P6__halfPKfiiiiiiii.has_indirect_call, 0
	.section	.AMDGPU.csdata,"",@progbits
; Kernel info:
; codeLenInByte = 2852
; TotalNumSgprs: 59
; NumVgprs: 52
; NumAgprs: 0
; TotalNumVgprs: 52
; ScratchSize: 0
; MemoryBound: 0
; FloatMode: 240
; IeeeMode: 1
; LDSByteSize: 24592 bytes/workgroup (compile time only)
; SGPRBlocks: 7
; VGPRBlocks: 6
; NumSGPRsForWavesPerEU: 59
; NumVGPRsForWavesPerEU: 52
; AccumOffset: 52
; Occupancy: 8
; WaveLimiterHint : 0
; COMPUTE_PGM_RSRC2:SCRATCH_EN: 0
; COMPUTE_PGM_RSRC2:USER_SGPR: 2
; COMPUTE_PGM_RSRC2:TRAP_HANDLER: 0
; COMPUTE_PGM_RSRC2:TGID_X_EN: 1
; COMPUTE_PGM_RSRC2:TGID_Y_EN: 0
; COMPUTE_PGM_RSRC2:TGID_Z_EN: 0
; COMPUTE_PGM_RSRC2:TIDIG_COMP_CNT: 0
; COMPUTE_PGM_RSRC3_GFX90A:ACCUM_OFFSET: 12
; COMPUTE_PGM_RSRC3_GFX90A:TG_SPLIT: 0
	.section	.text._Z19_skinny_gemm_kernelILi1ELi1ELi2ELi16ELi4EEvPKhS1_P6__halfPKfiiiiiiii,"axG",@progbits,_Z19_skinny_gemm_kernelILi1ELi1ELi2ELi16ELi4EEvPKhS1_P6__halfPKfiiiiiiii,comdat
	.protected	_Z19_skinny_gemm_kernelILi1ELi1ELi2ELi16ELi4EEvPKhS1_P6__halfPKfiiiiiiii ; -- Begin function _Z19_skinny_gemm_kernelILi1ELi1ELi2ELi16ELi4EEvPKhS1_P6__halfPKfiiiiiiii
	.globl	_Z19_skinny_gemm_kernelILi1ELi1ELi2ELi16ELi4EEvPKhS1_P6__halfPKfiiiiiiii
	.p2align	8
	.type	_Z19_skinny_gemm_kernelILi1ELi1ELi2ELi16ELi4EEvPKhS1_P6__halfPKfiiiiiiii,@function
_Z19_skinny_gemm_kernelILi1ELi1ELi2ELi16ELi4EEvPKhS1_P6__halfPKfiiiiiiii: ; @_Z19_skinny_gemm_kernelILi1ELi1ELi2ELi16ELi4EEvPKhS1_P6__halfPKfiiiiiiii
; %bb.0:
	v_cmp_gt_u32_e32 vcc, 4, v0
	v_lshlrev_b32_e32 v1, 2, v0
	s_and_saveexec_b64 s[4:5], vcc
; %bb.1:
	v_mov_b32_e32 v2, 0
	ds_write_b32 v1, v2 offset:8192
; %bb.2:
	s_or_b64 exec, exec, s[4:5]
	s_load_dwordx8 s[12:19], s[0:1], 0x20
	s_waitcnt lgkmcnt(0)
	s_barrier
	s_add_i32 s3, s12, 15
	s_ashr_i32 s5, s3, 31
	s_add_i32 s4, s13, 15
	s_lshr_b32 s5, s5, 28
	s_ashr_i32 s6, s4, 31
	s_add_i32 s3, s3, s5
	s_ashr_i32 s33, s3, 4
	s_lshr_b32 s3, s6, 28
	s_add_i32 s4, s4, s3
	s_ashr_i32 s42, s4, 4
	s_mul_i32 s3, s42, s33
	s_mul_i32 s3, s3, s16
	s_add_i32 s4, s3, 0x12f
	s_mul_hi_i32 s4, s4, 0x6bca1af3
	s_lshr_b32 s5, s4, 31
	s_ashr_i32 s4, s4, 7
	s_add_i32 s4, s4, s5
	s_add_i32 s5, s2, 1
	s_mul_i32 s5, s4, s5
	v_cvt_f64_i32_e32 v[2:3], s3
	v_cvt_f64_u32_e32 v[4:5], s5
	v_min_f64 v[2:3], v[2:3], v[4:5]
	v_cvt_i32_f64_e32 v9, v[2:3]
	s_mul_i32 s43, s4, s2
	v_cmp_ge_i32_e32 vcc, s43, v9
	s_cbranch_vccnz .LBB8_42
; %bb.3:
	v_lshrrev_b32_e32 v2, 6, v0
	s_add_i32 s4, s18, s17
	s_load_dwordx8 s[20:27], s[0:1], 0x0
	v_cmp_le_i32_e64 s[0:1], s4, v2
	v_mov_b32_e32 v3, s17
	v_cmp_le_i32_e64 s[2:3], s17, v2
	v_mov_b32_e32 v4, s18
	v_cndmask_b32_e64 v4, 0, v4, s[0:1]
	v_cndmask_b32_e64 v3, 0, v3, s[2:3]
	s_abs_i32 s5, s16
	v_add_u32_e32 v3, v3, v4
	v_cvt_f32_u32_e32 v4, s5
	v_sub_u32_e32 v18, v2, v3
	s_ashr_i32 s6, s14, 31
	s_lshr_b32 s6, s6, 25
	v_rcp_iflag_f32_e32 v3, v4
	s_sub_i32 s9, 0, s5
	s_add_i32 s6, s14, s6
	s_ashr_i32 s6, s6, 7
	v_mul_f32_e32 v3, 0x4f7ffffe, v3
	v_cvt_u32_f32_e32 v3, v3
	s_abs_i32 s8, s6
	s_xor_b32 s7, s6, s16
	s_ashr_i32 s7, s7, 31
	v_readfirstlane_b32 s10, v3
	s_mul_i32 s9, s9, s10
	s_mul_hi_u32 s9, s10, s9
	s_add_i32 s10, s10, s9
	s_mul_hi_u32 s9, s8, s10
	s_mul_i32 s10, s9, s5
	s_sub_i32 s8, s8, s10
	s_add_i32 s10, s9, 1
	s_sub_i32 s11, s8, s5
	s_cmp_ge_u32 s8, s5
	s_cselect_b32 s9, s10, s9
	s_cselect_b32 s8, s11, s8
	s_add_i32 s10, s9, 1
	s_cmp_ge_u32 s8, s5
	s_cselect_b32 s5, s10, s9
	s_xor_b32 s5, s5, s7
	s_sub_i32 s44, s5, s7
	s_add_i32 s16, s16, -1
	s_mul_i32 s5, s44, s16
	s_add_i32 s4, s4, s19
	s_sub_i32 s45, s6, s5
	v_cmp_gt_i32_e64 s[4:5], s4, v2
	v_lshlrev_b32_e32 v2, 1, v0
	v_lshlrev_b32_e32 v3, 4, v0
	v_and_b32_e32 v1, 60, v1
	v_and_b32_e32 v2, 64, v2
	v_and_b32_e32 v4, 0x100, v3
	s_abs_i32 s46, s33
	v_or3_b32 v21, v1, v2, v4
	v_and_b32_e32 v1, 1, v0
	v_cvt_f32_u32_e32 v6, s46
	v_lshlrev_b32_e32 v2, 1, v1
	v_lshrrev_b32_e32 v4, 2, v0
	v_and_b32_e32 v8, 14, v0
	v_sub_u32_e32 v2, v0, v2
	v_and_or_b32 v23, v4, 12, v1
	v_bitop3_b32 v24, v0, 1, v0 bitop3:0xc
	v_bitop3_b32 v25, v0, 3, 1 bitop3:0x6c
	v_and_b32_e32 v12, 48, v3
	v_bfe_u32 v1, v0, 2, 4
	v_and_b32_e32 v3, 60, v0
	v_lshlrev_b32_e32 v5, 8, v0
	v_lshlrev_b32_e32 v0, 6, v0
	v_and_b32_e32 v5, 0x200, v5
	v_and_b32_e32 v0, 64, v0
	v_or3_b32 v26, v3, v5, v0
	v_rcp_iflag_f32_e32 v0, v6
	s_abs_i32 s47, s42
	v_mul_lo_u32 v14, s15, v1
	v_mul_lo_u32 v29, s14, v1
	v_cvt_f32_u32_e32 v1, s47
	v_mul_f32_e32 v0, 0x4f7ffffe, v0
	v_cvt_u32_f32_e32 v0, v0
	v_mad_u64_u32 v[10:11], s[6:7], s13, v23, v[8:9]
	v_rcp_iflag_f32_e32 v1, v1
	v_readfirstlane_b32 s7, v0
	s_sub_i32 s6, 0, s46
	s_mul_i32 s6, s6, s7
	v_mul_f32_e32 v0, 0x4f7ffffe, v1
	v_cvt_u32_f32_e32 v0, v0
	s_mul_hi_u32 s6, s7, s6
	v_add_u32_e32 v2, 1, v2
	s_add_i32 s49, s7, s6
	s_sub_i32 s6, 0, s47
	v_readfirstlane_b32 s7, v0
	v_mbcnt_lo_u32_b32 v0, -1, 0
	v_and_b32_e32 v2, 63, v2
	s_mul_i32 s6, s6, s7
	v_mbcnt_hi_u32_b32 v0, -1, v0
	s_mul_hi_u32 s6, s7, s6
	v_and_or_b32 v0, v0, 64, v2
	v_cndmask_b32_e64 v20, 0, 1, s[0:1]
	v_or_b32_e32 v22, 0x1000, v21
	v_ashrrev_i32_e32 v11, 31, v10
	s_ashr_i32 s11, s13, 31
	s_mov_b32 s10, s13
	v_ashrrev_i32_e32 v15, 31, v14
	v_mov_b32_e32 v13, 0
	v_or_b32_e32 v27, 0x1000, v26
	v_bitop3_b32 v28, v4, 15, v4 bitop3:0xc
	s_ashr_i32 s48, s33, 31
	s_ashr_i32 s50, s42, 31
	s_add_i32 s51, s7, s6
	v_lshlrev_b32_e32 v30, 2, v0
	v_mov_b32_e32 v31, v18
	s_branch .LBB8_7
.LBB8_4:                                ;   in Loop: Header=BB8_7 Depth=1
	s_or_b64 exec, exec, s[28:29]
.LBB8_5:                                ;   in Loop: Header=BB8_7 Depth=1
	s_or_b64 exec, exec, s[8:9]
	v_subrev_u32_e32 v31, s52, v31
.LBB8_6:                                ;   in Loop: Header=BB8_7 Depth=1
	s_or_b64 exec, exec, s[6:7]
	s_add_i32 s43, s43, 1
	v_cmp_ge_i32_e32 vcc, s43, v9
	s_cbranch_vccnz .LBB8_42
.LBB8_7:                                ; =>This Loop Header: Depth=1
                                        ;     Child Loop BB8_13 Depth 2
                                        ;       Child Loop BB8_15 Depth 3
                                        ;       Child Loop BB8_18 Depth 3
                                        ;     Child Loop BB8_29 Depth 2
                                        ;       Child Loop BB8_31 Depth 3
                                        ;     Child Loop BB8_39 Depth 2
                                        ;       Child Loop BB8_41 Depth 3
	s_abs_i32 s7, s43
	s_mul_hi_u32 s8, s7, s49
	s_mul_i32 s9, s8, s46
	s_ashr_i32 s6, s43, 31
	s_sub_i32 s7, s7, s9
	s_xor_b32 s6, s6, s48
	s_add_i32 s9, s8, 1
	s_sub_i32 s28, s7, s46
	s_cmp_ge_u32 s7, s46
	s_cselect_b32 s8, s9, s8
	s_cselect_b32 s7, s28, s7
	s_add_i32 s9, s8, 1
	s_cmp_ge_u32 s7, s46
	s_cselect_b32 s7, s9, s8
	s_xor_b32 s7, s7, s6
	s_sub_i32 s6, s7, s6
	s_abs_i32 s8, s6
	s_mul_i32 s7, s6, s33
	s_mul_hi_u32 s9, s8, s51
	s_sub_i32 s7, s43, s7
	s_mul_i32 s28, s9, s47
	s_lshl_b32 s53, s7, 4
	s_ashr_i32 s7, s6, 31
	s_sub_i32 s8, s8, s28
	s_xor_b32 s7, s7, s50
	s_add_i32 s28, s9, 1
	s_sub_i32 s29, s8, s47
	s_cmp_ge_u32 s8, s47
	s_cselect_b32 s9, s28, s9
	s_cselect_b32 s8, s29, s8
	s_add_i32 s28, s9, 1
	s_cmp_ge_u32 s8, s47
	s_cselect_b32 s8, s28, s9
	s_xor_b32 s8, s8, s7
	s_sub_i32 s7, s8, s7
	s_mul_i32 s8, s7, s44
	s_lshl_b32 s54, s8, 7
	s_cmp_eq_u32 s7, s16
	s_cselect_b32 s52, s45, s44
	s_sub_i32 s55, s53, s12
	s_add_i32 s55, s55, 16
	s_and_saveexec_b64 s[8:9], s[2:3]
	s_xor_b64 s[28:29], exec, s[8:9]
	s_cbranch_execz .LBB8_35
; %bb.8:                                ;   in Loop: Header=BB8_7 Depth=1
	s_mul_i32 s7, s7, s42
	s_sub_i32 s6, s6, s7
	s_lshl_b32 s6, s6, 4
	s_sub_i32 s31, s6, s13
	s_add_i32 s31, s31, 16
	s_max_i32 s7, s31, 0
	s_sub_i32 s30, s6, s7
	s_and_saveexec_b64 s[6:7], s[0:1]
	s_xor_b64 s[34:35], exec, s[6:7]
	s_cbranch_execz .LBB8_25
; %bb.9:                                ;   in Loop: Header=BB8_7 Depth=1
	s_and_saveexec_b64 s[36:37], s[4:5]
	s_cbranch_execz .LBB8_24
; %bb.10:                               ;   in Loop: Header=BB8_7 Depth=1
	s_waitcnt lgkmcnt(0)
	global_load_dword v32, v13, s[26:27]
	v_mov_b32_e32 v3, 0
	v_cmp_gt_i32_e32 vcc, s52, v31
	v_mov_b32_e32 v2, v3
	v_mov_b32_e32 v1, v3
	;; [unrolled: 1-line block ×3, first 2 shown]
	s_and_saveexec_b64 s[6:7], vcc
	s_cbranch_execz .LBB8_20
; %bb.11:                               ;   in Loop: Header=BB8_7 Depth=1
	v_mov_b32_e32 v0, 0
	s_mov_b64 s[8:9], 0
	v_mov_b32_e32 v1, v0
	v_mov_b32_e32 v2, v0
	;; [unrolled: 1-line block ×3, first 2 shown]
	s_branch .LBB8_13
.LBB8_12:                               ;   in Loop: Header=BB8_13 Depth=2
	s_or_b64 exec, exec, s[38:39]
	v_add_u32_e32 v40, v21, v36
	ds_read2_b32 v[36:37], v40 offset1:32
	ds_read2_b32 v[38:39], v40 offset0:128 offset1:160
	v_add_u32_e32 v40, 0x400, v40
	v_add_u32_e32 v31, s19, v31
	v_cmp_le_i32_e32 vcc, s52, v31
	s_waitcnt lgkmcnt(1)
	v_mfma_f32_16x16x32_fp8_fp8 v[0:3], v[36:37], v[16:17], v[0:3]
	ds_read2_b32 v[16:17], v40 offset1:32
	ds_read2_b32 v[36:37], v40 offset0:128 offset1:160
	s_or_b64 s[8:9], vcc, s[8:9]
	s_waitcnt lgkmcnt(2)
	v_mfma_f32_16x16x32_fp8_fp8 v[0:3], v[38:39], v[18:19], v[0:3]
	v_add_u32_e32 v18, s19, v34
	v_add_u32_e32 v19, 2, v20
	v_cmp_lt_i32_e32 vcc, 1, v18
	;;#ASMSTART
	s_waitcnt lgkmcnt(0)
	;;#ASMEND
	s_waitcnt lgkmcnt(1)
	v_mfma_f32_16x16x32_fp8_fp8 v[0:3], v[16:17], v[6:7], v[0:3]
	v_cndmask_b32_e32 v20, v20, v19, vcc
	ds_write_b32 v33, v35
	s_waitcnt lgkmcnt(1)
	v_mfma_f32_16x16x32_fp8_fp8 v[0:3], v[36:37], v[4:5], v[0:3]
	s_andn2_b64 exec, exec, s[8:9]
	s_cbranch_execz .LBB8_19
.LBB8_13:                               ;   Parent Loop BB8_7 Depth=1
                                        ; =>  This Loop Header: Depth=2
                                        ;       Child Loop BB8_15 Depth 3
                                        ;       Child Loop BB8_18 Depth 3
	v_cmp_gt_i32_e32 vcc, 2, v18
	s_nop 1
	v_cndmask_b32_e64 v4, -2, 0, vcc
	v_add_u32_e32 v34, v4, v18
	v_lshlrev_b32_e32 v4, 2, v34
	ds_read_b32 v5, v4 offset:8200
	v_add_u32_e32 v33, 0x2000, v4
	s_waitcnt lgkmcnt(0)
	v_cmp_ne_u32_e32 vcc, v5, v20
	s_and_saveexec_b64 s[38:39], vcc
	s_cbranch_execz .LBB8_16
; %bb.14:                               ;   in Loop: Header=BB8_13 Depth=2
	s_mov_b64 s[40:41], 0
.LBB8_15:                               ;   Parent Loop BB8_7 Depth=1
                                        ;     Parent Loop BB8_13 Depth=2
                                        ; =>    This Inner Loop Header: Depth=3
	;;#ASMSTART
	s_sleep 0
	;;#ASMEND
	ds_read_b32 v4, v33 offset:8
	s_waitcnt lgkmcnt(0)
	v_cmp_eq_u32_e32 vcc, v4, v20
	s_or_b64 s[40:41], vcc, s[40:41]
	s_andn2_b64 exec, exec, s[40:41]
	s_cbranch_execnz .LBB8_15
.LBB8_16:                               ;   in Loop: Header=BB8_13 Depth=2
	s_or_b64 exec, exec, s[38:39]
	v_lshlrev_b32_e32 v36, 11, v34
	v_add_u32_e32 v4, v22, v36
	ds_read2_b32 v[16:17], v4 offset1:32
	ds_read2_b32 v[18:19], v4 offset0:128 offset1:160
	v_add_u32_e32 v4, 0x400, v4
	ds_read2_b32 v[6:7], v4 offset1:32
	ds_read2_b32 v[4:5], v4 offset0:128 offset1:160
	;;#ASMSTART
	s_waitcnt lgkmcnt(0)
	;;#ASMEND
	ds_read_b32 v37, v33
	v_add_u32_e32 v35, 1, v20
	ds_write_b32 v33, v35 offset:8
	s_waitcnt lgkmcnt(1)
	v_cmp_ne_u32_e32 vcc, v37, v20
	s_and_saveexec_b64 s[38:39], vcc
	s_cbranch_execz .LBB8_12
; %bb.17:                               ;   in Loop: Header=BB8_13 Depth=2
	s_mov_b64 s[40:41], 0
.LBB8_18:                               ;   Parent Loop BB8_7 Depth=1
                                        ;     Parent Loop BB8_13 Depth=2
                                        ; =>    This Inner Loop Header: Depth=3
	;;#ASMSTART
	s_sleep 0
	;;#ASMEND
	ds_read_b32 v37, v33
	s_waitcnt lgkmcnt(0)
	v_cmp_eq_u32_e32 vcc, v37, v20
	s_or_b64 s[40:41], vcc, s[40:41]
	s_andn2_b64 exec, exec, s[40:41]
	s_cbranch_execnz .LBB8_18
	s_branch .LBB8_12
.LBB8_19:                               ;   in Loop: Header=BB8_7 Depth=1
	s_or_b64 exec, exec, s[8:9]
.LBB8_20:                               ;   in Loop: Header=BB8_7 Depth=1
	s_or_b64 exec, exec, s[6:7]
	v_cmp_le_i32_e32 vcc, s31, v8
	v_cmp_eq_u32_e64 s[6:7], 3, v24
	s_waitcnt vmcnt(0)
	v_cndmask_b32_e32 v4, 0, v32, vcc
	v_pk_mul_f32 v[6:7], v[4:5], v[2:3] op_sel_hi:[0,1]
	v_pk_mul_f32 v[4:5], v[4:5], v[0:1] op_sel_hi:[0,1]
	v_cmp_eq_u32_e32 vcc, 1, v24
	s_nop 1
	v_cndmask_b32_e32 v0, v4, v5, vcc
	v_cmp_eq_u32_e32 vcc, 2, v24
	s_nop 1
	v_cndmask_b32_e32 v0, v0, v6, vcc
	v_cndmask_b32_e64 v0, v0, v7, s[6:7]
	ds_bpermute_b32 v1, v30, v0
	s_waitcnt lgkmcnt(0)
	v_cndmask_b32_e32 v3, v6, v1, vcc
	v_cmp_ne_u32_e32 vcc, 0, v24
	v_cndmask_b32_e64 v2, v7, v1, s[6:7]
	s_max_i32 s6, s55, 0
	v_cndmask_b32_e32 v0, v5, v1, vcc
	v_cmp_eq_u32_e32 vcc, 0, v24
	v_add_u32_e32 v5, s6, v23
	s_nop 0
	v_cndmask_b32_e32 v1, v4, v1, vcc
	v_cmp_eq_u32_e32 vcc, 1, v25
	s_nop 1
	v_cndmask_b32_e32 v4, v1, v0, vcc
	v_cmp_eq_u32_e32 vcc, 2, v25
	;; [unrolled: 3-line block ×3, first 2 shown]
	s_nop 1
	v_cndmask_b32_e32 v4, v4, v2, vcc
	ds_bpermute_b32 v4, v30, v4
	v_cmp_gt_u32_e32 vcc, 16, v5
	s_and_saveexec_b64 s[38:39], vcc
	s_cbranch_execz .LBB8_23
; %bb.21:                               ;   in Loop: Header=BB8_7 Depth=1
	v_cmp_eq_u32_e64 s[8:9], 1, v25
	v_cmp_eq_u32_e32 vcc, 3, v25
	v_cmp_eq_u32_e64 s[6:7], 2, v25
	s_waitcnt lgkmcnt(0)
	v_cndmask_b32_e64 v0, v0, v4, s[8:9]
	v_cmp_eq_u32_e64 s[8:9], 0, v25
	v_cvt_f16_f32_sdwa v7, v0 dst_sel:WORD_1 dst_unused:UNUSED_PAD src0_sel:DWORD
	s_nop 0
	v_cndmask_b32_e64 v1, v1, v4, s[8:9]
	s_mul_i32 s8, s53, s13
	s_ashr_i32 s9, s8, 31
	s_lshl_b64 s[8:9], s[8:9], 1
	s_add_u32 s40, s24, s8
	s_addc_u32 s41, s25, s9
	s_ashr_i32 s31, s30, 31
	s_lshl_b64 s[8:9], s[30:31], 1
	v_cvt_f16_f32_e32 v6, v1
	s_add_u32 s8, s40, s8
	s_addc_u32 s9, s41, s9
	v_lshl_add_u64 v[0:1], v[10:11], 1, s[8:9]
	v_cmp_gt_u32_e64 s[8:9], 14, v5
	v_or_b32_e32 v6, v7, v6
	;;#ASMSTART
	global_atomic_pk_add_f16 v[0:1], v6, off
	
	;;#ASMEND
	s_and_b64 exec, exec, s[8:9]
	s_cbranch_execz .LBB8_23
; %bb.22:                               ;   in Loop: Header=BB8_7 Depth=1
	v_cndmask_b32_e32 v2, v2, v4, vcc
	v_cndmask_b32_e64 v3, v3, v4, s[6:7]
	v_cvt_f16_f32_e32 v3, v3
	v_cvt_f16_f32_sdwa v2, v2 dst_sel:WORD_1 dst_unused:UNUSED_PAD src0_sel:DWORD
	v_lshl_add_u64 v[0:1], s[10:11], 2, v[0:1]
	v_or_b32_e32 v2, v2, v3
	;;#ASMSTART
	global_atomic_pk_add_f16 v[0:1], v2, off
	
	;;#ASMEND
.LBB8_23:                               ;   in Loop: Header=BB8_7 Depth=1
	s_or_b64 exec, exec, s[38:39]
	v_subrev_u32_e32 v31, s52, v31
.LBB8_24:                               ;   in Loop: Header=BB8_7 Depth=1
	s_or_b64 exec, exec, s[36:37]
.LBB8_25:                               ;   in Loop: Header=BB8_7 Depth=1
	s_andn2_saveexec_b64 s[6:7], s[34:35]
	s_cbranch_execz .LBB8_34
; %bb.26:                               ;   in Loop: Header=BB8_7 Depth=1
	v_cmp_gt_i32_e32 vcc, s52, v31
	s_and_saveexec_b64 s[8:9], vcc
	s_cbranch_execz .LBB8_33
; %bb.27:                               ;   in Loop: Header=BB8_7 Depth=1
	s_mul_i32 s30, s30, s15
	s_ashr_i32 s31, s30, 31
	s_waitcnt lgkmcnt(0)
	s_add_u32 s30, s22, s30
	s_addc_u32 s31, s23, s31
	s_ashr_i32 s34, s54, 31
	s_add_u32 s30, s30, s54
	s_addc_u32 s31, s31, s34
	v_lshl_add_u64 v[0:1], s[30:31], 0, v[14:15]
	v_lshl_add_u64 v[16:17], v[0:1], 0, v[12:13]
	s_mov_b64 s[30:31], 0
	s_branch .LBB8_29
.LBB8_28:                               ;   in Loop: Header=BB8_29 Depth=2
	s_or_b64 exec, exec, s[34:35]
	v_lshl_add_u32 v32, v18, 11, v27
	;;#ASMSTART
	s_waitcnt vmcnt(1)
	;;#ASMEND
	ds_write2_b32 v32, v4, v5 offset1:32
	ds_write2_b32 v32, v6, v7 offset0:64 offset1:96
	v_add_u32_e32 v4, 0x400, v32
	v_add_u32_e32 v31, s18, v31
	;;#ASMSTART
	s_waitcnt vmcnt(0)
	;;#ASMEND
	ds_write2_b32 v4, v0, v1 offset1:32
	ds_write2_b32 v4, v2, v3 offset0:64 offset1:96
	v_add_u32_e32 v0, 1, v20
	v_add_u32_e32 v18, s18, v18
	v_cmp_le_i32_e32 vcc, s52, v31
	ds_write_b32 v19, v0 offset:8
	v_add_u32_e32 v0, 2, v20
	s_or_b64 s[30:31], vcc, s[30:31]
	v_cmp_lt_i32_e32 vcc, 1, v18
	s_nop 1
	v_cndmask_b32_e32 v20, v20, v0, vcc
	s_andn2_b64 exec, exec, s[30:31]
	s_cbranch_execz .LBB8_32
.LBB8_29:                               ;   Parent Loop BB8_7 Depth=1
                                        ; =>  This Loop Header: Depth=2
                                        ;       Child Loop BB8_31 Depth 3
	v_cmp_gt_i32_e32 vcc, 2, v18
	s_nop 1
	v_cndmask_b32_e64 v0, -2, 0, vcc
	v_add_u32_e32 v18, v0, v18
	v_lshlrev_b32_e32 v0, 7, v31
	v_ashrrev_i32_e32 v1, 31, v0
	v_lshl_add_u64 v[0:1], v[16:17], 0, v[0:1]
	v_lshlrev_b32_e32 v19, 2, v18
	;;#ASMSTART
	global_load_dwordx4 v[4:7], v[0:1], off offset:0   sc0 sc1 nt  
	global_load_dwordx4 v[0:3], v[0:1], off offset:64  sc0 sc1 nt  
	
	;;#ASMEND
	ds_read_b32 v32, v19 offset:8200
	v_add_u32_e32 v19, 0x2000, v19
	s_waitcnt lgkmcnt(0)
	v_cmp_ne_u32_e32 vcc, v32, v20
	s_and_saveexec_b64 s[34:35], vcc
	s_cbranch_execz .LBB8_28
; %bb.30:                               ;   in Loop: Header=BB8_29 Depth=2
	s_mov_b64 s[36:37], 0
.LBB8_31:                               ;   Parent Loop BB8_7 Depth=1
                                        ;     Parent Loop BB8_29 Depth=2
                                        ; =>    This Inner Loop Header: Depth=3
	;;#ASMSTART
	s_sleep 0
	;;#ASMEND
	ds_read_b32 v32, v19 offset:8
	s_waitcnt lgkmcnt(0)
	v_cmp_eq_u32_e32 vcc, v32, v20
	s_or_b64 s[36:37], vcc, s[36:37]
	s_andn2_b64 exec, exec, s[36:37]
	s_cbranch_execnz .LBB8_31
	s_branch .LBB8_28
.LBB8_32:                               ;   in Loop: Header=BB8_7 Depth=1
	s_or_b64 exec, exec, s[30:31]
.LBB8_33:                               ;   in Loop: Header=BB8_7 Depth=1
	s_or_b64 exec, exec, s[8:9]
	v_subrev_u32_e32 v31, s52, v31
.LBB8_34:                               ;   in Loop: Header=BB8_7 Depth=1
	s_or_b64 exec, exec, s[6:7]
.LBB8_35:                               ;   in Loop: Header=BB8_7 Depth=1
	s_andn2_saveexec_b64 s[6:7], s[28:29]
	s_cbranch_execz .LBB8_6
; %bb.36:                               ;   in Loop: Header=BB8_7 Depth=1
	v_cmp_gt_i32_e32 vcc, s52, v31
	s_and_saveexec_b64 s[8:9], vcc
	s_cbranch_execz .LBB8_5
; %bb.37:                               ;   in Loop: Header=BB8_7 Depth=1
	s_mul_i32 s53, s53, s14
	s_ashr_i32 s28, s53, 31
	s_waitcnt lgkmcnt(0)
	s_add_u32 s29, s20, s53
	s_addc_u32 s30, s21, s28
	s_ashr_i32 s31, s54, 31
	v_cmp_le_i32_e32 vcc, s55, v28
	s_add_u32 s28, s29, s54
	s_addc_u32 s29, s30, s31
	v_cndmask_b32_e32 v0, 0, v29, vcc
	v_ashrrev_i32_e32 v1, 31, v0
	v_lshl_add_u64 v[0:1], s[28:29], 0, v[0:1]
	v_lshl_add_u64 v[16:17], v[0:1], 0, v[12:13]
	s_mov_b64 s[28:29], 0
	s_branch .LBB8_39
.LBB8_38:                               ;   in Loop: Header=BB8_39 Depth=2
	s_or_b64 exec, exec, s[30:31]
	v_lshl_or_b32 v32, v18, 11, v26
	;;#ASMSTART
	s_waitcnt vmcnt(1)
	;;#ASMEND
	ds_write2_b32 v32, v4, v5 offset1:32
	ds_write2_b32 v32, v6, v7 offset0:64 offset1:96
	v_add_u32_e32 v4, 0x400, v32
	v_add_u32_e32 v31, s17, v31
	;;#ASMSTART
	s_waitcnt vmcnt(0)
	;;#ASMEND
	ds_write2_b32 v4, v0, v1 offset1:32
	ds_write2_b32 v4, v2, v3 offset0:64 offset1:96
	v_add_u32_e32 v0, 1, v20
	v_add_u32_e32 v18, s17, v18
	v_cmp_le_i32_e32 vcc, s52, v31
	ds_write_b32 v19, v0
	v_add_u32_e32 v0, 2, v20
	s_or_b64 s[28:29], vcc, s[28:29]
	v_cmp_lt_i32_e32 vcc, 1, v18
	s_nop 1
	v_cndmask_b32_e32 v20, v20, v0, vcc
	s_andn2_b64 exec, exec, s[28:29]
	s_cbranch_execz .LBB8_4
.LBB8_39:                               ;   Parent Loop BB8_7 Depth=1
                                        ; =>  This Loop Header: Depth=2
                                        ;       Child Loop BB8_41 Depth 3
	v_cmp_gt_i32_e32 vcc, 2, v18
	s_nop 1
	v_cndmask_b32_e64 v0, -2, 0, vcc
	v_add_u32_e32 v18, v0, v18
	v_lshlrev_b32_e32 v0, 7, v31
	v_ashrrev_i32_e32 v1, 31, v0
	v_lshl_add_u64 v[0:1], v[16:17], 0, v[0:1]
	v_lshlrev_b32_e32 v19, 2, v18
	;;#ASMSTART
	global_load_dwordx4 v[4:7], v[0:1], off offset:0   
	global_load_dwordx4 v[0:3], v[0:1], off offset:64  
	
	;;#ASMEND
	ds_read_b32 v32, v19 offset:8192
	v_add_u32_e32 v19, 0x2000, v19
	s_waitcnt lgkmcnt(0)
	v_cmp_ne_u32_e32 vcc, v32, v20
	s_and_saveexec_b64 s[30:31], vcc
	s_cbranch_execz .LBB8_38
; %bb.40:                               ;   in Loop: Header=BB8_39 Depth=2
	s_mov_b64 s[34:35], 0
.LBB8_41:                               ;   Parent Loop BB8_7 Depth=1
                                        ;     Parent Loop BB8_39 Depth=2
                                        ; =>    This Inner Loop Header: Depth=3
	;;#ASMSTART
	s_sleep 0
	;;#ASMEND
	ds_read_b32 v32, v19
	s_waitcnt lgkmcnt(0)
	v_cmp_eq_u32_e32 vcc, v32, v20
	s_or_b64 s[34:35], vcc, s[34:35]
	s_andn2_b64 exec, exec, s[34:35]
	s_cbranch_execnz .LBB8_41
	s_branch .LBB8_38
.LBB8_42:
	s_endpgm
	.section	.rodata,"a",@progbits
	.p2align	6, 0x0
	.amdhsa_kernel _Z19_skinny_gemm_kernelILi1ELi1ELi2ELi16ELi4EEvPKhS1_P6__halfPKfiiiiiiii
		.amdhsa_group_segment_fixed_size 8208
		.amdhsa_private_segment_fixed_size 0
		.amdhsa_kernarg_size 64
		.amdhsa_user_sgpr_count 2
		.amdhsa_user_sgpr_dispatch_ptr 0
		.amdhsa_user_sgpr_queue_ptr 0
		.amdhsa_user_sgpr_kernarg_segment_ptr 1
		.amdhsa_user_sgpr_dispatch_id 0
		.amdhsa_user_sgpr_kernarg_preload_length 0
		.amdhsa_user_sgpr_kernarg_preload_offset 0
		.amdhsa_user_sgpr_private_segment_size 0
		.amdhsa_uses_dynamic_stack 0
		.amdhsa_enable_private_segment 0
		.amdhsa_system_sgpr_workgroup_id_x 1
		.amdhsa_system_sgpr_workgroup_id_y 0
		.amdhsa_system_sgpr_workgroup_id_z 0
		.amdhsa_system_sgpr_workgroup_info 0
		.amdhsa_system_vgpr_workitem_id 0
		.amdhsa_next_free_vgpr 41
		.amdhsa_next_free_sgpr 56
		.amdhsa_accum_offset 44
		.amdhsa_reserve_vcc 1
		.amdhsa_float_round_mode_32 0
		.amdhsa_float_round_mode_16_64 0
		.amdhsa_float_denorm_mode_32 3
		.amdhsa_float_denorm_mode_16_64 3
		.amdhsa_dx10_clamp 1
		.amdhsa_ieee_mode 1
		.amdhsa_fp16_overflow 0
		.amdhsa_tg_split 0
		.amdhsa_exception_fp_ieee_invalid_op 0
		.amdhsa_exception_fp_denorm_src 0
		.amdhsa_exception_fp_ieee_div_zero 0
		.amdhsa_exception_fp_ieee_overflow 0
		.amdhsa_exception_fp_ieee_underflow 0
		.amdhsa_exception_fp_ieee_inexact 0
		.amdhsa_exception_int_div_zero 0
	.end_amdhsa_kernel
	.section	.text._Z19_skinny_gemm_kernelILi1ELi1ELi2ELi16ELi4EEvPKhS1_P6__halfPKfiiiiiiii,"axG",@progbits,_Z19_skinny_gemm_kernelILi1ELi1ELi2ELi16ELi4EEvPKhS1_P6__halfPKfiiiiiiii,comdat
.Lfunc_end8:
	.size	_Z19_skinny_gemm_kernelILi1ELi1ELi2ELi16ELi4EEvPKhS1_P6__halfPKfiiiiiiii, .Lfunc_end8-_Z19_skinny_gemm_kernelILi1ELi1ELi2ELi16ELi4EEvPKhS1_P6__halfPKfiiiiiiii
                                        ; -- End function
	.set _Z19_skinny_gemm_kernelILi1ELi1ELi2ELi16ELi4EEvPKhS1_P6__halfPKfiiiiiiii.num_vgpr, 41
	.set _Z19_skinny_gemm_kernelILi1ELi1ELi2ELi16ELi4EEvPKhS1_P6__halfPKfiiiiiiii.num_agpr, 0
	.set _Z19_skinny_gemm_kernelILi1ELi1ELi2ELi16ELi4EEvPKhS1_P6__halfPKfiiiiiiii.numbered_sgpr, 56
	.set _Z19_skinny_gemm_kernelILi1ELi1ELi2ELi16ELi4EEvPKhS1_P6__halfPKfiiiiiiii.num_named_barrier, 0
	.set _Z19_skinny_gemm_kernelILi1ELi1ELi2ELi16ELi4EEvPKhS1_P6__halfPKfiiiiiiii.private_seg_size, 0
	.set _Z19_skinny_gemm_kernelILi1ELi1ELi2ELi16ELi4EEvPKhS1_P6__halfPKfiiiiiiii.uses_vcc, 1
	.set _Z19_skinny_gemm_kernelILi1ELi1ELi2ELi16ELi4EEvPKhS1_P6__halfPKfiiiiiiii.uses_flat_scratch, 0
	.set _Z19_skinny_gemm_kernelILi1ELi1ELi2ELi16ELi4EEvPKhS1_P6__halfPKfiiiiiiii.has_dyn_sized_stack, 0
	.set _Z19_skinny_gemm_kernelILi1ELi1ELi2ELi16ELi4EEvPKhS1_P6__halfPKfiiiiiiii.has_recursion, 0
	.set _Z19_skinny_gemm_kernelILi1ELi1ELi2ELi16ELi4EEvPKhS1_P6__halfPKfiiiiiiii.has_indirect_call, 0
	.section	.AMDGPU.csdata,"",@progbits
; Kernel info:
; codeLenInByte = 2600
; TotalNumSgprs: 62
; NumVgprs: 41
; NumAgprs: 0
; TotalNumVgprs: 41
; ScratchSize: 0
; MemoryBound: 0
; FloatMode: 240
; IeeeMode: 1
; LDSByteSize: 8208 bytes/workgroup (compile time only)
; SGPRBlocks: 7
; VGPRBlocks: 5
; NumSGPRsForWavesPerEU: 62
; NumVGPRsForWavesPerEU: 41
; AccumOffset: 44
; Occupancy: 8
; WaveLimiterHint : 0
; COMPUTE_PGM_RSRC2:SCRATCH_EN: 0
; COMPUTE_PGM_RSRC2:USER_SGPR: 2
; COMPUTE_PGM_RSRC2:TRAP_HANDLER: 0
; COMPUTE_PGM_RSRC2:TGID_X_EN: 1
; COMPUTE_PGM_RSRC2:TGID_Y_EN: 0
; COMPUTE_PGM_RSRC2:TGID_Z_EN: 0
; COMPUTE_PGM_RSRC2:TIDIG_COMP_CNT: 0
; COMPUTE_PGM_RSRC3_GFX90A:ACCUM_OFFSET: 10
; COMPUTE_PGM_RSRC3_GFX90A:TG_SPLIT: 0
	.section	.text._Z19_skinny_gemm_kernelILi1ELi1ELi2ELi16ELi8EEvPKhS1_P6__halfPKfiiiiiiii,"axG",@progbits,_Z19_skinny_gemm_kernelILi1ELi1ELi2ELi16ELi8EEvPKhS1_P6__halfPKfiiiiiiii,comdat
	.protected	_Z19_skinny_gemm_kernelILi1ELi1ELi2ELi16ELi8EEvPKhS1_P6__halfPKfiiiiiiii ; -- Begin function _Z19_skinny_gemm_kernelILi1ELi1ELi2ELi16ELi8EEvPKhS1_P6__halfPKfiiiiiiii
	.globl	_Z19_skinny_gemm_kernelILi1ELi1ELi2ELi16ELi8EEvPKhS1_P6__halfPKfiiiiiiii
	.p2align	8
	.type	_Z19_skinny_gemm_kernelILi1ELi1ELi2ELi16ELi8EEvPKhS1_P6__halfPKfiiiiiiii,@function
_Z19_skinny_gemm_kernelILi1ELi1ELi2ELi16ELi8EEvPKhS1_P6__halfPKfiiiiiiii: ; @_Z19_skinny_gemm_kernelILi1ELi1ELi2ELi16ELi8EEvPKhS1_P6__halfPKfiiiiiiii
; %bb.0:
	v_cmp_gt_u32_e32 vcc, 4, v0
	v_lshlrev_b32_e32 v1, 2, v0
	s_and_saveexec_b64 s[4:5], vcc
; %bb.1:
	v_mov_b32_e32 v2, 0
	ds_write_b32 v1, v2 offset:16384
; %bb.2:
	s_or_b64 exec, exec, s[4:5]
	s_load_dwordx8 s[12:19], s[0:1], 0x20
	s_waitcnt lgkmcnt(0)
	s_barrier
	s_add_i32 s3, s12, 15
	s_ashr_i32 s5, s3, 31
	s_add_i32 s4, s13, 15
	s_lshr_b32 s5, s5, 28
	s_ashr_i32 s6, s4, 31
	s_add_i32 s3, s3, s5
	s_ashr_i32 s33, s3, 4
	s_lshr_b32 s3, s6, 28
	s_add_i32 s4, s4, s3
	s_ashr_i32 s42, s4, 4
	s_mul_i32 s3, s42, s33
	s_mul_i32 s3, s3, s16
	s_add_i32 s4, s3, 0x12f
	s_mul_hi_i32 s4, s4, 0x6bca1af3
	s_lshr_b32 s5, s4, 31
	s_ashr_i32 s4, s4, 7
	s_add_i32 s4, s4, s5
	s_add_i32 s5, s2, 1
	s_mul_i32 s5, s4, s5
	v_cvt_f64_i32_e32 v[2:3], s3
	v_cvt_f64_u32_e32 v[4:5], s5
	v_min_f64 v[2:3], v[2:3], v[4:5]
	v_cvt_i32_f64_e32 v17, v[2:3]
	s_mul_i32 s43, s4, s2
	v_cmp_ge_i32_e32 vcc, s43, v17
	s_cbranch_vccnz .LBB9_42
; %bb.3:
	v_lshrrev_b32_e32 v2, 6, v0
	s_add_i32 s4, s18, s17
	s_load_dwordx8 s[20:27], s[0:1], 0x0
	v_cmp_le_i32_e64 s[0:1], s4, v2
	v_mov_b32_e32 v3, s17
	v_cmp_le_i32_e64 s[2:3], s17, v2
	v_mov_b32_e32 v4, s18
	v_cndmask_b32_e64 v4, 0, v4, s[0:1]
	v_cndmask_b32_e64 v3, 0, v3, s[2:3]
	s_abs_i32 s5, s16
	v_add_u32_e32 v3, v3, v4
	v_cvt_f32_u32_e32 v4, s5
	v_sub_u32_e32 v6, v2, v3
	s_ashr_i32 s6, s14, 31
	s_lshr_b32 s6, s6, 24
	v_rcp_iflag_f32_e32 v3, v4
	s_sub_i32 s9, 0, s5
	s_add_i32 s6, s14, s6
	s_ashr_i32 s6, s6, 8
	v_mul_f32_e32 v3, 0x4f7ffffe, v3
	v_cvt_u32_f32_e32 v3, v3
	s_abs_i32 s8, s6
	s_xor_b32 s7, s6, s16
	s_ashr_i32 s7, s7, 31
	v_readfirstlane_b32 s10, v3
	s_mul_i32 s9, s9, s10
	s_mul_hi_u32 s9, s10, s9
	s_add_i32 s10, s10, s9
	s_mul_hi_u32 s9, s8, s10
	s_mul_i32 s10, s9, s5
	s_sub_i32 s8, s8, s10
	s_add_i32 s10, s9, 1
	s_sub_i32 s11, s8, s5
	s_cmp_ge_u32 s8, s5
	s_cselect_b32 s9, s10, s9
	s_cselect_b32 s8, s11, s8
	s_add_i32 s10, s9, 1
	s_cmp_ge_u32 s8, s5
	s_cselect_b32 s5, s10, s9
	s_xor_b32 s5, s5, s7
	s_sub_i32 s44, s5, s7
	s_add_i32 s16, s16, -1
	s_mul_i32 s5, s44, s16
	s_add_i32 s4, s4, s19
	s_sub_i32 s45, s6, s5
	v_cmp_gt_i32_e64 s[4:5], s4, v2
	v_lshlrev_b32_e32 v2, 1, v0
	v_lshlrev_b32_e32 v3, 4, v0
	v_and_b32_e32 v1, 60, v1
	v_and_b32_e32 v2, 64, v2
	;; [unrolled: 1-line block ×3, first 2 shown]
	s_abs_i32 s46, s33
	v_or3_b32 v29, v1, v2, v4
	v_and_b32_e32 v1, 1, v0
	v_cvt_f32_u32_e32 v7, s46
	v_lshlrev_b32_e32 v2, 1, v1
	v_lshrrev_b32_e32 v4, 2, v0
	v_and_b32_e32 v16, 14, v0
	v_sub_u32_e32 v2, v0, v2
	v_and_or_b32 v31, v4, 12, v1
	v_bitop3_b32 v32, v0, 1, v0 bitop3:0xc
	v_bitop3_b32 v33, v0, 3, 1 bitop3:0x6c
	v_and_b32_e32 v20, 48, v3
	v_bfe_u32 v1, v0, 2, 4
	v_and_b32_e32 v3, 60, v0
	v_lshlrev_b32_e32 v5, 8, v0
	v_lshlrev_b32_e32 v0, 6, v0
	v_and_b32_e32 v5, 0x200, v5
	v_and_b32_e32 v0, 64, v0
	v_or3_b32 v34, v3, v5, v0
	v_rcp_iflag_f32_e32 v0, v7
	s_abs_i32 s47, s42
	v_mul_lo_u32 v22, s15, v1
	v_mul_lo_u32 v37, s14, v1
	v_cvt_f32_u32_e32 v1, s47
	v_mul_f32_e32 v0, 0x4f7ffffe, v0
	v_cvt_u32_f32_e32 v0, v0
	v_mad_u64_u32 v[18:19], s[6:7], s13, v31, v[16:17]
	v_rcp_iflag_f32_e32 v1, v1
	v_readfirstlane_b32 s7, v0
	s_sub_i32 s6, 0, s46
	s_mul_i32 s6, s6, s7
	v_mul_f32_e32 v0, 0x4f7ffffe, v1
	v_cvt_u32_f32_e32 v0, v0
	s_mul_hi_u32 s6, s7, s6
	v_add_u32_e32 v2, 1, v2
	s_add_i32 s49, s7, s6
	s_sub_i32 s6, 0, s47
	v_readfirstlane_b32 s7, v0
	v_mbcnt_lo_u32_b32 v0, -1, 0
	v_and_b32_e32 v2, 63, v2
	s_mul_i32 s6, s6, s7
	v_mbcnt_hi_u32_b32 v0, -1, v0
	s_mul_hi_u32 s6, s7, s6
	v_and_or_b32 v0, v0, 64, v2
	v_cndmask_b32_e64 v28, 0, 1, s[0:1]
	v_or_b32_e32 v30, 0x2000, v29
	v_ashrrev_i32_e32 v19, 31, v18
	s_ashr_i32 s11, s13, 31
	s_mov_b32 s10, s13
	v_ashrrev_i32_e32 v23, 31, v22
	v_mov_b32_e32 v21, 0
	v_or_b32_e32 v35, 0x2000, v34
	v_bitop3_b32 v36, v4, 15, v4 bitop3:0xc
	s_ashr_i32 s48, s33, 31
	s_ashr_i32 s50, s42, 31
	s_add_i32 s51, s7, s6
	v_lshlrev_b32_e32 v38, 2, v0
	v_mov_b32_e32 v39, v6
	s_branch .LBB9_7
.LBB9_4:                                ;   in Loop: Header=BB9_7 Depth=1
	s_or_b64 exec, exec, s[28:29]
.LBB9_5:                                ;   in Loop: Header=BB9_7 Depth=1
	s_or_b64 exec, exec, s[8:9]
	v_subrev_u32_e32 v39, s52, v39
.LBB9_6:                                ;   in Loop: Header=BB9_7 Depth=1
	s_or_b64 exec, exec, s[6:7]
	s_add_i32 s43, s43, 1
	v_cmp_ge_i32_e32 vcc, s43, v17
	s_cbranch_vccnz .LBB9_42
.LBB9_7:                                ; =>This Loop Header: Depth=1
                                        ;     Child Loop BB9_13 Depth 2
                                        ;       Child Loop BB9_15 Depth 3
                                        ;       Child Loop BB9_18 Depth 3
                                        ;     Child Loop BB9_29 Depth 2
                                        ;       Child Loop BB9_31 Depth 3
                                        ;     Child Loop BB9_39 Depth 2
                                        ;       Child Loop BB9_41 Depth 3
	s_abs_i32 s7, s43
	s_mul_hi_u32 s8, s7, s49
	s_mul_i32 s9, s8, s46
	s_ashr_i32 s6, s43, 31
	s_sub_i32 s7, s7, s9
	s_xor_b32 s6, s6, s48
	s_add_i32 s9, s8, 1
	s_sub_i32 s28, s7, s46
	s_cmp_ge_u32 s7, s46
	s_cselect_b32 s8, s9, s8
	s_cselect_b32 s7, s28, s7
	s_add_i32 s9, s8, 1
	s_cmp_ge_u32 s7, s46
	s_cselect_b32 s7, s9, s8
	s_xor_b32 s7, s7, s6
	s_sub_i32 s6, s7, s6
	s_abs_i32 s8, s6
	s_mul_i32 s7, s6, s33
	s_mul_hi_u32 s9, s8, s51
	s_sub_i32 s7, s43, s7
	s_mul_i32 s28, s9, s47
	s_lshl_b32 s53, s7, 4
	s_ashr_i32 s7, s6, 31
	s_sub_i32 s8, s8, s28
	s_xor_b32 s7, s7, s50
	s_add_i32 s28, s9, 1
	s_sub_i32 s29, s8, s47
	s_cmp_ge_u32 s8, s47
	s_cselect_b32 s9, s28, s9
	s_cselect_b32 s8, s29, s8
	s_add_i32 s28, s9, 1
	s_cmp_ge_u32 s8, s47
	s_cselect_b32 s8, s28, s9
	s_xor_b32 s8, s8, s7
	s_sub_i32 s7, s8, s7
	s_mul_i32 s8, s7, s44
	s_lshl_b32 s54, s8, 8
	s_cmp_eq_u32 s7, s16
	s_cselect_b32 s52, s45, s44
	s_sub_i32 s55, s53, s12
	s_add_i32 s55, s55, 16
	s_and_saveexec_b64 s[8:9], s[2:3]
	s_xor_b64 s[28:29], exec, s[8:9]
	s_cbranch_execz .LBB9_35
; %bb.8:                                ;   in Loop: Header=BB9_7 Depth=1
	s_mul_i32 s7, s7, s42
	s_sub_i32 s6, s6, s7
	s_lshl_b32 s6, s6, 4
	s_sub_i32 s31, s6, s13
	s_add_i32 s31, s31, 16
	s_max_i32 s7, s31, 0
	s_sub_i32 s30, s6, s7
	s_and_saveexec_b64 s[6:7], s[0:1]
	s_xor_b64 s[34:35], exec, s[6:7]
	s_cbranch_execz .LBB9_25
; %bb.9:                                ;   in Loop: Header=BB9_7 Depth=1
	s_and_saveexec_b64 s[36:37], s[4:5]
	s_cbranch_execz .LBB9_24
; %bb.10:                               ;   in Loop: Header=BB9_7 Depth=1
	s_waitcnt lgkmcnt(0)
	global_load_dword v40, v21, s[26:27]
	v_mov_b32_e32 v3, 0
	v_cmp_gt_i32_e32 vcc, s52, v39
	v_mov_b32_e32 v2, v3
	v_mov_b32_e32 v1, v3
	;; [unrolled: 1-line block ×3, first 2 shown]
	s_and_saveexec_b64 s[6:7], vcc
	s_cbranch_execz .LBB9_20
; %bb.11:                               ;   in Loop: Header=BB9_7 Depth=1
	v_mov_b32_e32 v0, 0
	s_mov_b64 s[8:9], 0
	v_mov_b32_e32 v1, v0
	v_mov_b32_e32 v2, v0
	v_mov_b32_e32 v3, v0
	s_branch .LBB9_13
.LBB9_12:                               ;   in Loop: Header=BB9_13 Depth=2
	s_or_b64 exec, exec, s[38:39]
	v_add_u32_e32 v48, v29, v44
	ds_read2_b32 v[44:45], v48 offset1:32
	ds_read2_b32 v[46:47], v48 offset0:128 offset1:160
	v_add_u32_e32 v49, 0x400, v48
	v_add_u32_e32 v39, s19, v39
	v_cmp_le_i32_e32 vcc, s52, v39
	s_waitcnt lgkmcnt(1)
	v_mfma_f32_16x16x32_fp8_fp8 v[0:3], v[44:45], v[6:7], v[0:3]
	ds_read2_b32 v[6:7], v49 offset1:32
	v_add_u32_e32 v44, 0x800, v48
	s_or_b64 s[8:9], vcc, s[8:9]
	s_waitcnt lgkmcnt(1)
	v_mfma_f32_16x16x32_fp8_fp8 v[0:3], v[46:47], v[8:9], v[0:3]
	ds_read2_b32 v[8:9], v49 offset0:128 offset1:160
	s_waitcnt lgkmcnt(1)
	v_mfma_f32_16x16x32_fp8_fp8 v[0:3], v[6:7], v[12:13], v[0:3]
	ds_read2_b32 v[6:7], v44 offset1:32
	s_waitcnt lgkmcnt(1)
	v_mfma_f32_16x16x32_fp8_fp8 v[0:3], v[8:9], v[14:15], v[0:3]
	ds_read2_b32 v[8:9], v44 offset0:128 offset1:160
	v_add_u32_e32 v14, 0xc00, v48
	ds_read2_b32 v[12:13], v14 offset1:32
	s_waitcnt lgkmcnt(2)
	v_mfma_f32_16x16x32_fp8_fp8 v[0:3], v[6:7], v[24:25], v[0:3]
	v_add_u32_e32 v6, s19, v42
	v_add_u32_e32 v7, 2, v28
	v_cmp_lt_i32_e32 vcc, 1, v6
	s_waitcnt lgkmcnt(1)
	v_mfma_f32_16x16x32_fp8_fp8 v[0:3], v[8:9], v[26:27], v[0:3]
	ds_read2_b32 v[8:9], v14 offset0:128 offset1:160
	v_cndmask_b32_e32 v28, v28, v7, vcc
	;;#ASMSTART
	s_waitcnt lgkmcnt(0)
	;;#ASMEND
	s_waitcnt lgkmcnt(1)
	v_mfma_f32_16x16x32_fp8_fp8 v[0:3], v[12:13], v[10:11], v[0:3]
	ds_write_b32 v41, v43
	s_waitcnt lgkmcnt(1)
	v_mfma_f32_16x16x32_fp8_fp8 v[0:3], v[8:9], v[4:5], v[0:3]
	s_andn2_b64 exec, exec, s[8:9]
	s_cbranch_execz .LBB9_19
.LBB9_13:                               ;   Parent Loop BB9_7 Depth=1
                                        ; =>  This Loop Header: Depth=2
                                        ;       Child Loop BB9_15 Depth 3
                                        ;       Child Loop BB9_18 Depth 3
	v_cmp_gt_i32_e32 vcc, 2, v6
	s_nop 1
	v_cndmask_b32_e64 v4, -2, 0, vcc
	v_add_u32_e32 v42, v4, v6
	v_lshlrev_b32_e32 v4, 2, v42
	ds_read_b32 v5, v4 offset:16392
	v_add_u32_e32 v41, 0x4000, v4
	s_waitcnt lgkmcnt(0)
	v_cmp_ne_u32_e32 vcc, v5, v28
	s_and_saveexec_b64 s[38:39], vcc
	s_cbranch_execz .LBB9_16
; %bb.14:                               ;   in Loop: Header=BB9_13 Depth=2
	s_mov_b64 s[40:41], 0
.LBB9_15:                               ;   Parent Loop BB9_7 Depth=1
                                        ;     Parent Loop BB9_13 Depth=2
                                        ; =>    This Inner Loop Header: Depth=3
	;;#ASMSTART
	s_sleep 0
	;;#ASMEND
	ds_read_b32 v4, v41 offset:8
	s_waitcnt lgkmcnt(0)
	v_cmp_eq_u32_e32 vcc, v4, v28
	s_or_b64 s[40:41], vcc, s[40:41]
	s_andn2_b64 exec, exec, s[40:41]
	s_cbranch_execnz .LBB9_15
.LBB9_16:                               ;   in Loop: Header=BB9_13 Depth=2
	s_or_b64 exec, exec, s[38:39]
	v_lshlrev_b32_e32 v44, 12, v42
	v_add_u32_e32 v4, v30, v44
	v_add_u32_e32 v5, 0x400, v4
	ds_read2_b32 v[6:7], v4 offset1:32
	ds_read2_b32 v[8:9], v4 offset0:128 offset1:160
	ds_read2_b32 v[12:13], v5 offset1:32
	ds_read2_b32 v[14:15], v5 offset0:128 offset1:160
	v_add_u32_e32 v5, 0x800, v4
	v_add_u32_e32 v4, 0xc00, v4
	ds_read2_b32 v[24:25], v5 offset1:32
	ds_read2_b32 v[26:27], v5 offset0:128 offset1:160
	ds_read2_b32 v[10:11], v4 offset1:32
	ds_read2_b32 v[4:5], v4 offset0:128 offset1:160
	;;#ASMSTART
	s_waitcnt lgkmcnt(0)
	;;#ASMEND
	ds_read_b32 v45, v41
	v_add_u32_e32 v43, 1, v28
	ds_write_b32 v41, v43 offset:8
	s_waitcnt lgkmcnt(1)
	v_cmp_ne_u32_e32 vcc, v45, v28
	s_and_saveexec_b64 s[38:39], vcc
	s_cbranch_execz .LBB9_12
; %bb.17:                               ;   in Loop: Header=BB9_13 Depth=2
	s_mov_b64 s[40:41], 0
.LBB9_18:                               ;   Parent Loop BB9_7 Depth=1
                                        ;     Parent Loop BB9_13 Depth=2
                                        ; =>    This Inner Loop Header: Depth=3
	;;#ASMSTART
	s_sleep 0
	;;#ASMEND
	ds_read_b32 v45, v41
	s_waitcnt lgkmcnt(0)
	v_cmp_eq_u32_e32 vcc, v45, v28
	s_or_b64 s[40:41], vcc, s[40:41]
	s_andn2_b64 exec, exec, s[40:41]
	s_cbranch_execnz .LBB9_18
	s_branch .LBB9_12
.LBB9_19:                               ;   in Loop: Header=BB9_7 Depth=1
	s_or_b64 exec, exec, s[8:9]
.LBB9_20:                               ;   in Loop: Header=BB9_7 Depth=1
	s_or_b64 exec, exec, s[6:7]
	v_cmp_le_i32_e32 vcc, s31, v16
	v_cmp_eq_u32_e64 s[6:7], 3, v32
	s_waitcnt vmcnt(0)
	v_cndmask_b32_e32 v4, 0, v40, vcc
	v_pk_mul_f32 v[8:9], v[4:5], v[2:3] op_sel_hi:[0,1]
	v_pk_mul_f32 v[4:5], v[4:5], v[0:1] op_sel_hi:[0,1]
	v_cmp_eq_u32_e32 vcc, 1, v32
	s_nop 1
	v_cndmask_b32_e32 v0, v4, v5, vcc
	v_cmp_eq_u32_e32 vcc, 2, v32
	s_nop 1
	v_cndmask_b32_e32 v0, v0, v8, vcc
	v_cndmask_b32_e64 v0, v0, v9, s[6:7]
	ds_bpermute_b32 v1, v38, v0
	s_waitcnt lgkmcnt(0)
	v_cndmask_b32_e32 v3, v8, v1, vcc
	v_cmp_ne_u32_e32 vcc, 0, v32
	v_cndmask_b32_e64 v2, v9, v1, s[6:7]
	s_max_i32 s6, s55, 0
	v_cndmask_b32_e32 v0, v5, v1, vcc
	v_cmp_eq_u32_e32 vcc, 0, v32
	v_add_u32_e32 v5, s6, v31
	s_nop 0
	v_cndmask_b32_e32 v1, v4, v1, vcc
	v_cmp_eq_u32_e32 vcc, 1, v33
	s_nop 1
	v_cndmask_b32_e32 v4, v1, v0, vcc
	v_cmp_eq_u32_e32 vcc, 2, v33
	;; [unrolled: 3-line block ×3, first 2 shown]
	s_nop 1
	v_cndmask_b32_e32 v4, v4, v2, vcc
	ds_bpermute_b32 v4, v38, v4
	v_cmp_gt_u32_e32 vcc, 16, v5
	s_and_saveexec_b64 s[38:39], vcc
	s_cbranch_execz .LBB9_23
; %bb.21:                               ;   in Loop: Header=BB9_7 Depth=1
	v_cmp_eq_u32_e64 s[8:9], 1, v33
	v_cmp_eq_u32_e32 vcc, 3, v33
	v_cmp_eq_u32_e64 s[6:7], 2, v33
	s_waitcnt lgkmcnt(0)
	v_cndmask_b32_e64 v0, v0, v4, s[8:9]
	v_cmp_eq_u32_e64 s[8:9], 0, v33
	v_cvt_f16_f32_sdwa v8, v0 dst_sel:WORD_1 dst_unused:UNUSED_PAD src0_sel:DWORD
	s_nop 0
	v_cndmask_b32_e64 v1, v1, v4, s[8:9]
	s_mul_i32 s8, s53, s13
	s_ashr_i32 s9, s8, 31
	s_lshl_b64 s[8:9], s[8:9], 1
	s_add_u32 s40, s24, s8
	s_addc_u32 s41, s25, s9
	s_ashr_i32 s31, s30, 31
	s_lshl_b64 s[8:9], s[30:31], 1
	v_cvt_f16_f32_e32 v7, v1
	s_add_u32 s8, s40, s8
	s_addc_u32 s9, s41, s9
	v_lshl_add_u64 v[0:1], v[18:19], 1, s[8:9]
	v_cmp_gt_u32_e64 s[8:9], 14, v5
	v_or_b32_e32 v7, v8, v7
	;;#ASMSTART
	global_atomic_pk_add_f16 v[0:1], v7, off
	
	;;#ASMEND
	s_and_b64 exec, exec, s[8:9]
	s_cbranch_execz .LBB9_23
; %bb.22:                               ;   in Loop: Header=BB9_7 Depth=1
	v_cndmask_b32_e32 v2, v2, v4, vcc
	v_cndmask_b32_e64 v3, v3, v4, s[6:7]
	v_cvt_f16_f32_e32 v3, v3
	v_cvt_f16_f32_sdwa v2, v2 dst_sel:WORD_1 dst_unused:UNUSED_PAD src0_sel:DWORD
	v_lshl_add_u64 v[0:1], s[10:11], 2, v[0:1]
	v_or_b32_e32 v2, v2, v3
	;;#ASMSTART
	global_atomic_pk_add_f16 v[0:1], v2, off
	
	;;#ASMEND
.LBB9_23:                               ;   in Loop: Header=BB9_7 Depth=1
	s_or_b64 exec, exec, s[38:39]
	v_subrev_u32_e32 v39, s52, v39
.LBB9_24:                               ;   in Loop: Header=BB9_7 Depth=1
	s_or_b64 exec, exec, s[36:37]
.LBB9_25:                               ;   in Loop: Header=BB9_7 Depth=1
	s_andn2_saveexec_b64 s[6:7], s[34:35]
	s_cbranch_execz .LBB9_34
; %bb.26:                               ;   in Loop: Header=BB9_7 Depth=1
	v_cmp_gt_i32_e32 vcc, s52, v39
	s_and_saveexec_b64 s[8:9], vcc
	s_cbranch_execz .LBB9_33
; %bb.27:                               ;   in Loop: Header=BB9_7 Depth=1
	s_mul_i32 s30, s30, s15
	s_ashr_i32 s31, s30, 31
	s_waitcnt lgkmcnt(0)
	s_add_u32 s30, s22, s30
	s_addc_u32 s31, s23, s31
	s_ashr_i32 s34, s54, 31
	s_add_u32 s30, s30, s54
	s_addc_u32 s31, s31, s34
	v_lshl_add_u64 v[0:1], s[30:31], 0, v[22:23]
	v_lshl_add_u64 v[24:25], v[0:1], 0, v[20:21]
	s_mov_b64 s[30:31], 0
	s_branch .LBB9_29
.LBB9_28:                               ;   in Loop: Header=BB9_29 Depth=2
	s_or_b64 exec, exec, s[34:35]
	v_lshl_add_u32 v40, v26, 12, v35
	;;#ASMSTART
	s_waitcnt vmcnt(3)
	;;#ASMEND
	ds_write2_b32 v40, v12, v13 offset1:32
	ds_write2_b32 v40, v14, v15 offset0:64 offset1:96
	v_add_u32_e32 v12, 0x400, v40
	;;#ASMSTART
	s_waitcnt vmcnt(2)
	;;#ASMEND
	ds_write2_b32 v12, v8, v9 offset1:32
	ds_write2_b32 v12, v10, v11 offset0:64 offset1:96
	v_add_u32_e32 v8, 0x800, v40
	;; [unrolled: 6-line block ×3, first 2 shown]
	v_add_u32_e32 v39, s18, v39
	;;#ASMSTART
	s_waitcnt vmcnt(0)
	;;#ASMEND
	ds_write2_b32 v4, v0, v1 offset1:32
	ds_write2_b32 v4, v2, v3 offset0:64 offset1:96
	v_add_u32_e32 v0, 1, v28
	v_add_u32_e32 v6, s18, v26
	v_cmp_le_i32_e32 vcc, s52, v39
	ds_write_b32 v27, v0 offset:8
	v_add_u32_e32 v0, 2, v28
	s_or_b64 s[30:31], vcc, s[30:31]
	v_cmp_lt_i32_e32 vcc, 1, v6
	s_nop 1
	v_cndmask_b32_e32 v28, v28, v0, vcc
	s_andn2_b64 exec, exec, s[30:31]
	s_cbranch_execz .LBB9_32
.LBB9_29:                               ;   Parent Loop BB9_7 Depth=1
                                        ; =>  This Loop Header: Depth=2
                                        ;       Child Loop BB9_31 Depth 3
	v_cmp_gt_i32_e32 vcc, 2, v6
	s_nop 1
	v_cndmask_b32_e64 v0, -2, 0, vcc
	v_add_u32_e32 v26, v0, v6
	v_lshlrev_b32_e32 v0, 8, v39
	v_ashrrev_i32_e32 v1, 31, v0
	v_lshl_add_u64 v[0:1], v[24:25], 0, v[0:1]
	v_lshlrev_b32_e32 v27, 2, v26
	;;#ASMSTART
	global_load_dwordx4 v[12:15], v[0:1], off offset:0    sc0 sc1 nt  
	global_load_dwordx4 v[8:11], v[0:1], off offset:64   sc0 sc1 nt  
	global_load_dwordx4 v[4:7], v[0:1], off offset:128  sc0 sc1 nt  
	global_load_dwordx4 v[0:3], v[0:1], off offset:192  sc0 sc1 nt  
	
	;;#ASMEND
	ds_read_b32 v40, v27 offset:16392
	v_add_u32_e32 v27, 0x4000, v27
	s_waitcnt lgkmcnt(0)
	v_cmp_ne_u32_e32 vcc, v40, v28
	s_and_saveexec_b64 s[34:35], vcc
	s_cbranch_execz .LBB9_28
; %bb.30:                               ;   in Loop: Header=BB9_29 Depth=2
	s_mov_b64 s[36:37], 0
.LBB9_31:                               ;   Parent Loop BB9_7 Depth=1
                                        ;     Parent Loop BB9_29 Depth=2
                                        ; =>    This Inner Loop Header: Depth=3
	;;#ASMSTART
	s_sleep 0
	;;#ASMEND
	ds_read_b32 v40, v27 offset:8
	s_waitcnt lgkmcnt(0)
	v_cmp_eq_u32_e32 vcc, v40, v28
	s_or_b64 s[36:37], vcc, s[36:37]
	s_andn2_b64 exec, exec, s[36:37]
	s_cbranch_execnz .LBB9_31
	s_branch .LBB9_28
.LBB9_32:                               ;   in Loop: Header=BB9_7 Depth=1
	s_or_b64 exec, exec, s[30:31]
.LBB9_33:                               ;   in Loop: Header=BB9_7 Depth=1
	s_or_b64 exec, exec, s[8:9]
	v_subrev_u32_e32 v39, s52, v39
.LBB9_34:                               ;   in Loop: Header=BB9_7 Depth=1
	s_or_b64 exec, exec, s[6:7]
.LBB9_35:                               ;   in Loop: Header=BB9_7 Depth=1
	s_andn2_saveexec_b64 s[6:7], s[28:29]
	s_cbranch_execz .LBB9_6
; %bb.36:                               ;   in Loop: Header=BB9_7 Depth=1
	v_cmp_gt_i32_e32 vcc, s52, v39
	s_and_saveexec_b64 s[8:9], vcc
	s_cbranch_execz .LBB9_5
; %bb.37:                               ;   in Loop: Header=BB9_7 Depth=1
	s_mul_i32 s53, s53, s14
	s_ashr_i32 s28, s53, 31
	s_waitcnt lgkmcnt(0)
	s_add_u32 s29, s20, s53
	s_addc_u32 s30, s21, s28
	s_ashr_i32 s31, s54, 31
	v_cmp_le_i32_e32 vcc, s55, v36
	s_add_u32 s28, s29, s54
	s_addc_u32 s29, s30, s31
	v_cndmask_b32_e32 v0, 0, v37, vcc
	v_ashrrev_i32_e32 v1, 31, v0
	v_lshl_add_u64 v[0:1], s[28:29], 0, v[0:1]
	v_lshl_add_u64 v[24:25], v[0:1], 0, v[20:21]
	s_mov_b64 s[28:29], 0
	s_branch .LBB9_39
.LBB9_38:                               ;   in Loop: Header=BB9_39 Depth=2
	s_or_b64 exec, exec, s[30:31]
	v_lshl_or_b32 v40, v26, 12, v34
	;;#ASMSTART
	s_waitcnt vmcnt(3)
	;;#ASMEND
	ds_write2_b32 v40, v12, v13 offset1:32
	ds_write2_b32 v40, v14, v15 offset0:64 offset1:96
	v_add_u32_e32 v12, 0x400, v40
	;;#ASMSTART
	s_waitcnt vmcnt(2)
	;;#ASMEND
	ds_write2_b32 v12, v8, v9 offset1:32
	ds_write2_b32 v12, v10, v11 offset0:64 offset1:96
	v_add_u32_e32 v8, 0x800, v40
	;; [unrolled: 6-line block ×3, first 2 shown]
	v_add_u32_e32 v39, s17, v39
	;;#ASMSTART
	s_waitcnt vmcnt(0)
	;;#ASMEND
	ds_write2_b32 v4, v0, v1 offset1:32
	ds_write2_b32 v4, v2, v3 offset0:64 offset1:96
	v_add_u32_e32 v0, 1, v28
	v_add_u32_e32 v6, s17, v26
	v_cmp_le_i32_e32 vcc, s52, v39
	ds_write_b32 v27, v0
	v_add_u32_e32 v0, 2, v28
	s_or_b64 s[28:29], vcc, s[28:29]
	v_cmp_lt_i32_e32 vcc, 1, v6
	s_nop 1
	v_cndmask_b32_e32 v28, v28, v0, vcc
	s_andn2_b64 exec, exec, s[28:29]
	s_cbranch_execz .LBB9_4
.LBB9_39:                               ;   Parent Loop BB9_7 Depth=1
                                        ; =>  This Loop Header: Depth=2
                                        ;       Child Loop BB9_41 Depth 3
	v_cmp_gt_i32_e32 vcc, 2, v6
	s_nop 1
	v_cndmask_b32_e64 v0, -2, 0, vcc
	v_add_u32_e32 v26, v0, v6
	v_lshlrev_b32_e32 v0, 8, v39
	v_ashrrev_i32_e32 v1, 31, v0
	v_lshl_add_u64 v[0:1], v[24:25], 0, v[0:1]
	v_lshlrev_b32_e32 v27, 2, v26
	;;#ASMSTART
	global_load_dwordx4 v[12:15], v[0:1], off offset:0    
	global_load_dwordx4 v[8:11], v[0:1], off offset:64   
	;; [unrolled: 1-line block ×4, first 2 shown]
	
	;;#ASMEND
	ds_read_b32 v40, v27 offset:16384
	v_add_u32_e32 v27, 0x4000, v27
	s_waitcnt lgkmcnt(0)
	v_cmp_ne_u32_e32 vcc, v40, v28
	s_and_saveexec_b64 s[30:31], vcc
	s_cbranch_execz .LBB9_38
; %bb.40:                               ;   in Loop: Header=BB9_39 Depth=2
	s_mov_b64 s[34:35], 0
.LBB9_41:                               ;   Parent Loop BB9_7 Depth=1
                                        ;     Parent Loop BB9_39 Depth=2
                                        ; =>    This Inner Loop Header: Depth=3
	;;#ASMSTART
	s_sleep 0
	;;#ASMEND
	ds_read_b32 v40, v27
	s_waitcnt lgkmcnt(0)
	v_cmp_eq_u32_e32 vcc, v40, v28
	s_or_b64 s[34:35], vcc, s[34:35]
	s_andn2_b64 exec, exec, s[34:35]
	s_cbranch_execnz .LBB9_41
	s_branch .LBB9_38
.LBB9_42:
	s_endpgm
	.section	.rodata,"a",@progbits
	.p2align	6, 0x0
	.amdhsa_kernel _Z19_skinny_gemm_kernelILi1ELi1ELi2ELi16ELi8EEvPKhS1_P6__halfPKfiiiiiiii
		.amdhsa_group_segment_fixed_size 16400
		.amdhsa_private_segment_fixed_size 0
		.amdhsa_kernarg_size 64
		.amdhsa_user_sgpr_count 2
		.amdhsa_user_sgpr_dispatch_ptr 0
		.amdhsa_user_sgpr_queue_ptr 0
		.amdhsa_user_sgpr_kernarg_segment_ptr 1
		.amdhsa_user_sgpr_dispatch_id 0
		.amdhsa_user_sgpr_kernarg_preload_length 0
		.amdhsa_user_sgpr_kernarg_preload_offset 0
		.amdhsa_user_sgpr_private_segment_size 0
		.amdhsa_uses_dynamic_stack 0
		.amdhsa_enable_private_segment 0
		.amdhsa_system_sgpr_workgroup_id_x 1
		.amdhsa_system_sgpr_workgroup_id_y 0
		.amdhsa_system_sgpr_workgroup_id_z 0
		.amdhsa_system_sgpr_workgroup_info 0
		.amdhsa_system_vgpr_workitem_id 0
		.amdhsa_next_free_vgpr 50
		.amdhsa_next_free_sgpr 56
		.amdhsa_accum_offset 52
		.amdhsa_reserve_vcc 1
		.amdhsa_float_round_mode_32 0
		.amdhsa_float_round_mode_16_64 0
		.amdhsa_float_denorm_mode_32 3
		.amdhsa_float_denorm_mode_16_64 3
		.amdhsa_dx10_clamp 1
		.amdhsa_ieee_mode 1
		.amdhsa_fp16_overflow 0
		.amdhsa_tg_split 0
		.amdhsa_exception_fp_ieee_invalid_op 0
		.amdhsa_exception_fp_denorm_src 0
		.amdhsa_exception_fp_ieee_div_zero 0
		.amdhsa_exception_fp_ieee_overflow 0
		.amdhsa_exception_fp_ieee_underflow 0
		.amdhsa_exception_fp_ieee_inexact 0
		.amdhsa_exception_int_div_zero 0
	.end_amdhsa_kernel
	.section	.text._Z19_skinny_gemm_kernelILi1ELi1ELi2ELi16ELi8EEvPKhS1_P6__halfPKfiiiiiiii,"axG",@progbits,_Z19_skinny_gemm_kernelILi1ELi1ELi2ELi16ELi8EEvPKhS1_P6__halfPKfiiiiiiii,comdat
.Lfunc_end9:
	.size	_Z19_skinny_gemm_kernelILi1ELi1ELi2ELi16ELi8EEvPKhS1_P6__halfPKfiiiiiiii, .Lfunc_end9-_Z19_skinny_gemm_kernelILi1ELi1ELi2ELi16ELi8EEvPKhS1_P6__halfPKfiiiiiiii
                                        ; -- End function
	.set _Z19_skinny_gemm_kernelILi1ELi1ELi2ELi16ELi8EEvPKhS1_P6__halfPKfiiiiiiii.num_vgpr, 50
	.set _Z19_skinny_gemm_kernelILi1ELi1ELi2ELi16ELi8EEvPKhS1_P6__halfPKfiiiiiiii.num_agpr, 0
	.set _Z19_skinny_gemm_kernelILi1ELi1ELi2ELi16ELi8EEvPKhS1_P6__halfPKfiiiiiiii.numbered_sgpr, 56
	.set _Z19_skinny_gemm_kernelILi1ELi1ELi2ELi16ELi8EEvPKhS1_P6__halfPKfiiiiiiii.num_named_barrier, 0
	.set _Z19_skinny_gemm_kernelILi1ELi1ELi2ELi16ELi8EEvPKhS1_P6__halfPKfiiiiiiii.private_seg_size, 0
	.set _Z19_skinny_gemm_kernelILi1ELi1ELi2ELi16ELi8EEvPKhS1_P6__halfPKfiiiiiiii.uses_vcc, 1
	.set _Z19_skinny_gemm_kernelILi1ELi1ELi2ELi16ELi8EEvPKhS1_P6__halfPKfiiiiiiii.uses_flat_scratch, 0
	.set _Z19_skinny_gemm_kernelILi1ELi1ELi2ELi16ELi8EEvPKhS1_P6__halfPKfiiiiiiii.has_dyn_sized_stack, 0
	.set _Z19_skinny_gemm_kernelILi1ELi1ELi2ELi16ELi8EEvPKhS1_P6__halfPKfiiiiiiii.has_recursion, 0
	.set _Z19_skinny_gemm_kernelILi1ELi1ELi2ELi16ELi8EEvPKhS1_P6__halfPKfiiiiiiii.has_indirect_call, 0
	.section	.AMDGPU.csdata,"",@progbits
; Kernel info:
; codeLenInByte = 2968
; TotalNumSgprs: 62
; NumVgprs: 50
; NumAgprs: 0
; TotalNumVgprs: 50
; ScratchSize: 0
; MemoryBound: 0
; FloatMode: 240
; IeeeMode: 1
; LDSByteSize: 16400 bytes/workgroup (compile time only)
; SGPRBlocks: 7
; VGPRBlocks: 6
; NumSGPRsForWavesPerEU: 62
; NumVGPRsForWavesPerEU: 50
; AccumOffset: 52
; Occupancy: 8
; WaveLimiterHint : 0
; COMPUTE_PGM_RSRC2:SCRATCH_EN: 0
; COMPUTE_PGM_RSRC2:USER_SGPR: 2
; COMPUTE_PGM_RSRC2:TRAP_HANDLER: 0
; COMPUTE_PGM_RSRC2:TGID_X_EN: 1
; COMPUTE_PGM_RSRC2:TGID_Y_EN: 0
; COMPUTE_PGM_RSRC2:TGID_Z_EN: 0
; COMPUTE_PGM_RSRC2:TIDIG_COMP_CNT: 0
; COMPUTE_PGM_RSRC3_GFX90A:ACCUM_OFFSET: 12
; COMPUTE_PGM_RSRC3_GFX90A:TG_SPLIT: 0
	.section	.text._Z19_skinny_gemm_kernelILi1ELi1ELi2ELi32ELi4EEvPKhS1_P6__halfPKfiiiiiiii,"axG",@progbits,_Z19_skinny_gemm_kernelILi1ELi1ELi2ELi32ELi4EEvPKhS1_P6__halfPKfiiiiiiii,comdat
	.protected	_Z19_skinny_gemm_kernelILi1ELi1ELi2ELi32ELi4EEvPKhS1_P6__halfPKfiiiiiiii ; -- Begin function _Z19_skinny_gemm_kernelILi1ELi1ELi2ELi32ELi4EEvPKhS1_P6__halfPKfiiiiiiii
	.globl	_Z19_skinny_gemm_kernelILi1ELi1ELi2ELi32ELi4EEvPKhS1_P6__halfPKfiiiiiiii
	.p2align	8
	.type	_Z19_skinny_gemm_kernelILi1ELi1ELi2ELi32ELi4EEvPKhS1_P6__halfPKfiiiiiiii,@function
_Z19_skinny_gemm_kernelILi1ELi1ELi2ELi32ELi4EEvPKhS1_P6__halfPKfiiiiiiii: ; @_Z19_skinny_gemm_kernelILi1ELi1ELi2ELi32ELi4EEvPKhS1_P6__halfPKfiiiiiiii
; %bb.0:
	v_cmp_gt_u32_e32 vcc, 4, v0
	s_and_saveexec_b64 s[4:5], vcc
; %bb.1:
	v_lshlrev_b32_e32 v1, 2, v0
	v_mov_b32_e32 v2, 0
	ds_write_b32 v1, v2 offset:8192
; %bb.2:
	s_or_b64 exec, exec, s[4:5]
	s_load_dwordx8 s[36:43], s[0:1], 0x20
	s_waitcnt lgkmcnt(0)
	s_barrier
	s_add_i32 s3, s36, 31
	s_ashr_i32 s5, s3, 31
	s_add_i32 s4, s37, 31
	s_lshr_b32 s5, s5, 27
	s_ashr_i32 s6, s4, 31
	s_add_i32 s3, s3, s5
	s_ashr_i32 s33, s3, 5
	s_lshr_b32 s3, s6, 27
	s_add_i32 s4, s4, s3
	s_ashr_i32 s62, s4, 5
	s_mul_i32 s3, s62, s33
	s_mul_i32 s3, s3, s40
	s_add_i32 s4, s3, 0x12f
	s_mul_hi_i32 s4, s4, 0x6bca1af3
	s_lshr_b32 s5, s4, 31
	s_ashr_i32 s4, s4, 7
	s_add_i32 s4, s4, s5
	s_add_i32 s5, s2, 1
	s_mul_i32 s5, s4, s5
	v_cvt_f64_i32_e32 v[2:3], s3
	v_cvt_f64_u32_e32 v[4:5], s5
	v_min_f64 v[2:3], v[2:3], v[4:5]
	v_cvt_i32_f64_e32 v46, v[2:3]
	s_mul_i32 s63, s4, s2
	v_cmp_ge_i32_e32 vcc, s63, v46
	s_cbranch_vccnz .LBB10_48
; %bb.3:
	v_lshrrev_b32_e32 v1, 6, v0
	s_add_i32 s4, s42, s41
	s_load_dwordx8 s[44:51], s[0:1], 0x0
	v_cmp_le_i32_e64 s[0:1], s4, v1
	v_mov_b32_e32 v2, s41
	v_cmp_le_i32_e64 s[2:3], s41, v1
	v_mov_b32_e32 v3, s42
	v_cndmask_b32_e64 v3, 0, v3, s[0:1]
	v_cndmask_b32_e64 v2, 0, v2, s[2:3]
	s_abs_i32 s5, s40
	v_add_u32_e32 v2, v2, v3
	v_cvt_f32_u32_e32 v3, s5
	v_sub_u32_e32 v40, v1, v2
	s_ashr_i32 s6, s38, 31
	s_lshr_b32 s6, s6, 26
	v_rcp_iflag_f32_e32 v2, v3
	s_sub_i32 s9, 0, s5
	s_add_i32 s6, s38, s6
	s_ashr_i32 s6, s6, 6
	v_mul_f32_e32 v2, 0x4f7ffffe, v2
	v_cvt_u32_f32_e32 v2, v2
	s_abs_i32 s8, s6
	s_xor_b32 s7, s6, s40
	s_ashr_i32 s7, s7, 31
	v_readfirstlane_b32 s10, v2
	s_mul_i32 s9, s9, s10
	s_mul_hi_u32 s9, s10, s9
	s_add_i32 s10, s10, s9
	s_mul_hi_u32 s9, s8, s10
	s_mul_i32 s10, s9, s5
	s_sub_i32 s8, s8, s10
	s_add_i32 s10, s9, 1
	s_sub_i32 s11, s8, s5
	s_cmp_ge_u32 s8, s5
	s_cselect_b32 s9, s10, s9
	s_cselect_b32 s8, s11, s8
	s_add_i32 s10, s9, 1
	s_cmp_ge_u32 s8, s5
	s_cselect_b32 s5, s10, s9
	s_xor_b32 s5, s5, s7
	s_sub_i32 s64, s5, s7
	s_add_i32 s40, s40, -1
	s_mul_i32 s5, s64, s40
	s_add_i32 s4, s4, s43
	v_and_b32_e32 v48, 31, v0
	v_lshrrev_b32_e32 v2, 3, v0
	s_sub_i32 s65, s6, s5
	v_cmp_gt_i32_e64 s[4:5], s4, v1
	v_lshlrev_b32_e32 v1, 2, v48
	v_and_b32_e32 v3, 4, v2
	v_and_b32_e32 v5, 1, v0
	v_lshlrev_b32_e32 v2, 6, v3
	v_or_b32_e32 v4, 0x1000, v1
	v_or_b32_e32 v3, v3, v5
	;; [unrolled: 1-line block ×4, first 2 shown]
	v_lshlrev_b32_e32 v2, 1, v5
	v_or_b32_e32 v5, 2, v3
	v_sub_u32_e32 v60, 32, v5
	v_or_b32_e32 v5, 8, v3
	v_sub_u32_e32 v61, 32, v5
	;; [unrolled: 2-line block ×5, first 2 shown]
	v_mul_lo_u32 v18, s37, v3
	v_sub_u32_e32 v64, 32, v5
	v_or_b32_e32 v5, 24, v3
	v_or_b32_e32 v3, 26, v3
	v_sub_u32_e32 v66, 32, v3
	v_lshrrev_b32_e32 v3, 1, v0
	s_abs_i32 s66, s33
	v_and_b32_e32 v34, 16, v3
	v_cvt_f32_u32_e32 v3, s66
	v_sub_u32_e32 v65, 32, v5
	v_lshlrev_b32_e32 v5, 4, v0
	v_and_b32_e32 v5, 0x200, v5
	v_rcp_iflag_f32_e32 v3, v3
	s_abs_i32 s67, s62
	v_or_b32_e32 v70, v1, v5
	v_cvt_f32_u32_e32 v1, s67
	v_sub_u32_e32 v2, v0, v2
	v_add_u32_e32 v2, 1, v2
	s_lshl_b32 s6, s37, 1
	v_and_b32_e32 v6, 63, v2
	v_bitop3_b32 v51, v0, 1, v0 bitop3:0xc
	v_bitop3_b32 v52, v0, 3, 1 bitop3:0x6c
	v_bitop3_b32 v53, v0, 5, 1 bitop3:0x6c
	v_bitop3_b32 v54, v0, 7, 1 bitop3:0x6c
	v_bitop3_b32 v55, v0, 9, 1 bitop3:0x6c
	v_bitop3_b32 v56, v0, 11, 1 bitop3:0x6c
	v_bitop3_b32 v57, v0, 13, 1 bitop3:0x6c
	v_bitop3_b32 v58, v0, 15, 1 bitop3:0x6c
	v_and_b32_e32 v2, 30, v0
	v_add_u32_e32 v20, s6, v18
	s_mul_i32 s7, s37, 6
	v_bitop3_b32 v68, v0, 31, v0 bitop3:0xc
	v_mul_f32_e32 v0, 0x4f7ffffe, v3
	v_add_u32_e32 v22, s7, v20
	v_cvt_u32_f32_e32 v0, v0
	v_rcp_iflag_f32_e32 v1, v1
	v_add_u32_e32 v24, s6, v22
	v_add_u32_e32 v26, s7, v24
	v_add_u32_e32 v28, s6, v26
	v_add_u32_e32 v30, s7, v28
	v_readfirstlane_b32 s7, v0
	v_mul_f32_e32 v0, 0x4f7ffffe, v1
	v_cvt_u32_f32_e32 v0, v0
	v_add_u32_e32 v32, s6, v30
	s_sub_i32 s6, 0, s66
	s_mul_i32 s6, s6, s7
	s_mul_hi_u32 s6, s7, s6
	s_add_i32 s69, s7, s6
	s_sub_i32 s6, 0, s67
	v_readfirstlane_b32 s7, v0
	v_mbcnt_lo_u32_b32 v0, -1, 0
	s_mul_i32 s6, s6, s7
	v_mbcnt_hi_u32_b32 v0, -1, v0
	v_mov_b32_e32 v17, 0
	v_mul_lo_u32 v36, s39, v48
	s_mul_hi_u32 s6, s7, s6
	v_and_or_b32 v0, v0, 64, v6
	v_cndmask_b32_e64 v47, 0, 1, s[0:1]
	v_ashrrev_i32_e32 v19, 31, v18
	v_ashrrev_i32_e32 v21, 31, v20
	;; [unrolled: 1-line block ×9, first 2 shown]
	v_mov_b32_e32 v35, v17
	v_or_b32_e32 v67, v4, v5
	v_mul_lo_u32 v69, s38, v48
	s_ashr_i32 s68, s33, 31
	s_ashr_i32 s70, s62, 31
	s_add_i32 s71, s7, s6
	v_lshlrev_b32_e32 v16, 1, v2
	v_lshlrev_b32_e32 v71, 2, v0
	v_mov_b32_e32 v72, v40
	s_branch .LBB10_7
.LBB10_4:                               ;   in Loop: Header=BB10_7 Depth=1
	s_or_b64 exec, exec, s[10:11]
.LBB10_5:                               ;   in Loop: Header=BB10_7 Depth=1
	s_or_b64 exec, exec, s[8:9]
	v_subrev_u32_e32 v72, s72, v72
.LBB10_6:                               ;   in Loop: Header=BB10_7 Depth=1
	s_or_b64 exec, exec, s[6:7]
	s_add_i32 s63, s63, 1
	v_cmp_ge_i32_e32 vcc, s63, v46
	s_cbranch_vccnz .LBB10_48
.LBB10_7:                               ; =>This Loop Header: Depth=1
                                        ;     Child Loop BB10_13 Depth 2
                                        ;       Child Loop BB10_15 Depth 3
                                        ;       Child Loop BB10_18 Depth 3
                                        ;     Child Loop BB10_35 Depth 2
                                        ;       Child Loop BB10_37 Depth 3
                                        ;     Child Loop BB10_45 Depth 2
                                        ;       Child Loop BB10_47 Depth 3
	s_abs_i32 s7, s63
	s_mul_hi_u32 s8, s7, s69
	s_mul_i32 s9, s8, s66
	s_ashr_i32 s6, s63, 31
	s_sub_i32 s7, s7, s9
	s_xor_b32 s6, s6, s68
	s_add_i32 s9, s8, 1
	s_sub_i32 s10, s7, s66
	s_cmp_ge_u32 s7, s66
	s_cselect_b32 s8, s9, s8
	s_cselect_b32 s7, s10, s7
	s_add_i32 s9, s8, 1
	s_cmp_ge_u32 s7, s66
	s_cselect_b32 s7, s9, s8
	s_xor_b32 s7, s7, s6
	s_sub_i32 s6, s7, s6
	s_abs_i32 s8, s6
	s_mul_i32 s7, s6, s33
	s_mul_hi_u32 s9, s8, s71
	s_sub_i32 s7, s63, s7
	s_mul_i32 s10, s9, s67
	s_lshl_b32 s73, s7, 5
	s_ashr_i32 s7, s6, 31
	s_sub_i32 s8, s8, s10
	s_xor_b32 s7, s7, s70
	s_add_i32 s10, s9, 1
	s_sub_i32 s11, s8, s67
	s_cmp_ge_u32 s8, s67
	s_cselect_b32 s9, s10, s9
	s_cselect_b32 s8, s11, s8
	s_add_i32 s10, s9, 1
	s_cmp_ge_u32 s8, s67
	s_cselect_b32 s8, s10, s9
	s_xor_b32 s8, s8, s7
	s_sub_i32 s7, s8, s7
	s_mul_i32 s8, s7, s64
	s_lshl_b32 s74, s8, 6
	s_cmp_eq_u32 s7, s40
	s_cselect_b32 s72, s65, s64
	s_sub_i32 s75, s73, s36
	s_add_i32 s75, s75, 32
	s_and_saveexec_b64 s[8:9], s[2:3]
	s_xor_b64 s[52:53], exec, s[8:9]
	s_cbranch_execz .LBB10_41
; %bb.8:                                ;   in Loop: Header=BB10_7 Depth=1
	s_mul_i32 s7, s7, s62
	s_sub_i32 s6, s6, s7
	s_lshl_b32 s6, s6, 5
	s_sub_i32 s14, s6, s37
	s_add_i32 s14, s14, 32
	s_max_i32 s7, s14, 0
	s_sub_i32 s54, s6, s7
	s_and_saveexec_b64 s[6:7], s[0:1]
	s_xor_b64 s[56:57], exec, s[6:7]
	s_cbranch_execz .LBB10_31
; %bb.9:                                ;   in Loop: Header=BB10_7 Depth=1
	s_and_saveexec_b64 s[58:59], s[4:5]
	s_cbranch_execz .LBB10_30
; %bb.10:                               ;   in Loop: Header=BB10_7 Depth=1
	s_waitcnt lgkmcnt(0)
	global_load_dword v73, v17, s[50:51]
	v_mov_b32_e32 v15, 0
	v_cmp_gt_i32_e32 vcc, s72, v72
	v_mov_b32_e32 v14, v15
	v_mov_b32_e32 v13, v15
	v_mov_b32_e32 v12, v15
	v_mov_b32_e32 v11, v15
	v_mov_b32_e32 v10, v15
	v_mov_b32_e32 v9, v15
	v_mov_b32_e32 v8, v15
	v_mov_b32_e32 v7, v15
	v_mov_b32_e32 v6, v15
	v_mov_b32_e32 v5, v15
	v_mov_b32_e32 v4, v15
	v_mov_b32_e32 v3, v15
	v_mov_b32_e32 v2, v15
	v_mov_b32_e32 v1, v15
	v_mov_b32_e32 v0, v15
	s_and_saveexec_b64 s[6:7], vcc
	s_cbranch_execz .LBB10_20
; %bb.11:                               ;   in Loop: Header=BB10_7 Depth=1
	v_mov_b32_e32 v0, 0
	s_mov_b64 s[8:9], 0
	v_mov_b32_e32 v1, v0
	v_mov_b32_e32 v2, v0
	;; [unrolled: 1-line block ×15, first 2 shown]
	s_branch .LBB10_13
.LBB10_12:                              ;   in Loop: Header=BB10_13 Depth=2
	s_or_b64 exec, exec, s[10:11]
	v_add_u32_e32 v77, v50, v77
	ds_read2_b32 v[78:79], v77 offset1:32
	v_add_u32_e32 v72, s43, v72
	s_waitcnt lgkmcnt(0)
	v_mfma_f32_32x32x16_fp8_fp8 v[0:15], v[44:45], v[78:79], v[0:15]
	ds_read2_b32 v[44:45], v77 offset0:128 offset1:160
	s_waitcnt lgkmcnt(0)
	v_mfma_f32_32x32x16_fp8_fp8 v[0:15], v[42:43], v[44:45], v[0:15]
	v_add_u32_e32 v44, 0x400, v77
	ds_read2_b32 v[42:43], v44 offset1:32
	ds_read2_b32 v[44:45], v44 offset0:128 offset1:160
	ds_write_b32 v75, v76 offset:8196
	s_waitcnt lgkmcnt(2)
	v_mfma_f32_32x32x16_fp8_fp8 v[0:15], v[40:41], v[42:43], v[0:15]
	v_add_u32_e32 v40, s43, v74
	v_add_u32_e32 v41, 2, v47
	v_cmp_lt_i32_e32 vcc, 1, v40
	s_nop 1
	v_cndmask_b32_e32 v47, v47, v41, vcc
	v_cmp_le_i32_e32 vcc, s72, v72
	s_waitcnt lgkmcnt(1)
	v_mfma_f32_32x32x16_fp8_fp8 v[0:15], v[38:39], v[44:45], v[0:15]
	s_or_b64 s[8:9], vcc, s[8:9]
	s_andn2_b64 exec, exec, s[8:9]
	s_cbranch_execz .LBB10_19
.LBB10_13:                              ;   Parent Loop BB10_7 Depth=1
                                        ; =>  This Loop Header: Depth=2
                                        ;       Child Loop BB10_15 Depth 3
                                        ;       Child Loop BB10_18 Depth 3
	v_cmp_gt_i32_e32 vcc, 2, v40
	s_nop 1
	v_cndmask_b32_e64 v38, -2, 0, vcc
	v_add_u32_e32 v74, v38, v40
	v_lshlrev_b32_e32 v75, 3, v74
	ds_read_b32 v38, v75 offset:8192
	s_waitcnt lgkmcnt(0)
	v_cmp_ne_u32_e32 vcc, v38, v47
	s_and_saveexec_b64 s[10:11], vcc
	s_cbranch_execz .LBB10_16
; %bb.14:                               ;   in Loop: Header=BB10_13 Depth=2
	s_mov_b64 s[12:13], 0
.LBB10_15:                              ;   Parent Loop BB10_7 Depth=1
                                        ;     Parent Loop BB10_13 Depth=2
                                        ; =>    This Inner Loop Header: Depth=3
	;;#ASMSTART
	s_sleep 0
	;;#ASMEND
	ds_read_b32 v38, v75 offset:8192
	s_waitcnt lgkmcnt(0)
	v_cmp_eq_u32_e32 vcc, v38, v47
	s_or_b64 s[12:13], vcc, s[12:13]
	s_andn2_b64 exec, exec, s[12:13]
	s_cbranch_execnz .LBB10_15
.LBB10_16:                              ;   in Loop: Header=BB10_13 Depth=2
	s_or_b64 exec, exec, s[10:11]
	v_lshlrev_b32_e32 v77, 11, v74
	v_or_b32_e32 v38, v49, v77
	ds_read2_b32 v[44:45], v38 offset1:32
	ds_read2_b32 v[42:43], v38 offset0:128 offset1:160
	v_add_u32_e32 v38, 0x400, v38
	ds_read2_b32 v[40:41], v38 offset1:32
	ds_read_b32 v78, v75 offset:8196
	ds_read2_b32 v[38:39], v38 offset0:128 offset1:160
	v_add_u32_e32 v76, 1, v47
	ds_write_b32 v75, v76 offset:8192
	s_waitcnt lgkmcnt(2)
	v_cmp_ne_u32_e32 vcc, v78, v47
	s_and_saveexec_b64 s[10:11], vcc
	s_cbranch_execz .LBB10_12
; %bb.17:                               ;   in Loop: Header=BB10_13 Depth=2
	s_mov_b64 s[12:13], 0
.LBB10_18:                              ;   Parent Loop BB10_7 Depth=1
                                        ;     Parent Loop BB10_13 Depth=2
                                        ; =>    This Inner Loop Header: Depth=3
	;;#ASMSTART
	s_sleep 0
	;;#ASMEND
	ds_read_b32 v78, v75 offset:8196
	s_waitcnt lgkmcnt(0)
	v_cmp_eq_u32_e32 vcc, v78, v47
	s_or_b64 s[12:13], vcc, s[12:13]
	s_andn2_b64 exec, exec, s[12:13]
	s_cbranch_execnz .LBB10_18
	s_branch .LBB10_12
.LBB10_19:                              ;   in Loop: Header=BB10_7 Depth=1
	s_or_b64 exec, exec, s[8:9]
.LBB10_20:                              ;   in Loop: Header=BB10_7 Depth=1
	s_or_b64 exec, exec, s[6:7]
	v_cmp_le_i32_e32 vcc, s14, v48
	v_cmp_eq_u32_e64 s[6:7], 3, v51
	v_cmp_eq_u32_e64 s[8:9], 4, v51
	s_waitcnt vmcnt(0)
	v_cndmask_b32_e32 v38, 0, v73, vcc
	s_nop 1
	v_pk_mul_f32 v[0:1], v[38:39], v[0:1] op_sel_hi:[0,1]
	v_cmp_eq_u32_e32 vcc, 1, v51
	v_pk_mul_f32 v[14:15], v[38:39], v[14:15] op_sel_hi:[0,1]
	v_pk_mul_f32 v[12:13], v[38:39], v[12:13] op_sel_hi:[0,1]
	v_pk_mul_f32 v[10:11], v[38:39], v[10:11] op_sel_hi:[0,1]
	v_pk_mul_f32 v[8:9], v[38:39], v[8:9] op_sel_hi:[0,1]
	v_pk_mul_f32 v[6:7], v[38:39], v[6:7] op_sel_hi:[0,1]
	v_pk_mul_f32 v[4:5], v[38:39], v[4:5] op_sel_hi:[0,1]
	v_pk_mul_f32 v[2:3], v[38:39], v[2:3] op_sel_hi:[0,1]
	v_cndmask_b32_e32 v38, v0, v1, vcc
	v_cmp_eq_u32_e32 vcc, 2, v51
	v_cmp_eq_u32_e64 s[10:11], 5, v51
	v_cmp_eq_u32_e64 s[12:13], 6, v51
	v_cndmask_b32_e32 v38, v38, v2, vcc
	v_cndmask_b32_e64 v38, v38, v3, s[6:7]
	v_cndmask_b32_e64 v38, v38, v4, s[8:9]
	;; [unrolled: 1-line block ×4, first 2 shown]
	v_cmp_eq_u32_e64 s[14:15], 7, v51
	v_cmp_eq_u32_e64 s[16:17], 8, v51
	v_cmp_eq_u32_e64 s[18:19], 9, v51
	v_cndmask_b32_e64 v38, v38, v7, s[14:15]
	v_cndmask_b32_e64 v38, v38, v8, s[16:17]
	v_cndmask_b32_e64 v38, v38, v9, s[18:19]
	v_cmp_eq_u32_e64 s[20:21], 10, v51
	v_cmp_eq_u32_e64 s[22:23], 11, v51
	v_cmp_eq_u32_e64 s[24:25], 12, v51
	v_cndmask_b32_e64 v38, v38, v10, s[20:21]
	v_cndmask_b32_e64 v38, v38, v11, s[22:23]
	v_cndmask_b32_e64 v38, v38, v12, s[24:25]
	;; [unrolled: 6-line block ×3, first 2 shown]
	ds_bpermute_b32 v38, v71, v38
	v_cmp_eq_u32_e64 s[34:35], 15, v52
	s_waitcnt lgkmcnt(0)
	v_cndmask_b32_e32 v2, v2, v38, vcc
	v_cmp_ne_u32_e32 vcc, 0, v51
	v_cndmask_b32_e64 v15, v15, v38, s[30:31]
	v_cndmask_b32_e64 v14, v14, v38, s[28:29]
	v_cndmask_b32_e32 v1, v1, v38, vcc
	v_cmp_eq_u32_e32 vcc, 0, v51
	v_cndmask_b32_e64 v13, v13, v38, s[26:27]
	v_cndmask_b32_e64 v12, v12, v38, s[24:25]
	v_cndmask_b32_e32 v0, v0, v38, vcc
	v_cmp_eq_u32_e32 vcc, 1, v52
	v_cndmask_b32_e64 v11, v11, v38, s[22:23]
	v_cndmask_b32_e64 v10, v10, v38, s[20:21]
	;; [unrolled: 1-line block ×9, first 2 shown]
	v_cndmask_b32_e32 v38, v0, v1, vcc
	v_cmp_eq_u32_e64 s[6:7], 2, v52
	v_cmp_eq_u32_e64 s[8:9], 3, v52
	v_cmp_eq_u32_e64 s[10:11], 4, v52
	v_cndmask_b32_e64 v38, v38, v2, s[6:7]
	v_cndmask_b32_e64 v38, v38, v3, s[8:9]
	v_cndmask_b32_e64 v38, v38, v4, s[10:11]
	v_cmp_eq_u32_e64 s[12:13], 5, v52
	v_cmp_eq_u32_e64 s[14:15], 6, v52
	v_cmp_eq_u32_e64 s[16:17], 7, v52
	v_cndmask_b32_e64 v38, v38, v5, s[12:13]
	v_cndmask_b32_e64 v38, v38, v6, s[14:15]
	v_cndmask_b32_e64 v38, v38, v7, s[16:17]
	;; [unrolled: 6-line block ×4, first 2 shown]
	v_cmp_eq_u32_e64 s[30:31], 14, v52
	s_nop 1
	v_cndmask_b32_e64 v38, v38, v14, s[30:31]
	v_cndmask_b32_e64 v38, v38, v15, s[34:35]
	ds_bpermute_b32 v38, v71, v38
	s_waitcnt lgkmcnt(0)
	v_cndmask_b32_e32 v1, v1, v38, vcc
	v_cmp_eq_u32_e32 vcc, 0, v52
	v_cndmask_b32_e64 v15, v15, v38, s[34:35]
	v_cndmask_b32_e64 v14, v14, v38, s[30:31]
	v_cndmask_b32_e32 v0, v0, v38, vcc
	v_cmp_eq_u32_e32 vcc, 1, v53
	v_cndmask_b32_e64 v13, v13, v38, s[28:29]
	v_cndmask_b32_e64 v12, v12, v38, s[26:27]
	v_cndmask_b32_e64 v11, v11, v38, s[24:25]
	v_cndmask_b32_e64 v10, v10, v38, s[22:23]
	v_cndmask_b32_e64 v9, v9, v38, s[20:21]
	v_cndmask_b32_e64 v8, v8, v38, s[18:19]
	v_cndmask_b32_e64 v7, v7, v38, s[16:17]
	v_cndmask_b32_e64 v6, v6, v38, s[14:15]
	v_cndmask_b32_e64 v5, v5, v38, s[12:13]
	v_cndmask_b32_e64 v4, v4, v38, s[10:11]
	v_cndmask_b32_e64 v3, v3, v38, s[8:9]
	v_cndmask_b32_e64 v2, v2, v38, s[6:7]
	v_cndmask_b32_e32 v38, v0, v1, vcc
	v_cmp_eq_u32_e64 s[6:7], 2, v53
	v_cmp_eq_u32_e64 s[8:9], 3, v53
	v_cmp_eq_u32_e64 s[10:11], 4, v53
	v_cndmask_b32_e64 v38, v38, v2, s[6:7]
	v_cndmask_b32_e64 v38, v38, v3, s[8:9]
	v_cndmask_b32_e64 v38, v38, v4, s[10:11]
	v_cmp_eq_u32_e64 s[12:13], 5, v53
	v_cmp_eq_u32_e64 s[14:15], 6, v53
	v_cmp_eq_u32_e64 s[16:17], 7, v53
	v_cndmask_b32_e64 v38, v38, v5, s[12:13]
	v_cndmask_b32_e64 v38, v38, v6, s[14:15]
	v_cndmask_b32_e64 v38, v38, v7, s[16:17]
	v_cmp_eq_u32_e64 s[18:19], 8, v53
	v_cmp_eq_u32_e64 s[20:21], 9, v53
	v_cmp_eq_u32_e64 s[22:23], 10, v53
	v_cndmask_b32_e64 v38, v38, v8, s[18:19]
	v_cndmask_b32_e64 v38, v38, v9, s[20:21]
	v_cndmask_b32_e64 v38, v38, v10, s[22:23]
	v_cmp_eq_u32_e64 s[24:25], 11, v53
	v_cmp_eq_u32_e64 s[26:27], 12, v53
	v_cmp_eq_u32_e64 s[28:29], 13, v53
	v_cndmask_b32_e64 v38, v38, v11, s[24:25]
	v_cndmask_b32_e64 v38, v38, v12, s[26:27]
	v_cndmask_b32_e64 v38, v38, v13, s[28:29]
	v_cmp_eq_u32_e64 s[30:31], 14, v53
	v_cmp_eq_u32_e64 s[34:35], 15, v53
	s_nop 0
	v_cndmask_b32_e64 v38, v38, v14, s[30:31]
	v_cndmask_b32_e64 v38, v38, v15, s[34:35]
	ds_bpermute_b32 v38, v71, v38
	s_waitcnt lgkmcnt(0)
	v_cndmask_b32_e32 v1, v1, v38, vcc
	v_cmp_eq_u32_e32 vcc, 0, v53
	v_cndmask_b32_e64 v15, v15, v38, s[34:35]
	v_cndmask_b32_e64 v14, v14, v38, s[30:31]
	v_cndmask_b32_e32 v0, v0, v38, vcc
	v_cmp_eq_u32_e32 vcc, 1, v54
	v_cndmask_b32_e64 v13, v13, v38, s[28:29]
	v_cndmask_b32_e64 v12, v12, v38, s[26:27]
	v_cndmask_b32_e64 v11, v11, v38, s[24:25]
	v_cndmask_b32_e64 v10, v10, v38, s[22:23]
	v_cndmask_b32_e64 v9, v9, v38, s[20:21]
	v_cndmask_b32_e64 v8, v8, v38, s[18:19]
	v_cndmask_b32_e64 v7, v7, v38, s[16:17]
	v_cndmask_b32_e64 v6, v6, v38, s[14:15]
	v_cndmask_b32_e64 v5, v5, v38, s[12:13]
	v_cndmask_b32_e64 v4, v4, v38, s[10:11]
	v_cndmask_b32_e64 v3, v3, v38, s[8:9]
	v_cndmask_b32_e64 v2, v2, v38, s[6:7]
	v_cndmask_b32_e32 v38, v0, v1, vcc
	v_cmp_eq_u32_e64 s[6:7], 2, v54
	v_cmp_eq_u32_e64 s[8:9], 3, v54
	v_cmp_eq_u32_e64 s[10:11], 4, v54
	v_cndmask_b32_e64 v38, v38, v2, s[6:7]
	v_cndmask_b32_e64 v38, v38, v3, s[8:9]
	v_cndmask_b32_e64 v38, v38, v4, s[10:11]
	v_cmp_eq_u32_e64 s[12:13], 5, v54
	v_cmp_eq_u32_e64 s[14:15], 6, v54
	v_cmp_eq_u32_e64 s[16:17], 7, v54
	v_cndmask_b32_e64 v38, v38, v5, s[12:13]
	v_cndmask_b32_e64 v38, v38, v6, s[14:15]
	v_cndmask_b32_e64 v38, v38, v7, s[16:17]
	v_cmp_eq_u32_e64 s[18:19], 8, v54
	v_cmp_eq_u32_e64 s[20:21], 9, v54
	v_cmp_eq_u32_e64 s[22:23], 10, v54
	v_cndmask_b32_e64 v38, v38, v8, s[18:19]
	v_cndmask_b32_e64 v38, v38, v9, s[20:21]
	v_cndmask_b32_e64 v38, v38, v10, s[22:23]
	v_cmp_eq_u32_e64 s[24:25], 11, v54
	v_cmp_eq_u32_e64 s[26:27], 12, v54
	v_cmp_eq_u32_e64 s[28:29], 13, v54
	v_cndmask_b32_e64 v38, v38, v11, s[24:25]
	v_cndmask_b32_e64 v38, v38, v12, s[26:27]
	v_cndmask_b32_e64 v38, v38, v13, s[28:29]
	v_cmp_eq_u32_e64 s[30:31], 14, v54
	;; [unrolled: 50-line block ×4, first 2 shown]
	v_cmp_eq_u32_e64 s[34:35], 15, v56
	s_nop 0
	v_cndmask_b32_e64 v38, v38, v14, s[30:31]
	v_cndmask_b32_e64 v38, v38, v15, s[34:35]
	ds_bpermute_b32 v38, v71, v38
	s_waitcnt lgkmcnt(0)
	v_cndmask_b32_e32 v1, v1, v38, vcc
	v_cmp_eq_u32_e32 vcc, 0, v56
	v_cndmask_b32_e64 v15, v15, v38, s[34:35]
	v_cndmask_b32_e64 v14, v14, v38, s[30:31]
	;; [unrolled: 1-line block ×14, first 2 shown]
	v_cndmask_b32_e32 v38, v0, v38, vcc
	v_cmp_eq_u32_e32 vcc, 1, v57
	v_cmp_eq_u32_e64 s[6:7], 2, v57
	v_cmp_eq_u32_e64 s[8:9], 3, v57
	v_cndmask_b32_e32 v0, v38, v1, vcc
	v_cndmask_b32_e64 v0, v0, v74, s[6:7]
	v_cndmask_b32_e64 v0, v0, v73, s[8:9]
	v_cmp_eq_u32_e64 s[10:11], 4, v57
	v_cmp_eq_u32_e64 s[12:13], 5, v57
	v_cmp_eq_u32_e64 s[14:15], 6, v57
	v_cndmask_b32_e64 v0, v0, v45, s[10:11]
	v_cndmask_b32_e64 v0, v0, v44, s[12:13]
	v_cndmask_b32_e64 v0, v0, v43, s[14:15]
	v_cmp_eq_u32_e64 s[16:17], 7, v57
	v_cmp_eq_u32_e64 s[18:19], 8, v57
	v_cmp_eq_u32_e64 s[20:21], 9, v57
	v_cndmask_b32_e64 v0, v0, v42, s[16:17]
	;; [unrolled: 6-line block ×4, first 2 shown]
	v_cndmask_b32_e64 v0, v0, v14, s[30:31]
	v_cndmask_b32_e64 v0, v0, v15, s[34:35]
	ds_bpermute_b32 v75, v71, v0
	s_waitcnt lgkmcnt(0)
	v_cndmask_b32_e32 v0, v1, v75, vcc
	v_cmp_eq_u32_e32 vcc, 0, v57
	v_cndmask_b32_e64 v4, v15, v75, s[34:35]
	v_cndmask_b32_e64 v15, v74, v75, s[6:7]
	v_cndmask_b32_e32 v1, v38, v75, vcc
	v_cmp_eq_u32_e32 vcc, 1, v58
	v_cndmask_b32_e64 v5, v14, v75, s[30:31]
	v_cndmask_b32_e64 v14, v73, v75, s[8:9]
	;; [unrolled: 4-line block ×7, first 2 shown]
	v_cndmask_b32_e32 v38, v38, v13, vcc
	v_cmp_eq_u32_e32 vcc, 7, v58
	s_nop 1
	v_cndmask_b32_e32 v38, v38, v12, vcc
	v_cmp_eq_u32_e32 vcc, 8, v58
	s_nop 1
	;; [unrolled: 3-line block ×9, first 2 shown]
	v_cndmask_b32_e32 v38, v38, v4, vcc
	ds_bpermute_b32 v38, v71, v38
	v_cmp_lt_i32_e32 vcc, s75, v59
	s_and_saveexec_b64 s[60:61], vcc
	s_cbranch_execz .LBB10_29
; %bb.21:                               ;   in Loop: Header=BB10_7 Depth=1
	s_mul_i32 s6, s73, s37
	s_ashr_i32 s7, s6, 31
	s_lshl_b64 s[6:7], s[6:7], 1
	v_cmp_eq_u32_e64 s[30:31], 1, v58
	s_add_u32 s8, s48, s6
	s_addc_u32 s9, s49, s7
	s_waitcnt lgkmcnt(0)
	v_cndmask_b32_e64 v0, v0, v38, s[30:31]
	v_cmp_eq_u32_e64 s[30:31], 0, v58
	s_ashr_i32 s55, s54, 31
	s_lshl_b64 s[6:7], s[54:55], 1
	v_cndmask_b32_e64 v1, v1, v38, s[30:31]
	v_cvt_f16_f32_e32 v39, v1
	v_cvt_f16_f32_sdwa v41, v0 dst_sel:WORD_1 dst_unused:UNUSED_PAD src0_sel:DWORD
	s_add_u32 s34, s8, s6
	s_addc_u32 s35, s9, s7
	v_cmp_eq_u32_e64 s[8:9], 15, v58
	v_cmp_eq_u32_e64 s[10:11], 14, v58
	v_cmp_eq_u32_e64 s[12:13], 13, v58
	v_cmp_eq_u32_e64 s[14:15], 12, v58
	v_cmp_eq_u32_e64 s[16:17], 11, v58
	v_cmp_eq_u32_e64 s[18:19], 10, v58
	v_cmp_eq_u32_e64 s[20:21], 9, v58
	v_cmp_eq_u32_e64 s[22:23], 8, v58
	v_cmp_eq_u32_e64 s[24:25], 7, v58
	v_cmp_eq_u32_e64 s[26:27], 6, v58
	v_cmp_eq_u32_e32 vcc, 5, v58
	v_cmp_eq_u32_e64 s[6:7], 4, v58
	v_cmp_eq_u32_e64 s[28:29], 3, v58
	;; [unrolled: 1-line block ×3, first 2 shown]
	v_lshl_add_u64 v[0:1], s[34:35], 0, v[16:17]
	v_cmp_lt_i32_e64 s[34:35], s75, v60
	v_lshl_add_u64 v[42:43], v[18:19], 1, v[0:1]
	v_or_b32_e32 v39, v41, v39
	;;#ASMSTART
	global_atomic_pk_add_f16 v[42:43], v39, off
	
	;;#ASMEND
	s_and_b64 exec, exec, s[34:35]
	s_cbranch_execz .LBB10_29
; %bb.22:                               ;   in Loop: Header=BB10_7 Depth=1
	v_cndmask_b32_e64 v14, v14, v38, s[28:29]
	v_cndmask_b32_e64 v15, v15, v38, s[30:31]
	v_cvt_f16_f32_e32 v39, v15
	v_cvt_f16_f32_sdwa v41, v14 dst_sel:WORD_1 dst_unused:UNUSED_PAD src0_sel:DWORD
	v_cndmask_b32_e64 v4, v4, v38, s[8:9]
	v_cndmask_b32_e64 v5, v5, v38, s[10:11]
	;; [unrolled: 1-line block ×10, first 2 shown]
	v_cndmask_b32_e32 v2, v2, v38, vcc
	v_cndmask_b32_e64 v3, v3, v38, s[6:7]
	v_cmp_lt_i32_e32 vcc, s75, v61
	v_lshl_add_u64 v[14:15], v[20:21], 1, v[0:1]
	v_or_b32_e32 v38, v41, v39
	;;#ASMSTART
	global_atomic_pk_add_f16 v[14:15], v38, off
	
	;;#ASMEND
	s_and_b64 exec, exec, vcc
	s_cbranch_execz .LBB10_29
; %bb.23:                               ;   in Loop: Header=BB10_7 Depth=1
	v_cvt_f16_f32_e32 v14, v3
	v_cvt_f16_f32_sdwa v15, v2 dst_sel:WORD_1 dst_unused:UNUSED_PAD src0_sel:DWORD
	v_cmp_lt_i32_e32 vcc, s75, v62
	v_lshl_add_u64 v[2:3], v[22:23], 1, v[0:1]
	v_or_b32_e32 v14, v15, v14
	;;#ASMSTART
	global_atomic_pk_add_f16 v[2:3], v14, off
	
	;;#ASMEND
	s_and_b64 exec, exec, vcc
	s_cbranch_execz .LBB10_29
; %bb.24:                               ;   in Loop: Header=BB10_7 Depth=1
	v_cvt_f16_f32_e32 v13, v13
	v_cvt_f16_f32_sdwa v12, v12 dst_sel:WORD_1 dst_unused:UNUSED_PAD src0_sel:DWORD
	;; [unrolled: 12-line block ×6, first 2 shown]
	v_lshl_add_u64 v[0:1], v[32:33], 1, v[0:1]
	v_or_b32_e32 v2, v3, v2
	;;#ASMSTART
	global_atomic_pk_add_f16 v[0:1], v2, off
	
	;;#ASMEND
.LBB10_29:                              ;   in Loop: Header=BB10_7 Depth=1
	s_or_b64 exec, exec, s[60:61]
	v_subrev_u32_e32 v72, s72, v72
.LBB10_30:                              ;   in Loop: Header=BB10_7 Depth=1
	s_or_b64 exec, exec, s[58:59]
.LBB10_31:                              ;   in Loop: Header=BB10_7 Depth=1
	s_andn2_saveexec_b64 s[6:7], s[56:57]
	s_cbranch_execz .LBB10_40
; %bb.32:                               ;   in Loop: Header=BB10_7 Depth=1
	v_cmp_gt_i32_e32 vcc, s72, v72
	s_and_saveexec_b64 s[8:9], vcc
	s_cbranch_execz .LBB10_39
; %bb.33:                               ;   in Loop: Header=BB10_7 Depth=1
	s_mul_i32 s10, s54, s39
	s_ashr_i32 s11, s10, 31
	s_waitcnt lgkmcnt(0)
	s_add_u32 s10, s46, s10
	s_addc_u32 s11, s47, s11
	s_ashr_i32 s12, s74, 31
	s_add_u32 s10, s10, s74
	s_addc_u32 s11, s11, s12
	v_lshl_add_u64 v[0:1], s[10:11], 0, v[36:37]
	v_lshl_add_u64 v[8:9], v[0:1], 0, v[34:35]
	s_mov_b64 s[10:11], 0
	s_branch .LBB10_35
.LBB10_34:                              ;   in Loop: Header=BB10_35 Depth=2
	s_or_b64 exec, exec, s[12:13]
	v_lshl_add_u32 v12, v10, 11, v67
	;;#ASMSTART
	s_waitcnt vmcnt(1)
	;;#ASMEND
	ds_write2_b32 v12, v4, v5 offset1:32
	ds_write2_b32 v12, v6, v7 offset0:64 offset1:96
	v_add_u32_e32 v4, 0x400, v12
	v_add_u32_e32 v72, s42, v72
	;;#ASMSTART
	s_waitcnt vmcnt(0)
	;;#ASMEND
	ds_write2_b32 v4, v0, v1 offset1:32
	ds_write2_b32 v4, v2, v3 offset0:64 offset1:96
	v_add_u32_e32 v0, 1, v47
	v_add_u32_e32 v40, s42, v10
	v_cmp_le_i32_e32 vcc, s72, v72
	ds_write_b32 v11, v0 offset:8
	v_add_u32_e32 v0, 2, v47
	s_or_b64 s[10:11], vcc, s[10:11]
	v_cmp_lt_i32_e32 vcc, 1, v40
	s_nop 1
	v_cndmask_b32_e32 v47, v47, v0, vcc
	s_andn2_b64 exec, exec, s[10:11]
	s_cbranch_execz .LBB10_38
.LBB10_35:                              ;   Parent Loop BB10_7 Depth=1
                                        ; =>  This Loop Header: Depth=2
                                        ;       Child Loop BB10_37 Depth 3
	v_cmp_gt_i32_e32 vcc, 2, v40
	s_nop 1
	v_cndmask_b32_e64 v0, -2, 0, vcc
	v_add_u32_e32 v10, v0, v40
	v_lshlrev_b32_e32 v0, 6, v72
	v_ashrrev_i32_e32 v1, 31, v0
	v_lshl_add_u64 v[0:1], v[8:9], 0, v[0:1]
	v_lshlrev_b32_e32 v11, 2, v10
	;;#ASMSTART
	global_load_dwordx4 v[4:7], v[0:1], off offset:0   sc0 sc1 nt  
	global_load_dwordx4 v[0:3], v[0:1], off offset:32  sc0 sc1 nt  
	
	;;#ASMEND
	ds_read_b32 v12, v11 offset:8200
	v_add_u32_e32 v11, 0x2000, v11
	s_waitcnt lgkmcnt(0)
	v_cmp_ne_u32_e32 vcc, v12, v47
	s_and_saveexec_b64 s[12:13], vcc
	s_cbranch_execz .LBB10_34
; %bb.36:                               ;   in Loop: Header=BB10_35 Depth=2
	s_mov_b64 s[14:15], 0
.LBB10_37:                              ;   Parent Loop BB10_7 Depth=1
                                        ;     Parent Loop BB10_35 Depth=2
                                        ; =>    This Inner Loop Header: Depth=3
	;;#ASMSTART
	s_sleep 0
	;;#ASMEND
	ds_read_b32 v12, v11 offset:8
	s_waitcnt lgkmcnt(0)
	v_cmp_eq_u32_e32 vcc, v12, v47
	s_or_b64 s[14:15], vcc, s[14:15]
	s_andn2_b64 exec, exec, s[14:15]
	s_cbranch_execnz .LBB10_37
	s_branch .LBB10_34
.LBB10_38:                              ;   in Loop: Header=BB10_7 Depth=1
	s_or_b64 exec, exec, s[10:11]
.LBB10_39:                              ;   in Loop: Header=BB10_7 Depth=1
	s_or_b64 exec, exec, s[8:9]
	v_subrev_u32_e32 v72, s72, v72
.LBB10_40:                              ;   in Loop: Header=BB10_7 Depth=1
	s_or_b64 exec, exec, s[6:7]
.LBB10_41:                              ;   in Loop: Header=BB10_7 Depth=1
	s_andn2_saveexec_b64 s[6:7], s[52:53]
	s_cbranch_execz .LBB10_6
; %bb.42:                               ;   in Loop: Header=BB10_7 Depth=1
	v_cmp_gt_i32_e32 vcc, s72, v72
	s_and_saveexec_b64 s[8:9], vcc
	s_cbranch_execz .LBB10_5
; %bb.43:                               ;   in Loop: Header=BB10_7 Depth=1
	s_mul_i32 s73, s73, s38
	s_ashr_i32 s10, s73, 31
	s_waitcnt lgkmcnt(0)
	s_add_u32 s11, s44, s73
	s_addc_u32 s12, s45, s10
	s_ashr_i32 s13, s74, 31
	v_cmp_le_i32_e32 vcc, s75, v68
	s_add_u32 s10, s11, s74
	s_addc_u32 s11, s12, s13
	v_cndmask_b32_e32 v0, 0, v69, vcc
	v_ashrrev_i32_e32 v1, 31, v0
	v_lshl_add_u64 v[0:1], s[10:11], 0, v[0:1]
	v_lshl_add_u64 v[8:9], v[0:1], 0, v[34:35]
	s_mov_b64 s[10:11], 0
	s_branch .LBB10_45
.LBB10_44:                              ;   in Loop: Header=BB10_45 Depth=2
	s_or_b64 exec, exec, s[12:13]
	v_lshl_or_b32 v12, v10, 11, v70
	;;#ASMSTART
	s_waitcnt vmcnt(1)
	;;#ASMEND
	ds_write2_b32 v12, v4, v5 offset1:32
	ds_write2_b32 v12, v6, v7 offset0:64 offset1:96
	v_add_u32_e32 v4, 0x400, v12
	v_add_u32_e32 v72, s41, v72
	;;#ASMSTART
	s_waitcnt vmcnt(0)
	;;#ASMEND
	ds_write2_b32 v4, v0, v1 offset1:32
	ds_write2_b32 v4, v2, v3 offset0:64 offset1:96
	v_add_u32_e32 v0, 1, v47
	v_add_u32_e32 v40, s41, v10
	v_cmp_le_i32_e32 vcc, s72, v72
	ds_write_b32 v11, v0
	v_add_u32_e32 v0, 2, v47
	s_or_b64 s[10:11], vcc, s[10:11]
	v_cmp_lt_i32_e32 vcc, 1, v40
	s_nop 1
	v_cndmask_b32_e32 v47, v47, v0, vcc
	s_andn2_b64 exec, exec, s[10:11]
	s_cbranch_execz .LBB10_4
.LBB10_45:                              ;   Parent Loop BB10_7 Depth=1
                                        ; =>  This Loop Header: Depth=2
                                        ;       Child Loop BB10_47 Depth 3
	v_cmp_gt_i32_e32 vcc, 2, v40
	s_nop 1
	v_cndmask_b32_e64 v0, -2, 0, vcc
	v_add_u32_e32 v10, v0, v40
	v_lshlrev_b32_e32 v0, 6, v72
	v_ashrrev_i32_e32 v1, 31, v0
	v_lshl_add_u64 v[0:1], v[8:9], 0, v[0:1]
	v_lshlrev_b32_e32 v11, 2, v10
	;;#ASMSTART
	global_load_dwordx4 v[4:7], v[0:1], off offset:0   
	global_load_dwordx4 v[0:3], v[0:1], off offset:32  
	
	;;#ASMEND
	ds_read_b32 v12, v11 offset:8192
	v_add_u32_e32 v11, 0x2000, v11
	s_waitcnt lgkmcnt(0)
	v_cmp_ne_u32_e32 vcc, v12, v47
	s_and_saveexec_b64 s[12:13], vcc
	s_cbranch_execz .LBB10_44
; %bb.46:                               ;   in Loop: Header=BB10_45 Depth=2
	s_mov_b64 s[14:15], 0
.LBB10_47:                              ;   Parent Loop BB10_7 Depth=1
                                        ;     Parent Loop BB10_45 Depth=2
                                        ; =>    This Inner Loop Header: Depth=3
	;;#ASMSTART
	s_sleep 0
	;;#ASMEND
	ds_read_b32 v12, v11
	s_waitcnt lgkmcnt(0)
	v_cmp_eq_u32_e32 vcc, v12, v47
	s_or_b64 s[14:15], vcc, s[14:15]
	s_andn2_b64 exec, exec, s[14:15]
	s_cbranch_execnz .LBB10_47
	s_branch .LBB10_44
.LBB10_48:
	s_endpgm
	.section	.rodata,"a",@progbits
	.p2align	6, 0x0
	.amdhsa_kernel _Z19_skinny_gemm_kernelILi1ELi1ELi2ELi32ELi4EEvPKhS1_P6__halfPKfiiiiiiii
		.amdhsa_group_segment_fixed_size 8208
		.amdhsa_private_segment_fixed_size 0
		.amdhsa_kernarg_size 64
		.amdhsa_user_sgpr_count 2
		.amdhsa_user_sgpr_dispatch_ptr 0
		.amdhsa_user_sgpr_queue_ptr 0
		.amdhsa_user_sgpr_kernarg_segment_ptr 1
		.amdhsa_user_sgpr_dispatch_id 0
		.amdhsa_user_sgpr_kernarg_preload_length 0
		.amdhsa_user_sgpr_kernarg_preload_offset 0
		.amdhsa_user_sgpr_private_segment_size 0
		.amdhsa_uses_dynamic_stack 0
		.amdhsa_enable_private_segment 0
		.amdhsa_system_sgpr_workgroup_id_x 1
		.amdhsa_system_sgpr_workgroup_id_y 0
		.amdhsa_system_sgpr_workgroup_id_z 0
		.amdhsa_system_sgpr_workgroup_info 0
		.amdhsa_system_vgpr_workitem_id 0
		.amdhsa_next_free_vgpr 80
		.amdhsa_next_free_sgpr 76
		.amdhsa_accum_offset 80
		.amdhsa_reserve_vcc 1
		.amdhsa_float_round_mode_32 0
		.amdhsa_float_round_mode_16_64 0
		.amdhsa_float_denorm_mode_32 3
		.amdhsa_float_denorm_mode_16_64 3
		.amdhsa_dx10_clamp 1
		.amdhsa_ieee_mode 1
		.amdhsa_fp16_overflow 0
		.amdhsa_tg_split 0
		.amdhsa_exception_fp_ieee_invalid_op 0
		.amdhsa_exception_fp_denorm_src 0
		.amdhsa_exception_fp_ieee_div_zero 0
		.amdhsa_exception_fp_ieee_overflow 0
		.amdhsa_exception_fp_ieee_underflow 0
		.amdhsa_exception_fp_ieee_inexact 0
		.amdhsa_exception_int_div_zero 0
	.end_amdhsa_kernel
	.section	.text._Z19_skinny_gemm_kernelILi1ELi1ELi2ELi32ELi4EEvPKhS1_P6__halfPKfiiiiiiii,"axG",@progbits,_Z19_skinny_gemm_kernelILi1ELi1ELi2ELi32ELi4EEvPKhS1_P6__halfPKfiiiiiiii,comdat
.Lfunc_end10:
	.size	_Z19_skinny_gemm_kernelILi1ELi1ELi2ELi32ELi4EEvPKhS1_P6__halfPKfiiiiiiii, .Lfunc_end10-_Z19_skinny_gemm_kernelILi1ELi1ELi2ELi32ELi4EEvPKhS1_P6__halfPKfiiiiiiii
                                        ; -- End function
	.set _Z19_skinny_gemm_kernelILi1ELi1ELi2ELi32ELi4EEvPKhS1_P6__halfPKfiiiiiiii.num_vgpr, 80
	.set _Z19_skinny_gemm_kernelILi1ELi1ELi2ELi32ELi4EEvPKhS1_P6__halfPKfiiiiiiii.num_agpr, 0
	.set _Z19_skinny_gemm_kernelILi1ELi1ELi2ELi32ELi4EEvPKhS1_P6__halfPKfiiiiiiii.numbered_sgpr, 76
	.set _Z19_skinny_gemm_kernelILi1ELi1ELi2ELi32ELi4EEvPKhS1_P6__halfPKfiiiiiiii.num_named_barrier, 0
	.set _Z19_skinny_gemm_kernelILi1ELi1ELi2ELi32ELi4EEvPKhS1_P6__halfPKfiiiiiiii.private_seg_size, 0
	.set _Z19_skinny_gemm_kernelILi1ELi1ELi2ELi32ELi4EEvPKhS1_P6__halfPKfiiiiiiii.uses_vcc, 1
	.set _Z19_skinny_gemm_kernelILi1ELi1ELi2ELi32ELi4EEvPKhS1_P6__halfPKfiiiiiiii.uses_flat_scratch, 0
	.set _Z19_skinny_gemm_kernelILi1ELi1ELi2ELi32ELi4EEvPKhS1_P6__halfPKfiiiiiiii.has_dyn_sized_stack, 0
	.set _Z19_skinny_gemm_kernelILi1ELi1ELi2ELi32ELi4EEvPKhS1_P6__halfPKfiiiiiiii.has_recursion, 0
	.set _Z19_skinny_gemm_kernelILi1ELi1ELi2ELi32ELi4EEvPKhS1_P6__halfPKfiiiiiiii.has_indirect_call, 0
	.section	.AMDGPU.csdata,"",@progbits
; Kernel info:
; codeLenInByte = 5972
; TotalNumSgprs: 82
; NumVgprs: 80
; NumAgprs: 0
; TotalNumVgprs: 80
; ScratchSize: 0
; MemoryBound: 0
; FloatMode: 240
; IeeeMode: 1
; LDSByteSize: 8208 bytes/workgroup (compile time only)
; SGPRBlocks: 10
; VGPRBlocks: 9
; NumSGPRsForWavesPerEU: 82
; NumVGPRsForWavesPerEU: 80
; AccumOffset: 80
; Occupancy: 6
; WaveLimiterHint : 0
; COMPUTE_PGM_RSRC2:SCRATCH_EN: 0
; COMPUTE_PGM_RSRC2:USER_SGPR: 2
; COMPUTE_PGM_RSRC2:TRAP_HANDLER: 0
; COMPUTE_PGM_RSRC2:TGID_X_EN: 1
; COMPUTE_PGM_RSRC2:TGID_Y_EN: 0
; COMPUTE_PGM_RSRC2:TGID_Z_EN: 0
; COMPUTE_PGM_RSRC2:TIDIG_COMP_CNT: 0
; COMPUTE_PGM_RSRC3_GFX90A:ACCUM_OFFSET: 19
; COMPUTE_PGM_RSRC3_GFX90A:TG_SPLIT: 0
	.section	.text._Z19_skinny_gemm_kernelILi1ELi1ELi2ELi32ELi8EEvPKhS1_P6__halfPKfiiiiiiii,"axG",@progbits,_Z19_skinny_gemm_kernelILi1ELi1ELi2ELi32ELi8EEvPKhS1_P6__halfPKfiiiiiiii,comdat
	.protected	_Z19_skinny_gemm_kernelILi1ELi1ELi2ELi32ELi8EEvPKhS1_P6__halfPKfiiiiiiii ; -- Begin function _Z19_skinny_gemm_kernelILi1ELi1ELi2ELi32ELi8EEvPKhS1_P6__halfPKfiiiiiiii
	.globl	_Z19_skinny_gemm_kernelILi1ELi1ELi2ELi32ELi8EEvPKhS1_P6__halfPKfiiiiiiii
	.p2align	8
	.type	_Z19_skinny_gemm_kernelILi1ELi1ELi2ELi32ELi8EEvPKhS1_P6__halfPKfiiiiiiii,@function
_Z19_skinny_gemm_kernelILi1ELi1ELi2ELi32ELi8EEvPKhS1_P6__halfPKfiiiiiiii: ; @_Z19_skinny_gemm_kernelILi1ELi1ELi2ELi32ELi8EEvPKhS1_P6__halfPKfiiiiiiii
; %bb.0:
	v_cmp_gt_u32_e32 vcc, 4, v0
	s_and_saveexec_b64 s[4:5], vcc
; %bb.1:
	v_lshlrev_b32_e32 v1, 2, v0
	v_mov_b32_e32 v2, 0
	ds_write_b32 v1, v2 offset:16384
; %bb.2:
	s_or_b64 exec, exec, s[4:5]
	s_load_dwordx8 s[36:43], s[0:1], 0x20
	s_waitcnt lgkmcnt(0)
	s_barrier
	s_add_i32 s3, s36, 31
	s_ashr_i32 s5, s3, 31
	s_add_i32 s4, s37, 31
	s_lshr_b32 s5, s5, 27
	s_ashr_i32 s6, s4, 31
	s_add_i32 s3, s3, s5
	s_ashr_i32 s33, s3, 5
	s_lshr_b32 s3, s6, 27
	s_add_i32 s4, s4, s3
	s_ashr_i32 s62, s4, 5
	s_mul_i32 s3, s62, s33
	s_mul_i32 s3, s3, s40
	s_add_i32 s4, s3, 0x12f
	s_mul_hi_i32 s4, s4, 0x6bca1af3
	s_lshr_b32 s5, s4, 31
	s_ashr_i32 s4, s4, 7
	s_add_i32 s4, s4, s5
	s_add_i32 s5, s2, 1
	s_mul_i32 s5, s4, s5
	v_cvt_f64_i32_e32 v[2:3], s3
	v_cvt_f64_u32_e32 v[4:5], s5
	v_min_f64 v[2:3], v[2:3], v[4:5]
	v_cvt_i32_f64_e32 v54, v[2:3]
	s_mul_i32 s63, s4, s2
	v_cmp_ge_i32_e32 vcc, s63, v54
	s_cbranch_vccnz .LBB11_48
; %bb.3:
	v_lshrrev_b32_e32 v1, 6, v0
	s_add_i32 s4, s42, s41
	s_load_dwordx8 s[44:51], s[0:1], 0x0
	v_cmp_le_i32_e64 s[0:1], s4, v1
	v_mov_b32_e32 v2, s41
	v_cmp_le_i32_e64 s[2:3], s41, v1
	v_mov_b32_e32 v3, s42
	v_cndmask_b32_e64 v3, 0, v3, s[0:1]
	v_cndmask_b32_e64 v2, 0, v2, s[2:3]
	s_abs_i32 s5, s40
	v_add_u32_e32 v2, v2, v3
	v_cvt_f32_u32_e32 v3, s5
	v_sub_u32_e32 v40, v1, v2
	s_ashr_i32 s6, s38, 31
	s_lshr_b32 s6, s6, 25
	v_rcp_iflag_f32_e32 v2, v3
	s_sub_i32 s9, 0, s5
	s_add_i32 s6, s38, s6
	s_ashr_i32 s6, s6, 7
	v_mul_f32_e32 v2, 0x4f7ffffe, v2
	v_cvt_u32_f32_e32 v2, v2
	s_abs_i32 s8, s6
	s_xor_b32 s7, s6, s40
	s_ashr_i32 s7, s7, 31
	v_readfirstlane_b32 s10, v2
	s_mul_i32 s9, s9, s10
	s_mul_hi_u32 s9, s10, s9
	s_add_i32 s10, s10, s9
	s_mul_hi_u32 s9, s8, s10
	s_mul_i32 s10, s9, s5
	s_sub_i32 s8, s8, s10
	s_add_i32 s10, s9, 1
	s_sub_i32 s11, s8, s5
	s_cmp_ge_u32 s8, s5
	s_cselect_b32 s9, s10, s9
	s_cselect_b32 s8, s11, s8
	s_add_i32 s10, s9, 1
	s_cmp_ge_u32 s8, s5
	s_cselect_b32 s5, s10, s9
	s_xor_b32 s5, s5, s7
	s_sub_i32 s64, s5, s7
	s_add_i32 s40, s40, -1
	s_mul_i32 s5, s64, s40
	s_add_i32 s4, s4, s43
	v_and_b32_e32 v56, 31, v0
	v_lshrrev_b32_e32 v2, 3, v0
	s_sub_i32 s65, s6, s5
	v_cmp_gt_i32_e64 s[4:5], s4, v1
	v_lshlrev_b32_e32 v1, 2, v56
	v_and_b32_e32 v3, 4, v2
	v_and_b32_e32 v5, 1, v0
	v_lshlrev_b32_e32 v2, 6, v3
	v_or_b32_e32 v4, 0x2000, v1
	v_or_b32_e32 v3, v3, v5
	v_or_b32_e32 v57, v1, v2
	v_or_b32_e32 v58, v4, v2
	v_lshlrev_b32_e32 v2, 1, v5
	v_or_b32_e32 v5, 2, v3
	v_sub_u32_e32 v68, 32, v5
	v_or_b32_e32 v5, 8, v3
	v_sub_u32_e32 v69, 32, v5
	v_or_b32_e32 v5, 10, v3
	v_sub_u32_e32 v70, 32, v5
	v_or_b32_e32 v5, 16, v3
	v_sub_u32_e32 v71, 32, v5
	v_or_b32_e32 v5, 18, v3
	v_sub_u32_e32 v67, 32, v3
	v_mul_lo_u32 v18, s37, v3
	v_sub_u32_e32 v72, 32, v5
	v_or_b32_e32 v5, 24, v3
	v_or_b32_e32 v3, 26, v3
	v_sub_u32_e32 v74, 32, v3
	v_lshrrev_b32_e32 v3, 1, v0
	s_abs_i32 s66, s33
	v_and_b32_e32 v34, 16, v3
	v_cvt_f32_u32_e32 v3, s66
	v_sub_u32_e32 v73, 32, v5
	v_lshlrev_b32_e32 v5, 4, v0
	v_and_b32_e32 v5, 0x200, v5
	v_rcp_iflag_f32_e32 v3, v3
	s_abs_i32 s67, s62
	v_or_b32_e32 v78, v1, v5
	v_cvt_f32_u32_e32 v1, s67
	v_sub_u32_e32 v2, v0, v2
	v_add_u32_e32 v2, 1, v2
	s_lshl_b32 s6, s37, 1
	v_and_b32_e32 v6, 63, v2
	v_bitop3_b32 v59, v0, 1, v0 bitop3:0xc
	v_bitop3_b32 v60, v0, 3, 1 bitop3:0x6c
	;; [unrolled: 1-line block ×8, first 2 shown]
	v_and_b32_e32 v2, 30, v0
	v_add_u32_e32 v20, s6, v18
	s_mul_i32 s7, s37, 6
	v_bitop3_b32 v76, v0, 31, v0 bitop3:0xc
	v_mul_f32_e32 v0, 0x4f7ffffe, v3
	v_add_u32_e32 v22, s7, v20
	v_cvt_u32_f32_e32 v0, v0
	v_rcp_iflag_f32_e32 v1, v1
	v_add_u32_e32 v24, s6, v22
	v_add_u32_e32 v26, s7, v24
	;; [unrolled: 1-line block ×4, first 2 shown]
	v_readfirstlane_b32 s7, v0
	v_mul_f32_e32 v0, 0x4f7ffffe, v1
	v_cvt_u32_f32_e32 v0, v0
	v_add_u32_e32 v32, s6, v30
	s_sub_i32 s6, 0, s66
	s_mul_i32 s6, s6, s7
	s_mul_hi_u32 s6, s7, s6
	s_add_i32 s69, s7, s6
	s_sub_i32 s6, 0, s67
	v_readfirstlane_b32 s7, v0
	v_mbcnt_lo_u32_b32 v0, -1, 0
	s_mul_i32 s6, s6, s7
	v_mbcnt_hi_u32_b32 v0, -1, v0
	v_mov_b32_e32 v17, 0
	v_mul_lo_u32 v36, s39, v56
	s_mul_hi_u32 s6, s7, s6
	v_and_or_b32 v0, v0, 64, v6
	v_cndmask_b32_e64 v55, 0, 1, s[0:1]
	v_ashrrev_i32_e32 v19, 31, v18
	v_ashrrev_i32_e32 v21, 31, v20
	;; [unrolled: 1-line block ×9, first 2 shown]
	v_mov_b32_e32 v35, v17
	v_or_b32_e32 v75, v4, v5
	v_mul_lo_u32 v77, s38, v56
	s_ashr_i32 s68, s33, 31
	s_ashr_i32 s70, s62, 31
	s_add_i32 s71, s7, s6
	v_lshlrev_b32_e32 v16, 1, v2
	v_lshlrev_b32_e32 v79, 2, v0
	v_mov_b32_e32 v80, v40
	s_branch .LBB11_7
.LBB11_4:                               ;   in Loop: Header=BB11_7 Depth=1
	s_or_b64 exec, exec, s[10:11]
.LBB11_5:                               ;   in Loop: Header=BB11_7 Depth=1
	s_or_b64 exec, exec, s[8:9]
	v_subrev_u32_e32 v80, s72, v80
.LBB11_6:                               ;   in Loop: Header=BB11_7 Depth=1
	s_or_b64 exec, exec, s[6:7]
	s_add_i32 s63, s63, 1
	v_cmp_ge_i32_e32 vcc, s63, v54
	s_cbranch_vccnz .LBB11_48
.LBB11_7:                               ; =>This Loop Header: Depth=1
                                        ;     Child Loop BB11_13 Depth 2
                                        ;       Child Loop BB11_15 Depth 3
                                        ;       Child Loop BB11_18 Depth 3
                                        ;     Child Loop BB11_35 Depth 2
                                        ;       Child Loop BB11_37 Depth 3
                                        ;     Child Loop BB11_45 Depth 2
                                        ;       Child Loop BB11_47 Depth 3
	s_abs_i32 s7, s63
	s_mul_hi_u32 s8, s7, s69
	s_mul_i32 s9, s8, s66
	s_ashr_i32 s6, s63, 31
	s_sub_i32 s7, s7, s9
	s_xor_b32 s6, s6, s68
	s_add_i32 s9, s8, 1
	s_sub_i32 s10, s7, s66
	s_cmp_ge_u32 s7, s66
	s_cselect_b32 s8, s9, s8
	s_cselect_b32 s7, s10, s7
	s_add_i32 s9, s8, 1
	s_cmp_ge_u32 s7, s66
	s_cselect_b32 s7, s9, s8
	s_xor_b32 s7, s7, s6
	s_sub_i32 s6, s7, s6
	s_abs_i32 s8, s6
	s_mul_i32 s7, s6, s33
	s_mul_hi_u32 s9, s8, s71
	s_sub_i32 s7, s63, s7
	s_mul_i32 s10, s9, s67
	s_lshl_b32 s73, s7, 5
	s_ashr_i32 s7, s6, 31
	s_sub_i32 s8, s8, s10
	s_xor_b32 s7, s7, s70
	s_add_i32 s10, s9, 1
	s_sub_i32 s11, s8, s67
	s_cmp_ge_u32 s8, s67
	s_cselect_b32 s9, s10, s9
	s_cselect_b32 s8, s11, s8
	s_add_i32 s10, s9, 1
	s_cmp_ge_u32 s8, s67
	s_cselect_b32 s8, s10, s9
	s_xor_b32 s8, s8, s7
	s_sub_i32 s7, s8, s7
	s_mul_i32 s8, s7, s64
	s_lshl_b32 s74, s8, 7
	s_cmp_eq_u32 s7, s40
	s_cselect_b32 s72, s65, s64
	s_sub_i32 s75, s73, s36
	s_add_i32 s75, s75, 32
	s_and_saveexec_b64 s[8:9], s[2:3]
	s_xor_b64 s[52:53], exec, s[8:9]
	s_cbranch_execz .LBB11_41
; %bb.8:                                ;   in Loop: Header=BB11_7 Depth=1
	s_mul_i32 s7, s7, s62
	s_sub_i32 s6, s6, s7
	s_lshl_b32 s6, s6, 5
	s_sub_i32 s14, s6, s37
	s_add_i32 s14, s14, 32
	s_max_i32 s7, s14, 0
	s_sub_i32 s54, s6, s7
	s_and_saveexec_b64 s[6:7], s[0:1]
	s_xor_b64 s[56:57], exec, s[6:7]
	s_cbranch_execz .LBB11_31
; %bb.9:                                ;   in Loop: Header=BB11_7 Depth=1
	s_and_saveexec_b64 s[58:59], s[4:5]
	s_cbranch_execz .LBB11_30
; %bb.10:                               ;   in Loop: Header=BB11_7 Depth=1
	s_waitcnt lgkmcnt(0)
	global_load_dword v81, v17, s[50:51]
	v_mov_b32_e32 v15, 0
	v_cmp_gt_i32_e32 vcc, s72, v80
	v_mov_b32_e32 v14, v15
	v_mov_b32_e32 v13, v15
	;; [unrolled: 1-line block ×15, first 2 shown]
	s_and_saveexec_b64 s[6:7], vcc
	s_cbranch_execz .LBB11_20
; %bb.11:                               ;   in Loop: Header=BB11_7 Depth=1
	v_mov_b32_e32 v0, 0
	s_mov_b64 s[8:9], 0
	v_mov_b32_e32 v1, v0
	v_mov_b32_e32 v2, v0
	;; [unrolled: 1-line block ×15, first 2 shown]
	s_branch .LBB11_13
.LBB11_12:                              ;   in Loop: Header=BB11_13 Depth=2
	s_or_b64 exec, exec, s[10:11]
	v_add_u32_e32 v85, v58, v85
	ds_read2_b32 v[86:87], v85 offset1:32
	v_add_u32_e32 v80, s43, v80
	s_waitcnt lgkmcnt(0)
	v_mfma_f32_32x32x16_fp8_fp8 v[0:15], v[52:53], v[86:87], v[0:15]
	ds_read2_b32 v[52:53], v85 offset0:128 offset1:160
	s_waitcnt lgkmcnt(0)
	v_mfma_f32_32x32x16_fp8_fp8 v[0:15], v[50:51], v[52:53], v[0:15]
	v_add_u32_e32 v52, 0x400, v85
	ds_read2_b32 v[50:51], v52 offset1:32
	s_waitcnt lgkmcnt(0)
	v_mfma_f32_32x32x16_fp8_fp8 v[0:15], v[48:49], v[50:51], v[0:15]
	ds_read2_b32 v[48:49], v52 offset0:128 offset1:160
	s_waitcnt lgkmcnt(0)
	v_mfma_f32_32x32x16_fp8_fp8 v[0:15], v[46:47], v[48:49], v[0:15]
	v_add_u32_e32 v48, 0x800, v85
	ds_read2_b32 v[46:47], v48 offset1:32
	;; [unrolled: 7-line block ×3, first 2 shown]
	ds_read2_b32 v[44:45], v44 offset0:128 offset1:160
	ds_write_b32 v83, v84 offset:16388
	s_waitcnt lgkmcnt(2)
	v_mfma_f32_32x32x16_fp8_fp8 v[0:15], v[40:41], v[42:43], v[0:15]
	v_add_u32_e32 v40, s43, v82
	v_add_u32_e32 v41, 2, v55
	v_cmp_lt_i32_e32 vcc, 1, v40
	s_nop 1
	v_cndmask_b32_e32 v55, v55, v41, vcc
	v_cmp_le_i32_e32 vcc, s72, v80
	s_waitcnt lgkmcnt(1)
	v_mfma_f32_32x32x16_fp8_fp8 v[0:15], v[38:39], v[44:45], v[0:15]
	s_or_b64 s[8:9], vcc, s[8:9]
	s_andn2_b64 exec, exec, s[8:9]
	s_cbranch_execz .LBB11_19
.LBB11_13:                              ;   Parent Loop BB11_7 Depth=1
                                        ; =>  This Loop Header: Depth=2
                                        ;       Child Loop BB11_15 Depth 3
                                        ;       Child Loop BB11_18 Depth 3
	v_cmp_gt_i32_e32 vcc, 2, v40
	s_nop 1
	v_cndmask_b32_e64 v38, -2, 0, vcc
	v_add_u32_e32 v82, v38, v40
	v_lshlrev_b32_e32 v83, 3, v82
	ds_read_b32 v38, v83 offset:16384
	s_waitcnt lgkmcnt(0)
	v_cmp_ne_u32_e32 vcc, v38, v55
	s_and_saveexec_b64 s[10:11], vcc
	s_cbranch_execz .LBB11_16
; %bb.14:                               ;   in Loop: Header=BB11_13 Depth=2
	s_mov_b64 s[12:13], 0
.LBB11_15:                              ;   Parent Loop BB11_7 Depth=1
                                        ;     Parent Loop BB11_13 Depth=2
                                        ; =>    This Inner Loop Header: Depth=3
	;;#ASMSTART
	s_sleep 0
	;;#ASMEND
	ds_read_b32 v38, v83 offset:16384
	s_waitcnt lgkmcnt(0)
	v_cmp_eq_u32_e32 vcc, v38, v55
	s_or_b64 s[12:13], vcc, s[12:13]
	s_andn2_b64 exec, exec, s[12:13]
	s_cbranch_execnz .LBB11_15
.LBB11_16:                              ;   in Loop: Header=BB11_13 Depth=2
	s_or_b64 exec, exec, s[10:11]
	v_lshlrev_b32_e32 v85, 12, v82
	v_or_b32_e32 v38, v57, v85
	v_add_u32_e32 v39, 0x400, v38
	ds_read2_b32 v[52:53], v38 offset1:32
	ds_read2_b32 v[50:51], v38 offset0:128 offset1:160
	ds_read2_b32 v[48:49], v39 offset1:32
	ds_read2_b32 v[46:47], v39 offset0:128 offset1:160
	v_add_u32_e32 v39, 0x800, v38
	v_add_u32_e32 v38, 0xc00, v38
	ds_read2_b32 v[44:45], v39 offset1:32
	ds_read2_b32 v[42:43], v39 offset0:128 offset1:160
	ds_read2_b32 v[40:41], v38 offset1:32
	ds_read_b32 v86, v83 offset:16388
	ds_read2_b32 v[38:39], v38 offset0:128 offset1:160
	v_add_u32_e32 v84, 1, v55
	ds_write_b32 v83, v84 offset:16384
	s_waitcnt lgkmcnt(2)
	v_cmp_ne_u32_e32 vcc, v86, v55
	s_and_saveexec_b64 s[10:11], vcc
	s_cbranch_execz .LBB11_12
; %bb.17:                               ;   in Loop: Header=BB11_13 Depth=2
	s_mov_b64 s[12:13], 0
.LBB11_18:                              ;   Parent Loop BB11_7 Depth=1
                                        ;     Parent Loop BB11_13 Depth=2
                                        ; =>    This Inner Loop Header: Depth=3
	;;#ASMSTART
	s_sleep 0
	;;#ASMEND
	ds_read_b32 v86, v83 offset:16388
	s_waitcnt lgkmcnt(0)
	v_cmp_eq_u32_e32 vcc, v86, v55
	s_or_b64 s[12:13], vcc, s[12:13]
	s_andn2_b64 exec, exec, s[12:13]
	s_cbranch_execnz .LBB11_18
	s_branch .LBB11_12
.LBB11_19:                              ;   in Loop: Header=BB11_7 Depth=1
	s_or_b64 exec, exec, s[8:9]
.LBB11_20:                              ;   in Loop: Header=BB11_7 Depth=1
	s_or_b64 exec, exec, s[6:7]
	v_cmp_le_i32_e32 vcc, s14, v56
	v_cmp_eq_u32_e64 s[6:7], 3, v59
	v_cmp_eq_u32_e64 s[8:9], 4, v59
	s_waitcnt vmcnt(0)
	v_cndmask_b32_e32 v38, 0, v81, vcc
	s_nop 1
	v_pk_mul_f32 v[0:1], v[38:39], v[0:1] op_sel_hi:[0,1]
	v_cmp_eq_u32_e32 vcc, 1, v59
	v_pk_mul_f32 v[14:15], v[38:39], v[14:15] op_sel_hi:[0,1]
	v_pk_mul_f32 v[12:13], v[38:39], v[12:13] op_sel_hi:[0,1]
	;; [unrolled: 1-line block ×7, first 2 shown]
	v_cndmask_b32_e32 v38, v0, v1, vcc
	v_cmp_eq_u32_e32 vcc, 2, v59
	v_cmp_eq_u32_e64 s[10:11], 5, v59
	v_cmp_eq_u32_e64 s[12:13], 6, v59
	v_cndmask_b32_e32 v38, v38, v2, vcc
	v_cndmask_b32_e64 v38, v38, v3, s[6:7]
	v_cndmask_b32_e64 v38, v38, v4, s[8:9]
	;; [unrolled: 1-line block ×4, first 2 shown]
	v_cmp_eq_u32_e64 s[14:15], 7, v59
	v_cmp_eq_u32_e64 s[16:17], 8, v59
	v_cmp_eq_u32_e64 s[18:19], 9, v59
	v_cndmask_b32_e64 v38, v38, v7, s[14:15]
	v_cndmask_b32_e64 v38, v38, v8, s[16:17]
	v_cndmask_b32_e64 v38, v38, v9, s[18:19]
	v_cmp_eq_u32_e64 s[20:21], 10, v59
	v_cmp_eq_u32_e64 s[22:23], 11, v59
	v_cmp_eq_u32_e64 s[24:25], 12, v59
	v_cndmask_b32_e64 v38, v38, v10, s[20:21]
	v_cndmask_b32_e64 v38, v38, v11, s[22:23]
	v_cndmask_b32_e64 v38, v38, v12, s[24:25]
	;; [unrolled: 6-line block ×3, first 2 shown]
	ds_bpermute_b32 v38, v79, v38
	v_cmp_eq_u32_e64 s[34:35], 15, v60
	s_waitcnt lgkmcnt(0)
	v_cndmask_b32_e32 v2, v2, v38, vcc
	v_cmp_ne_u32_e32 vcc, 0, v59
	v_cndmask_b32_e64 v15, v15, v38, s[30:31]
	v_cndmask_b32_e64 v14, v14, v38, s[28:29]
	v_cndmask_b32_e32 v1, v1, v38, vcc
	v_cmp_eq_u32_e32 vcc, 0, v59
	v_cndmask_b32_e64 v13, v13, v38, s[26:27]
	v_cndmask_b32_e64 v12, v12, v38, s[24:25]
	v_cndmask_b32_e32 v0, v0, v38, vcc
	v_cmp_eq_u32_e32 vcc, 1, v60
	v_cndmask_b32_e64 v11, v11, v38, s[22:23]
	v_cndmask_b32_e64 v10, v10, v38, s[20:21]
	;; [unrolled: 1-line block ×9, first 2 shown]
	v_cndmask_b32_e32 v38, v0, v1, vcc
	v_cmp_eq_u32_e64 s[6:7], 2, v60
	v_cmp_eq_u32_e64 s[8:9], 3, v60
	v_cmp_eq_u32_e64 s[10:11], 4, v60
	v_cndmask_b32_e64 v38, v38, v2, s[6:7]
	v_cndmask_b32_e64 v38, v38, v3, s[8:9]
	v_cndmask_b32_e64 v38, v38, v4, s[10:11]
	v_cmp_eq_u32_e64 s[12:13], 5, v60
	v_cmp_eq_u32_e64 s[14:15], 6, v60
	v_cmp_eq_u32_e64 s[16:17], 7, v60
	v_cndmask_b32_e64 v38, v38, v5, s[12:13]
	v_cndmask_b32_e64 v38, v38, v6, s[14:15]
	v_cndmask_b32_e64 v38, v38, v7, s[16:17]
	;; [unrolled: 6-line block ×4, first 2 shown]
	v_cmp_eq_u32_e64 s[30:31], 14, v60
	s_nop 1
	v_cndmask_b32_e64 v38, v38, v14, s[30:31]
	v_cndmask_b32_e64 v38, v38, v15, s[34:35]
	ds_bpermute_b32 v38, v79, v38
	s_waitcnt lgkmcnt(0)
	v_cndmask_b32_e32 v1, v1, v38, vcc
	v_cmp_eq_u32_e32 vcc, 0, v60
	v_cndmask_b32_e64 v15, v15, v38, s[34:35]
	v_cndmask_b32_e64 v14, v14, v38, s[30:31]
	v_cndmask_b32_e32 v0, v0, v38, vcc
	v_cmp_eq_u32_e32 vcc, 1, v61
	v_cndmask_b32_e64 v13, v13, v38, s[28:29]
	v_cndmask_b32_e64 v12, v12, v38, s[26:27]
	v_cndmask_b32_e64 v11, v11, v38, s[24:25]
	v_cndmask_b32_e64 v10, v10, v38, s[22:23]
	v_cndmask_b32_e64 v9, v9, v38, s[20:21]
	v_cndmask_b32_e64 v8, v8, v38, s[18:19]
	v_cndmask_b32_e64 v7, v7, v38, s[16:17]
	v_cndmask_b32_e64 v6, v6, v38, s[14:15]
	v_cndmask_b32_e64 v5, v5, v38, s[12:13]
	v_cndmask_b32_e64 v4, v4, v38, s[10:11]
	v_cndmask_b32_e64 v3, v3, v38, s[8:9]
	v_cndmask_b32_e64 v2, v2, v38, s[6:7]
	v_cndmask_b32_e32 v38, v0, v1, vcc
	v_cmp_eq_u32_e64 s[6:7], 2, v61
	v_cmp_eq_u32_e64 s[8:9], 3, v61
	v_cmp_eq_u32_e64 s[10:11], 4, v61
	v_cndmask_b32_e64 v38, v38, v2, s[6:7]
	v_cndmask_b32_e64 v38, v38, v3, s[8:9]
	v_cndmask_b32_e64 v38, v38, v4, s[10:11]
	v_cmp_eq_u32_e64 s[12:13], 5, v61
	v_cmp_eq_u32_e64 s[14:15], 6, v61
	v_cmp_eq_u32_e64 s[16:17], 7, v61
	v_cndmask_b32_e64 v38, v38, v5, s[12:13]
	v_cndmask_b32_e64 v38, v38, v6, s[14:15]
	v_cndmask_b32_e64 v38, v38, v7, s[16:17]
	v_cmp_eq_u32_e64 s[18:19], 8, v61
	v_cmp_eq_u32_e64 s[20:21], 9, v61
	v_cmp_eq_u32_e64 s[22:23], 10, v61
	v_cndmask_b32_e64 v38, v38, v8, s[18:19]
	v_cndmask_b32_e64 v38, v38, v9, s[20:21]
	v_cndmask_b32_e64 v38, v38, v10, s[22:23]
	v_cmp_eq_u32_e64 s[24:25], 11, v61
	v_cmp_eq_u32_e64 s[26:27], 12, v61
	v_cmp_eq_u32_e64 s[28:29], 13, v61
	v_cndmask_b32_e64 v38, v38, v11, s[24:25]
	v_cndmask_b32_e64 v38, v38, v12, s[26:27]
	v_cndmask_b32_e64 v38, v38, v13, s[28:29]
	v_cmp_eq_u32_e64 s[30:31], 14, v61
	v_cmp_eq_u32_e64 s[34:35], 15, v61
	s_nop 0
	v_cndmask_b32_e64 v38, v38, v14, s[30:31]
	v_cndmask_b32_e64 v38, v38, v15, s[34:35]
	ds_bpermute_b32 v38, v79, v38
	s_waitcnt lgkmcnt(0)
	v_cndmask_b32_e32 v1, v1, v38, vcc
	v_cmp_eq_u32_e32 vcc, 0, v61
	v_cndmask_b32_e64 v15, v15, v38, s[34:35]
	v_cndmask_b32_e64 v14, v14, v38, s[30:31]
	v_cndmask_b32_e32 v0, v0, v38, vcc
	v_cmp_eq_u32_e32 vcc, 1, v62
	v_cndmask_b32_e64 v13, v13, v38, s[28:29]
	v_cndmask_b32_e64 v12, v12, v38, s[26:27]
	v_cndmask_b32_e64 v11, v11, v38, s[24:25]
	v_cndmask_b32_e64 v10, v10, v38, s[22:23]
	v_cndmask_b32_e64 v9, v9, v38, s[20:21]
	v_cndmask_b32_e64 v8, v8, v38, s[18:19]
	v_cndmask_b32_e64 v7, v7, v38, s[16:17]
	v_cndmask_b32_e64 v6, v6, v38, s[14:15]
	v_cndmask_b32_e64 v5, v5, v38, s[12:13]
	v_cndmask_b32_e64 v4, v4, v38, s[10:11]
	v_cndmask_b32_e64 v3, v3, v38, s[8:9]
	v_cndmask_b32_e64 v2, v2, v38, s[6:7]
	v_cndmask_b32_e32 v38, v0, v1, vcc
	v_cmp_eq_u32_e64 s[6:7], 2, v62
	v_cmp_eq_u32_e64 s[8:9], 3, v62
	v_cmp_eq_u32_e64 s[10:11], 4, v62
	v_cndmask_b32_e64 v38, v38, v2, s[6:7]
	v_cndmask_b32_e64 v38, v38, v3, s[8:9]
	v_cndmask_b32_e64 v38, v38, v4, s[10:11]
	v_cmp_eq_u32_e64 s[12:13], 5, v62
	v_cmp_eq_u32_e64 s[14:15], 6, v62
	v_cmp_eq_u32_e64 s[16:17], 7, v62
	v_cndmask_b32_e64 v38, v38, v5, s[12:13]
	v_cndmask_b32_e64 v38, v38, v6, s[14:15]
	v_cndmask_b32_e64 v38, v38, v7, s[16:17]
	v_cmp_eq_u32_e64 s[18:19], 8, v62
	v_cmp_eq_u32_e64 s[20:21], 9, v62
	v_cmp_eq_u32_e64 s[22:23], 10, v62
	v_cndmask_b32_e64 v38, v38, v8, s[18:19]
	v_cndmask_b32_e64 v38, v38, v9, s[20:21]
	v_cndmask_b32_e64 v38, v38, v10, s[22:23]
	v_cmp_eq_u32_e64 s[24:25], 11, v62
	v_cmp_eq_u32_e64 s[26:27], 12, v62
	v_cmp_eq_u32_e64 s[28:29], 13, v62
	v_cndmask_b32_e64 v38, v38, v11, s[24:25]
	v_cndmask_b32_e64 v38, v38, v12, s[26:27]
	v_cndmask_b32_e64 v38, v38, v13, s[28:29]
	v_cmp_eq_u32_e64 s[30:31], 14, v62
	;; [unrolled: 50-line block ×4, first 2 shown]
	v_cmp_eq_u32_e64 s[34:35], 15, v64
	s_nop 0
	v_cndmask_b32_e64 v38, v38, v14, s[30:31]
	v_cndmask_b32_e64 v38, v38, v15, s[34:35]
	ds_bpermute_b32 v38, v79, v38
	s_waitcnt lgkmcnt(0)
	v_cndmask_b32_e32 v1, v1, v38, vcc
	v_cmp_eq_u32_e32 vcc, 0, v64
	v_cndmask_b32_e64 v15, v15, v38, s[34:35]
	v_cndmask_b32_e64 v14, v14, v38, s[30:31]
	;; [unrolled: 1-line block ×14, first 2 shown]
	v_cndmask_b32_e32 v38, v0, v38, vcc
	v_cmp_eq_u32_e32 vcc, 1, v65
	v_cmp_eq_u32_e64 s[6:7], 2, v65
	v_cmp_eq_u32_e64 s[8:9], 3, v65
	v_cndmask_b32_e32 v0, v38, v1, vcc
	v_cndmask_b32_e64 v0, v0, v47, s[6:7]
	v_cndmask_b32_e64 v0, v0, v46, s[8:9]
	v_cmp_eq_u32_e64 s[10:11], 4, v65
	v_cmp_eq_u32_e64 s[12:13], 5, v65
	v_cmp_eq_u32_e64 s[14:15], 6, v65
	v_cndmask_b32_e64 v0, v0, v45, s[10:11]
	v_cndmask_b32_e64 v0, v0, v44, s[12:13]
	v_cndmask_b32_e64 v0, v0, v43, s[14:15]
	v_cmp_eq_u32_e64 s[16:17], 7, v65
	v_cmp_eq_u32_e64 s[18:19], 8, v65
	v_cmp_eq_u32_e64 s[20:21], 9, v65
	v_cndmask_b32_e64 v0, v0, v42, s[16:17]
	;; [unrolled: 6-line block ×4, first 2 shown]
	v_cndmask_b32_e64 v0, v0, v14, s[30:31]
	v_cndmask_b32_e64 v0, v0, v15, s[34:35]
	ds_bpermute_b32 v48, v79, v0
	s_waitcnt lgkmcnt(0)
	v_cndmask_b32_e32 v0, v1, v48, vcc
	v_cmp_eq_u32_e32 vcc, 0, v65
	v_cndmask_b32_e64 v4, v15, v48, s[34:35]
	v_cndmask_b32_e64 v15, v47, v48, s[6:7]
	v_cndmask_b32_e32 v1, v38, v48, vcc
	v_cmp_eq_u32_e32 vcc, 1, v66
	v_cndmask_b32_e64 v5, v14, v48, s[30:31]
	v_cndmask_b32_e64 v14, v46, v48, s[8:9]
	;; [unrolled: 4-line block ×7, first 2 shown]
	v_cndmask_b32_e32 v38, v38, v13, vcc
	v_cmp_eq_u32_e32 vcc, 7, v66
	s_nop 1
	v_cndmask_b32_e32 v38, v38, v12, vcc
	v_cmp_eq_u32_e32 vcc, 8, v66
	s_nop 1
	v_cndmask_b32_e32 v38, v38, v11, vcc
	v_cmp_eq_u32_e32 vcc, 9, v66
	s_nop 1
	v_cndmask_b32_e32 v38, v38, v10, vcc
	v_cmp_eq_u32_e32 vcc, 10, v66
	s_nop 1
	v_cndmask_b32_e32 v38, v38, v9, vcc
	v_cmp_eq_u32_e32 vcc, 11, v66
	s_nop 1
	v_cndmask_b32_e32 v38, v38, v8, vcc
	v_cmp_eq_u32_e32 vcc, 12, v66
	s_nop 1
	v_cndmask_b32_e32 v38, v38, v7, vcc
	v_cmp_eq_u32_e32 vcc, 13, v66
	s_nop 1
	v_cndmask_b32_e32 v38, v38, v6, vcc
	v_cmp_eq_u32_e32 vcc, 14, v66
	s_nop 1
	v_cndmask_b32_e32 v38, v38, v5, vcc
	v_cmp_eq_u32_e32 vcc, 15, v66
	s_nop 1
	v_cndmask_b32_e32 v38, v38, v4, vcc
	ds_bpermute_b32 v38, v79, v38
	v_cmp_lt_i32_e32 vcc, s75, v67
	s_and_saveexec_b64 s[60:61], vcc
	s_cbranch_execz .LBB11_29
; %bb.21:                               ;   in Loop: Header=BB11_7 Depth=1
	s_mul_i32 s6, s73, s37
	s_ashr_i32 s7, s6, 31
	s_lshl_b64 s[6:7], s[6:7], 1
	v_cmp_eq_u32_e64 s[30:31], 1, v66
	s_add_u32 s8, s48, s6
	s_addc_u32 s9, s49, s7
	s_waitcnt lgkmcnt(0)
	v_cndmask_b32_e64 v0, v0, v38, s[30:31]
	v_cmp_eq_u32_e64 s[30:31], 0, v66
	s_ashr_i32 s55, s54, 31
	s_lshl_b64 s[6:7], s[54:55], 1
	v_cndmask_b32_e64 v1, v1, v38, s[30:31]
	v_cvt_f16_f32_e32 v39, v1
	v_cvt_f16_f32_sdwa v41, v0 dst_sel:WORD_1 dst_unused:UNUSED_PAD src0_sel:DWORD
	s_add_u32 s34, s8, s6
	s_addc_u32 s35, s9, s7
	v_cmp_eq_u32_e64 s[8:9], 15, v66
	v_cmp_eq_u32_e64 s[10:11], 14, v66
	;; [unrolled: 1-line block ×10, first 2 shown]
	v_cmp_eq_u32_e32 vcc, 5, v66
	v_cmp_eq_u32_e64 s[6:7], 4, v66
	v_cmp_eq_u32_e64 s[28:29], 3, v66
	;; [unrolled: 1-line block ×3, first 2 shown]
	v_lshl_add_u64 v[0:1], s[34:35], 0, v[16:17]
	v_cmp_lt_i32_e64 s[34:35], s75, v68
	v_lshl_add_u64 v[42:43], v[18:19], 1, v[0:1]
	v_or_b32_e32 v39, v41, v39
	;;#ASMSTART
	global_atomic_pk_add_f16 v[42:43], v39, off
	
	;;#ASMEND
	s_and_b64 exec, exec, s[34:35]
	s_cbranch_execz .LBB11_29
; %bb.22:                               ;   in Loop: Header=BB11_7 Depth=1
	v_cndmask_b32_e64 v14, v14, v38, s[28:29]
	v_cndmask_b32_e64 v15, v15, v38, s[30:31]
	v_cvt_f16_f32_e32 v39, v15
	v_cvt_f16_f32_sdwa v41, v14 dst_sel:WORD_1 dst_unused:UNUSED_PAD src0_sel:DWORD
	v_cndmask_b32_e64 v4, v4, v38, s[8:9]
	v_cndmask_b32_e64 v5, v5, v38, s[10:11]
	;; [unrolled: 1-line block ×10, first 2 shown]
	v_cndmask_b32_e32 v2, v2, v38, vcc
	v_cndmask_b32_e64 v3, v3, v38, s[6:7]
	v_cmp_lt_i32_e32 vcc, s75, v69
	v_lshl_add_u64 v[14:15], v[20:21], 1, v[0:1]
	v_or_b32_e32 v38, v41, v39
	;;#ASMSTART
	global_atomic_pk_add_f16 v[14:15], v38, off
	
	;;#ASMEND
	s_and_b64 exec, exec, vcc
	s_cbranch_execz .LBB11_29
; %bb.23:                               ;   in Loop: Header=BB11_7 Depth=1
	v_cvt_f16_f32_e32 v14, v3
	v_cvt_f16_f32_sdwa v15, v2 dst_sel:WORD_1 dst_unused:UNUSED_PAD src0_sel:DWORD
	v_cmp_lt_i32_e32 vcc, s75, v70
	v_lshl_add_u64 v[2:3], v[22:23], 1, v[0:1]
	v_or_b32_e32 v14, v15, v14
	;;#ASMSTART
	global_atomic_pk_add_f16 v[2:3], v14, off
	
	;;#ASMEND
	s_and_b64 exec, exec, vcc
	s_cbranch_execz .LBB11_29
; %bb.24:                               ;   in Loop: Header=BB11_7 Depth=1
	v_cvt_f16_f32_e32 v13, v13
	v_cvt_f16_f32_sdwa v12, v12 dst_sel:WORD_1 dst_unused:UNUSED_PAD src0_sel:DWORD
	;; [unrolled: 12-line block ×6, first 2 shown]
	v_lshl_add_u64 v[0:1], v[32:33], 1, v[0:1]
	v_or_b32_e32 v2, v3, v2
	;;#ASMSTART
	global_atomic_pk_add_f16 v[0:1], v2, off
	
	;;#ASMEND
.LBB11_29:                              ;   in Loop: Header=BB11_7 Depth=1
	s_or_b64 exec, exec, s[60:61]
	v_subrev_u32_e32 v80, s72, v80
.LBB11_30:                              ;   in Loop: Header=BB11_7 Depth=1
	s_or_b64 exec, exec, s[58:59]
.LBB11_31:                              ;   in Loop: Header=BB11_7 Depth=1
	s_andn2_saveexec_b64 s[6:7], s[56:57]
	s_cbranch_execz .LBB11_40
; %bb.32:                               ;   in Loop: Header=BB11_7 Depth=1
	v_cmp_gt_i32_e32 vcc, s72, v80
	s_and_saveexec_b64 s[8:9], vcc
	s_cbranch_execz .LBB11_39
; %bb.33:                               ;   in Loop: Header=BB11_7 Depth=1
	s_mul_i32 s10, s54, s39
	s_ashr_i32 s11, s10, 31
	s_waitcnt lgkmcnt(0)
	s_add_u32 s10, s46, s10
	s_addc_u32 s11, s47, s11
	s_ashr_i32 s12, s74, 31
	s_add_u32 s10, s10, s74
	s_addc_u32 s11, s11, s12
	v_lshl_add_u64 v[0:1], s[10:11], 0, v[36:37]
	v_lshl_add_u64 v[38:39], v[0:1], 0, v[34:35]
	s_mov_b64 s[10:11], 0
	s_branch .LBB11_35
.LBB11_34:                              ;   in Loop: Header=BB11_35 Depth=2
	s_or_b64 exec, exec, s[12:13]
	v_lshl_add_u32 v42, v40, 12, v75
	;;#ASMSTART
	s_waitcnt vmcnt(3)
	;;#ASMEND
	ds_write2_b32 v42, v12, v13 offset1:32
	ds_write2_b32 v42, v14, v15 offset0:64 offset1:96
	v_add_u32_e32 v12, 0x400, v42
	;;#ASMSTART
	s_waitcnt vmcnt(2)
	;;#ASMEND
	ds_write2_b32 v12, v8, v9 offset1:32
	ds_write2_b32 v12, v10, v11 offset0:64 offset1:96
	v_add_u32_e32 v8, 0x800, v42
	;; [unrolled: 6-line block ×3, first 2 shown]
	v_add_u32_e32 v80, s42, v80
	;;#ASMSTART
	s_waitcnt vmcnt(0)
	;;#ASMEND
	ds_write2_b32 v4, v0, v1 offset1:32
	ds_write2_b32 v4, v2, v3 offset0:64 offset1:96
	v_add_u32_e32 v0, 1, v55
	v_add_u32_e32 v40, s42, v40
	v_cmp_le_i32_e32 vcc, s72, v80
	ds_write_b32 v41, v0 offset:8
	v_add_u32_e32 v0, 2, v55
	s_or_b64 s[10:11], vcc, s[10:11]
	v_cmp_lt_i32_e32 vcc, 1, v40
	s_nop 1
	v_cndmask_b32_e32 v55, v55, v0, vcc
	s_andn2_b64 exec, exec, s[10:11]
	s_cbranch_execz .LBB11_38
.LBB11_35:                              ;   Parent Loop BB11_7 Depth=1
                                        ; =>  This Loop Header: Depth=2
                                        ;       Child Loop BB11_37 Depth 3
	v_cmp_gt_i32_e32 vcc, 2, v40
	s_nop 1
	v_cndmask_b32_e64 v0, -2, 0, vcc
	v_add_u32_e32 v40, v0, v40
	v_lshlrev_b32_e32 v0, 7, v80
	v_ashrrev_i32_e32 v1, 31, v0
	v_lshl_add_u64 v[0:1], v[38:39], 0, v[0:1]
	v_lshlrev_b32_e32 v41, 2, v40
	;;#ASMSTART
	global_load_dwordx4 v[12:15], v[0:1], off offset:0   sc0 sc1 nt  
	global_load_dwordx4 v[8:11], v[0:1], off offset:32  sc0 sc1 nt  
	global_load_dwordx4 v[4:7], v[0:1], off offset:64  sc0 sc1 nt  
	global_load_dwordx4 v[0:3], v[0:1], off offset:96  sc0 sc1 nt  
	
	;;#ASMEND
	ds_read_b32 v42, v41 offset:16392
	v_add_u32_e32 v41, 0x4000, v41
	s_waitcnt lgkmcnt(0)
	v_cmp_ne_u32_e32 vcc, v42, v55
	s_and_saveexec_b64 s[12:13], vcc
	s_cbranch_execz .LBB11_34
; %bb.36:                               ;   in Loop: Header=BB11_35 Depth=2
	s_mov_b64 s[14:15], 0
.LBB11_37:                              ;   Parent Loop BB11_7 Depth=1
                                        ;     Parent Loop BB11_35 Depth=2
                                        ; =>    This Inner Loop Header: Depth=3
	;;#ASMSTART
	s_sleep 0
	;;#ASMEND
	ds_read_b32 v42, v41 offset:8
	s_waitcnt lgkmcnt(0)
	v_cmp_eq_u32_e32 vcc, v42, v55
	s_or_b64 s[14:15], vcc, s[14:15]
	s_andn2_b64 exec, exec, s[14:15]
	s_cbranch_execnz .LBB11_37
	s_branch .LBB11_34
.LBB11_38:                              ;   in Loop: Header=BB11_7 Depth=1
	s_or_b64 exec, exec, s[10:11]
.LBB11_39:                              ;   in Loop: Header=BB11_7 Depth=1
	s_or_b64 exec, exec, s[8:9]
	v_subrev_u32_e32 v80, s72, v80
.LBB11_40:                              ;   in Loop: Header=BB11_7 Depth=1
	s_or_b64 exec, exec, s[6:7]
.LBB11_41:                              ;   in Loop: Header=BB11_7 Depth=1
	s_andn2_saveexec_b64 s[6:7], s[52:53]
	s_cbranch_execz .LBB11_6
; %bb.42:                               ;   in Loop: Header=BB11_7 Depth=1
	v_cmp_gt_i32_e32 vcc, s72, v80
	s_and_saveexec_b64 s[8:9], vcc
	s_cbranch_execz .LBB11_5
; %bb.43:                               ;   in Loop: Header=BB11_7 Depth=1
	s_mul_i32 s73, s73, s38
	s_ashr_i32 s10, s73, 31
	s_waitcnt lgkmcnt(0)
	s_add_u32 s11, s44, s73
	s_addc_u32 s12, s45, s10
	s_ashr_i32 s13, s74, 31
	v_cmp_le_i32_e32 vcc, s75, v76
	s_add_u32 s10, s11, s74
	s_addc_u32 s11, s12, s13
	v_cndmask_b32_e32 v0, 0, v77, vcc
	v_ashrrev_i32_e32 v1, 31, v0
	v_lshl_add_u64 v[0:1], s[10:11], 0, v[0:1]
	v_lshl_add_u64 v[38:39], v[0:1], 0, v[34:35]
	s_mov_b64 s[10:11], 0
	s_branch .LBB11_45
.LBB11_44:                              ;   in Loop: Header=BB11_45 Depth=2
	s_or_b64 exec, exec, s[12:13]
	v_lshl_or_b32 v42, v40, 12, v78
	;;#ASMSTART
	s_waitcnt vmcnt(3)
	;;#ASMEND
	ds_write2_b32 v42, v12, v13 offset1:32
	ds_write2_b32 v42, v14, v15 offset0:64 offset1:96
	v_add_u32_e32 v12, 0x400, v42
	;;#ASMSTART
	s_waitcnt vmcnt(2)
	;;#ASMEND
	ds_write2_b32 v12, v8, v9 offset1:32
	ds_write2_b32 v12, v10, v11 offset0:64 offset1:96
	v_add_u32_e32 v8, 0x800, v42
	;; [unrolled: 6-line block ×3, first 2 shown]
	v_add_u32_e32 v80, s41, v80
	;;#ASMSTART
	s_waitcnt vmcnt(0)
	;;#ASMEND
	ds_write2_b32 v4, v0, v1 offset1:32
	ds_write2_b32 v4, v2, v3 offset0:64 offset1:96
	v_add_u32_e32 v0, 1, v55
	v_add_u32_e32 v40, s41, v40
	v_cmp_le_i32_e32 vcc, s72, v80
	ds_write_b32 v41, v0
	v_add_u32_e32 v0, 2, v55
	s_or_b64 s[10:11], vcc, s[10:11]
	v_cmp_lt_i32_e32 vcc, 1, v40
	s_nop 1
	v_cndmask_b32_e32 v55, v55, v0, vcc
	s_andn2_b64 exec, exec, s[10:11]
	s_cbranch_execz .LBB11_4
.LBB11_45:                              ;   Parent Loop BB11_7 Depth=1
                                        ; =>  This Loop Header: Depth=2
                                        ;       Child Loop BB11_47 Depth 3
	v_cmp_gt_i32_e32 vcc, 2, v40
	s_nop 1
	v_cndmask_b32_e64 v0, -2, 0, vcc
	v_add_u32_e32 v40, v0, v40
	v_lshlrev_b32_e32 v0, 7, v80
	v_ashrrev_i32_e32 v1, 31, v0
	v_lshl_add_u64 v[0:1], v[38:39], 0, v[0:1]
	v_lshlrev_b32_e32 v41, 2, v40
	;;#ASMSTART
	global_load_dwordx4 v[12:15], v[0:1], off offset:0   
	global_load_dwordx4 v[8:11], v[0:1], off offset:32  
	;; [unrolled: 1-line block ×4, first 2 shown]
	
	;;#ASMEND
	ds_read_b32 v42, v41 offset:16384
	v_add_u32_e32 v41, 0x4000, v41
	s_waitcnt lgkmcnt(0)
	v_cmp_ne_u32_e32 vcc, v42, v55
	s_and_saveexec_b64 s[12:13], vcc
	s_cbranch_execz .LBB11_44
; %bb.46:                               ;   in Loop: Header=BB11_45 Depth=2
	s_mov_b64 s[14:15], 0
.LBB11_47:                              ;   Parent Loop BB11_7 Depth=1
                                        ;     Parent Loop BB11_45 Depth=2
                                        ; =>    This Inner Loop Header: Depth=3
	;;#ASMSTART
	s_sleep 0
	;;#ASMEND
	ds_read_b32 v42, v41
	s_waitcnt lgkmcnt(0)
	v_cmp_eq_u32_e32 vcc, v42, v55
	s_or_b64 s[14:15], vcc, s[14:15]
	s_andn2_b64 exec, exec, s[14:15]
	s_cbranch_execnz .LBB11_47
	s_branch .LBB11_44
.LBB11_48:
	s_endpgm
	.section	.rodata,"a",@progbits
	.p2align	6, 0x0
	.amdhsa_kernel _Z19_skinny_gemm_kernelILi1ELi1ELi2ELi32ELi8EEvPKhS1_P6__halfPKfiiiiiiii
		.amdhsa_group_segment_fixed_size 16400
		.amdhsa_private_segment_fixed_size 0
		.amdhsa_kernarg_size 64
		.amdhsa_user_sgpr_count 2
		.amdhsa_user_sgpr_dispatch_ptr 0
		.amdhsa_user_sgpr_queue_ptr 0
		.amdhsa_user_sgpr_kernarg_segment_ptr 1
		.amdhsa_user_sgpr_dispatch_id 0
		.amdhsa_user_sgpr_kernarg_preload_length 0
		.amdhsa_user_sgpr_kernarg_preload_offset 0
		.amdhsa_user_sgpr_private_segment_size 0
		.amdhsa_uses_dynamic_stack 0
		.amdhsa_enable_private_segment 0
		.amdhsa_system_sgpr_workgroup_id_x 1
		.amdhsa_system_sgpr_workgroup_id_y 0
		.amdhsa_system_sgpr_workgroup_id_z 0
		.amdhsa_system_sgpr_workgroup_info 0
		.amdhsa_system_vgpr_workitem_id 0
		.amdhsa_next_free_vgpr 88
		.amdhsa_next_free_sgpr 76
		.amdhsa_accum_offset 88
		.amdhsa_reserve_vcc 1
		.amdhsa_float_round_mode_32 0
		.amdhsa_float_round_mode_16_64 0
		.amdhsa_float_denorm_mode_32 3
		.amdhsa_float_denorm_mode_16_64 3
		.amdhsa_dx10_clamp 1
		.amdhsa_ieee_mode 1
		.amdhsa_fp16_overflow 0
		.amdhsa_tg_split 0
		.amdhsa_exception_fp_ieee_invalid_op 0
		.amdhsa_exception_fp_denorm_src 0
		.amdhsa_exception_fp_ieee_div_zero 0
		.amdhsa_exception_fp_ieee_overflow 0
		.amdhsa_exception_fp_ieee_underflow 0
		.amdhsa_exception_fp_ieee_inexact 0
		.amdhsa_exception_int_div_zero 0
	.end_amdhsa_kernel
	.section	.text._Z19_skinny_gemm_kernelILi1ELi1ELi2ELi32ELi8EEvPKhS1_P6__halfPKfiiiiiiii,"axG",@progbits,_Z19_skinny_gemm_kernelILi1ELi1ELi2ELi32ELi8EEvPKhS1_P6__halfPKfiiiiiiii,comdat
.Lfunc_end11:
	.size	_Z19_skinny_gemm_kernelILi1ELi1ELi2ELi32ELi8EEvPKhS1_P6__halfPKfiiiiiiii, .Lfunc_end11-_Z19_skinny_gemm_kernelILi1ELi1ELi2ELi32ELi8EEvPKhS1_P6__halfPKfiiiiiiii
                                        ; -- End function
	.set _Z19_skinny_gemm_kernelILi1ELi1ELi2ELi32ELi8EEvPKhS1_P6__halfPKfiiiiiiii.num_vgpr, 88
	.set _Z19_skinny_gemm_kernelILi1ELi1ELi2ELi32ELi8EEvPKhS1_P6__halfPKfiiiiiiii.num_agpr, 0
	.set _Z19_skinny_gemm_kernelILi1ELi1ELi2ELi32ELi8EEvPKhS1_P6__halfPKfiiiiiiii.numbered_sgpr, 76
	.set _Z19_skinny_gemm_kernelILi1ELi1ELi2ELi32ELi8EEvPKhS1_P6__halfPKfiiiiiiii.num_named_barrier, 0
	.set _Z19_skinny_gemm_kernelILi1ELi1ELi2ELi32ELi8EEvPKhS1_P6__halfPKfiiiiiiii.private_seg_size, 0
	.set _Z19_skinny_gemm_kernelILi1ELi1ELi2ELi32ELi8EEvPKhS1_P6__halfPKfiiiiiiii.uses_vcc, 1
	.set _Z19_skinny_gemm_kernelILi1ELi1ELi2ELi32ELi8EEvPKhS1_P6__halfPKfiiiiiiii.uses_flat_scratch, 0
	.set _Z19_skinny_gemm_kernelILi1ELi1ELi2ELi32ELi8EEvPKhS1_P6__halfPKfiiiiiiii.has_dyn_sized_stack, 0
	.set _Z19_skinny_gemm_kernelILi1ELi1ELi2ELi32ELi8EEvPKhS1_P6__halfPKfiiiiiiii.has_recursion, 0
	.set _Z19_skinny_gemm_kernelILi1ELi1ELi2ELi32ELi8EEvPKhS1_P6__halfPKfiiiiiiii.has_indirect_call, 0
	.section	.AMDGPU.csdata,"",@progbits
; Kernel info:
; codeLenInByte = 6340
; TotalNumSgprs: 82
; NumVgprs: 88
; NumAgprs: 0
; TotalNumVgprs: 88
; ScratchSize: 0
; MemoryBound: 0
; FloatMode: 240
; IeeeMode: 1
; LDSByteSize: 16400 bytes/workgroup (compile time only)
; SGPRBlocks: 10
; VGPRBlocks: 10
; NumSGPRsForWavesPerEU: 82
; NumVGPRsForWavesPerEU: 88
; AccumOffset: 88
; Occupancy: 5
; WaveLimiterHint : 0
; COMPUTE_PGM_RSRC2:SCRATCH_EN: 0
; COMPUTE_PGM_RSRC2:USER_SGPR: 2
; COMPUTE_PGM_RSRC2:TRAP_HANDLER: 0
; COMPUTE_PGM_RSRC2:TGID_X_EN: 1
; COMPUTE_PGM_RSRC2:TGID_Y_EN: 0
; COMPUTE_PGM_RSRC2:TGID_Z_EN: 0
; COMPUTE_PGM_RSRC2:TIDIG_COMP_CNT: 0
; COMPUTE_PGM_RSRC3_GFX90A:ACCUM_OFFSET: 21
; COMPUTE_PGM_RSRC3_GFX90A:TG_SPLIT: 0
	.section	.text._Z19_skinny_gemm_kernelILi1ELi1ELi3ELi8ELi4EEvPKhS1_P6__halfPKfiiiiiiii,"axG",@progbits,_Z19_skinny_gemm_kernelILi1ELi1ELi3ELi8ELi4EEvPKhS1_P6__halfPKfiiiiiiii,comdat
	.protected	_Z19_skinny_gemm_kernelILi1ELi1ELi3ELi8ELi4EEvPKhS1_P6__halfPKfiiiiiiii ; -- Begin function _Z19_skinny_gemm_kernelILi1ELi1ELi3ELi8ELi4EEvPKhS1_P6__halfPKfiiiiiiii
	.globl	_Z19_skinny_gemm_kernelILi1ELi1ELi3ELi8ELi4EEvPKhS1_P6__halfPKfiiiiiiii
	.p2align	8
	.type	_Z19_skinny_gemm_kernelILi1ELi1ELi3ELi8ELi4EEvPKhS1_P6__halfPKfiiiiiiii,@function
_Z19_skinny_gemm_kernelILi1ELi1ELi3ELi8ELi4EEvPKhS1_P6__halfPKfiiiiiiii: ; @_Z19_skinny_gemm_kernelILi1ELi1ELi3ELi8ELi4EEvPKhS1_P6__halfPKfiiiiiiii
; %bb.0:
	v_cmp_gt_u32_e32 vcc, 6, v0
	v_lshlrev_b32_e32 v1, 2, v0
	s_and_saveexec_b64 s[4:5], vcc
; %bb.1:
	v_mov_b32_e32 v2, 0
	ds_write_b32 v1, v2 offset:18432
; %bb.2:
	s_or_b64 exec, exec, s[4:5]
	s_load_dwordx8 s[8:15], s[0:1], 0x20
	s_waitcnt lgkmcnt(0)
	s_barrier
	s_add_i32 s3, s8, 7
	s_ashr_i32 s5, s3, 31
	s_add_i32 s4, s9, 15
	s_lshr_b32 s5, s5, 29
	s_ashr_i32 s6, s4, 31
	s_add_i32 s3, s3, s5
	s_ashr_i32 s33, s3, 3
	s_lshr_b32 s3, s6, 28
	s_add_i32 s4, s4, s3
	s_ashr_i32 s42, s4, 4
	s_mul_i32 s3, s42, s33
	s_mul_i32 s3, s3, s12
	s_add_i32 s4, s3, 0x12f
	s_mul_hi_i32 s4, s4, 0x6bca1af3
	s_lshr_b32 s5, s4, 31
	s_ashr_i32 s4, s4, 7
	s_add_i32 s4, s4, s5
	s_add_i32 s5, s2, 1
	s_mul_i32 s5, s4, s5
	v_cvt_f64_i32_e32 v[2:3], s3
	v_cvt_f64_u32_e32 v[4:5], s5
	v_min_f64 v[2:3], v[2:3], v[4:5]
	v_cvt_i32_f64_e32 v17, v[2:3]
	s_mul_i32 s43, s4, s2
	v_cmp_ge_i32_e32 vcc, s43, v17
	s_cbranch_vccnz .LBB12_41
; %bb.3:
	v_lshrrev_b32_e32 v2, 6, v0
	s_add_i32 s4, s14, s13
	s_load_dwordx8 s[16:23], s[0:1], 0x0
	v_cmp_le_i32_e64 s[0:1], s4, v2
	v_mov_b32_e32 v3, s13
	v_cmp_le_i32_e64 s[2:3], s13, v2
	v_mov_b32_e32 v4, s14
	v_cndmask_b32_e64 v4, 0, v4, s[0:1]
	v_cndmask_b32_e64 v3, 0, v3, s[2:3]
	s_abs_i32 s5, s12
	v_add_u32_e32 v3, v3, v4
	v_cvt_f32_u32_e32 v4, s5
	v_sub_u32_e32 v6, v2, v3
	s_ashr_i32 s6, s10, 31
	s_lshr_b32 s6, s6, 24
	v_rcp_iflag_f32_e32 v3, v4
	s_sub_i32 s26, 0, s5
	s_add_i32 s6, s10, s6
	s_ashr_i32 s6, s6, 8
	v_mul_f32_e32 v3, 0x4f7ffffe, v3
	v_cvt_u32_f32_e32 v3, v3
	s_abs_i32 s25, s6
	s_xor_b32 s24, s6, s12
	s_ashr_i32 s24, s24, 31
	v_readfirstlane_b32 s27, v3
	s_mul_i32 s26, s26, s27
	s_mul_hi_u32 s26, s27, s26
	s_add_i32 s27, s27, s26
	s_mul_hi_u32 s26, s25, s27
	s_mul_i32 s27, s26, s5
	s_sub_i32 s25, s25, s27
	s_add_i32 s27, s26, 1
	s_sub_i32 s28, s25, s5
	s_cmp_ge_u32 s25, s5
	s_cselect_b32 s26, s27, s26
	s_cselect_b32 s25, s28, s25
	s_add_i32 s27, s26, 1
	s_cmp_ge_u32 s25, s5
	s_cselect_b32 s5, s27, s26
	s_xor_b32 s5, s5, s24
	s_sub_i32 s44, s5, s24
	s_add_i32 s12, s12, -1
	s_mul_i32 s5, s44, s12
	s_add_i32 s4, s4, s15
	s_sub_i32 s45, s6, s5
	v_cmp_gt_i32_e64 s[4:5], s4, v2
	v_and_b32_e32 v2, 1, v0
	v_lshlrev_b32_e32 v3, 1, v0
	v_and_b32_e32 v3, 0x7c, v3
	v_lshlrev_b32_e32 v4, 8, v2
	v_lshlrev_b32_e32 v5, 4, v0
	s_movk_i32 s24, 0x3000
	s_movk_i32 s6, 0x7c
	v_and_b32_e32 v7, 0x200, v5
	v_or3_b32 v32, v3, v4, s24
	v_lshrrev_b32_e32 v3, 3, v0
	v_cmp_eq_u32_e32 vcc, 0, v2
	v_and_or_b32 v33, v1, s6, v7
	v_lshlrev_b32_e32 v1, 1, v2
	v_and_or_b32 v2, v3, 6, v2
	v_sub_u32_e32 v35, 8, v2
	v_mul_lo_u32 v18, s9, v2
	v_bfe_u32 v2, v0, 2, 4
	v_lshlrev_b32_e32 v4, 8, v0
	v_lshlrev_b32_e32 v7, 6, v0
	v_mul_lo_u32 v24, s11, v2
	v_and_b32_e32 v2, 60, v0
	v_and_b32_e32 v4, 0x200, v4
	;; [unrolled: 1-line block ×3, first 2 shown]
	s_abs_i32 s46, s33
	v_or3_b32 v36, v2, v4, v7
	v_cvt_f32_u32_e32 v7, s46
	v_lshlrev_b32_e32 v4, 7, v0
	v_and_b32_e32 v16, 14, v0
	v_bitop3_b32 v34, v0, 1, v0 bitop3:0xc
	v_sub_u32_e32 v1, v0, v1
	v_bfe_u32 v2, v0, 3, 3
	v_and_b32_e32 v4, 0x200, v4
	v_lshlrev_b32_e32 v0, 5, v0
	v_lshl_or_b32 v4, v2, 2, v4
	v_and_b32_e32 v0, 0x60, v0
	v_or3_b32 v37, v4, v0, s24
	v_rcp_iflag_f32_e32 v0, v7
	s_abs_i32 s47, s42
	v_mul_lo_u32 v39, s10, v2
	v_cvt_f32_u32_e32 v2, s47
	v_mul_f32_e32 v0, 0x4f7ffffe, v0
	v_cvt_u32_f32_e32 v0, v0
	s_sub_i32 s24, 0, s46
	v_rcp_iflag_f32_e32 v2, v2
	v_add_u32_e32 v1, 1, v1
	v_readfirstlane_b32 s25, v0
	s_mul_i32 s24, s24, s25
	v_mul_f32_e32 v0, 0x4f7ffffe, v2
	v_cvt_u32_f32_e32 v0, v0
	s_mul_hi_u32 s24, s25, s24
	s_add_i32 s49, s25, s24
	s_sub_i32 s24, 0, s47
	v_readfirstlane_b32 s25, v0
	v_mbcnt_lo_u32_b32 v0, -1, 0
	v_and_b32_e32 v1, 63, v1
	s_mul_i32 s24, s24, s25
	v_mbcnt_hi_u32_b32 v0, -1, v0
	v_mov_b32_e32 v8, 0xeeee
	v_mov_b32_e32 v9, 0x4444
	;; [unrolled: 1-line block ×3, first 2 shown]
	s_mul_hi_u32 s24, s25, s24
	v_and_or_b32 v0, v0, 64, v1
	v_cndmask_b32_e64 v30, 0, 1, s[0:1]
	s_mov_b32 s7, 0
	v_cndmask_b32_e32 v31, v8, v9, vcc
	v_ashrrev_i32_e32 v19, 31, v18
	v_and_b32_e32 v22, 48, v5
	v_ashrrev_i32_e32 v25, 31, v24
	v_mov_b32_e32 v23, v21
	v_bitop3_b32 v38, v3, 7, v3 bitop3:0xc
	v_and_b32_e32 v26, 0x70, v5
	v_mov_b32_e32 v27, v21
	s_lshl_b32 s6, s13, 8
	s_ashr_i32 s48, s33, 31
	s_ashr_i32 s50, s42, 31
	s_add_i32 s51, s25, s24
	v_lshlrev_b32_e32 v40, 2, v0
	v_lshlrev_b32_e32 v20, 1, v16
	v_mov_b32_e32 v41, v6
	s_branch .LBB12_7
.LBB12_4:                               ;   in Loop: Header=BB12_7 Depth=1
	s_or_b64 exec, exec, s[28:29]
.LBB12_5:                               ;   in Loop: Header=BB12_7 Depth=1
	s_or_b64 exec, exec, s[26:27]
	v_subrev_u32_e32 v41, s52, v41
.LBB12_6:                               ;   in Loop: Header=BB12_7 Depth=1
	s_or_b64 exec, exec, s[24:25]
	s_add_i32 s43, s43, 1
	v_cmp_ge_i32_e32 vcc, s43, v17
	s_cbranch_vccnz .LBB12_41
.LBB12_7:                               ; =>This Loop Header: Depth=1
                                        ;     Child Loop BB12_13 Depth 2
                                        ;       Child Loop BB12_15 Depth 3
                                        ;       Child Loop BB12_18 Depth 3
                                        ;     Child Loop BB12_28 Depth 2
                                        ;       Child Loop BB12_30 Depth 3
                                        ;     Child Loop BB12_38 Depth 2
                                        ;       Child Loop BB12_40 Depth 3
	s_abs_i32 s25, s43
	s_mul_hi_u32 s26, s25, s49
	s_mul_i32 s27, s26, s46
	s_ashr_i32 s24, s43, 31
	s_sub_i32 s25, s25, s27
	s_xor_b32 s24, s24, s48
	s_add_i32 s27, s26, 1
	s_sub_i32 s28, s25, s46
	s_cmp_ge_u32 s25, s46
	s_cselect_b32 s26, s27, s26
	s_cselect_b32 s25, s28, s25
	s_add_i32 s27, s26, 1
	s_cmp_ge_u32 s25, s46
	s_cselect_b32 s25, s27, s26
	s_xor_b32 s25, s25, s24
	s_sub_i32 s26, s25, s24
	s_abs_i32 s25, s26
	s_mul_i32 s24, s26, s33
	s_mul_hi_u32 s27, s25, s51
	s_sub_i32 s24, s43, s24
	s_mul_i32 s28, s27, s47
	s_lshl_b32 s53, s24, 3
	s_ashr_i32 s24, s26, 31
	s_sub_i32 s25, s25, s28
	s_xor_b32 s24, s24, s50
	s_add_i32 s28, s27, 1
	s_sub_i32 s29, s25, s47
	s_cmp_ge_u32 s25, s47
	s_cselect_b32 s27, s28, s27
	s_cselect_b32 s25, s29, s25
	s_add_i32 s28, s27, 1
	s_cmp_ge_u32 s25, s47
	s_cselect_b32 s25, s28, s27
	s_xor_b32 s25, s25, s24
	s_sub_i32 s27, s25, s24
	s_mul_i32 s24, s27, s44
	s_lshl_b32 s54, s24, 8
	s_cmp_eq_u32 s27, s12
	s_cselect_b32 s52, s45, s44
	s_sub_i32 s55, s53, s8
	s_add_i32 s55, s55, 8
	s_and_saveexec_b64 s[24:25], s[2:3]
	s_xor_b64 s[24:25], exec, s[24:25]
	s_cbranch_execz .LBB12_34
; %bb.8:                                ;   in Loop: Header=BB12_7 Depth=1
	s_mul_i32 s27, s27, s42
	s_sub_i32 s26, s26, s27
	s_lshl_b32 s26, s26, 4
	s_sub_i32 s27, s26, s9
	s_add_i32 s27, s27, 16
	s_max_i32 s28, s27, 0
	s_sub_i32 s26, s26, s28
	s_and_saveexec_b64 s[28:29], s[0:1]
	s_xor_b64 s[28:29], exec, s[28:29]
	s_cbranch_execz .LBB12_24
; %bb.9:                                ;   in Loop: Header=BB12_7 Depth=1
	s_and_saveexec_b64 s[30:31], s[4:5]
	s_cbranch_execz .LBB12_23
; %bb.10:                               ;   in Loop: Header=BB12_7 Depth=1
	s_waitcnt lgkmcnt(0)
	global_load_dword v12, v21, s[22:23]
	v_mov_b32_e32 v3, 0
	v_cmp_gt_i32_e32 vcc, s52, v41
	v_mov_b32_e32 v2, v3
	v_mov_b32_e32 v1, v3
	;; [unrolled: 1-line block ×3, first 2 shown]
	s_and_saveexec_b64 s[34:35], vcc
	s_cbranch_execz .LBB12_20
; %bb.11:                               ;   in Loop: Header=BB12_7 Depth=1
	v_mov_b32_e32 v0, 0
	s_mov_b64 s[36:37], 0
	v_mov_b32_e32 v1, v0
	v_mov_b32_e32 v2, v0
	;; [unrolled: 1-line block ×3, first 2 shown]
	s_branch .LBB12_13
.LBB12_12:                              ;   in Loop: Header=BB12_13 Depth=2
	s_or_b64 exec, exec, s[38:39]
	v_lshl_or_b32 v28, v13, 12, v33
	ds_read2_b32 v[42:43], v28 offset1:32
	ds_read2_b32 v[44:45], v28 offset0:64 offset1:96
	v_add_u32_e32 v29, 0x400, v28
	ds_read2_b32 v[46:47], v29 offset1:32
	ds_read2_b32 v[48:49], v29 offset0:64 offset1:96
	v_add_u32_e32 v41, s15, v41
	v_cmp_le_i32_e32 vcc, s52, v41
	s_waitcnt lgkmcnt(2)
	v_smfmac_f32_16x16x64_fp8_fp8 v[0:3], v[10:11], v[42:45], v31 cbsz:7 abid:1
	v_add_u32_e32 v10, 0x800, v28
	ds_read2_b32 v[42:43], v10 offset1:32
	ds_read2_b32 v[44:45], v10 offset0:64 offset1:96
	v_add_u32_e32 v10, 0xc00, v28
	s_waitcnt lgkmcnt(2)
	v_smfmac_f32_16x16x64_fp8_fp8 v[0:3], v[8:9], v[46:49], v31 cbsz:7 abid:1
	ds_read2_b32 v[8:9], v10 offset1:32
	ds_read2_b32 v[10:11], v10 offset0:64 offset1:96
	s_or_b64 s[36:37], vcc, s[36:37]
	ds_write_b32 v14, v15 offset:12
	s_waitcnt lgkmcnt(3)
	v_smfmac_f32_16x16x64_fp8_fp8 v[0:3], v[6:7], v[42:45], v31 cbsz:7 abid:1
	v_add_u32_e32 v6, s15, v13
	v_add_u32_e32 v7, 2, v30
	v_cmp_lt_i32_e32 vcc, 2, v6
	s_waitcnt lgkmcnt(1)
	v_smfmac_f32_16x16x64_fp8_fp8 v[0:3], v[4:5], v[8:11], v31 cbsz:7 abid:1
	v_cndmask_b32_e32 v30, v30, v7, vcc
	s_andn2_b64 exec, exec, s[36:37]
	s_cbranch_execz .LBB12_19
.LBB12_13:                              ;   Parent Loop BB12_7 Depth=1
                                        ; =>  This Loop Header: Depth=2
                                        ;       Child Loop BB12_15 Depth 3
                                        ;       Child Loop BB12_18 Depth 3
	v_cmp_gt_i32_e32 vcc, 3, v6
	s_nop 1
	v_cndmask_b32_e64 v4, -3, 0, vcc
	v_add_u32_e32 v13, v4, v6
	v_lshlrev_b32_e32 v4, 2, v13
	ds_read_b32 v5, v4 offset:18432
	v_add_u32_e32 v14, 0x4800, v4
	s_waitcnt lgkmcnt(0)
	v_cmp_ne_u32_e32 vcc, v5, v30
	s_and_saveexec_b64 s[38:39], vcc
	s_cbranch_execz .LBB12_16
; %bb.14:                               ;   in Loop: Header=BB12_13 Depth=2
	s_mov_b64 s[40:41], 0
.LBB12_15:                              ;   Parent Loop BB12_7 Depth=1
                                        ;     Parent Loop BB12_13 Depth=2
                                        ; =>    This Inner Loop Header: Depth=3
	;;#ASMSTART
	s_sleep 0
	;;#ASMEND
	ds_read_b32 v4, v14
	s_waitcnt lgkmcnt(0)
	v_cmp_eq_u32_e32 vcc, v4, v30
	s_or_b64 s[40:41], vcc, s[40:41]
	s_andn2_b64 exec, exec, s[40:41]
	s_cbranch_execnz .LBB12_15
.LBB12_16:                              ;   in Loop: Header=BB12_13 Depth=2
	s_or_b64 exec, exec, s[38:39]
	v_lshl_add_u32 v4, v13, 11, v32
	ds_read2_b32 v[10:11], v4 offset1:32
	ds_read2_b32 v[8:9], v4 offset0:128 offset1:160
	v_add_u32_e32 v4, 0x400, v4
	ds_read2_b32 v[6:7], v4 offset1:32
	ds_read2_b32 v[4:5], v4 offset0:128 offset1:160
	;;#ASMSTART
	s_waitcnt lgkmcnt(0)
	;;#ASMEND
	ds_read_b32 v28, v14 offset:12
	v_add_u32_e32 v15, 1, v30
	ds_write_b32 v14, v15
	s_waitcnt lgkmcnt(1)
	v_cmp_ne_u32_e32 vcc, v28, v30
	s_and_saveexec_b64 s[38:39], vcc
	s_cbranch_execz .LBB12_12
; %bb.17:                               ;   in Loop: Header=BB12_13 Depth=2
	s_mov_b64 s[40:41], 0
.LBB12_18:                              ;   Parent Loop BB12_7 Depth=1
                                        ;     Parent Loop BB12_13 Depth=2
                                        ; =>    This Inner Loop Header: Depth=3
	;;#ASMSTART
	s_sleep 0
	;;#ASMEND
	ds_read_b32 v28, v14 offset:12
	s_waitcnt lgkmcnt(0)
	v_cmp_eq_u32_e32 vcc, v28, v30
	s_or_b64 s[40:41], vcc, s[40:41]
	s_andn2_b64 exec, exec, s[40:41]
	s_cbranch_execnz .LBB12_18
	s_branch .LBB12_12
.LBB12_19:                              ;   in Loop: Header=BB12_7 Depth=1
	s_or_b64 exec, exec, s[36:37]
.LBB12_20:                              ;   in Loop: Header=BB12_7 Depth=1
	s_or_b64 exec, exec, s[34:35]
	v_cmp_le_i32_e32 vcc, s27, v16
	s_nop 1
	v_mov_b32_e32 v8, v1
	v_mov_b32_e32 v9, v2
	;; [unrolled: 1-line block ×3, first 2 shown]
	s_waitcnt vmcnt(0)
	v_cndmask_b32_e32 v4, 0, v12, vcc
	v_pk_add_f32 v[0:1], v[8:9], v[0:1]
	v_cmp_ne_u32_e32 vcc, 0, v34
	v_pk_mul_f32 v[0:1], v[4:5], v[0:1] op_sel_hi:[0,1]
	s_nop 0
	v_cndmask_b32_e32 v4, v0, v1, vcc
	v_cmp_eq_u32_e32 vcc, 2, v34
	s_nop 1
	v_cndmask_b32_e32 v2, v4, v2, vcc
	v_cmp_eq_u32_e32 vcc, 3, v34
	s_nop 1
	v_cndmask_b32_e32 v2, v2, v3, vcc
	ds_bpermute_b32 v2, v40, v2
	v_cmp_lt_i32_e32 vcc, s55, v35
	s_and_saveexec_b64 s[34:35], vcc
	s_cbranch_execz .LBB12_22
; %bb.21:                               ;   in Loop: Header=BB12_7 Depth=1
	s_mul_i32 s36, s53, s9
	s_ashr_i32 s37, s36, 31
	s_lshl_b64 s[36:37], s[36:37], 1
	v_cmp_ne_u32_e32 vcc, 0, v34
	s_add_u32 s38, s20, s36
	s_addc_u32 s39, s21, s37
	s_waitcnt lgkmcnt(0)
	v_cndmask_b32_e32 v1, v1, v2, vcc
	v_cmp_eq_u32_e32 vcc, 0, v34
	s_ashr_i32 s27, s26, 31
	s_lshl_b64 s[36:37], s[26:27], 1
	v_cndmask_b32_e32 v0, v0, v2, vcc
	v_cvt_f16_f32_e32 v2, v0
	v_cvt_f16_f32_sdwa v3, v1 dst_sel:WORD_1 dst_unused:UNUSED_PAD src0_sel:DWORD
	s_add_u32 s36, s38, s36
	s_addc_u32 s37, s39, s37
	v_lshl_add_u64 v[0:1], v[18:19], 1, s[36:37]
	v_lshl_add_u64 v[0:1], v[0:1], 0, v[20:21]
	v_or_b32_e32 v2, v3, v2
	;;#ASMSTART
	global_atomic_pk_add_f16 v[0:1], v2, off
	
	;;#ASMEND
.LBB12_22:                              ;   in Loop: Header=BB12_7 Depth=1
	s_or_b64 exec, exec, s[34:35]
	v_subrev_u32_e32 v41, s52, v41
.LBB12_23:                              ;   in Loop: Header=BB12_7 Depth=1
	s_or_b64 exec, exec, s[30:31]
.LBB12_24:                              ;   in Loop: Header=BB12_7 Depth=1
	s_andn2_saveexec_b64 s[28:29], s[28:29]
	s_cbranch_execz .LBB12_33
; %bb.25:                               ;   in Loop: Header=BB12_7 Depth=1
	v_cmp_gt_i32_e32 vcc, s52, v41
	s_and_saveexec_b64 s[30:31], vcc
	s_cbranch_execz .LBB12_32
; %bb.26:                               ;   in Loop: Header=BB12_7 Depth=1
	s_mul_i32 s26, s26, s11
	s_ashr_i32 s27, s26, 31
	s_waitcnt lgkmcnt(0)
	s_add_u32 s26, s18, s26
	s_addc_u32 s27, s19, s27
	s_ashr_i32 s34, s54, 31
	s_add_u32 s26, s26, s54
	s_addc_u32 s27, s27, s34
	v_lshl_add_u64 v[0:1], s[26:27], 0, v[24:25]
	v_lshl_add_u64 v[28:29], v[0:1], 0, v[22:23]
	s_mov_b64 s[26:27], 0
	s_branch .LBB12_28
.LBB12_27:                              ;   in Loop: Header=BB12_28 Depth=2
	s_or_b64 exec, exec, s[34:35]
	v_lshl_or_b32 v44, v42, 12, v36
	;;#ASMSTART
	s_waitcnt vmcnt(3)
	;;#ASMEND
	ds_write2_b32 v44, v12, v13 offset1:32
	ds_write2_b32 v44, v14, v15 offset0:64 offset1:96
	v_add_u32_e32 v12, 0x400, v44
	;;#ASMSTART
	s_waitcnt vmcnt(2)
	;;#ASMEND
	ds_write2_b32 v12, v8, v9 offset1:32
	ds_write2_b32 v12, v10, v11 offset0:64 offset1:96
	v_add_u32_e32 v8, 0x800, v44
	;;#ASMSTART
	s_waitcnt vmcnt(1)
	;;#ASMEND
	ds_write2_b32 v8, v4, v5 offset1:32
	ds_write2_b32 v8, v6, v7 offset0:64 offset1:96
	v_add_u32_e32 v4, 0xc00, v44
	v_add_u32_e32 v41, s14, v41
	;;#ASMSTART
	s_waitcnt vmcnt(0)
	;;#ASMEND
	ds_write2_b32 v4, v0, v1 offset1:32
	ds_write2_b32 v4, v2, v3 offset0:64 offset1:96
	v_add_u32_e32 v0, 1, v30
	v_add_u32_e32 v6, s14, v42
	v_cmp_le_i32_e32 vcc, s52, v41
	ds_write_b32 v43, v0 offset:12
	v_add_u32_e32 v0, 2, v30
	s_or_b64 s[26:27], vcc, s[26:27]
	v_cmp_lt_i32_e32 vcc, 2, v6
	s_nop 1
	v_cndmask_b32_e32 v30, v30, v0, vcc
	s_andn2_b64 exec, exec, s[26:27]
	s_cbranch_execz .LBB12_31
.LBB12_28:                              ;   Parent Loop BB12_7 Depth=1
                                        ; =>  This Loop Header: Depth=2
                                        ;       Child Loop BB12_30 Depth 3
	v_cmp_gt_i32_e32 vcc, 3, v6
	s_nop 1
	v_cndmask_b32_e64 v0, -3, 0, vcc
	v_add_u32_e32 v42, v0, v6
	v_lshlrev_b32_e32 v0, 8, v41
	v_ashrrev_i32_e32 v1, 31, v0
	v_lshl_add_u64 v[0:1], v[28:29], 0, v[0:1]
	v_lshlrev_b32_e32 v43, 2, v42
	;;#ASMSTART
	global_load_dwordx4 v[12:15], v[0:1], off offset:0    sc0 sc1 nt  
	global_load_dwordx4 v[8:11], v[0:1], off offset:64   sc0 sc1 nt  
	global_load_dwordx4 v[4:7], v[0:1], off offset:128  sc0 sc1 nt  
	global_load_dwordx4 v[0:3], v[0:1], off offset:192  sc0 sc1 nt  
	
	;;#ASMEND
	ds_read_b32 v44, v43 offset:18444
	v_add_u32_e32 v43, 0x4800, v43
	s_waitcnt lgkmcnt(0)
	v_cmp_ne_u32_e32 vcc, v44, v30
	s_and_saveexec_b64 s[34:35], vcc
	s_cbranch_execz .LBB12_27
; %bb.29:                               ;   in Loop: Header=BB12_28 Depth=2
	s_mov_b64 s[36:37], 0
.LBB12_30:                              ;   Parent Loop BB12_7 Depth=1
                                        ;     Parent Loop BB12_28 Depth=2
                                        ; =>    This Inner Loop Header: Depth=3
	;;#ASMSTART
	s_sleep 0
	;;#ASMEND
	ds_read_b32 v44, v43 offset:12
	s_waitcnt lgkmcnt(0)
	v_cmp_eq_u32_e32 vcc, v44, v30
	s_or_b64 s[36:37], vcc, s[36:37]
	s_andn2_b64 exec, exec, s[36:37]
	s_cbranch_execnz .LBB12_30
	s_branch .LBB12_27
.LBB12_31:                              ;   in Loop: Header=BB12_7 Depth=1
	s_or_b64 exec, exec, s[26:27]
.LBB12_32:                              ;   in Loop: Header=BB12_7 Depth=1
	s_or_b64 exec, exec, s[30:31]
	v_subrev_u32_e32 v41, s52, v41
.LBB12_33:                              ;   in Loop: Header=BB12_7 Depth=1
	s_or_b64 exec, exec, s[28:29]
.LBB12_34:                              ;   in Loop: Header=BB12_7 Depth=1
	s_andn2_saveexec_b64 s[24:25], s[24:25]
	s_cbranch_execz .LBB12_6
; %bb.35:                               ;   in Loop: Header=BB12_7 Depth=1
	v_cmp_gt_i32_e32 vcc, s52, v41
	s_and_saveexec_b64 s[26:27], vcc
	s_cbranch_execz .LBB12_5
; %bb.36:                               ;   in Loop: Header=BB12_7 Depth=1
	s_mul_i32 s53, s53, s10
	s_ashr_i32 s28, s53, 31
	s_waitcnt lgkmcnt(0)
	s_add_u32 s29, s16, s53
	s_addc_u32 s30, s17, s28
	s_ashr_i32 s31, s54, 31
	v_cmp_le_i32_e32 vcc, s55, v38
	s_add_u32 s28, s29, s54
	s_addc_u32 s29, s30, s31
	v_cndmask_b32_e32 v0, 0, v39, vcc
	v_ashrrev_i32_e32 v1, 31, v0
	v_lshl_add_u64 v[0:1], s[28:29], 0, v[0:1]
	v_lshlrev_b32_e32 v2, 8, v41
	v_lshl_add_u64 v[0:1], v[0:1], 0, v[26:27]
	v_ashrrev_i32_e32 v3, 31, v2
	v_lshl_add_u64 v[8:9], v[0:1], 0, v[2:3]
	s_mov_b64 s[28:29], 0
	s_branch .LBB12_38
.LBB12_37:                              ;   in Loop: Header=BB12_38 Depth=2
	s_or_b64 exec, exec, s[30:31]
	;;#ASMSTART
	s_waitcnt vmcnt(1)
	v_pack_b32_f16 v12, v4, v5, op_sel:[0,0]
	v_pack_b32_f16 v13, v4, v5, op_sel:[1,1]
	;; [unrolled: 1-line block ×4, first 2 shown]
	v_swap_b32 v12, v4
	v_swap_b32 v13, v6
	;; [unrolled: 1-line block ×4, first 2 shown]
	;;#ASMEND
	v_add_u32_e32 v41, s13, v41
	v_lshl_add_u32 v12, v10, 11, v37
	ds_write2_b32 v12, v4, v5 offset1:32
	ds_write2_b32 v12, v6, v7 offset0:64 offset1:96
	;;#ASMSTART
	s_waitcnt vmcnt(0)
	v_pack_b32_f16 v4, v0, v1, op_sel:[0,0]
	v_pack_b32_f16 v5, v0, v1, op_sel:[1,1]
	;; [unrolled: 1-line block ×4, first 2 shown]
	v_swap_b32 v4, v0
	v_swap_b32 v5, v2
	v_swap_b32 v6, v1
	v_swap_b32 v7, v3
	;;#ASMEND
	v_cmp_le_i32_e32 vcc, s52, v41
	v_add_u32_e32 v4, 0x400, v12
	ds_write2_b32 v4, v0, v1 offset1:32
	ds_write2_b32 v4, v2, v3 offset0:64 offset1:96
	v_add_u32_e32 v0, 1, v30
	v_add_u32_e32 v6, s13, v10
	ds_write_b32 v11, v0
	v_add_u32_e32 v0, 2, v30
	s_or_b64 s[28:29], vcc, s[28:29]
	v_cmp_lt_i32_e32 vcc, 2, v6
	v_lshl_add_u64 v[8:9], v[8:9], 0, s[6:7]
	s_nop 0
	v_cndmask_b32_e32 v30, v30, v0, vcc
	s_andn2_b64 exec, exec, s[28:29]
	s_cbranch_execz .LBB12_4
.LBB12_38:                              ;   Parent Loop BB12_7 Depth=1
                                        ; =>  This Loop Header: Depth=2
                                        ;       Child Loop BB12_40 Depth 3
	v_cmp_gt_i32_e32 vcc, 3, v6
	s_nop 1
	v_cndmask_b32_e64 v0, -3, 0, vcc
	v_add_u32_e32 v10, v0, v6
	v_lshlrev_b32_e32 v11, 2, v10
	;;#ASMSTART
	global_load_dwordx4 v[4:7], v[8:9], off offset:0  
	global_load_dwordx4 v[0:3], v[8:9], off offset:128
	
	;;#ASMEND
	ds_read_b32 v12, v11 offset:18432
	v_add_u32_e32 v11, 0x4800, v11
	s_waitcnt lgkmcnt(0)
	v_cmp_ne_u32_e32 vcc, v12, v30
	s_and_saveexec_b64 s[30:31], vcc
	s_cbranch_execz .LBB12_37
; %bb.39:                               ;   in Loop: Header=BB12_38 Depth=2
	s_mov_b64 s[34:35], 0
.LBB12_40:                              ;   Parent Loop BB12_7 Depth=1
                                        ;     Parent Loop BB12_38 Depth=2
                                        ; =>    This Inner Loop Header: Depth=3
	;;#ASMSTART
	s_sleep 0
	;;#ASMEND
	ds_read_b32 v12, v11
	s_waitcnt lgkmcnt(0)
	v_cmp_eq_u32_e32 vcc, v12, v30
	s_or_b64 s[34:35], vcc, s[34:35]
	s_andn2_b64 exec, exec, s[34:35]
	s_cbranch_execnz .LBB12_40
	s_branch .LBB12_37
.LBB12_41:
	s_endpgm
	.section	.rodata,"a",@progbits
	.p2align	6, 0x0
	.amdhsa_kernel _Z19_skinny_gemm_kernelILi1ELi1ELi3ELi8ELi4EEvPKhS1_P6__halfPKfiiiiiiii
		.amdhsa_group_segment_fixed_size 18456
		.amdhsa_private_segment_fixed_size 0
		.amdhsa_kernarg_size 64
		.amdhsa_user_sgpr_count 2
		.amdhsa_user_sgpr_dispatch_ptr 0
		.amdhsa_user_sgpr_queue_ptr 0
		.amdhsa_user_sgpr_kernarg_segment_ptr 1
		.amdhsa_user_sgpr_dispatch_id 0
		.amdhsa_user_sgpr_kernarg_preload_length 0
		.amdhsa_user_sgpr_kernarg_preload_offset 0
		.amdhsa_user_sgpr_private_segment_size 0
		.amdhsa_uses_dynamic_stack 0
		.amdhsa_enable_private_segment 0
		.amdhsa_system_sgpr_workgroup_id_x 1
		.amdhsa_system_sgpr_workgroup_id_y 0
		.amdhsa_system_sgpr_workgroup_id_z 0
		.amdhsa_system_sgpr_workgroup_info 0
		.amdhsa_system_vgpr_workitem_id 0
		.amdhsa_next_free_vgpr 50
		.amdhsa_next_free_sgpr 56
		.amdhsa_accum_offset 52
		.amdhsa_reserve_vcc 1
		.amdhsa_float_round_mode_32 0
		.amdhsa_float_round_mode_16_64 0
		.amdhsa_float_denorm_mode_32 3
		.amdhsa_float_denorm_mode_16_64 3
		.amdhsa_dx10_clamp 1
		.amdhsa_ieee_mode 1
		.amdhsa_fp16_overflow 0
		.amdhsa_tg_split 0
		.amdhsa_exception_fp_ieee_invalid_op 0
		.amdhsa_exception_fp_denorm_src 0
		.amdhsa_exception_fp_ieee_div_zero 0
		.amdhsa_exception_fp_ieee_overflow 0
		.amdhsa_exception_fp_ieee_underflow 0
		.amdhsa_exception_fp_ieee_inexact 0
		.amdhsa_exception_int_div_zero 0
	.end_amdhsa_kernel
	.section	.text._Z19_skinny_gemm_kernelILi1ELi1ELi3ELi8ELi4EEvPKhS1_P6__halfPKfiiiiiiii,"axG",@progbits,_Z19_skinny_gemm_kernelILi1ELi1ELi3ELi8ELi4EEvPKhS1_P6__halfPKfiiiiiiii,comdat
.Lfunc_end12:
	.size	_Z19_skinny_gemm_kernelILi1ELi1ELi3ELi8ELi4EEvPKhS1_P6__halfPKfiiiiiiii, .Lfunc_end12-_Z19_skinny_gemm_kernelILi1ELi1ELi3ELi8ELi4EEvPKhS1_P6__halfPKfiiiiiiii
                                        ; -- End function
	.set _Z19_skinny_gemm_kernelILi1ELi1ELi3ELi8ELi4EEvPKhS1_P6__halfPKfiiiiiiii.num_vgpr, 50
	.set _Z19_skinny_gemm_kernelILi1ELi1ELi3ELi8ELi4EEvPKhS1_P6__halfPKfiiiiiiii.num_agpr, 0
	.set _Z19_skinny_gemm_kernelILi1ELi1ELi3ELi8ELi4EEvPKhS1_P6__halfPKfiiiiiiii.numbered_sgpr, 56
	.set _Z19_skinny_gemm_kernelILi1ELi1ELi3ELi8ELi4EEvPKhS1_P6__halfPKfiiiiiiii.num_named_barrier, 0
	.set _Z19_skinny_gemm_kernelILi1ELi1ELi3ELi8ELi4EEvPKhS1_P6__halfPKfiiiiiiii.private_seg_size, 0
	.set _Z19_skinny_gemm_kernelILi1ELi1ELi3ELi8ELi4EEvPKhS1_P6__halfPKfiiiiiiii.uses_vcc, 1
	.set _Z19_skinny_gemm_kernelILi1ELi1ELi3ELi8ELi4EEvPKhS1_P6__halfPKfiiiiiiii.uses_flat_scratch, 0
	.set _Z19_skinny_gemm_kernelILi1ELi1ELi3ELi8ELi4EEvPKhS1_P6__halfPKfiiiiiiii.has_dyn_sized_stack, 0
	.set _Z19_skinny_gemm_kernelILi1ELi1ELi3ELi8ELi4EEvPKhS1_P6__halfPKfiiiiiiii.has_recursion, 0
	.set _Z19_skinny_gemm_kernelILi1ELi1ELi3ELi8ELi4EEvPKhS1_P6__halfPKfiiiiiiii.has_indirect_call, 0
	.section	.AMDGPU.csdata,"",@progbits
; Kernel info:
; codeLenInByte = 2936
; TotalNumSgprs: 62
; NumVgprs: 50
; NumAgprs: 0
; TotalNumVgprs: 50
; ScratchSize: 0
; MemoryBound: 0
; FloatMode: 240
; IeeeMode: 1
; LDSByteSize: 18456 bytes/workgroup (compile time only)
; SGPRBlocks: 7
; VGPRBlocks: 6
; NumSGPRsForWavesPerEU: 62
; NumVGPRsForWavesPerEU: 50
; AccumOffset: 52
; Occupancy: 8
; WaveLimiterHint : 0
; COMPUTE_PGM_RSRC2:SCRATCH_EN: 0
; COMPUTE_PGM_RSRC2:USER_SGPR: 2
; COMPUTE_PGM_RSRC2:TRAP_HANDLER: 0
; COMPUTE_PGM_RSRC2:TGID_X_EN: 1
; COMPUTE_PGM_RSRC2:TGID_Y_EN: 0
; COMPUTE_PGM_RSRC2:TGID_Z_EN: 0
; COMPUTE_PGM_RSRC2:TIDIG_COMP_CNT: 0
; COMPUTE_PGM_RSRC3_GFX90A:ACCUM_OFFSET: 12
; COMPUTE_PGM_RSRC3_GFX90A:TG_SPLIT: 0
	.section	.text._Z19_skinny_gemm_kernelILi1ELi1ELi3ELi8ELi8EEvPKhS1_P6__halfPKfiiiiiiii,"axG",@progbits,_Z19_skinny_gemm_kernelILi1ELi1ELi3ELi8ELi8EEvPKhS1_P6__halfPKfiiiiiiii,comdat
	.protected	_Z19_skinny_gemm_kernelILi1ELi1ELi3ELi8ELi8EEvPKhS1_P6__halfPKfiiiiiiii ; -- Begin function _Z19_skinny_gemm_kernelILi1ELi1ELi3ELi8ELi8EEvPKhS1_P6__halfPKfiiiiiiii
	.globl	_Z19_skinny_gemm_kernelILi1ELi1ELi3ELi8ELi8EEvPKhS1_P6__halfPKfiiiiiiii
	.p2align	8
	.type	_Z19_skinny_gemm_kernelILi1ELi1ELi3ELi8ELi8EEvPKhS1_P6__halfPKfiiiiiiii,@function
_Z19_skinny_gemm_kernelILi1ELi1ELi3ELi8ELi8EEvPKhS1_P6__halfPKfiiiiiiii: ; @_Z19_skinny_gemm_kernelILi1ELi1ELi3ELi8ELi8EEvPKhS1_P6__halfPKfiiiiiiii
; %bb.0:
	v_cmp_gt_u32_e32 vcc, 6, v0
	v_lshlrev_b32_e32 v1, 2, v0
	s_and_saveexec_b64 s[4:5], vcc
; %bb.1:
	v_mov_b32_e32 v2, 0
	ds_write_b32 v1, v2 offset:36864
; %bb.2:
	s_or_b64 exec, exec, s[4:5]
	s_load_dwordx8 s[8:15], s[0:1], 0x20
	s_waitcnt lgkmcnt(0)
	s_barrier
	s_add_i32 s3, s8, 7
	s_ashr_i32 s5, s3, 31
	s_add_i32 s4, s9, 15
	s_lshr_b32 s5, s5, 29
	s_ashr_i32 s6, s4, 31
	s_add_i32 s3, s3, s5
	s_ashr_i32 s11, s3, 3
	s_lshr_b32 s3, s6, 28
	s_add_i32 s4, s4, s3
	s_ashr_i32 s33, s4, 4
	s_mul_i32 s3, s33, s11
	s_mul_i32 s3, s3, s12
	s_add_i32 s4, s3, 0x12f
	s_mul_hi_i32 s4, s4, 0x6bca1af3
	s_lshr_b32 s5, s4, 31
	s_ashr_i32 s4, s4, 7
	s_add_i32 s4, s4, s5
	s_add_i32 s5, s2, 1
	s_mul_i32 s5, s4, s5
	v_cvt_f64_i32_e32 v[2:3], s3
	v_cvt_f64_u32_e32 v[4:5], s5
	v_min_f64 v[2:3], v[2:3], v[4:5]
	v_cvt_i32_f64_e32 v9, v[2:3]
	s_mul_i32 s38, s4, s2
	v_cmp_ge_i32_e32 vcc, s38, v9
	s_cbranch_vccnz .LBB13_41
; %bb.3:
	v_lshrrev_b32_e32 v2, 6, v0
	s_add_i32 s4, s14, s13
	s_load_dwordx2 s[6:7], s[0:1], 0x0
	s_load_dwordx4 s[16:19], s[0:1], 0x10
	v_cmp_le_i32_e64 s[0:1], s4, v2
	v_mov_b32_e32 v3, s13
	v_cmp_le_i32_e64 s[2:3], s13, v2
	v_mov_b32_e32 v4, s14
	v_cndmask_b32_e64 v4, 0, v4, s[0:1]
	v_cndmask_b32_e64 v3, 0, v3, s[2:3]
	s_abs_i32 s5, s12
	v_add_u32_e32 v3, v3, v4
	v_cvt_f32_u32_e32 v4, s5
	v_sub_u32_e32 v6, v2, v3
	s_ashr_i32 s20, s10, 31
	s_lshr_b32 s20, s20, 23
	v_rcp_iflag_f32_e32 v3, v4
	s_sub_i32 s24, 0, s5
	s_add_i32 s20, s10, s20
	s_ashr_i32 s20, s20, 9
	v_mul_f32_e32 v3, 0x4f7ffffe, v3
	v_cvt_u32_f32_e32 v3, v3
	s_abs_i32 s23, s20
	s_xor_b32 s22, s20, s12
	s_ashr_i32 s22, s22, 31
	v_readfirstlane_b32 s25, v3
	s_mul_i32 s24, s24, s25
	s_mul_hi_u32 s24, s25, s24
	s_add_i32 s25, s25, s24
	s_mul_hi_u32 s24, s23, s25
	s_mul_i32 s25, s24, s5
	s_sub_i32 s23, s23, s25
	s_add_i32 s25, s24, 1
	s_sub_i32 s26, s23, s5
	s_cmp_ge_u32 s23, s5
	s_cselect_b32 s24, s25, s24
	s_cselect_b32 s23, s26, s23
	s_add_i32 s25, s24, 1
	s_cmp_ge_u32 s23, s5
	s_cselect_b32 s5, s25, s24
	s_xor_b32 s5, s5, s22
	s_sub_i32 s39, s5, s22
	s_add_i32 s12, s12, -1
	s_mul_i32 s5, s39, s12
	s_add_i32 s4, s4, s15
	s_sub_i32 s40, s20, s5
	v_cmp_gt_i32_e64 s[4:5], s4, v2
	v_and_b32_e32 v2, 1, v0
	v_lshlrev_b32_e32 v3, 1, v0
	v_and_b32_e32 v3, 0x7c, v3
	v_lshlrev_b32_e32 v4, 8, v2
	v_lshlrev_b32_e32 v5, 4, v0
	s_movk_i32 s22, 0x6000
	s_movk_i32 s20, 0x7c
	v_and_b32_e32 v7, 0x200, v5
	v_or3_b32 v30, v3, v4, s22
	v_lshrrev_b32_e32 v3, 3, v0
	v_mov_b32_e32 v8, 0xeeee
	v_mov_b32_e32 v10, 0x4444
	v_cmp_eq_u32_e32 vcc, 0, v2
	v_and_or_b32 v31, v1, s20, v7
	v_lshlrev_b32_e32 v1, 1, v2
	v_and_or_b32 v2, v3, 6, v2
	v_lshlrev_b32_e32 v4, 7, v0
	v_cndmask_b32_e32 v29, v8, v10, vcc
	v_and_b32_e32 v8, 14, v0
	v_bitop3_b32 v32, v0, 1, v0 bitop3:0xc
	v_sub_u32_e32 v1, v0, v1
	v_sub_u32_e32 v33, 8, v2
	v_mul_lo_u32 v10, s9, v2
	v_bfe_u32 v2, v0, 3, 3
	v_and_b32_e32 v4, 0x200, v4
	v_lshlrev_b32_e32 v0, 5, v0
	v_lshl_or_b32 v4, v2, 2, v4
	v_and_b32_e32 v0, 0x60, v0
	s_abs_i32 s41, s11
	v_or3_b32 v34, v4, v0, s22
	v_cvt_f32_u32_e32 v0, s41
	s_abs_i32 s43, s33
	v_mul_lo_u32 v36, s10, v2
	v_cvt_f32_u32_e32 v2, s43
	v_rcp_iflag_f32_e32 v0, v0
	s_sub_i32 s22, 0, s41
	v_add_u32_e32 v1, 1, v1
	v_rcp_iflag_f32_e32 v2, v2
	v_mul_f32_e32 v0, 0x4f7ffffe, v0
	v_cvt_u32_f32_e32 v0, v0
	v_and_b32_e32 v1, 63, v1
	v_mov_b32_e32 v13, 0
	v_cndmask_b32_e64 v28, 0, 1, s[0:1]
	v_readfirstlane_b32 s23, v0
	v_mul_f32_e32 v0, 0x4f7ffffe, v2
	v_cvt_u32_f32_e32 v0, v0
	s_mul_i32 s22, s22, s23
	s_mul_hi_u32 s22, s23, s22
	s_add_i32 s45, s23, s22
	s_sub_i32 s22, 0, s43
	v_readfirstlane_b32 s23, v0
	v_mbcnt_lo_u32_b32 v0, -1, 0
	s_mul_i32 s22, s22, s23
	v_mbcnt_hi_u32_b32 v0, -1, v0
	s_mul_hi_u32 s22, s23, s22
	v_and_or_b32 v0, v0, 64, v1
	s_mov_b32 s21, 0
	v_ashrrev_i32_e32 v11, 31, v10
	s_lshl_b32 s42, s39, 9
	v_bitop3_b32 v35, v3, 7, v3 bitop3:0xc
	v_and_b32_e32 v14, 0x70, v5
	v_mov_b32_e32 v15, v13
	s_lshl_b32 s20, s13, 9
	s_ashr_i32 s44, s11, 31
	s_ashr_i32 s46, s33, 31
	s_add_i32 s47, s23, s22
	v_lshlrev_b32_e32 v37, 2, v0
	v_lshlrev_b32_e32 v12, 1, v8
	v_mov_b32_e32 v38, v6
	s_branch .LBB13_7
.LBB13_4:                               ;   in Loop: Header=BB13_7 Depth=1
	s_or_b64 exec, exec, s[26:27]
.LBB13_5:                               ;   in Loop: Header=BB13_7 Depth=1
	s_or_b64 exec, exec, s[24:25]
	v_subrev_u32_e32 v38, s48, v38
.LBB13_6:                               ;   in Loop: Header=BB13_7 Depth=1
	s_or_b64 exec, exec, s[22:23]
	s_add_i32 s38, s38, 1
	v_cmp_ge_i32_e32 vcc, s38, v9
	s_cbranch_vccnz .LBB13_41
.LBB13_7:                               ; =>This Loop Header: Depth=1
                                        ;     Child Loop BB13_13 Depth 2
                                        ;       Child Loop BB13_15 Depth 3
                                        ;       Child Loop BB13_18 Depth 3
                                        ;     Child Loop BB13_28 Depth 2
                                        ;       Child Loop BB13_30 Depth 3
                                        ;     Child Loop BB13_38 Depth 2
                                        ;       Child Loop BB13_40 Depth 3
	s_abs_i32 s23, s38
	s_mul_hi_u32 s24, s23, s45
	s_mul_i32 s25, s24, s41
	s_ashr_i32 s22, s38, 31
	s_sub_i32 s23, s23, s25
	s_xor_b32 s22, s22, s44
	s_add_i32 s25, s24, 1
	s_sub_i32 s26, s23, s41
	s_cmp_ge_u32 s23, s41
	s_cselect_b32 s24, s25, s24
	s_cselect_b32 s23, s26, s23
	s_add_i32 s25, s24, 1
	s_cmp_ge_u32 s23, s41
	s_cselect_b32 s23, s25, s24
	s_xor_b32 s23, s23, s22
	s_sub_i32 s52, s23, s22
	s_abs_i32 s23, s52
	s_mul_i32 s22, s52, s11
	s_mul_hi_u32 s24, s23, s47
	s_sub_i32 s22, s38, s22
	s_mul_i32 s25, s24, s43
	s_lshl_b32 s49, s22, 3
	s_ashr_i32 s22, s52, 31
	s_sub_i32 s23, s23, s25
	s_xor_b32 s22, s22, s46
	s_add_i32 s25, s24, 1
	s_sub_i32 s26, s23, s43
	s_cmp_ge_u32 s23, s43
	s_cselect_b32 s24, s25, s24
	s_cselect_b32 s23, s26, s23
	s_add_i32 s25, s24, 1
	s_cmp_ge_u32 s23, s43
	s_cselect_b32 s23, s25, s24
	s_xor_b32 s23, s23, s22
	s_sub_i32 s51, s23, s22
	s_cmp_eq_u32 s51, s12
	s_cselect_b32 s48, s40, s39
	s_sub_i32 s50, s49, s8
	s_add_i32 s50, s50, 8
	s_and_saveexec_b64 s[22:23], s[2:3]
	s_xor_b64 s[22:23], exec, s[22:23]
	s_cbranch_execz .LBB13_34
; %bb.8:                                ;   in Loop: Header=BB13_7 Depth=1
	s_and_saveexec_b64 s[24:25], s[0:1]
	s_xor_b64 s[24:25], exec, s[24:25]
	s_cbranch_execz .LBB13_24
; %bb.9:                                ;   in Loop: Header=BB13_7 Depth=1
	s_and_saveexec_b64 s[26:27], s[4:5]
	s_cbranch_execz .LBB13_23
; %bb.10:                               ;   in Loop: Header=BB13_7 Depth=1
	s_waitcnt lgkmcnt(0)
	global_load_dword v39, v13, s[18:19]
	v_mov_b32_e32 v3, 0
	v_cmp_gt_i32_e32 vcc, s48, v38
	v_mov_b32_e32 v2, v3
	v_mov_b32_e32 v1, v3
	;; [unrolled: 1-line block ×3, first 2 shown]
	s_and_saveexec_b64 s[28:29], vcc
	s_cbranch_execz .LBB13_20
; %bb.11:                               ;   in Loop: Header=BB13_7 Depth=1
	v_mov_b32_e32 v0, 0
	s_mov_b64 s[30:31], 0
	v_mov_b32_e32 v1, v0
	v_mov_b32_e32 v2, v0
	;; [unrolled: 1-line block ×3, first 2 shown]
	s_branch .LBB13_13
.LBB13_12:                              ;   in Loop: Header=BB13_13 Depth=2
	s_or_b64 exec, exec, s[34:35]
	v_lshl_or_b32 v43, v40, 13, v31
	ds_read2_b32 v[44:45], v43 offset1:32
	ds_read2_b32 v[46:47], v43 offset0:64 offset1:96
	v_add_u32_e32 v50, 0x400, v43
	ds_read2_b32 v[48:49], v50 offset1:32
	ds_read2_b32 v[50:51], v50 offset0:64 offset1:96
	v_add_u32_e32 v38, s15, v38
	v_cmp_le_i32_e32 vcc, s48, v38
	s_waitcnt lgkmcnt(2)
	v_smfmac_f32_16x16x64_fp8_fp8 v[0:3], v[26:27], v[44:47], v29 cbsz:7 abid:1
	v_add_u32_e32 v26, 0x800, v43
	ds_read2_b32 v[44:45], v26 offset1:32
	ds_read2_b32 v[46:47], v26 offset0:64 offset1:96
	v_add_u32_e32 v26, 0xc00, v43
	s_waitcnt lgkmcnt(2)
	v_smfmac_f32_16x16x64_fp8_fp8 v[0:3], v[24:25], v[48:51], v29 cbsz:7 abid:1
	ds_read2_b32 v[24:25], v26 offset1:32
	ds_read2_b32 v[26:27], v26 offset0:64 offset1:96
	s_or_b64 s[30:31], vcc, s[30:31]
	s_waitcnt lgkmcnt(2)
	v_smfmac_f32_16x16x64_fp8_fp8 v[0:3], v[22:23], v[44:47], v29 cbsz:7 abid:1
	v_add_u32_e32 v22, 0x1000, v43
	ds_read2_b32 v[44:45], v22 offset1:32
	ds_read2_b32 v[46:47], v22 offset0:64 offset1:96
	v_add_u32_e32 v22, 0x1400, v43
	s_waitcnt lgkmcnt(2)
	v_smfmac_f32_16x16x64_fp8_fp8 v[0:3], v[20:21], v[24:27], v29 cbsz:7 abid:1
	ds_read2_b32 v[20:21], v22 offset1:32
	ds_read2_b32 v[22:23], v22 offset0:64 offset1:96
	s_waitcnt lgkmcnt(2)
	v_smfmac_f32_16x16x64_fp8_fp8 v[0:3], v[18:19], v[44:47], v29 cbsz:7 abid:1
	v_add_u32_e32 v18, 0x1800, v43
	ds_read2_b32 v[24:25], v18 offset1:32
	ds_read2_b32 v[26:27], v18 offset0:64 offset1:96
	v_add_u32_e32 v18, 0x1c00, v43
	s_waitcnt lgkmcnt(2)
	v_smfmac_f32_16x16x64_fp8_fp8 v[0:3], v[16:17], v[20:23], v29 cbsz:7 abid:1
	ds_read2_b32 v[16:17], v18 offset1:32
	ds_read2_b32 v[18:19], v18 offset0:64 offset1:96
	ds_write_b32 v41, v42 offset:12
	s_waitcnt lgkmcnt(3)
	v_smfmac_f32_16x16x64_fp8_fp8 v[0:3], v[6:7], v[24:27], v29 cbsz:7 abid:1
	v_add_u32_e32 v6, s15, v40
	v_add_u32_e32 v7, 2, v28
	v_cmp_lt_i32_e32 vcc, 2, v6
	s_waitcnt lgkmcnt(1)
	v_smfmac_f32_16x16x64_fp8_fp8 v[0:3], v[4:5], v[16:19], v29 cbsz:7 abid:1
	v_cndmask_b32_e32 v28, v28, v7, vcc
	s_andn2_b64 exec, exec, s[30:31]
	s_cbranch_execz .LBB13_19
.LBB13_13:                              ;   Parent Loop BB13_7 Depth=1
                                        ; =>  This Loop Header: Depth=2
                                        ;       Child Loop BB13_15 Depth 3
                                        ;       Child Loop BB13_18 Depth 3
	v_cmp_gt_i32_e32 vcc, 3, v6
	s_nop 1
	v_cndmask_b32_e64 v4, -3, 0, vcc
	v_add_u32_e32 v40, v4, v6
	v_lshlrev_b32_e32 v4, 2, v40
	ds_read_b32 v5, v4 offset:36864
	v_add_u32_e32 v41, 0x9000, v4
	s_waitcnt lgkmcnt(0)
	v_cmp_ne_u32_e32 vcc, v5, v28
	s_and_saveexec_b64 s[34:35], vcc
	s_cbranch_execz .LBB13_16
; %bb.14:                               ;   in Loop: Header=BB13_13 Depth=2
	s_mov_b64 s[36:37], 0
.LBB13_15:                              ;   Parent Loop BB13_7 Depth=1
                                        ;     Parent Loop BB13_13 Depth=2
                                        ; =>    This Inner Loop Header: Depth=3
	;;#ASMSTART
	s_sleep 0
	;;#ASMEND
	ds_read_b32 v4, v41
	s_waitcnt lgkmcnt(0)
	v_cmp_eq_u32_e32 vcc, v4, v28
	s_or_b64 s[36:37], vcc, s[36:37]
	s_andn2_b64 exec, exec, s[36:37]
	s_cbranch_execnz .LBB13_15
.LBB13_16:                              ;   in Loop: Header=BB13_13 Depth=2
	s_or_b64 exec, exec, s[34:35]
	v_lshl_add_u32 v4, v40, 12, v30
	v_add_u32_e32 v5, 0x400, v4
	ds_read2_b32 v[26:27], v4 offset1:32
	ds_read2_b32 v[24:25], v4 offset0:128 offset1:160
	ds_read2_b32 v[22:23], v5 offset1:32
	ds_read2_b32 v[20:21], v5 offset0:128 offset1:160
	v_add_u32_e32 v5, 0x800, v4
	v_add_u32_e32 v4, 0xc00, v4
	ds_read2_b32 v[18:19], v5 offset1:32
	ds_read2_b32 v[16:17], v5 offset0:128 offset1:160
	ds_read2_b32 v[6:7], v4 offset1:32
	ds_read2_b32 v[4:5], v4 offset0:128 offset1:160
	;;#ASMSTART
	s_waitcnt lgkmcnt(0)
	;;#ASMEND
	ds_read_b32 v43, v41 offset:12
	v_add_u32_e32 v42, 1, v28
	ds_write_b32 v41, v42
	s_waitcnt lgkmcnt(1)
	v_cmp_ne_u32_e32 vcc, v43, v28
	s_and_saveexec_b64 s[34:35], vcc
	s_cbranch_execz .LBB13_12
; %bb.17:                               ;   in Loop: Header=BB13_13 Depth=2
	s_mov_b64 s[36:37], 0
.LBB13_18:                              ;   Parent Loop BB13_7 Depth=1
                                        ;     Parent Loop BB13_13 Depth=2
                                        ; =>    This Inner Loop Header: Depth=3
	;;#ASMSTART
	s_sleep 0
	;;#ASMEND
	ds_read_b32 v43, v41 offset:12
	s_waitcnt lgkmcnt(0)
	v_cmp_eq_u32_e32 vcc, v43, v28
	s_or_b64 s[36:37], vcc, s[36:37]
	s_andn2_b64 exec, exec, s[36:37]
	s_cbranch_execnz .LBB13_18
	s_branch .LBB13_12
.LBB13_19:                              ;   in Loop: Header=BB13_7 Depth=1
	s_or_b64 exec, exec, s[30:31]
.LBB13_20:                              ;   in Loop: Header=BB13_7 Depth=1
	s_or_b64 exec, exec, s[28:29]
	s_mul_i32 s28, s51, s33
	s_sub_i32 s28, s52, s28
	s_lshl_b32 s30, s28, 4
	s_sub_i32 s31, s30, s9
	s_add_i32 s31, s31, 16
	v_cmp_le_i32_e32 vcc, s31, v8
	v_mov_b32_e32 v16, v1
	v_mov_b32_e32 v17, v2
	;; [unrolled: 1-line block ×3, first 2 shown]
	s_waitcnt vmcnt(0)
	v_cndmask_b32_e32 v4, 0, v39, vcc
	v_pk_add_f32 v[0:1], v[16:17], v[0:1]
	v_cmp_ne_u32_e32 vcc, 0, v32
	v_pk_mul_f32 v[0:1], v[4:5], v[0:1] op_sel_hi:[0,1]
	s_nop 0
	v_cndmask_b32_e32 v4, v0, v1, vcc
	v_cmp_eq_u32_e32 vcc, 2, v32
	s_nop 1
	v_cndmask_b32_e32 v2, v4, v2, vcc
	v_cmp_eq_u32_e32 vcc, 3, v32
	s_nop 1
	v_cndmask_b32_e32 v2, v2, v3, vcc
	ds_bpermute_b32 v2, v37, v2
	v_cmp_lt_i32_e32 vcc, s50, v33
	s_and_saveexec_b64 s[28:29], vcc
	s_cbranch_execz .LBB13_22
; %bb.21:                               ;   in Loop: Header=BB13_7 Depth=1
	s_mul_i32 s34, s49, s9
	s_max_i32 s31, s31, 0
	s_ashr_i32 s35, s34, 31
	s_sub_i32 s30, s30, s31
	s_lshl_b64 s[34:35], s[34:35], 1
	v_cmp_ne_u32_e32 vcc, 0, v32
	s_add_u32 s34, s16, s34
	s_addc_u32 s35, s17, s35
	s_waitcnt lgkmcnt(0)
	v_cndmask_b32_e32 v1, v1, v2, vcc
	v_cmp_eq_u32_e32 vcc, 0, v32
	s_ashr_i32 s31, s30, 31
	s_lshl_b64 s[30:31], s[30:31], 1
	v_cndmask_b32_e32 v0, v0, v2, vcc
	v_cvt_f16_f32_e32 v2, v0
	v_cvt_f16_f32_sdwa v3, v1 dst_sel:WORD_1 dst_unused:UNUSED_PAD src0_sel:DWORD
	s_add_u32 s30, s34, s30
	s_addc_u32 s31, s35, s31
	v_lshl_add_u64 v[0:1], v[10:11], 1, s[30:31]
	v_lshl_add_u64 v[0:1], v[0:1], 0, v[12:13]
	v_or_b32_e32 v2, v3, v2
	;;#ASMSTART
	global_atomic_pk_add_f16 v[0:1], v2, off
	
	;;#ASMEND
.LBB13_22:                              ;   in Loop: Header=BB13_7 Depth=1
	s_or_b64 exec, exec, s[28:29]
	v_subrev_u32_e32 v38, s48, v38
.LBB13_23:                              ;   in Loop: Header=BB13_7 Depth=1
	s_or_b64 exec, exec, s[26:27]
.LBB13_24:                              ;   in Loop: Header=BB13_7 Depth=1
	s_andn2_saveexec_b64 s[24:25], s[24:25]
	s_cbranch_execz .LBB13_33
; %bb.25:                               ;   in Loop: Header=BB13_7 Depth=1
	v_cmp_gt_i32_e32 vcc, s48, v38
	s_and_saveexec_b64 s[26:27], vcc
	s_cbranch_execz .LBB13_32
; %bb.26:                               ;   in Loop: Header=BB13_7 Depth=1
	s_mov_b64 s[28:29], 0
	s_branch .LBB13_28
.LBB13_27:                              ;   in Loop: Header=BB13_28 Depth=2
	s_or_b64 exec, exec, s[30:31]
	v_add_u32_e32 v38, s14, v38
	v_add_u32_e32 v6, s14, v0
	v_cmp_le_i32_e32 vcc, s48, v38
	v_add_u32_e32 v0, 2, v28
	s_or_b64 s[28:29], vcc, s[28:29]
	v_cmp_lt_i32_e32 vcc, 2, v6
	v_add_u32_e32 v2, 1, v28
	;;#ASMSTART
	s_waitcnt vmcnt(3)
	;;#ASMEND
	;;#ASMSTART
	s_waitcnt vmcnt(2)
	;;#ASMEND
	;; [unrolled: 3-line block ×4, first 2 shown]
	s_nop 0
	v_cndmask_b32_e32 v28, v28, v0, vcc
	ds_write_b32 v1, v2 offset:12
	s_andn2_b64 exec, exec, s[28:29]
	s_cbranch_execz .LBB13_31
.LBB13_28:                              ;   Parent Loop BB13_7 Depth=1
                                        ; =>  This Loop Header: Depth=2
                                        ;       Child Loop BB13_30 Depth 3
	v_cmp_gt_i32_e32 vcc, 3, v6
	s_nop 1
	v_cndmask_b32_e64 v0, -3, 0, vcc
	v_add_u32_e32 v0, v0, v6
	v_lshlrev_b32_e32 v1, 2, v0
	s_waitcnt lgkmcnt(0)
	ds_read_b32 v2, v1 offset:36876
	v_add_u32_e32 v1, 0x9000, v1
	s_waitcnt lgkmcnt(0)
	v_cmp_ne_u32_e32 vcc, v2, v28
	s_and_saveexec_b64 s[30:31], vcc
	s_cbranch_execz .LBB13_27
; %bb.29:                               ;   in Loop: Header=BB13_28 Depth=2
	s_mov_b64 s[34:35], 0
.LBB13_30:                              ;   Parent Loop BB13_7 Depth=1
                                        ;     Parent Loop BB13_28 Depth=2
                                        ; =>    This Inner Loop Header: Depth=3
	;;#ASMSTART
	s_sleep 0
	;;#ASMEND
	ds_read_b32 v2, v1 offset:12
	s_waitcnt lgkmcnt(0)
	v_cmp_eq_u32_e32 vcc, v2, v28
	s_or_b64 s[34:35], vcc, s[34:35]
	s_andn2_b64 exec, exec, s[34:35]
	s_cbranch_execnz .LBB13_30
	s_branch .LBB13_27
.LBB13_31:                              ;   in Loop: Header=BB13_7 Depth=1
	s_or_b64 exec, exec, s[28:29]
.LBB13_32:                              ;   in Loop: Header=BB13_7 Depth=1
	s_or_b64 exec, exec, s[26:27]
	v_subrev_u32_e32 v38, s48, v38
.LBB13_33:                              ;   in Loop: Header=BB13_7 Depth=1
	s_or_b64 exec, exec, s[24:25]
.LBB13_34:                              ;   in Loop: Header=BB13_7 Depth=1
	s_andn2_saveexec_b64 s[22:23], s[22:23]
	s_cbranch_execz .LBB13_6
; %bb.35:                               ;   in Loop: Header=BB13_7 Depth=1
	v_cmp_gt_i32_e32 vcc, s48, v38
	s_and_saveexec_b64 s[24:25], vcc
	s_cbranch_execz .LBB13_5
; %bb.36:                               ;   in Loop: Header=BB13_7 Depth=1
	s_mul_i32 s49, s49, s10
	s_ashr_i32 s26, s49, 31
	s_waitcnt lgkmcnt(0)
	s_add_u32 s27, s6, s49
	s_mul_i32 s51, s51, s42
	s_addc_u32 s28, s7, s26
	s_ashr_i32 s29, s51, 31
	v_cmp_le_i32_e32 vcc, s50, v35
	s_add_u32 s26, s27, s51
	s_addc_u32 s27, s28, s29
	v_cndmask_b32_e32 v0, 0, v36, vcc
	v_ashrrev_i32_e32 v1, 31, v0
	v_lshl_add_u64 v[0:1], s[26:27], 0, v[0:1]
	v_lshlrev_b32_e32 v2, 9, v38
	v_lshl_add_u64 v[0:1], v[0:1], 0, v[14:15]
	v_ashrrev_i32_e32 v3, 31, v2
	v_lshl_add_u64 v[16:17], v[0:1], 0, v[2:3]
	s_mov_b64 s[26:27], 0
	s_branch .LBB13_38
.LBB13_37:                              ;   in Loop: Header=BB13_38 Depth=2
	s_or_b64 exec, exec, s[28:29]
	;;#ASMSTART
	s_waitcnt vmcnt(1)
	v_pack_b32_f16 v20, v4, v5, op_sel:[0,0]
	v_pack_b32_f16 v21, v4, v5, op_sel:[1,1]
	;; [unrolled: 1-line block ×4, first 2 shown]
	v_swap_b32 v20, v4
	v_swap_b32 v21, v6
	;; [unrolled: 1-line block ×4, first 2 shown]
	;;#ASMEND
	v_add_u32_e32 v38, s13, v38
	v_lshl_add_u32 v20, v18, 12, v34
	ds_write2_b32 v20, v4, v5 offset1:32
	ds_write2_b32 v20, v6, v7 offset0:64 offset1:96
	;;#ASMSTART
	s_waitcnt vmcnt(0)
	v_pack_b32_f16 v4, v0, v1, op_sel:[0,0]
	v_pack_b32_f16 v5, v0, v1, op_sel:[1,1]
	;; [unrolled: 1-line block ×4, first 2 shown]
	v_swap_b32 v4, v0
	v_swap_b32 v5, v2
	;; [unrolled: 1-line block ×4, first 2 shown]
	;;#ASMEND
	v_cmp_le_i32_e32 vcc, s48, v38
	v_add_u32_e32 v4, 0x400, v20
	ds_write2_b32 v4, v0, v1 offset1:32
	ds_write2_b32 v4, v2, v3 offset0:64 offset1:96
	v_add_u32_e32 v0, 1, v28
	v_add_u32_e32 v6, s13, v18
	ds_write_b32 v19, v0
	v_add_u32_e32 v0, 2, v28
	s_or_b64 s[26:27], vcc, s[26:27]
	v_cmp_lt_i32_e32 vcc, 2, v6
	v_lshl_add_u64 v[16:17], v[16:17], 0, s[20:21]
	s_nop 0
	v_cndmask_b32_e32 v28, v28, v0, vcc
	s_andn2_b64 exec, exec, s[26:27]
	s_cbranch_execz .LBB13_4
.LBB13_38:                              ;   Parent Loop BB13_7 Depth=1
                                        ; =>  This Loop Header: Depth=2
                                        ;       Child Loop BB13_40 Depth 3
	v_cmp_gt_i32_e32 vcc, 3, v6
	s_nop 1
	v_cndmask_b32_e64 v0, -3, 0, vcc
	v_add_u32_e32 v18, v0, v6
	v_lshlrev_b32_e32 v19, 2, v18
	;;#ASMSTART
	global_load_dwordx4 v[4:7], v[16:17], off offset:0  
	global_load_dwordx4 v[0:3], v[16:17], off offset:128
	
	;;#ASMEND
	ds_read_b32 v20, v19 offset:36864
	v_add_u32_e32 v19, 0x9000, v19
	s_waitcnt lgkmcnt(0)
	v_cmp_ne_u32_e32 vcc, v20, v28
	s_and_saveexec_b64 s[28:29], vcc
	s_cbranch_execz .LBB13_37
; %bb.39:                               ;   in Loop: Header=BB13_38 Depth=2
	s_mov_b64 s[30:31], 0
.LBB13_40:                              ;   Parent Loop BB13_7 Depth=1
                                        ;     Parent Loop BB13_38 Depth=2
                                        ; =>    This Inner Loop Header: Depth=3
	;;#ASMSTART
	s_sleep 0
	;;#ASMEND
	ds_read_b32 v20, v19
	s_waitcnt lgkmcnt(0)
	v_cmp_eq_u32_e32 vcc, v20, v28
	s_or_b64 s[30:31], vcc, s[30:31]
	s_andn2_b64 exec, exec, s[30:31]
	s_cbranch_execnz .LBB13_40
	s_branch .LBB13_37
.LBB13_41:
	s_endpgm
	.section	.rodata,"a",@progbits
	.p2align	6, 0x0
	.amdhsa_kernel _Z19_skinny_gemm_kernelILi1ELi1ELi3ELi8ELi8EEvPKhS1_P6__halfPKfiiiiiiii
		.amdhsa_group_segment_fixed_size 36888
		.amdhsa_private_segment_fixed_size 0
		.amdhsa_kernarg_size 64
		.amdhsa_user_sgpr_count 2
		.amdhsa_user_sgpr_dispatch_ptr 0
		.amdhsa_user_sgpr_queue_ptr 0
		.amdhsa_user_sgpr_kernarg_segment_ptr 1
		.amdhsa_user_sgpr_dispatch_id 0
		.amdhsa_user_sgpr_kernarg_preload_length 0
		.amdhsa_user_sgpr_kernarg_preload_offset 0
		.amdhsa_user_sgpr_private_segment_size 0
		.amdhsa_uses_dynamic_stack 0
		.amdhsa_enable_private_segment 0
		.amdhsa_system_sgpr_workgroup_id_x 1
		.amdhsa_system_sgpr_workgroup_id_y 0
		.amdhsa_system_sgpr_workgroup_id_z 0
		.amdhsa_system_sgpr_workgroup_info 0
		.amdhsa_system_vgpr_workitem_id 0
		.amdhsa_next_free_vgpr 52
		.amdhsa_next_free_sgpr 53
		.amdhsa_accum_offset 52
		.amdhsa_reserve_vcc 1
		.amdhsa_float_round_mode_32 0
		.amdhsa_float_round_mode_16_64 0
		.amdhsa_float_denorm_mode_32 3
		.amdhsa_float_denorm_mode_16_64 3
		.amdhsa_dx10_clamp 1
		.amdhsa_ieee_mode 1
		.amdhsa_fp16_overflow 0
		.amdhsa_tg_split 0
		.amdhsa_exception_fp_ieee_invalid_op 0
		.amdhsa_exception_fp_denorm_src 0
		.amdhsa_exception_fp_ieee_div_zero 0
		.amdhsa_exception_fp_ieee_overflow 0
		.amdhsa_exception_fp_ieee_underflow 0
		.amdhsa_exception_fp_ieee_inexact 0
		.amdhsa_exception_int_div_zero 0
	.end_amdhsa_kernel
	.section	.text._Z19_skinny_gemm_kernelILi1ELi1ELi3ELi8ELi8EEvPKhS1_P6__halfPKfiiiiiiii,"axG",@progbits,_Z19_skinny_gemm_kernelILi1ELi1ELi3ELi8ELi8EEvPKhS1_P6__halfPKfiiiiiiii,comdat
.Lfunc_end13:
	.size	_Z19_skinny_gemm_kernelILi1ELi1ELi3ELi8ELi8EEvPKhS1_P6__halfPKfiiiiiiii, .Lfunc_end13-_Z19_skinny_gemm_kernelILi1ELi1ELi3ELi8ELi8EEvPKhS1_P6__halfPKfiiiiiiii
                                        ; -- End function
	.set _Z19_skinny_gemm_kernelILi1ELi1ELi3ELi8ELi8EEvPKhS1_P6__halfPKfiiiiiiii.num_vgpr, 52
	.set _Z19_skinny_gemm_kernelILi1ELi1ELi3ELi8ELi8EEvPKhS1_P6__halfPKfiiiiiiii.num_agpr, 0
	.set _Z19_skinny_gemm_kernelILi1ELi1ELi3ELi8ELi8EEvPKhS1_P6__halfPKfiiiiiiii.numbered_sgpr, 53
	.set _Z19_skinny_gemm_kernelILi1ELi1ELi3ELi8ELi8EEvPKhS1_P6__halfPKfiiiiiiii.num_named_barrier, 0
	.set _Z19_skinny_gemm_kernelILi1ELi1ELi3ELi8ELi8EEvPKhS1_P6__halfPKfiiiiiiii.private_seg_size, 0
	.set _Z19_skinny_gemm_kernelILi1ELi1ELi3ELi8ELi8EEvPKhS1_P6__halfPKfiiiiiiii.uses_vcc, 1
	.set _Z19_skinny_gemm_kernelILi1ELi1ELi3ELi8ELi8EEvPKhS1_P6__halfPKfiiiiiiii.uses_flat_scratch, 0
	.set _Z19_skinny_gemm_kernelILi1ELi1ELi3ELi8ELi8EEvPKhS1_P6__halfPKfiiiiiiii.has_dyn_sized_stack, 0
	.set _Z19_skinny_gemm_kernelILi1ELi1ELi3ELi8ELi8EEvPKhS1_P6__halfPKfiiiiiiii.has_recursion, 0
	.set _Z19_skinny_gemm_kernelILi1ELi1ELi3ELi8ELi8EEvPKhS1_P6__halfPKfiiiiiiii.has_indirect_call, 0
	.section	.AMDGPU.csdata,"",@progbits
; Kernel info:
; codeLenInByte = 2852
; TotalNumSgprs: 59
; NumVgprs: 52
; NumAgprs: 0
; TotalNumVgprs: 52
; ScratchSize: 0
; MemoryBound: 0
; FloatMode: 240
; IeeeMode: 1
; LDSByteSize: 36888 bytes/workgroup (compile time only)
; SGPRBlocks: 7
; VGPRBlocks: 6
; NumSGPRsForWavesPerEU: 59
; NumVGPRsForWavesPerEU: 52
; AccumOffset: 52
; Occupancy: 8
; WaveLimiterHint : 0
; COMPUTE_PGM_RSRC2:SCRATCH_EN: 0
; COMPUTE_PGM_RSRC2:USER_SGPR: 2
; COMPUTE_PGM_RSRC2:TRAP_HANDLER: 0
; COMPUTE_PGM_RSRC2:TGID_X_EN: 1
; COMPUTE_PGM_RSRC2:TGID_Y_EN: 0
; COMPUTE_PGM_RSRC2:TGID_Z_EN: 0
; COMPUTE_PGM_RSRC2:TIDIG_COMP_CNT: 0
; COMPUTE_PGM_RSRC3_GFX90A:ACCUM_OFFSET: 12
; COMPUTE_PGM_RSRC3_GFX90A:TG_SPLIT: 0
	.section	.text._Z19_skinny_gemm_kernelILi1ELi1ELi3ELi16ELi4EEvPKhS1_P6__halfPKfiiiiiiii,"axG",@progbits,_Z19_skinny_gemm_kernelILi1ELi1ELi3ELi16ELi4EEvPKhS1_P6__halfPKfiiiiiiii,comdat
	.protected	_Z19_skinny_gemm_kernelILi1ELi1ELi3ELi16ELi4EEvPKhS1_P6__halfPKfiiiiiiii ; -- Begin function _Z19_skinny_gemm_kernelILi1ELi1ELi3ELi16ELi4EEvPKhS1_P6__halfPKfiiiiiiii
	.globl	_Z19_skinny_gemm_kernelILi1ELi1ELi3ELi16ELi4EEvPKhS1_P6__halfPKfiiiiiiii
	.p2align	8
	.type	_Z19_skinny_gemm_kernelILi1ELi1ELi3ELi16ELi4EEvPKhS1_P6__halfPKfiiiiiiii,@function
_Z19_skinny_gemm_kernelILi1ELi1ELi3ELi16ELi4EEvPKhS1_P6__halfPKfiiiiiiii: ; @_Z19_skinny_gemm_kernelILi1ELi1ELi3ELi16ELi4EEvPKhS1_P6__halfPKfiiiiiiii
; %bb.0:
	v_cmp_gt_u32_e32 vcc, 6, v0
	v_lshlrev_b32_e32 v1, 2, v0
	s_and_saveexec_b64 s[4:5], vcc
; %bb.1:
	v_mov_b32_e32 v2, 0
	ds_write_b32 v1, v2 offset:12288
; %bb.2:
	s_or_b64 exec, exec, s[4:5]
	s_load_dwordx8 s[12:19], s[0:1], 0x20
	s_waitcnt lgkmcnt(0)
	s_barrier
	s_add_i32 s3, s12, 15
	s_ashr_i32 s5, s3, 31
	s_add_i32 s4, s13, 15
	s_lshr_b32 s5, s5, 28
	s_ashr_i32 s6, s4, 31
	s_add_i32 s3, s3, s5
	s_ashr_i32 s33, s3, 4
	s_lshr_b32 s3, s6, 28
	s_add_i32 s4, s4, s3
	s_ashr_i32 s42, s4, 4
	s_mul_i32 s3, s42, s33
	s_mul_i32 s3, s3, s16
	s_add_i32 s4, s3, 0x12f
	s_mul_hi_i32 s4, s4, 0x6bca1af3
	s_lshr_b32 s5, s4, 31
	s_ashr_i32 s4, s4, 7
	s_add_i32 s4, s4, s5
	s_add_i32 s5, s2, 1
	s_mul_i32 s5, s4, s5
	v_cvt_f64_i32_e32 v[2:3], s3
	v_cvt_f64_u32_e32 v[4:5], s5
	v_min_f64 v[2:3], v[2:3], v[4:5]
	v_cvt_i32_f64_e32 v9, v[2:3]
	s_mul_i32 s43, s4, s2
	v_cmp_ge_i32_e32 vcc, s43, v9
	s_cbranch_vccnz .LBB14_42
; %bb.3:
	v_lshrrev_b32_e32 v2, 6, v0
	s_add_i32 s4, s18, s17
	s_load_dwordx8 s[20:27], s[0:1], 0x0
	v_cmp_le_i32_e64 s[0:1], s4, v2
	v_mov_b32_e32 v3, s17
	v_cmp_le_i32_e64 s[2:3], s17, v2
	v_mov_b32_e32 v4, s18
	v_cndmask_b32_e64 v4, 0, v4, s[0:1]
	v_cndmask_b32_e64 v3, 0, v3, s[2:3]
	s_abs_i32 s5, s16
	v_add_u32_e32 v3, v3, v4
	v_cvt_f32_u32_e32 v4, s5
	v_sub_u32_e32 v18, v2, v3
	s_ashr_i32 s6, s14, 31
	s_lshr_b32 s6, s6, 25
	v_rcp_iflag_f32_e32 v3, v4
	s_sub_i32 s9, 0, s5
	s_add_i32 s6, s14, s6
	s_ashr_i32 s6, s6, 7
	v_mul_f32_e32 v3, 0x4f7ffffe, v3
	v_cvt_u32_f32_e32 v3, v3
	s_abs_i32 s8, s6
	s_xor_b32 s7, s6, s16
	s_ashr_i32 s7, s7, 31
	v_readfirstlane_b32 s10, v3
	s_mul_i32 s9, s9, s10
	s_mul_hi_u32 s9, s10, s9
	s_add_i32 s10, s10, s9
	s_mul_hi_u32 s9, s8, s10
	s_mul_i32 s10, s9, s5
	s_sub_i32 s8, s8, s10
	s_add_i32 s10, s9, 1
	s_sub_i32 s11, s8, s5
	s_cmp_ge_u32 s8, s5
	s_cselect_b32 s9, s10, s9
	s_cselect_b32 s8, s11, s8
	s_add_i32 s10, s9, 1
	s_cmp_ge_u32 s8, s5
	s_cselect_b32 s5, s10, s9
	s_xor_b32 s5, s5, s7
	s_sub_i32 s44, s5, s7
	s_add_i32 s16, s16, -1
	s_mul_i32 s5, s44, s16
	s_add_i32 s4, s4, s19
	s_sub_i32 s45, s6, s5
	v_cmp_gt_i32_e64 s[4:5], s4, v2
	v_lshlrev_b32_e32 v2, 1, v0
	v_lshlrev_b32_e32 v3, 4, v0
	v_and_b32_e32 v1, 60, v1
	v_and_b32_e32 v2, 64, v2
	;; [unrolled: 1-line block ×3, first 2 shown]
	s_abs_i32 s46, s33
	v_or3_b32 v21, v1, v2, v4
	v_and_b32_e32 v1, 1, v0
	v_cvt_f32_u32_e32 v6, s46
	v_lshlrev_b32_e32 v2, 1, v1
	v_lshrrev_b32_e32 v4, 2, v0
	v_and_b32_e32 v8, 14, v0
	v_sub_u32_e32 v2, v0, v2
	v_and_or_b32 v23, v4, 12, v1
	v_bitop3_b32 v24, v0, 1, v0 bitop3:0xc
	v_bitop3_b32 v25, v0, 3, 1 bitop3:0x6c
	v_and_b32_e32 v12, 48, v3
	v_bfe_u32 v1, v0, 2, 4
	v_and_b32_e32 v3, 60, v0
	v_lshlrev_b32_e32 v5, 8, v0
	v_lshlrev_b32_e32 v0, 6, v0
	v_and_b32_e32 v5, 0x200, v5
	v_and_b32_e32 v0, 64, v0
	v_or3_b32 v26, v3, v5, v0
	v_rcp_iflag_f32_e32 v0, v6
	s_abs_i32 s47, s42
	v_mul_lo_u32 v14, s15, v1
	v_mul_lo_u32 v29, s14, v1
	v_cvt_f32_u32_e32 v1, s47
	v_mul_f32_e32 v0, 0x4f7ffffe, v0
	v_cvt_u32_f32_e32 v0, v0
	v_mad_u64_u32 v[10:11], s[6:7], s13, v23, v[8:9]
	v_rcp_iflag_f32_e32 v1, v1
	v_readfirstlane_b32 s7, v0
	s_sub_i32 s6, 0, s46
	s_mul_i32 s6, s6, s7
	v_mul_f32_e32 v0, 0x4f7ffffe, v1
	v_cvt_u32_f32_e32 v0, v0
	s_mul_hi_u32 s6, s7, s6
	v_add_u32_e32 v2, 1, v2
	s_add_i32 s49, s7, s6
	s_sub_i32 s6, 0, s47
	v_readfirstlane_b32 s7, v0
	v_mbcnt_lo_u32_b32 v0, -1, 0
	v_and_b32_e32 v2, 63, v2
	s_mul_i32 s6, s6, s7
	v_mbcnt_hi_u32_b32 v0, -1, v0
	s_mul_hi_u32 s6, s7, s6
	v_and_or_b32 v0, v0, 64, v2
	v_cndmask_b32_e64 v20, 0, 1, s[0:1]
	v_or_b32_e32 v22, 0x1800, v21
	v_ashrrev_i32_e32 v11, 31, v10
	s_ashr_i32 s11, s13, 31
	s_mov_b32 s10, s13
	v_ashrrev_i32_e32 v15, 31, v14
	v_mov_b32_e32 v13, 0
	v_or_b32_e32 v27, 0x1800, v26
	v_bitop3_b32 v28, v4, 15, v4 bitop3:0xc
	s_ashr_i32 s48, s33, 31
	s_ashr_i32 s50, s42, 31
	s_add_i32 s51, s7, s6
	v_lshlrev_b32_e32 v30, 2, v0
	v_mov_b32_e32 v31, v18
	s_branch .LBB14_7
.LBB14_4:                               ;   in Loop: Header=BB14_7 Depth=1
	s_or_b64 exec, exec, s[28:29]
.LBB14_5:                               ;   in Loop: Header=BB14_7 Depth=1
	s_or_b64 exec, exec, s[8:9]
	v_subrev_u32_e32 v31, s52, v31
.LBB14_6:                               ;   in Loop: Header=BB14_7 Depth=1
	s_or_b64 exec, exec, s[6:7]
	s_add_i32 s43, s43, 1
	v_cmp_ge_i32_e32 vcc, s43, v9
	s_cbranch_vccnz .LBB14_42
.LBB14_7:                               ; =>This Loop Header: Depth=1
                                        ;     Child Loop BB14_13 Depth 2
                                        ;       Child Loop BB14_15 Depth 3
                                        ;       Child Loop BB14_18 Depth 3
                                        ;     Child Loop BB14_29 Depth 2
                                        ;       Child Loop BB14_31 Depth 3
                                        ;     Child Loop BB14_39 Depth 2
                                        ;       Child Loop BB14_41 Depth 3
	s_abs_i32 s7, s43
	s_mul_hi_u32 s8, s7, s49
	s_mul_i32 s9, s8, s46
	s_ashr_i32 s6, s43, 31
	s_sub_i32 s7, s7, s9
	s_xor_b32 s6, s6, s48
	s_add_i32 s9, s8, 1
	s_sub_i32 s28, s7, s46
	s_cmp_ge_u32 s7, s46
	s_cselect_b32 s8, s9, s8
	s_cselect_b32 s7, s28, s7
	s_add_i32 s9, s8, 1
	s_cmp_ge_u32 s7, s46
	s_cselect_b32 s7, s9, s8
	s_xor_b32 s7, s7, s6
	s_sub_i32 s6, s7, s6
	s_abs_i32 s8, s6
	s_mul_i32 s7, s6, s33
	s_mul_hi_u32 s9, s8, s51
	s_sub_i32 s7, s43, s7
	s_mul_i32 s28, s9, s47
	s_lshl_b32 s53, s7, 4
	s_ashr_i32 s7, s6, 31
	s_sub_i32 s8, s8, s28
	s_xor_b32 s7, s7, s50
	s_add_i32 s28, s9, 1
	s_sub_i32 s29, s8, s47
	s_cmp_ge_u32 s8, s47
	s_cselect_b32 s9, s28, s9
	s_cselect_b32 s8, s29, s8
	s_add_i32 s28, s9, 1
	s_cmp_ge_u32 s8, s47
	s_cselect_b32 s8, s28, s9
	s_xor_b32 s8, s8, s7
	s_sub_i32 s7, s8, s7
	s_mul_i32 s8, s7, s44
	s_lshl_b32 s54, s8, 7
	s_cmp_eq_u32 s7, s16
	s_cselect_b32 s52, s45, s44
	s_sub_i32 s55, s53, s12
	s_add_i32 s55, s55, 16
	s_and_saveexec_b64 s[8:9], s[2:3]
	s_xor_b64 s[28:29], exec, s[8:9]
	s_cbranch_execz .LBB14_35
; %bb.8:                                ;   in Loop: Header=BB14_7 Depth=1
	s_mul_i32 s7, s7, s42
	s_sub_i32 s6, s6, s7
	s_lshl_b32 s6, s6, 4
	s_sub_i32 s31, s6, s13
	s_add_i32 s31, s31, 16
	s_max_i32 s7, s31, 0
	s_sub_i32 s30, s6, s7
	s_and_saveexec_b64 s[6:7], s[0:1]
	s_xor_b64 s[34:35], exec, s[6:7]
	s_cbranch_execz .LBB14_25
; %bb.9:                                ;   in Loop: Header=BB14_7 Depth=1
	s_and_saveexec_b64 s[36:37], s[4:5]
	s_cbranch_execz .LBB14_24
; %bb.10:                               ;   in Loop: Header=BB14_7 Depth=1
	s_waitcnt lgkmcnt(0)
	global_load_dword v32, v13, s[26:27]
	v_mov_b32_e32 v3, 0
	v_cmp_gt_i32_e32 vcc, s52, v31
	v_mov_b32_e32 v2, v3
	v_mov_b32_e32 v1, v3
	;; [unrolled: 1-line block ×3, first 2 shown]
	s_and_saveexec_b64 s[6:7], vcc
	s_cbranch_execz .LBB14_20
; %bb.11:                               ;   in Loop: Header=BB14_7 Depth=1
	v_mov_b32_e32 v0, 0
	s_mov_b64 s[8:9], 0
	v_mov_b32_e32 v1, v0
	v_mov_b32_e32 v2, v0
	;; [unrolled: 1-line block ×3, first 2 shown]
	s_branch .LBB14_13
.LBB14_12:                              ;   in Loop: Header=BB14_13 Depth=2
	s_or_b64 exec, exec, s[38:39]
	v_add_u32_e32 v40, v21, v36
	ds_read2_b32 v[36:37], v40 offset1:32
	ds_read2_b32 v[38:39], v40 offset0:128 offset1:160
	v_add_u32_e32 v40, 0x400, v40
	v_add_u32_e32 v31, s19, v31
	v_cmp_le_i32_e32 vcc, s52, v31
	s_waitcnt lgkmcnt(1)
	v_mfma_f32_16x16x32_fp8_fp8 v[0:3], v[36:37], v[16:17], v[0:3]
	ds_read2_b32 v[16:17], v40 offset1:32
	ds_read2_b32 v[36:37], v40 offset0:128 offset1:160
	s_or_b64 s[8:9], vcc, s[8:9]
	s_waitcnt lgkmcnt(2)
	v_mfma_f32_16x16x32_fp8_fp8 v[0:3], v[38:39], v[18:19], v[0:3]
	v_add_u32_e32 v18, s19, v34
	v_add_u32_e32 v19, 2, v20
	v_cmp_lt_i32_e32 vcc, 2, v18
	;;#ASMSTART
	s_waitcnt lgkmcnt(0)
	;;#ASMEND
	s_waitcnt lgkmcnt(1)
	v_mfma_f32_16x16x32_fp8_fp8 v[0:3], v[16:17], v[6:7], v[0:3]
	v_cndmask_b32_e32 v20, v20, v19, vcc
	ds_write_b32 v33, v35
	s_waitcnt lgkmcnt(1)
	v_mfma_f32_16x16x32_fp8_fp8 v[0:3], v[36:37], v[4:5], v[0:3]
	s_andn2_b64 exec, exec, s[8:9]
	s_cbranch_execz .LBB14_19
.LBB14_13:                              ;   Parent Loop BB14_7 Depth=1
                                        ; =>  This Loop Header: Depth=2
                                        ;       Child Loop BB14_15 Depth 3
                                        ;       Child Loop BB14_18 Depth 3
	v_cmp_gt_i32_e32 vcc, 3, v18
	s_nop 1
	v_cndmask_b32_e64 v4, -3, 0, vcc
	v_add_u32_e32 v34, v4, v18
	v_lshlrev_b32_e32 v4, 2, v34
	ds_read_b32 v5, v4 offset:12300
	v_add_u32_e32 v33, 0x3000, v4
	s_waitcnt lgkmcnt(0)
	v_cmp_ne_u32_e32 vcc, v5, v20
	s_and_saveexec_b64 s[38:39], vcc
	s_cbranch_execz .LBB14_16
; %bb.14:                               ;   in Loop: Header=BB14_13 Depth=2
	s_mov_b64 s[40:41], 0
.LBB14_15:                              ;   Parent Loop BB14_7 Depth=1
                                        ;     Parent Loop BB14_13 Depth=2
                                        ; =>    This Inner Loop Header: Depth=3
	;;#ASMSTART
	s_sleep 0
	;;#ASMEND
	ds_read_b32 v4, v33 offset:12
	s_waitcnt lgkmcnt(0)
	v_cmp_eq_u32_e32 vcc, v4, v20
	s_or_b64 s[40:41], vcc, s[40:41]
	s_andn2_b64 exec, exec, s[40:41]
	s_cbranch_execnz .LBB14_15
.LBB14_16:                              ;   in Loop: Header=BB14_13 Depth=2
	s_or_b64 exec, exec, s[38:39]
	v_lshlrev_b32_e32 v36, 11, v34
	v_add_u32_e32 v4, v22, v36
	ds_read2_b32 v[16:17], v4 offset1:32
	ds_read2_b32 v[18:19], v4 offset0:128 offset1:160
	v_add_u32_e32 v4, 0x400, v4
	ds_read2_b32 v[6:7], v4 offset1:32
	ds_read2_b32 v[4:5], v4 offset0:128 offset1:160
	;;#ASMSTART
	s_waitcnt lgkmcnt(0)
	;;#ASMEND
	ds_read_b32 v37, v33
	v_add_u32_e32 v35, 1, v20
	ds_write_b32 v33, v35 offset:12
	s_waitcnt lgkmcnt(1)
	v_cmp_ne_u32_e32 vcc, v37, v20
	s_and_saveexec_b64 s[38:39], vcc
	s_cbranch_execz .LBB14_12
; %bb.17:                               ;   in Loop: Header=BB14_13 Depth=2
	s_mov_b64 s[40:41], 0
.LBB14_18:                              ;   Parent Loop BB14_7 Depth=1
                                        ;     Parent Loop BB14_13 Depth=2
                                        ; =>    This Inner Loop Header: Depth=3
	;;#ASMSTART
	s_sleep 0
	;;#ASMEND
	ds_read_b32 v37, v33
	s_waitcnt lgkmcnt(0)
	v_cmp_eq_u32_e32 vcc, v37, v20
	s_or_b64 s[40:41], vcc, s[40:41]
	s_andn2_b64 exec, exec, s[40:41]
	s_cbranch_execnz .LBB14_18
	s_branch .LBB14_12
.LBB14_19:                              ;   in Loop: Header=BB14_7 Depth=1
	s_or_b64 exec, exec, s[8:9]
.LBB14_20:                              ;   in Loop: Header=BB14_7 Depth=1
	s_or_b64 exec, exec, s[6:7]
	v_cmp_le_i32_e32 vcc, s31, v8
	v_cmp_eq_u32_e64 s[6:7], 3, v24
	s_waitcnt vmcnt(0)
	v_cndmask_b32_e32 v4, 0, v32, vcc
	v_pk_mul_f32 v[6:7], v[4:5], v[2:3] op_sel_hi:[0,1]
	v_pk_mul_f32 v[4:5], v[4:5], v[0:1] op_sel_hi:[0,1]
	v_cmp_eq_u32_e32 vcc, 1, v24
	s_nop 1
	v_cndmask_b32_e32 v0, v4, v5, vcc
	v_cmp_eq_u32_e32 vcc, 2, v24
	s_nop 1
	v_cndmask_b32_e32 v0, v0, v6, vcc
	v_cndmask_b32_e64 v0, v0, v7, s[6:7]
	ds_bpermute_b32 v1, v30, v0
	s_waitcnt lgkmcnt(0)
	v_cndmask_b32_e32 v3, v6, v1, vcc
	v_cmp_ne_u32_e32 vcc, 0, v24
	v_cndmask_b32_e64 v2, v7, v1, s[6:7]
	s_max_i32 s6, s55, 0
	v_cndmask_b32_e32 v0, v5, v1, vcc
	v_cmp_eq_u32_e32 vcc, 0, v24
	v_add_u32_e32 v5, s6, v23
	s_nop 0
	v_cndmask_b32_e32 v1, v4, v1, vcc
	v_cmp_eq_u32_e32 vcc, 1, v25
	s_nop 1
	v_cndmask_b32_e32 v4, v1, v0, vcc
	v_cmp_eq_u32_e32 vcc, 2, v25
	;; [unrolled: 3-line block ×3, first 2 shown]
	s_nop 1
	v_cndmask_b32_e32 v4, v4, v2, vcc
	ds_bpermute_b32 v4, v30, v4
	v_cmp_gt_u32_e32 vcc, 16, v5
	s_and_saveexec_b64 s[38:39], vcc
	s_cbranch_execz .LBB14_23
; %bb.21:                               ;   in Loop: Header=BB14_7 Depth=1
	v_cmp_eq_u32_e64 s[8:9], 1, v25
	v_cmp_eq_u32_e32 vcc, 3, v25
	v_cmp_eq_u32_e64 s[6:7], 2, v25
	s_waitcnt lgkmcnt(0)
	v_cndmask_b32_e64 v0, v0, v4, s[8:9]
	v_cmp_eq_u32_e64 s[8:9], 0, v25
	v_cvt_f16_f32_sdwa v7, v0 dst_sel:WORD_1 dst_unused:UNUSED_PAD src0_sel:DWORD
	s_nop 0
	v_cndmask_b32_e64 v1, v1, v4, s[8:9]
	s_mul_i32 s8, s53, s13
	s_ashr_i32 s9, s8, 31
	s_lshl_b64 s[8:9], s[8:9], 1
	s_add_u32 s40, s24, s8
	s_addc_u32 s41, s25, s9
	s_ashr_i32 s31, s30, 31
	s_lshl_b64 s[8:9], s[30:31], 1
	v_cvt_f16_f32_e32 v6, v1
	s_add_u32 s8, s40, s8
	s_addc_u32 s9, s41, s9
	v_lshl_add_u64 v[0:1], v[10:11], 1, s[8:9]
	v_cmp_gt_u32_e64 s[8:9], 14, v5
	v_or_b32_e32 v6, v7, v6
	;;#ASMSTART
	global_atomic_pk_add_f16 v[0:1], v6, off
	
	;;#ASMEND
	s_and_b64 exec, exec, s[8:9]
	s_cbranch_execz .LBB14_23
; %bb.22:                               ;   in Loop: Header=BB14_7 Depth=1
	v_cndmask_b32_e32 v2, v2, v4, vcc
	v_cndmask_b32_e64 v3, v3, v4, s[6:7]
	v_cvt_f16_f32_e32 v3, v3
	v_cvt_f16_f32_sdwa v2, v2 dst_sel:WORD_1 dst_unused:UNUSED_PAD src0_sel:DWORD
	v_lshl_add_u64 v[0:1], s[10:11], 2, v[0:1]
	v_or_b32_e32 v2, v2, v3
	;;#ASMSTART
	global_atomic_pk_add_f16 v[0:1], v2, off
	
	;;#ASMEND
.LBB14_23:                              ;   in Loop: Header=BB14_7 Depth=1
	s_or_b64 exec, exec, s[38:39]
	v_subrev_u32_e32 v31, s52, v31
.LBB14_24:                              ;   in Loop: Header=BB14_7 Depth=1
	s_or_b64 exec, exec, s[36:37]
.LBB14_25:                              ;   in Loop: Header=BB14_7 Depth=1
	s_andn2_saveexec_b64 s[6:7], s[34:35]
	s_cbranch_execz .LBB14_34
; %bb.26:                               ;   in Loop: Header=BB14_7 Depth=1
	v_cmp_gt_i32_e32 vcc, s52, v31
	s_and_saveexec_b64 s[8:9], vcc
	s_cbranch_execz .LBB14_33
; %bb.27:                               ;   in Loop: Header=BB14_7 Depth=1
	s_mul_i32 s30, s30, s15
	s_ashr_i32 s31, s30, 31
	s_waitcnt lgkmcnt(0)
	s_add_u32 s30, s22, s30
	s_addc_u32 s31, s23, s31
	s_ashr_i32 s34, s54, 31
	s_add_u32 s30, s30, s54
	s_addc_u32 s31, s31, s34
	v_lshl_add_u64 v[0:1], s[30:31], 0, v[14:15]
	v_lshl_add_u64 v[16:17], v[0:1], 0, v[12:13]
	s_mov_b64 s[30:31], 0
	s_branch .LBB14_29
.LBB14_28:                              ;   in Loop: Header=BB14_29 Depth=2
	s_or_b64 exec, exec, s[34:35]
	v_lshl_add_u32 v32, v18, 11, v27
	;;#ASMSTART
	s_waitcnt vmcnt(1)
	;;#ASMEND
	ds_write2_b32 v32, v4, v5 offset1:32
	ds_write2_b32 v32, v6, v7 offset0:64 offset1:96
	v_add_u32_e32 v4, 0x400, v32
	v_add_u32_e32 v31, s18, v31
	;;#ASMSTART
	s_waitcnt vmcnt(0)
	;;#ASMEND
	ds_write2_b32 v4, v0, v1 offset1:32
	ds_write2_b32 v4, v2, v3 offset0:64 offset1:96
	v_add_u32_e32 v0, 1, v20
	v_add_u32_e32 v18, s18, v18
	v_cmp_le_i32_e32 vcc, s52, v31
	ds_write_b32 v19, v0 offset:12
	v_add_u32_e32 v0, 2, v20
	s_or_b64 s[30:31], vcc, s[30:31]
	v_cmp_lt_i32_e32 vcc, 2, v18
	s_nop 1
	v_cndmask_b32_e32 v20, v20, v0, vcc
	s_andn2_b64 exec, exec, s[30:31]
	s_cbranch_execz .LBB14_32
.LBB14_29:                              ;   Parent Loop BB14_7 Depth=1
                                        ; =>  This Loop Header: Depth=2
                                        ;       Child Loop BB14_31 Depth 3
	v_cmp_gt_i32_e32 vcc, 3, v18
	s_nop 1
	v_cndmask_b32_e64 v0, -3, 0, vcc
	v_add_u32_e32 v18, v0, v18
	v_lshlrev_b32_e32 v0, 7, v31
	v_ashrrev_i32_e32 v1, 31, v0
	v_lshl_add_u64 v[0:1], v[16:17], 0, v[0:1]
	v_lshlrev_b32_e32 v19, 2, v18
	;;#ASMSTART
	global_load_dwordx4 v[4:7], v[0:1], off offset:0   sc0 sc1 nt  
	global_load_dwordx4 v[0:3], v[0:1], off offset:64  sc0 sc1 nt  
	
	;;#ASMEND
	ds_read_b32 v32, v19 offset:12300
	v_add_u32_e32 v19, 0x3000, v19
	s_waitcnt lgkmcnt(0)
	v_cmp_ne_u32_e32 vcc, v32, v20
	s_and_saveexec_b64 s[34:35], vcc
	s_cbranch_execz .LBB14_28
; %bb.30:                               ;   in Loop: Header=BB14_29 Depth=2
	s_mov_b64 s[36:37], 0
.LBB14_31:                              ;   Parent Loop BB14_7 Depth=1
                                        ;     Parent Loop BB14_29 Depth=2
                                        ; =>    This Inner Loop Header: Depth=3
	;;#ASMSTART
	s_sleep 0
	;;#ASMEND
	ds_read_b32 v32, v19 offset:12
	s_waitcnt lgkmcnt(0)
	v_cmp_eq_u32_e32 vcc, v32, v20
	s_or_b64 s[36:37], vcc, s[36:37]
	s_andn2_b64 exec, exec, s[36:37]
	s_cbranch_execnz .LBB14_31
	s_branch .LBB14_28
.LBB14_32:                              ;   in Loop: Header=BB14_7 Depth=1
	s_or_b64 exec, exec, s[30:31]
.LBB14_33:                              ;   in Loop: Header=BB14_7 Depth=1
	s_or_b64 exec, exec, s[8:9]
	v_subrev_u32_e32 v31, s52, v31
.LBB14_34:                              ;   in Loop: Header=BB14_7 Depth=1
	s_or_b64 exec, exec, s[6:7]
.LBB14_35:                              ;   in Loop: Header=BB14_7 Depth=1
	s_andn2_saveexec_b64 s[6:7], s[28:29]
	s_cbranch_execz .LBB14_6
; %bb.36:                               ;   in Loop: Header=BB14_7 Depth=1
	v_cmp_gt_i32_e32 vcc, s52, v31
	s_and_saveexec_b64 s[8:9], vcc
	s_cbranch_execz .LBB14_5
; %bb.37:                               ;   in Loop: Header=BB14_7 Depth=1
	s_mul_i32 s53, s53, s14
	s_ashr_i32 s28, s53, 31
	s_waitcnt lgkmcnt(0)
	s_add_u32 s29, s20, s53
	s_addc_u32 s30, s21, s28
	s_ashr_i32 s31, s54, 31
	v_cmp_le_i32_e32 vcc, s55, v28
	s_add_u32 s28, s29, s54
	s_addc_u32 s29, s30, s31
	v_cndmask_b32_e32 v0, 0, v29, vcc
	v_ashrrev_i32_e32 v1, 31, v0
	v_lshl_add_u64 v[0:1], s[28:29], 0, v[0:1]
	v_lshl_add_u64 v[16:17], v[0:1], 0, v[12:13]
	s_mov_b64 s[28:29], 0
	s_branch .LBB14_39
.LBB14_38:                              ;   in Loop: Header=BB14_39 Depth=2
	s_or_b64 exec, exec, s[30:31]
	v_lshl_or_b32 v32, v18, 11, v26
	;;#ASMSTART
	s_waitcnt vmcnt(1)
	;;#ASMEND
	ds_write2_b32 v32, v4, v5 offset1:32
	ds_write2_b32 v32, v6, v7 offset0:64 offset1:96
	v_add_u32_e32 v4, 0x400, v32
	v_add_u32_e32 v31, s17, v31
	;;#ASMSTART
	s_waitcnt vmcnt(0)
	;;#ASMEND
	ds_write2_b32 v4, v0, v1 offset1:32
	ds_write2_b32 v4, v2, v3 offset0:64 offset1:96
	v_add_u32_e32 v0, 1, v20
	v_add_u32_e32 v18, s17, v18
	v_cmp_le_i32_e32 vcc, s52, v31
	ds_write_b32 v19, v0
	v_add_u32_e32 v0, 2, v20
	s_or_b64 s[28:29], vcc, s[28:29]
	v_cmp_lt_i32_e32 vcc, 2, v18
	s_nop 1
	v_cndmask_b32_e32 v20, v20, v0, vcc
	s_andn2_b64 exec, exec, s[28:29]
	s_cbranch_execz .LBB14_4
.LBB14_39:                              ;   Parent Loop BB14_7 Depth=1
                                        ; =>  This Loop Header: Depth=2
                                        ;       Child Loop BB14_41 Depth 3
	v_cmp_gt_i32_e32 vcc, 3, v18
	s_nop 1
	v_cndmask_b32_e64 v0, -3, 0, vcc
	v_add_u32_e32 v18, v0, v18
	v_lshlrev_b32_e32 v0, 7, v31
	v_ashrrev_i32_e32 v1, 31, v0
	v_lshl_add_u64 v[0:1], v[16:17], 0, v[0:1]
	v_lshlrev_b32_e32 v19, 2, v18
	;;#ASMSTART
	global_load_dwordx4 v[4:7], v[0:1], off offset:0   
	global_load_dwordx4 v[0:3], v[0:1], off offset:64  
	
	;;#ASMEND
	ds_read_b32 v32, v19 offset:12288
	v_add_u32_e32 v19, 0x3000, v19
	s_waitcnt lgkmcnt(0)
	v_cmp_ne_u32_e32 vcc, v32, v20
	s_and_saveexec_b64 s[30:31], vcc
	s_cbranch_execz .LBB14_38
; %bb.40:                               ;   in Loop: Header=BB14_39 Depth=2
	s_mov_b64 s[34:35], 0
.LBB14_41:                              ;   Parent Loop BB14_7 Depth=1
                                        ;     Parent Loop BB14_39 Depth=2
                                        ; =>    This Inner Loop Header: Depth=3
	;;#ASMSTART
	s_sleep 0
	;;#ASMEND
	ds_read_b32 v32, v19
	s_waitcnt lgkmcnt(0)
	v_cmp_eq_u32_e32 vcc, v32, v20
	s_or_b64 s[34:35], vcc, s[34:35]
	s_andn2_b64 exec, exec, s[34:35]
	s_cbranch_execnz .LBB14_41
	s_branch .LBB14_38
.LBB14_42:
	s_endpgm
	.section	.rodata,"a",@progbits
	.p2align	6, 0x0
	.amdhsa_kernel _Z19_skinny_gemm_kernelILi1ELi1ELi3ELi16ELi4EEvPKhS1_P6__halfPKfiiiiiiii
		.amdhsa_group_segment_fixed_size 12312
		.amdhsa_private_segment_fixed_size 0
		.amdhsa_kernarg_size 64
		.amdhsa_user_sgpr_count 2
		.amdhsa_user_sgpr_dispatch_ptr 0
		.amdhsa_user_sgpr_queue_ptr 0
		.amdhsa_user_sgpr_kernarg_segment_ptr 1
		.amdhsa_user_sgpr_dispatch_id 0
		.amdhsa_user_sgpr_kernarg_preload_length 0
		.amdhsa_user_sgpr_kernarg_preload_offset 0
		.amdhsa_user_sgpr_private_segment_size 0
		.amdhsa_uses_dynamic_stack 0
		.amdhsa_enable_private_segment 0
		.amdhsa_system_sgpr_workgroup_id_x 1
		.amdhsa_system_sgpr_workgroup_id_y 0
		.amdhsa_system_sgpr_workgroup_id_z 0
		.amdhsa_system_sgpr_workgroup_info 0
		.amdhsa_system_vgpr_workitem_id 0
		.amdhsa_next_free_vgpr 41
		.amdhsa_next_free_sgpr 56
		.amdhsa_accum_offset 44
		.amdhsa_reserve_vcc 1
		.amdhsa_float_round_mode_32 0
		.amdhsa_float_round_mode_16_64 0
		.amdhsa_float_denorm_mode_32 3
		.amdhsa_float_denorm_mode_16_64 3
		.amdhsa_dx10_clamp 1
		.amdhsa_ieee_mode 1
		.amdhsa_fp16_overflow 0
		.amdhsa_tg_split 0
		.amdhsa_exception_fp_ieee_invalid_op 0
		.amdhsa_exception_fp_denorm_src 0
		.amdhsa_exception_fp_ieee_div_zero 0
		.amdhsa_exception_fp_ieee_overflow 0
		.amdhsa_exception_fp_ieee_underflow 0
		.amdhsa_exception_fp_ieee_inexact 0
		.amdhsa_exception_int_div_zero 0
	.end_amdhsa_kernel
	.section	.text._Z19_skinny_gemm_kernelILi1ELi1ELi3ELi16ELi4EEvPKhS1_P6__halfPKfiiiiiiii,"axG",@progbits,_Z19_skinny_gemm_kernelILi1ELi1ELi3ELi16ELi4EEvPKhS1_P6__halfPKfiiiiiiii,comdat
.Lfunc_end14:
	.size	_Z19_skinny_gemm_kernelILi1ELi1ELi3ELi16ELi4EEvPKhS1_P6__halfPKfiiiiiiii, .Lfunc_end14-_Z19_skinny_gemm_kernelILi1ELi1ELi3ELi16ELi4EEvPKhS1_P6__halfPKfiiiiiiii
                                        ; -- End function
	.set _Z19_skinny_gemm_kernelILi1ELi1ELi3ELi16ELi4EEvPKhS1_P6__halfPKfiiiiiiii.num_vgpr, 41
	.set _Z19_skinny_gemm_kernelILi1ELi1ELi3ELi16ELi4EEvPKhS1_P6__halfPKfiiiiiiii.num_agpr, 0
	.set _Z19_skinny_gemm_kernelILi1ELi1ELi3ELi16ELi4EEvPKhS1_P6__halfPKfiiiiiiii.numbered_sgpr, 56
	.set _Z19_skinny_gemm_kernelILi1ELi1ELi3ELi16ELi4EEvPKhS1_P6__halfPKfiiiiiiii.num_named_barrier, 0
	.set _Z19_skinny_gemm_kernelILi1ELi1ELi3ELi16ELi4EEvPKhS1_P6__halfPKfiiiiiiii.private_seg_size, 0
	.set _Z19_skinny_gemm_kernelILi1ELi1ELi3ELi16ELi4EEvPKhS1_P6__halfPKfiiiiiiii.uses_vcc, 1
	.set _Z19_skinny_gemm_kernelILi1ELi1ELi3ELi16ELi4EEvPKhS1_P6__halfPKfiiiiiiii.uses_flat_scratch, 0
	.set _Z19_skinny_gemm_kernelILi1ELi1ELi3ELi16ELi4EEvPKhS1_P6__halfPKfiiiiiiii.has_dyn_sized_stack, 0
	.set _Z19_skinny_gemm_kernelILi1ELi1ELi3ELi16ELi4EEvPKhS1_P6__halfPKfiiiiiiii.has_recursion, 0
	.set _Z19_skinny_gemm_kernelILi1ELi1ELi3ELi16ELi4EEvPKhS1_P6__halfPKfiiiiiiii.has_indirect_call, 0
	.section	.AMDGPU.csdata,"",@progbits
; Kernel info:
; codeLenInByte = 2600
; TotalNumSgprs: 62
; NumVgprs: 41
; NumAgprs: 0
; TotalNumVgprs: 41
; ScratchSize: 0
; MemoryBound: 0
; FloatMode: 240
; IeeeMode: 1
; LDSByteSize: 12312 bytes/workgroup (compile time only)
; SGPRBlocks: 7
; VGPRBlocks: 5
; NumSGPRsForWavesPerEU: 62
; NumVGPRsForWavesPerEU: 41
; AccumOffset: 44
; Occupancy: 8
; WaveLimiterHint : 0
; COMPUTE_PGM_RSRC2:SCRATCH_EN: 0
; COMPUTE_PGM_RSRC2:USER_SGPR: 2
; COMPUTE_PGM_RSRC2:TRAP_HANDLER: 0
; COMPUTE_PGM_RSRC2:TGID_X_EN: 1
; COMPUTE_PGM_RSRC2:TGID_Y_EN: 0
; COMPUTE_PGM_RSRC2:TGID_Z_EN: 0
; COMPUTE_PGM_RSRC2:TIDIG_COMP_CNT: 0
; COMPUTE_PGM_RSRC3_GFX90A:ACCUM_OFFSET: 10
; COMPUTE_PGM_RSRC3_GFX90A:TG_SPLIT: 0
	.section	.text._Z19_skinny_gemm_kernelILi1ELi1ELi3ELi16ELi8EEvPKhS1_P6__halfPKfiiiiiiii,"axG",@progbits,_Z19_skinny_gemm_kernelILi1ELi1ELi3ELi16ELi8EEvPKhS1_P6__halfPKfiiiiiiii,comdat
	.protected	_Z19_skinny_gemm_kernelILi1ELi1ELi3ELi16ELi8EEvPKhS1_P6__halfPKfiiiiiiii ; -- Begin function _Z19_skinny_gemm_kernelILi1ELi1ELi3ELi16ELi8EEvPKhS1_P6__halfPKfiiiiiiii
	.globl	_Z19_skinny_gemm_kernelILi1ELi1ELi3ELi16ELi8EEvPKhS1_P6__halfPKfiiiiiiii
	.p2align	8
	.type	_Z19_skinny_gemm_kernelILi1ELi1ELi3ELi16ELi8EEvPKhS1_P6__halfPKfiiiiiiii,@function
_Z19_skinny_gemm_kernelILi1ELi1ELi3ELi16ELi8EEvPKhS1_P6__halfPKfiiiiiiii: ; @_Z19_skinny_gemm_kernelILi1ELi1ELi3ELi16ELi8EEvPKhS1_P6__halfPKfiiiiiiii
; %bb.0:
	v_cmp_gt_u32_e32 vcc, 6, v0
	v_lshlrev_b32_e32 v1, 2, v0
	s_and_saveexec_b64 s[4:5], vcc
; %bb.1:
	v_mov_b32_e32 v2, 0
	ds_write_b32 v1, v2 offset:24576
; %bb.2:
	s_or_b64 exec, exec, s[4:5]
	s_load_dwordx8 s[12:19], s[0:1], 0x20
	s_waitcnt lgkmcnt(0)
	s_barrier
	s_add_i32 s3, s12, 15
	s_ashr_i32 s5, s3, 31
	s_add_i32 s4, s13, 15
	s_lshr_b32 s5, s5, 28
	s_ashr_i32 s6, s4, 31
	s_add_i32 s3, s3, s5
	s_ashr_i32 s33, s3, 4
	s_lshr_b32 s3, s6, 28
	s_add_i32 s4, s4, s3
	s_ashr_i32 s42, s4, 4
	s_mul_i32 s3, s42, s33
	s_mul_i32 s3, s3, s16
	s_add_i32 s4, s3, 0x12f
	s_mul_hi_i32 s4, s4, 0x6bca1af3
	s_lshr_b32 s5, s4, 31
	s_ashr_i32 s4, s4, 7
	s_add_i32 s4, s4, s5
	s_add_i32 s5, s2, 1
	s_mul_i32 s5, s4, s5
	v_cvt_f64_i32_e32 v[2:3], s3
	v_cvt_f64_u32_e32 v[4:5], s5
	v_min_f64 v[2:3], v[2:3], v[4:5]
	v_cvt_i32_f64_e32 v17, v[2:3]
	s_mul_i32 s43, s4, s2
	v_cmp_ge_i32_e32 vcc, s43, v17
	s_cbranch_vccnz .LBB15_42
; %bb.3:
	v_lshrrev_b32_e32 v2, 6, v0
	s_add_i32 s4, s18, s17
	s_load_dwordx8 s[20:27], s[0:1], 0x0
	v_cmp_le_i32_e64 s[0:1], s4, v2
	v_mov_b32_e32 v3, s17
	v_cmp_le_i32_e64 s[2:3], s17, v2
	v_mov_b32_e32 v4, s18
	v_cndmask_b32_e64 v4, 0, v4, s[0:1]
	v_cndmask_b32_e64 v3, 0, v3, s[2:3]
	s_abs_i32 s5, s16
	v_add_u32_e32 v3, v3, v4
	v_cvt_f32_u32_e32 v4, s5
	v_sub_u32_e32 v6, v2, v3
	s_ashr_i32 s6, s14, 31
	s_lshr_b32 s6, s6, 24
	v_rcp_iflag_f32_e32 v3, v4
	s_sub_i32 s9, 0, s5
	s_add_i32 s6, s14, s6
	s_ashr_i32 s6, s6, 8
	v_mul_f32_e32 v3, 0x4f7ffffe, v3
	v_cvt_u32_f32_e32 v3, v3
	s_abs_i32 s8, s6
	s_xor_b32 s7, s6, s16
	s_ashr_i32 s7, s7, 31
	v_readfirstlane_b32 s10, v3
	s_mul_i32 s9, s9, s10
	s_mul_hi_u32 s9, s10, s9
	s_add_i32 s10, s10, s9
	s_mul_hi_u32 s9, s8, s10
	s_mul_i32 s10, s9, s5
	s_sub_i32 s8, s8, s10
	s_add_i32 s10, s9, 1
	s_sub_i32 s11, s8, s5
	s_cmp_ge_u32 s8, s5
	s_cselect_b32 s9, s10, s9
	s_cselect_b32 s8, s11, s8
	s_add_i32 s10, s9, 1
	s_cmp_ge_u32 s8, s5
	s_cselect_b32 s5, s10, s9
	s_xor_b32 s5, s5, s7
	s_sub_i32 s44, s5, s7
	s_add_i32 s16, s16, -1
	s_mul_i32 s5, s44, s16
	s_add_i32 s4, s4, s19
	s_sub_i32 s45, s6, s5
	v_cmp_gt_i32_e64 s[4:5], s4, v2
	v_lshlrev_b32_e32 v2, 1, v0
	v_lshlrev_b32_e32 v3, 4, v0
	v_and_b32_e32 v1, 60, v1
	v_and_b32_e32 v2, 64, v2
	;; [unrolled: 1-line block ×3, first 2 shown]
	s_abs_i32 s46, s33
	v_or3_b32 v29, v1, v2, v4
	v_and_b32_e32 v1, 1, v0
	v_cvt_f32_u32_e32 v7, s46
	v_lshlrev_b32_e32 v2, 1, v1
	v_lshrrev_b32_e32 v4, 2, v0
	v_and_b32_e32 v16, 14, v0
	v_sub_u32_e32 v2, v0, v2
	v_and_or_b32 v31, v4, 12, v1
	v_bitop3_b32 v32, v0, 1, v0 bitop3:0xc
	v_bitop3_b32 v33, v0, 3, 1 bitop3:0x6c
	v_and_b32_e32 v20, 48, v3
	v_bfe_u32 v1, v0, 2, 4
	v_and_b32_e32 v3, 60, v0
	v_lshlrev_b32_e32 v5, 8, v0
	v_lshlrev_b32_e32 v0, 6, v0
	v_and_b32_e32 v5, 0x200, v5
	v_and_b32_e32 v0, 64, v0
	v_or3_b32 v34, v3, v5, v0
	v_rcp_iflag_f32_e32 v0, v7
	s_abs_i32 s47, s42
	v_mul_lo_u32 v22, s15, v1
	v_mul_lo_u32 v37, s14, v1
	v_cvt_f32_u32_e32 v1, s47
	v_mul_f32_e32 v0, 0x4f7ffffe, v0
	v_cvt_u32_f32_e32 v0, v0
	v_mad_u64_u32 v[18:19], s[6:7], s13, v31, v[16:17]
	v_rcp_iflag_f32_e32 v1, v1
	v_readfirstlane_b32 s7, v0
	s_sub_i32 s6, 0, s46
	s_mul_i32 s6, s6, s7
	v_mul_f32_e32 v0, 0x4f7ffffe, v1
	v_cvt_u32_f32_e32 v0, v0
	s_mul_hi_u32 s6, s7, s6
	v_add_u32_e32 v2, 1, v2
	s_add_i32 s49, s7, s6
	s_sub_i32 s6, 0, s47
	v_readfirstlane_b32 s7, v0
	v_mbcnt_lo_u32_b32 v0, -1, 0
	v_and_b32_e32 v2, 63, v2
	s_mul_i32 s6, s6, s7
	v_mbcnt_hi_u32_b32 v0, -1, v0
	s_mul_hi_u32 s6, s7, s6
	v_and_or_b32 v0, v0, 64, v2
	v_cndmask_b32_e64 v28, 0, 1, s[0:1]
	v_or_b32_e32 v30, 0x3000, v29
	v_ashrrev_i32_e32 v19, 31, v18
	s_ashr_i32 s11, s13, 31
	s_mov_b32 s10, s13
	v_ashrrev_i32_e32 v23, 31, v22
	v_mov_b32_e32 v21, 0
	v_or_b32_e32 v35, 0x3000, v34
	v_bitop3_b32 v36, v4, 15, v4 bitop3:0xc
	s_ashr_i32 s48, s33, 31
	s_ashr_i32 s50, s42, 31
	s_add_i32 s51, s7, s6
	v_lshlrev_b32_e32 v38, 2, v0
	v_mov_b32_e32 v39, v6
	s_branch .LBB15_7
.LBB15_4:                               ;   in Loop: Header=BB15_7 Depth=1
	s_or_b64 exec, exec, s[28:29]
.LBB15_5:                               ;   in Loop: Header=BB15_7 Depth=1
	s_or_b64 exec, exec, s[8:9]
	v_subrev_u32_e32 v39, s52, v39
.LBB15_6:                               ;   in Loop: Header=BB15_7 Depth=1
	s_or_b64 exec, exec, s[6:7]
	s_add_i32 s43, s43, 1
	v_cmp_ge_i32_e32 vcc, s43, v17
	s_cbranch_vccnz .LBB15_42
.LBB15_7:                               ; =>This Loop Header: Depth=1
                                        ;     Child Loop BB15_13 Depth 2
                                        ;       Child Loop BB15_15 Depth 3
                                        ;       Child Loop BB15_18 Depth 3
                                        ;     Child Loop BB15_29 Depth 2
                                        ;       Child Loop BB15_31 Depth 3
                                        ;     Child Loop BB15_39 Depth 2
                                        ;       Child Loop BB15_41 Depth 3
	s_abs_i32 s7, s43
	s_mul_hi_u32 s8, s7, s49
	s_mul_i32 s9, s8, s46
	s_ashr_i32 s6, s43, 31
	s_sub_i32 s7, s7, s9
	s_xor_b32 s6, s6, s48
	s_add_i32 s9, s8, 1
	s_sub_i32 s28, s7, s46
	s_cmp_ge_u32 s7, s46
	s_cselect_b32 s8, s9, s8
	s_cselect_b32 s7, s28, s7
	s_add_i32 s9, s8, 1
	s_cmp_ge_u32 s7, s46
	s_cselect_b32 s7, s9, s8
	s_xor_b32 s7, s7, s6
	s_sub_i32 s6, s7, s6
	s_abs_i32 s8, s6
	s_mul_i32 s7, s6, s33
	s_mul_hi_u32 s9, s8, s51
	s_sub_i32 s7, s43, s7
	s_mul_i32 s28, s9, s47
	s_lshl_b32 s53, s7, 4
	s_ashr_i32 s7, s6, 31
	s_sub_i32 s8, s8, s28
	s_xor_b32 s7, s7, s50
	s_add_i32 s28, s9, 1
	s_sub_i32 s29, s8, s47
	s_cmp_ge_u32 s8, s47
	s_cselect_b32 s9, s28, s9
	s_cselect_b32 s8, s29, s8
	s_add_i32 s28, s9, 1
	s_cmp_ge_u32 s8, s47
	s_cselect_b32 s8, s28, s9
	s_xor_b32 s8, s8, s7
	s_sub_i32 s7, s8, s7
	s_mul_i32 s8, s7, s44
	s_lshl_b32 s54, s8, 8
	s_cmp_eq_u32 s7, s16
	s_cselect_b32 s52, s45, s44
	s_sub_i32 s55, s53, s12
	s_add_i32 s55, s55, 16
	s_and_saveexec_b64 s[8:9], s[2:3]
	s_xor_b64 s[28:29], exec, s[8:9]
	s_cbranch_execz .LBB15_35
; %bb.8:                                ;   in Loop: Header=BB15_7 Depth=1
	s_mul_i32 s7, s7, s42
	s_sub_i32 s6, s6, s7
	s_lshl_b32 s6, s6, 4
	s_sub_i32 s31, s6, s13
	s_add_i32 s31, s31, 16
	s_max_i32 s7, s31, 0
	s_sub_i32 s30, s6, s7
	s_and_saveexec_b64 s[6:7], s[0:1]
	s_xor_b64 s[34:35], exec, s[6:7]
	s_cbranch_execz .LBB15_25
; %bb.9:                                ;   in Loop: Header=BB15_7 Depth=1
	s_and_saveexec_b64 s[36:37], s[4:5]
	s_cbranch_execz .LBB15_24
; %bb.10:                               ;   in Loop: Header=BB15_7 Depth=1
	s_waitcnt lgkmcnt(0)
	global_load_dword v40, v21, s[26:27]
	v_mov_b32_e32 v3, 0
	v_cmp_gt_i32_e32 vcc, s52, v39
	v_mov_b32_e32 v2, v3
	v_mov_b32_e32 v1, v3
	;; [unrolled: 1-line block ×3, first 2 shown]
	s_and_saveexec_b64 s[6:7], vcc
	s_cbranch_execz .LBB15_20
; %bb.11:                               ;   in Loop: Header=BB15_7 Depth=1
	v_mov_b32_e32 v0, 0
	s_mov_b64 s[8:9], 0
	v_mov_b32_e32 v1, v0
	v_mov_b32_e32 v2, v0
	;; [unrolled: 1-line block ×3, first 2 shown]
	s_branch .LBB15_13
.LBB15_12:                              ;   in Loop: Header=BB15_13 Depth=2
	s_or_b64 exec, exec, s[38:39]
	v_add_u32_e32 v48, v29, v44
	ds_read2_b32 v[44:45], v48 offset1:32
	ds_read2_b32 v[46:47], v48 offset0:128 offset1:160
	v_add_u32_e32 v49, 0x400, v48
	v_add_u32_e32 v39, s19, v39
	v_cmp_le_i32_e32 vcc, s52, v39
	s_waitcnt lgkmcnt(1)
	v_mfma_f32_16x16x32_fp8_fp8 v[0:3], v[44:45], v[6:7], v[0:3]
	ds_read2_b32 v[6:7], v49 offset1:32
	v_add_u32_e32 v44, 0x800, v48
	s_or_b64 s[8:9], vcc, s[8:9]
	s_waitcnt lgkmcnt(1)
	v_mfma_f32_16x16x32_fp8_fp8 v[0:3], v[46:47], v[8:9], v[0:3]
	ds_read2_b32 v[8:9], v49 offset0:128 offset1:160
	s_waitcnt lgkmcnt(1)
	v_mfma_f32_16x16x32_fp8_fp8 v[0:3], v[6:7], v[12:13], v[0:3]
	ds_read2_b32 v[6:7], v44 offset1:32
	s_waitcnt lgkmcnt(1)
	v_mfma_f32_16x16x32_fp8_fp8 v[0:3], v[8:9], v[14:15], v[0:3]
	ds_read2_b32 v[8:9], v44 offset0:128 offset1:160
	v_add_u32_e32 v14, 0xc00, v48
	ds_read2_b32 v[12:13], v14 offset1:32
	s_waitcnt lgkmcnt(2)
	v_mfma_f32_16x16x32_fp8_fp8 v[0:3], v[6:7], v[24:25], v[0:3]
	v_add_u32_e32 v6, s19, v42
	v_add_u32_e32 v7, 2, v28
	v_cmp_lt_i32_e32 vcc, 2, v6
	s_waitcnt lgkmcnt(1)
	v_mfma_f32_16x16x32_fp8_fp8 v[0:3], v[8:9], v[26:27], v[0:3]
	ds_read2_b32 v[8:9], v14 offset0:128 offset1:160
	v_cndmask_b32_e32 v28, v28, v7, vcc
	;;#ASMSTART
	s_waitcnt lgkmcnt(0)
	;;#ASMEND
	s_waitcnt lgkmcnt(1)
	v_mfma_f32_16x16x32_fp8_fp8 v[0:3], v[12:13], v[10:11], v[0:3]
	ds_write_b32 v41, v43
	s_waitcnt lgkmcnt(1)
	v_mfma_f32_16x16x32_fp8_fp8 v[0:3], v[8:9], v[4:5], v[0:3]
	s_andn2_b64 exec, exec, s[8:9]
	s_cbranch_execz .LBB15_19
.LBB15_13:                              ;   Parent Loop BB15_7 Depth=1
                                        ; =>  This Loop Header: Depth=2
                                        ;       Child Loop BB15_15 Depth 3
                                        ;       Child Loop BB15_18 Depth 3
	v_cmp_gt_i32_e32 vcc, 3, v6
	s_nop 1
	v_cndmask_b32_e64 v4, -3, 0, vcc
	v_add_u32_e32 v42, v4, v6
	v_lshlrev_b32_e32 v4, 2, v42
	ds_read_b32 v5, v4 offset:24588
	v_add_u32_e32 v41, 0x6000, v4
	s_waitcnt lgkmcnt(0)
	v_cmp_ne_u32_e32 vcc, v5, v28
	s_and_saveexec_b64 s[38:39], vcc
	s_cbranch_execz .LBB15_16
; %bb.14:                               ;   in Loop: Header=BB15_13 Depth=2
	s_mov_b64 s[40:41], 0
.LBB15_15:                              ;   Parent Loop BB15_7 Depth=1
                                        ;     Parent Loop BB15_13 Depth=2
                                        ; =>    This Inner Loop Header: Depth=3
	;;#ASMSTART
	s_sleep 0
	;;#ASMEND
	ds_read_b32 v4, v41 offset:12
	s_waitcnt lgkmcnt(0)
	v_cmp_eq_u32_e32 vcc, v4, v28
	s_or_b64 s[40:41], vcc, s[40:41]
	s_andn2_b64 exec, exec, s[40:41]
	s_cbranch_execnz .LBB15_15
.LBB15_16:                              ;   in Loop: Header=BB15_13 Depth=2
	s_or_b64 exec, exec, s[38:39]
	v_lshlrev_b32_e32 v44, 12, v42
	v_add_u32_e32 v4, v30, v44
	v_add_u32_e32 v5, 0x400, v4
	ds_read2_b32 v[6:7], v4 offset1:32
	ds_read2_b32 v[8:9], v4 offset0:128 offset1:160
	ds_read2_b32 v[12:13], v5 offset1:32
	ds_read2_b32 v[14:15], v5 offset0:128 offset1:160
	v_add_u32_e32 v5, 0x800, v4
	v_add_u32_e32 v4, 0xc00, v4
	ds_read2_b32 v[24:25], v5 offset1:32
	ds_read2_b32 v[26:27], v5 offset0:128 offset1:160
	ds_read2_b32 v[10:11], v4 offset1:32
	ds_read2_b32 v[4:5], v4 offset0:128 offset1:160
	;;#ASMSTART
	s_waitcnt lgkmcnt(0)
	;;#ASMEND
	ds_read_b32 v45, v41
	v_add_u32_e32 v43, 1, v28
	ds_write_b32 v41, v43 offset:12
	s_waitcnt lgkmcnt(1)
	v_cmp_ne_u32_e32 vcc, v45, v28
	s_and_saveexec_b64 s[38:39], vcc
	s_cbranch_execz .LBB15_12
; %bb.17:                               ;   in Loop: Header=BB15_13 Depth=2
	s_mov_b64 s[40:41], 0
.LBB15_18:                              ;   Parent Loop BB15_7 Depth=1
                                        ;     Parent Loop BB15_13 Depth=2
                                        ; =>    This Inner Loop Header: Depth=3
	;;#ASMSTART
	s_sleep 0
	;;#ASMEND
	ds_read_b32 v45, v41
	s_waitcnt lgkmcnt(0)
	v_cmp_eq_u32_e32 vcc, v45, v28
	s_or_b64 s[40:41], vcc, s[40:41]
	s_andn2_b64 exec, exec, s[40:41]
	s_cbranch_execnz .LBB15_18
	s_branch .LBB15_12
.LBB15_19:                              ;   in Loop: Header=BB15_7 Depth=1
	s_or_b64 exec, exec, s[8:9]
.LBB15_20:                              ;   in Loop: Header=BB15_7 Depth=1
	s_or_b64 exec, exec, s[6:7]
	v_cmp_le_i32_e32 vcc, s31, v16
	v_cmp_eq_u32_e64 s[6:7], 3, v32
	s_waitcnt vmcnt(0)
	v_cndmask_b32_e32 v4, 0, v40, vcc
	v_pk_mul_f32 v[8:9], v[4:5], v[2:3] op_sel_hi:[0,1]
	v_pk_mul_f32 v[4:5], v[4:5], v[0:1] op_sel_hi:[0,1]
	v_cmp_eq_u32_e32 vcc, 1, v32
	s_nop 1
	v_cndmask_b32_e32 v0, v4, v5, vcc
	v_cmp_eq_u32_e32 vcc, 2, v32
	s_nop 1
	v_cndmask_b32_e32 v0, v0, v8, vcc
	v_cndmask_b32_e64 v0, v0, v9, s[6:7]
	ds_bpermute_b32 v1, v38, v0
	s_waitcnt lgkmcnt(0)
	v_cndmask_b32_e32 v3, v8, v1, vcc
	v_cmp_ne_u32_e32 vcc, 0, v32
	v_cndmask_b32_e64 v2, v9, v1, s[6:7]
	s_max_i32 s6, s55, 0
	v_cndmask_b32_e32 v0, v5, v1, vcc
	v_cmp_eq_u32_e32 vcc, 0, v32
	v_add_u32_e32 v5, s6, v31
	s_nop 0
	v_cndmask_b32_e32 v1, v4, v1, vcc
	v_cmp_eq_u32_e32 vcc, 1, v33
	s_nop 1
	v_cndmask_b32_e32 v4, v1, v0, vcc
	v_cmp_eq_u32_e32 vcc, 2, v33
	;; [unrolled: 3-line block ×3, first 2 shown]
	s_nop 1
	v_cndmask_b32_e32 v4, v4, v2, vcc
	ds_bpermute_b32 v4, v38, v4
	v_cmp_gt_u32_e32 vcc, 16, v5
	s_and_saveexec_b64 s[38:39], vcc
	s_cbranch_execz .LBB15_23
; %bb.21:                               ;   in Loop: Header=BB15_7 Depth=1
	v_cmp_eq_u32_e64 s[8:9], 1, v33
	v_cmp_eq_u32_e32 vcc, 3, v33
	v_cmp_eq_u32_e64 s[6:7], 2, v33
	s_waitcnt lgkmcnt(0)
	v_cndmask_b32_e64 v0, v0, v4, s[8:9]
	v_cmp_eq_u32_e64 s[8:9], 0, v33
	v_cvt_f16_f32_sdwa v8, v0 dst_sel:WORD_1 dst_unused:UNUSED_PAD src0_sel:DWORD
	s_nop 0
	v_cndmask_b32_e64 v1, v1, v4, s[8:9]
	s_mul_i32 s8, s53, s13
	s_ashr_i32 s9, s8, 31
	s_lshl_b64 s[8:9], s[8:9], 1
	s_add_u32 s40, s24, s8
	s_addc_u32 s41, s25, s9
	s_ashr_i32 s31, s30, 31
	s_lshl_b64 s[8:9], s[30:31], 1
	v_cvt_f16_f32_e32 v7, v1
	s_add_u32 s8, s40, s8
	s_addc_u32 s9, s41, s9
	v_lshl_add_u64 v[0:1], v[18:19], 1, s[8:9]
	v_cmp_gt_u32_e64 s[8:9], 14, v5
	v_or_b32_e32 v7, v8, v7
	;;#ASMSTART
	global_atomic_pk_add_f16 v[0:1], v7, off
	
	;;#ASMEND
	s_and_b64 exec, exec, s[8:9]
	s_cbranch_execz .LBB15_23
; %bb.22:                               ;   in Loop: Header=BB15_7 Depth=1
	v_cndmask_b32_e32 v2, v2, v4, vcc
	v_cndmask_b32_e64 v3, v3, v4, s[6:7]
	v_cvt_f16_f32_e32 v3, v3
	v_cvt_f16_f32_sdwa v2, v2 dst_sel:WORD_1 dst_unused:UNUSED_PAD src0_sel:DWORD
	v_lshl_add_u64 v[0:1], s[10:11], 2, v[0:1]
	v_or_b32_e32 v2, v2, v3
	;;#ASMSTART
	global_atomic_pk_add_f16 v[0:1], v2, off
	
	;;#ASMEND
.LBB15_23:                              ;   in Loop: Header=BB15_7 Depth=1
	s_or_b64 exec, exec, s[38:39]
	v_subrev_u32_e32 v39, s52, v39
.LBB15_24:                              ;   in Loop: Header=BB15_7 Depth=1
	s_or_b64 exec, exec, s[36:37]
.LBB15_25:                              ;   in Loop: Header=BB15_7 Depth=1
	s_andn2_saveexec_b64 s[6:7], s[34:35]
	s_cbranch_execz .LBB15_34
; %bb.26:                               ;   in Loop: Header=BB15_7 Depth=1
	v_cmp_gt_i32_e32 vcc, s52, v39
	s_and_saveexec_b64 s[8:9], vcc
	s_cbranch_execz .LBB15_33
; %bb.27:                               ;   in Loop: Header=BB15_7 Depth=1
	s_mul_i32 s30, s30, s15
	s_ashr_i32 s31, s30, 31
	s_waitcnt lgkmcnt(0)
	s_add_u32 s30, s22, s30
	s_addc_u32 s31, s23, s31
	s_ashr_i32 s34, s54, 31
	s_add_u32 s30, s30, s54
	s_addc_u32 s31, s31, s34
	v_lshl_add_u64 v[0:1], s[30:31], 0, v[22:23]
	v_lshl_add_u64 v[24:25], v[0:1], 0, v[20:21]
	s_mov_b64 s[30:31], 0
	s_branch .LBB15_29
.LBB15_28:                              ;   in Loop: Header=BB15_29 Depth=2
	s_or_b64 exec, exec, s[34:35]
	v_lshl_add_u32 v40, v26, 12, v35
	;;#ASMSTART
	s_waitcnt vmcnt(3)
	;;#ASMEND
	ds_write2_b32 v40, v12, v13 offset1:32
	ds_write2_b32 v40, v14, v15 offset0:64 offset1:96
	v_add_u32_e32 v12, 0x400, v40
	;;#ASMSTART
	s_waitcnt vmcnt(2)
	;;#ASMEND
	ds_write2_b32 v12, v8, v9 offset1:32
	ds_write2_b32 v12, v10, v11 offset0:64 offset1:96
	v_add_u32_e32 v8, 0x800, v40
	;; [unrolled: 6-line block ×3, first 2 shown]
	v_add_u32_e32 v39, s18, v39
	;;#ASMSTART
	s_waitcnt vmcnt(0)
	;;#ASMEND
	ds_write2_b32 v4, v0, v1 offset1:32
	ds_write2_b32 v4, v2, v3 offset0:64 offset1:96
	v_add_u32_e32 v0, 1, v28
	v_add_u32_e32 v6, s18, v26
	v_cmp_le_i32_e32 vcc, s52, v39
	ds_write_b32 v27, v0 offset:12
	v_add_u32_e32 v0, 2, v28
	s_or_b64 s[30:31], vcc, s[30:31]
	v_cmp_lt_i32_e32 vcc, 2, v6
	s_nop 1
	v_cndmask_b32_e32 v28, v28, v0, vcc
	s_andn2_b64 exec, exec, s[30:31]
	s_cbranch_execz .LBB15_32
.LBB15_29:                              ;   Parent Loop BB15_7 Depth=1
                                        ; =>  This Loop Header: Depth=2
                                        ;       Child Loop BB15_31 Depth 3
	v_cmp_gt_i32_e32 vcc, 3, v6
	s_nop 1
	v_cndmask_b32_e64 v0, -3, 0, vcc
	v_add_u32_e32 v26, v0, v6
	v_lshlrev_b32_e32 v0, 8, v39
	v_ashrrev_i32_e32 v1, 31, v0
	v_lshl_add_u64 v[0:1], v[24:25], 0, v[0:1]
	v_lshlrev_b32_e32 v27, 2, v26
	;;#ASMSTART
	global_load_dwordx4 v[12:15], v[0:1], off offset:0    sc0 sc1 nt  
	global_load_dwordx4 v[8:11], v[0:1], off offset:64   sc0 sc1 nt  
	global_load_dwordx4 v[4:7], v[0:1], off offset:128  sc0 sc1 nt  
	global_load_dwordx4 v[0:3], v[0:1], off offset:192  sc0 sc1 nt  
	
	;;#ASMEND
	ds_read_b32 v40, v27 offset:24588
	v_add_u32_e32 v27, 0x6000, v27
	s_waitcnt lgkmcnt(0)
	v_cmp_ne_u32_e32 vcc, v40, v28
	s_and_saveexec_b64 s[34:35], vcc
	s_cbranch_execz .LBB15_28
; %bb.30:                               ;   in Loop: Header=BB15_29 Depth=2
	s_mov_b64 s[36:37], 0
.LBB15_31:                              ;   Parent Loop BB15_7 Depth=1
                                        ;     Parent Loop BB15_29 Depth=2
                                        ; =>    This Inner Loop Header: Depth=3
	;;#ASMSTART
	s_sleep 0
	;;#ASMEND
	ds_read_b32 v40, v27 offset:12
	s_waitcnt lgkmcnt(0)
	v_cmp_eq_u32_e32 vcc, v40, v28
	s_or_b64 s[36:37], vcc, s[36:37]
	s_andn2_b64 exec, exec, s[36:37]
	s_cbranch_execnz .LBB15_31
	s_branch .LBB15_28
.LBB15_32:                              ;   in Loop: Header=BB15_7 Depth=1
	s_or_b64 exec, exec, s[30:31]
.LBB15_33:                              ;   in Loop: Header=BB15_7 Depth=1
	s_or_b64 exec, exec, s[8:9]
	v_subrev_u32_e32 v39, s52, v39
.LBB15_34:                              ;   in Loop: Header=BB15_7 Depth=1
	s_or_b64 exec, exec, s[6:7]
.LBB15_35:                              ;   in Loop: Header=BB15_7 Depth=1
	s_andn2_saveexec_b64 s[6:7], s[28:29]
	s_cbranch_execz .LBB15_6
; %bb.36:                               ;   in Loop: Header=BB15_7 Depth=1
	v_cmp_gt_i32_e32 vcc, s52, v39
	s_and_saveexec_b64 s[8:9], vcc
	s_cbranch_execz .LBB15_5
; %bb.37:                               ;   in Loop: Header=BB15_7 Depth=1
	s_mul_i32 s53, s53, s14
	s_ashr_i32 s28, s53, 31
	s_waitcnt lgkmcnt(0)
	s_add_u32 s29, s20, s53
	s_addc_u32 s30, s21, s28
	s_ashr_i32 s31, s54, 31
	v_cmp_le_i32_e32 vcc, s55, v36
	s_add_u32 s28, s29, s54
	s_addc_u32 s29, s30, s31
	v_cndmask_b32_e32 v0, 0, v37, vcc
	v_ashrrev_i32_e32 v1, 31, v0
	v_lshl_add_u64 v[0:1], s[28:29], 0, v[0:1]
	v_lshl_add_u64 v[24:25], v[0:1], 0, v[20:21]
	s_mov_b64 s[28:29], 0
	s_branch .LBB15_39
.LBB15_38:                              ;   in Loop: Header=BB15_39 Depth=2
	s_or_b64 exec, exec, s[30:31]
	v_lshl_or_b32 v40, v26, 12, v34
	;;#ASMSTART
	s_waitcnt vmcnt(3)
	;;#ASMEND
	ds_write2_b32 v40, v12, v13 offset1:32
	ds_write2_b32 v40, v14, v15 offset0:64 offset1:96
	v_add_u32_e32 v12, 0x400, v40
	;;#ASMSTART
	s_waitcnt vmcnt(2)
	;;#ASMEND
	ds_write2_b32 v12, v8, v9 offset1:32
	ds_write2_b32 v12, v10, v11 offset0:64 offset1:96
	v_add_u32_e32 v8, 0x800, v40
	;; [unrolled: 6-line block ×3, first 2 shown]
	v_add_u32_e32 v39, s17, v39
	;;#ASMSTART
	s_waitcnt vmcnt(0)
	;;#ASMEND
	ds_write2_b32 v4, v0, v1 offset1:32
	ds_write2_b32 v4, v2, v3 offset0:64 offset1:96
	v_add_u32_e32 v0, 1, v28
	v_add_u32_e32 v6, s17, v26
	v_cmp_le_i32_e32 vcc, s52, v39
	ds_write_b32 v27, v0
	v_add_u32_e32 v0, 2, v28
	s_or_b64 s[28:29], vcc, s[28:29]
	v_cmp_lt_i32_e32 vcc, 2, v6
	s_nop 1
	v_cndmask_b32_e32 v28, v28, v0, vcc
	s_andn2_b64 exec, exec, s[28:29]
	s_cbranch_execz .LBB15_4
.LBB15_39:                              ;   Parent Loop BB15_7 Depth=1
                                        ; =>  This Loop Header: Depth=2
                                        ;       Child Loop BB15_41 Depth 3
	v_cmp_gt_i32_e32 vcc, 3, v6
	s_nop 1
	v_cndmask_b32_e64 v0, -3, 0, vcc
	v_add_u32_e32 v26, v0, v6
	v_lshlrev_b32_e32 v0, 8, v39
	v_ashrrev_i32_e32 v1, 31, v0
	v_lshl_add_u64 v[0:1], v[24:25], 0, v[0:1]
	v_lshlrev_b32_e32 v27, 2, v26
	;;#ASMSTART
	global_load_dwordx4 v[12:15], v[0:1], off offset:0    
	global_load_dwordx4 v[8:11], v[0:1], off offset:64   
	;; [unrolled: 1-line block ×4, first 2 shown]
	
	;;#ASMEND
	ds_read_b32 v40, v27 offset:24576
	v_add_u32_e32 v27, 0x6000, v27
	s_waitcnt lgkmcnt(0)
	v_cmp_ne_u32_e32 vcc, v40, v28
	s_and_saveexec_b64 s[30:31], vcc
	s_cbranch_execz .LBB15_38
; %bb.40:                               ;   in Loop: Header=BB15_39 Depth=2
	s_mov_b64 s[34:35], 0
.LBB15_41:                              ;   Parent Loop BB15_7 Depth=1
                                        ;     Parent Loop BB15_39 Depth=2
                                        ; =>    This Inner Loop Header: Depth=3
	;;#ASMSTART
	s_sleep 0
	;;#ASMEND
	ds_read_b32 v40, v27
	s_waitcnt lgkmcnt(0)
	v_cmp_eq_u32_e32 vcc, v40, v28
	s_or_b64 s[34:35], vcc, s[34:35]
	s_andn2_b64 exec, exec, s[34:35]
	s_cbranch_execnz .LBB15_41
	s_branch .LBB15_38
.LBB15_42:
	s_endpgm
	.section	.rodata,"a",@progbits
	.p2align	6, 0x0
	.amdhsa_kernel _Z19_skinny_gemm_kernelILi1ELi1ELi3ELi16ELi8EEvPKhS1_P6__halfPKfiiiiiiii
		.amdhsa_group_segment_fixed_size 24600
		.amdhsa_private_segment_fixed_size 0
		.amdhsa_kernarg_size 64
		.amdhsa_user_sgpr_count 2
		.amdhsa_user_sgpr_dispatch_ptr 0
		.amdhsa_user_sgpr_queue_ptr 0
		.amdhsa_user_sgpr_kernarg_segment_ptr 1
		.amdhsa_user_sgpr_dispatch_id 0
		.amdhsa_user_sgpr_kernarg_preload_length 0
		.amdhsa_user_sgpr_kernarg_preload_offset 0
		.amdhsa_user_sgpr_private_segment_size 0
		.amdhsa_uses_dynamic_stack 0
		.amdhsa_enable_private_segment 0
		.amdhsa_system_sgpr_workgroup_id_x 1
		.amdhsa_system_sgpr_workgroup_id_y 0
		.amdhsa_system_sgpr_workgroup_id_z 0
		.amdhsa_system_sgpr_workgroup_info 0
		.amdhsa_system_vgpr_workitem_id 0
		.amdhsa_next_free_vgpr 50
		.amdhsa_next_free_sgpr 56
		.amdhsa_accum_offset 52
		.amdhsa_reserve_vcc 1
		.amdhsa_float_round_mode_32 0
		.amdhsa_float_round_mode_16_64 0
		.amdhsa_float_denorm_mode_32 3
		.amdhsa_float_denorm_mode_16_64 3
		.amdhsa_dx10_clamp 1
		.amdhsa_ieee_mode 1
		.amdhsa_fp16_overflow 0
		.amdhsa_tg_split 0
		.amdhsa_exception_fp_ieee_invalid_op 0
		.amdhsa_exception_fp_denorm_src 0
		.amdhsa_exception_fp_ieee_div_zero 0
		.amdhsa_exception_fp_ieee_overflow 0
		.amdhsa_exception_fp_ieee_underflow 0
		.amdhsa_exception_fp_ieee_inexact 0
		.amdhsa_exception_int_div_zero 0
	.end_amdhsa_kernel
	.section	.text._Z19_skinny_gemm_kernelILi1ELi1ELi3ELi16ELi8EEvPKhS1_P6__halfPKfiiiiiiii,"axG",@progbits,_Z19_skinny_gemm_kernelILi1ELi1ELi3ELi16ELi8EEvPKhS1_P6__halfPKfiiiiiiii,comdat
.Lfunc_end15:
	.size	_Z19_skinny_gemm_kernelILi1ELi1ELi3ELi16ELi8EEvPKhS1_P6__halfPKfiiiiiiii, .Lfunc_end15-_Z19_skinny_gemm_kernelILi1ELi1ELi3ELi16ELi8EEvPKhS1_P6__halfPKfiiiiiiii
                                        ; -- End function
	.set _Z19_skinny_gemm_kernelILi1ELi1ELi3ELi16ELi8EEvPKhS1_P6__halfPKfiiiiiiii.num_vgpr, 50
	.set _Z19_skinny_gemm_kernelILi1ELi1ELi3ELi16ELi8EEvPKhS1_P6__halfPKfiiiiiiii.num_agpr, 0
	.set _Z19_skinny_gemm_kernelILi1ELi1ELi3ELi16ELi8EEvPKhS1_P6__halfPKfiiiiiiii.numbered_sgpr, 56
	.set _Z19_skinny_gemm_kernelILi1ELi1ELi3ELi16ELi8EEvPKhS1_P6__halfPKfiiiiiiii.num_named_barrier, 0
	.set _Z19_skinny_gemm_kernelILi1ELi1ELi3ELi16ELi8EEvPKhS1_P6__halfPKfiiiiiiii.private_seg_size, 0
	.set _Z19_skinny_gemm_kernelILi1ELi1ELi3ELi16ELi8EEvPKhS1_P6__halfPKfiiiiiiii.uses_vcc, 1
	.set _Z19_skinny_gemm_kernelILi1ELi1ELi3ELi16ELi8EEvPKhS1_P6__halfPKfiiiiiiii.uses_flat_scratch, 0
	.set _Z19_skinny_gemm_kernelILi1ELi1ELi3ELi16ELi8EEvPKhS1_P6__halfPKfiiiiiiii.has_dyn_sized_stack, 0
	.set _Z19_skinny_gemm_kernelILi1ELi1ELi3ELi16ELi8EEvPKhS1_P6__halfPKfiiiiiiii.has_recursion, 0
	.set _Z19_skinny_gemm_kernelILi1ELi1ELi3ELi16ELi8EEvPKhS1_P6__halfPKfiiiiiiii.has_indirect_call, 0
	.section	.AMDGPU.csdata,"",@progbits
; Kernel info:
; codeLenInByte = 2968
; TotalNumSgprs: 62
; NumVgprs: 50
; NumAgprs: 0
; TotalNumVgprs: 50
; ScratchSize: 0
; MemoryBound: 0
; FloatMode: 240
; IeeeMode: 1
; LDSByteSize: 24600 bytes/workgroup (compile time only)
; SGPRBlocks: 7
; VGPRBlocks: 6
; NumSGPRsForWavesPerEU: 62
; NumVGPRsForWavesPerEU: 50
; AccumOffset: 52
; Occupancy: 8
; WaveLimiterHint : 0
; COMPUTE_PGM_RSRC2:SCRATCH_EN: 0
; COMPUTE_PGM_RSRC2:USER_SGPR: 2
; COMPUTE_PGM_RSRC2:TRAP_HANDLER: 0
; COMPUTE_PGM_RSRC2:TGID_X_EN: 1
; COMPUTE_PGM_RSRC2:TGID_Y_EN: 0
; COMPUTE_PGM_RSRC2:TGID_Z_EN: 0
; COMPUTE_PGM_RSRC2:TIDIG_COMP_CNT: 0
; COMPUTE_PGM_RSRC3_GFX90A:ACCUM_OFFSET: 12
; COMPUTE_PGM_RSRC3_GFX90A:TG_SPLIT: 0
	.section	.text._Z19_skinny_gemm_kernelILi1ELi1ELi3ELi32ELi4EEvPKhS1_P6__halfPKfiiiiiiii,"axG",@progbits,_Z19_skinny_gemm_kernelILi1ELi1ELi3ELi32ELi4EEvPKhS1_P6__halfPKfiiiiiiii,comdat
	.protected	_Z19_skinny_gemm_kernelILi1ELi1ELi3ELi32ELi4EEvPKhS1_P6__halfPKfiiiiiiii ; -- Begin function _Z19_skinny_gemm_kernelILi1ELi1ELi3ELi32ELi4EEvPKhS1_P6__halfPKfiiiiiiii
	.globl	_Z19_skinny_gemm_kernelILi1ELi1ELi3ELi32ELi4EEvPKhS1_P6__halfPKfiiiiiiii
	.p2align	8
	.type	_Z19_skinny_gemm_kernelILi1ELi1ELi3ELi32ELi4EEvPKhS1_P6__halfPKfiiiiiiii,@function
_Z19_skinny_gemm_kernelILi1ELi1ELi3ELi32ELi4EEvPKhS1_P6__halfPKfiiiiiiii: ; @_Z19_skinny_gemm_kernelILi1ELi1ELi3ELi32ELi4EEvPKhS1_P6__halfPKfiiiiiiii
; %bb.0:
	v_cmp_gt_u32_e32 vcc, 6, v0
	s_and_saveexec_b64 s[4:5], vcc
; %bb.1:
	v_lshlrev_b32_e32 v1, 2, v0
	v_mov_b32_e32 v2, 0
	ds_write_b32 v1, v2 offset:12288
; %bb.2:
	s_or_b64 exec, exec, s[4:5]
	s_load_dwordx8 s[36:43], s[0:1], 0x20
	s_waitcnt lgkmcnt(0)
	s_barrier
	s_add_i32 s3, s36, 31
	s_ashr_i32 s5, s3, 31
	s_add_i32 s4, s37, 31
	s_lshr_b32 s5, s5, 27
	s_ashr_i32 s6, s4, 31
	s_add_i32 s3, s3, s5
	s_ashr_i32 s33, s3, 5
	s_lshr_b32 s3, s6, 27
	s_add_i32 s4, s4, s3
	s_ashr_i32 s62, s4, 5
	s_mul_i32 s3, s62, s33
	s_mul_i32 s3, s3, s40
	s_add_i32 s4, s3, 0x12f
	s_mul_hi_i32 s4, s4, 0x6bca1af3
	s_lshr_b32 s5, s4, 31
	s_ashr_i32 s4, s4, 7
	s_add_i32 s4, s4, s5
	s_add_i32 s5, s2, 1
	s_mul_i32 s5, s4, s5
	v_cvt_f64_i32_e32 v[2:3], s3
	v_cvt_f64_u32_e32 v[4:5], s5
	v_min_f64 v[2:3], v[2:3], v[4:5]
	v_cvt_i32_f64_e32 v46, v[2:3]
	s_mul_i32 s63, s4, s2
	v_cmp_ge_i32_e32 vcc, s63, v46
	s_cbranch_vccnz .LBB16_48
; %bb.3:
	v_lshrrev_b32_e32 v1, 6, v0
	s_add_i32 s4, s42, s41
	s_load_dwordx8 s[44:51], s[0:1], 0x0
	v_cmp_le_i32_e64 s[0:1], s4, v1
	v_mov_b32_e32 v2, s41
	v_cmp_le_i32_e64 s[2:3], s41, v1
	v_mov_b32_e32 v3, s42
	v_cndmask_b32_e64 v3, 0, v3, s[0:1]
	v_cndmask_b32_e64 v2, 0, v2, s[2:3]
	s_abs_i32 s5, s40
	v_add_u32_e32 v2, v2, v3
	v_cvt_f32_u32_e32 v3, s5
	v_sub_u32_e32 v40, v1, v2
	s_ashr_i32 s6, s38, 31
	s_lshr_b32 s6, s6, 26
	v_rcp_iflag_f32_e32 v2, v3
	s_sub_i32 s9, 0, s5
	s_add_i32 s6, s38, s6
	s_ashr_i32 s6, s6, 6
	v_mul_f32_e32 v2, 0x4f7ffffe, v2
	v_cvt_u32_f32_e32 v2, v2
	s_abs_i32 s8, s6
	s_xor_b32 s7, s6, s40
	s_ashr_i32 s7, s7, 31
	v_readfirstlane_b32 s10, v2
	s_mul_i32 s9, s9, s10
	s_mul_hi_u32 s9, s10, s9
	s_add_i32 s10, s10, s9
	s_mul_hi_u32 s9, s8, s10
	s_mul_i32 s10, s9, s5
	s_sub_i32 s8, s8, s10
	s_add_i32 s10, s9, 1
	s_sub_i32 s11, s8, s5
	s_cmp_ge_u32 s8, s5
	s_cselect_b32 s9, s10, s9
	s_cselect_b32 s8, s11, s8
	s_add_i32 s10, s9, 1
	s_cmp_ge_u32 s8, s5
	s_cselect_b32 s5, s10, s9
	s_xor_b32 s5, s5, s7
	s_sub_i32 s64, s5, s7
	s_add_i32 s40, s40, -1
	s_mul_i32 s5, s64, s40
	s_add_i32 s4, s4, s43
	v_and_b32_e32 v48, 31, v0
	v_lshrrev_b32_e32 v2, 3, v0
	s_sub_i32 s65, s6, s5
	v_cmp_gt_i32_e64 s[4:5], s4, v1
	v_lshlrev_b32_e32 v1, 2, v48
	v_and_b32_e32 v3, 4, v2
	v_and_b32_e32 v5, 1, v0
	v_lshlrev_b32_e32 v2, 6, v3
	v_or_b32_e32 v4, 0x1800, v1
	v_or_b32_e32 v3, v3, v5
	;; [unrolled: 1-line block ×4, first 2 shown]
	v_lshlrev_b32_e32 v2, 1, v5
	v_or_b32_e32 v5, 2, v3
	v_sub_u32_e32 v60, 32, v5
	v_or_b32_e32 v5, 8, v3
	v_sub_u32_e32 v61, 32, v5
	;; [unrolled: 2-line block ×5, first 2 shown]
	v_mul_lo_u32 v18, s37, v3
	v_sub_u32_e32 v64, 32, v5
	v_or_b32_e32 v5, 24, v3
	v_or_b32_e32 v3, 26, v3
	v_sub_u32_e32 v66, 32, v3
	v_lshrrev_b32_e32 v3, 1, v0
	s_abs_i32 s66, s33
	v_and_b32_e32 v34, 16, v3
	v_cvt_f32_u32_e32 v3, s66
	v_sub_u32_e32 v65, 32, v5
	v_lshlrev_b32_e32 v5, 4, v0
	v_and_b32_e32 v5, 0x200, v5
	v_rcp_iflag_f32_e32 v3, v3
	s_abs_i32 s67, s62
	v_or_b32_e32 v70, v1, v5
	v_cvt_f32_u32_e32 v1, s67
	v_sub_u32_e32 v2, v0, v2
	v_add_u32_e32 v2, 1, v2
	s_lshl_b32 s6, s37, 1
	v_and_b32_e32 v6, 63, v2
	v_bitop3_b32 v51, v0, 1, v0 bitop3:0xc
	v_bitop3_b32 v52, v0, 3, 1 bitop3:0x6c
	;; [unrolled: 1-line block ×8, first 2 shown]
	v_and_b32_e32 v2, 30, v0
	v_add_u32_e32 v20, s6, v18
	s_mul_i32 s7, s37, 6
	v_bitop3_b32 v68, v0, 31, v0 bitop3:0xc
	v_mul_f32_e32 v0, 0x4f7ffffe, v3
	v_add_u32_e32 v22, s7, v20
	v_cvt_u32_f32_e32 v0, v0
	v_rcp_iflag_f32_e32 v1, v1
	v_add_u32_e32 v24, s6, v22
	v_add_u32_e32 v26, s7, v24
	;; [unrolled: 1-line block ×4, first 2 shown]
	v_readfirstlane_b32 s7, v0
	v_mul_f32_e32 v0, 0x4f7ffffe, v1
	v_cvt_u32_f32_e32 v0, v0
	v_add_u32_e32 v32, s6, v30
	s_sub_i32 s6, 0, s66
	s_mul_i32 s6, s6, s7
	s_mul_hi_u32 s6, s7, s6
	s_add_i32 s69, s7, s6
	s_sub_i32 s6, 0, s67
	v_readfirstlane_b32 s7, v0
	v_mbcnt_lo_u32_b32 v0, -1, 0
	s_mul_i32 s6, s6, s7
	v_mbcnt_hi_u32_b32 v0, -1, v0
	v_mov_b32_e32 v17, 0
	v_mul_lo_u32 v36, s39, v48
	s_mul_hi_u32 s6, s7, s6
	v_and_or_b32 v0, v0, 64, v6
	v_cndmask_b32_e64 v47, 0, 1, s[0:1]
	v_ashrrev_i32_e32 v19, 31, v18
	v_ashrrev_i32_e32 v21, 31, v20
	;; [unrolled: 1-line block ×9, first 2 shown]
	v_mov_b32_e32 v35, v17
	v_or_b32_e32 v67, v4, v5
	v_mul_lo_u32 v69, s38, v48
	s_ashr_i32 s68, s33, 31
	s_ashr_i32 s70, s62, 31
	s_add_i32 s71, s7, s6
	v_lshlrev_b32_e32 v16, 1, v2
	v_lshlrev_b32_e32 v71, 2, v0
	v_mov_b32_e32 v72, v40
	s_branch .LBB16_7
.LBB16_4:                               ;   in Loop: Header=BB16_7 Depth=1
	s_or_b64 exec, exec, s[10:11]
.LBB16_5:                               ;   in Loop: Header=BB16_7 Depth=1
	s_or_b64 exec, exec, s[8:9]
	v_subrev_u32_e32 v72, s72, v72
.LBB16_6:                               ;   in Loop: Header=BB16_7 Depth=1
	s_or_b64 exec, exec, s[6:7]
	s_add_i32 s63, s63, 1
	v_cmp_ge_i32_e32 vcc, s63, v46
	s_cbranch_vccnz .LBB16_48
.LBB16_7:                               ; =>This Loop Header: Depth=1
                                        ;     Child Loop BB16_13 Depth 2
                                        ;       Child Loop BB16_15 Depth 3
                                        ;       Child Loop BB16_18 Depth 3
                                        ;     Child Loop BB16_35 Depth 2
                                        ;       Child Loop BB16_37 Depth 3
                                        ;     Child Loop BB16_45 Depth 2
                                        ;       Child Loop BB16_47 Depth 3
	s_abs_i32 s7, s63
	s_mul_hi_u32 s8, s7, s69
	s_mul_i32 s9, s8, s66
	s_ashr_i32 s6, s63, 31
	s_sub_i32 s7, s7, s9
	s_xor_b32 s6, s6, s68
	s_add_i32 s9, s8, 1
	s_sub_i32 s10, s7, s66
	s_cmp_ge_u32 s7, s66
	s_cselect_b32 s8, s9, s8
	s_cselect_b32 s7, s10, s7
	s_add_i32 s9, s8, 1
	s_cmp_ge_u32 s7, s66
	s_cselect_b32 s7, s9, s8
	s_xor_b32 s7, s7, s6
	s_sub_i32 s6, s7, s6
	s_abs_i32 s8, s6
	s_mul_i32 s7, s6, s33
	s_mul_hi_u32 s9, s8, s71
	s_sub_i32 s7, s63, s7
	s_mul_i32 s10, s9, s67
	s_lshl_b32 s73, s7, 5
	s_ashr_i32 s7, s6, 31
	s_sub_i32 s8, s8, s10
	s_xor_b32 s7, s7, s70
	s_add_i32 s10, s9, 1
	s_sub_i32 s11, s8, s67
	s_cmp_ge_u32 s8, s67
	s_cselect_b32 s9, s10, s9
	s_cselect_b32 s8, s11, s8
	s_add_i32 s10, s9, 1
	s_cmp_ge_u32 s8, s67
	s_cselect_b32 s8, s10, s9
	s_xor_b32 s8, s8, s7
	s_sub_i32 s7, s8, s7
	s_mul_i32 s8, s7, s64
	s_lshl_b32 s74, s8, 6
	s_cmp_eq_u32 s7, s40
	s_cselect_b32 s72, s65, s64
	s_sub_i32 s75, s73, s36
	s_add_i32 s75, s75, 32
	s_and_saveexec_b64 s[8:9], s[2:3]
	s_xor_b64 s[52:53], exec, s[8:9]
	s_cbranch_execz .LBB16_41
; %bb.8:                                ;   in Loop: Header=BB16_7 Depth=1
	s_mul_i32 s7, s7, s62
	s_sub_i32 s6, s6, s7
	s_lshl_b32 s6, s6, 5
	s_sub_i32 s14, s6, s37
	s_add_i32 s14, s14, 32
	s_max_i32 s7, s14, 0
	s_sub_i32 s54, s6, s7
	s_and_saveexec_b64 s[6:7], s[0:1]
	s_xor_b64 s[56:57], exec, s[6:7]
	s_cbranch_execz .LBB16_31
; %bb.9:                                ;   in Loop: Header=BB16_7 Depth=1
	s_and_saveexec_b64 s[58:59], s[4:5]
	s_cbranch_execz .LBB16_30
; %bb.10:                               ;   in Loop: Header=BB16_7 Depth=1
	s_waitcnt lgkmcnt(0)
	global_load_dword v73, v17, s[50:51]
	v_mov_b32_e32 v15, 0
	v_cmp_gt_i32_e32 vcc, s72, v72
	v_mov_b32_e32 v14, v15
	v_mov_b32_e32 v13, v15
	;; [unrolled: 1-line block ×15, first 2 shown]
	s_and_saveexec_b64 s[6:7], vcc
	s_cbranch_execz .LBB16_20
; %bb.11:                               ;   in Loop: Header=BB16_7 Depth=1
	v_mov_b32_e32 v0, 0
	s_mov_b64 s[8:9], 0
	v_mov_b32_e32 v1, v0
	v_mov_b32_e32 v2, v0
	;; [unrolled: 1-line block ×15, first 2 shown]
	s_branch .LBB16_13
.LBB16_12:                              ;   in Loop: Header=BB16_13 Depth=2
	s_or_b64 exec, exec, s[10:11]
	v_add_u32_e32 v77, v50, v77
	ds_read2_b32 v[78:79], v77 offset1:32
	v_add_u32_e32 v72, s43, v72
	s_waitcnt lgkmcnt(0)
	v_mfma_f32_32x32x16_fp8_fp8 v[0:15], v[44:45], v[78:79], v[0:15]
	ds_read2_b32 v[44:45], v77 offset0:128 offset1:160
	s_waitcnt lgkmcnt(0)
	v_mfma_f32_32x32x16_fp8_fp8 v[0:15], v[42:43], v[44:45], v[0:15]
	v_add_u32_e32 v44, 0x400, v77
	ds_read2_b32 v[42:43], v44 offset1:32
	ds_read2_b32 v[44:45], v44 offset0:128 offset1:160
	ds_write_b32 v75, v76 offset:12292
	s_waitcnt lgkmcnt(2)
	v_mfma_f32_32x32x16_fp8_fp8 v[0:15], v[40:41], v[42:43], v[0:15]
	v_add_u32_e32 v40, s43, v74
	v_add_u32_e32 v41, 2, v47
	v_cmp_lt_i32_e32 vcc, 2, v40
	s_nop 1
	v_cndmask_b32_e32 v47, v47, v41, vcc
	v_cmp_le_i32_e32 vcc, s72, v72
	s_waitcnt lgkmcnt(1)
	v_mfma_f32_32x32x16_fp8_fp8 v[0:15], v[38:39], v[44:45], v[0:15]
	s_or_b64 s[8:9], vcc, s[8:9]
	s_andn2_b64 exec, exec, s[8:9]
	s_cbranch_execz .LBB16_19
.LBB16_13:                              ;   Parent Loop BB16_7 Depth=1
                                        ; =>  This Loop Header: Depth=2
                                        ;       Child Loop BB16_15 Depth 3
                                        ;       Child Loop BB16_18 Depth 3
	v_cmp_gt_i32_e32 vcc, 3, v40
	s_nop 1
	v_cndmask_b32_e64 v38, -3, 0, vcc
	v_add_u32_e32 v74, v38, v40
	v_lshlrev_b32_e32 v75, 3, v74
	ds_read_b32 v38, v75 offset:12288
	s_waitcnt lgkmcnt(0)
	v_cmp_ne_u32_e32 vcc, v38, v47
	s_and_saveexec_b64 s[10:11], vcc
	s_cbranch_execz .LBB16_16
; %bb.14:                               ;   in Loop: Header=BB16_13 Depth=2
	s_mov_b64 s[12:13], 0
.LBB16_15:                              ;   Parent Loop BB16_7 Depth=1
                                        ;     Parent Loop BB16_13 Depth=2
                                        ; =>    This Inner Loop Header: Depth=3
	;;#ASMSTART
	s_sleep 0
	;;#ASMEND
	ds_read_b32 v38, v75 offset:12288
	s_waitcnt lgkmcnt(0)
	v_cmp_eq_u32_e32 vcc, v38, v47
	s_or_b64 s[12:13], vcc, s[12:13]
	s_andn2_b64 exec, exec, s[12:13]
	s_cbranch_execnz .LBB16_15
.LBB16_16:                              ;   in Loop: Header=BB16_13 Depth=2
	s_or_b64 exec, exec, s[10:11]
	v_lshlrev_b32_e32 v77, 11, v74
	v_or_b32_e32 v38, v49, v77
	ds_read2_b32 v[44:45], v38 offset1:32
	ds_read2_b32 v[42:43], v38 offset0:128 offset1:160
	v_add_u32_e32 v38, 0x400, v38
	ds_read2_b32 v[40:41], v38 offset1:32
	ds_read_b32 v78, v75 offset:12292
	ds_read2_b32 v[38:39], v38 offset0:128 offset1:160
	v_add_u32_e32 v76, 1, v47
	ds_write_b32 v75, v76 offset:12288
	s_waitcnt lgkmcnt(2)
	v_cmp_ne_u32_e32 vcc, v78, v47
	s_and_saveexec_b64 s[10:11], vcc
	s_cbranch_execz .LBB16_12
; %bb.17:                               ;   in Loop: Header=BB16_13 Depth=2
	s_mov_b64 s[12:13], 0
.LBB16_18:                              ;   Parent Loop BB16_7 Depth=1
                                        ;     Parent Loop BB16_13 Depth=2
                                        ; =>    This Inner Loop Header: Depth=3
	;;#ASMSTART
	s_sleep 0
	;;#ASMEND
	ds_read_b32 v78, v75 offset:12292
	s_waitcnt lgkmcnt(0)
	v_cmp_eq_u32_e32 vcc, v78, v47
	s_or_b64 s[12:13], vcc, s[12:13]
	s_andn2_b64 exec, exec, s[12:13]
	s_cbranch_execnz .LBB16_18
	s_branch .LBB16_12
.LBB16_19:                              ;   in Loop: Header=BB16_7 Depth=1
	s_or_b64 exec, exec, s[8:9]
.LBB16_20:                              ;   in Loop: Header=BB16_7 Depth=1
	s_or_b64 exec, exec, s[6:7]
	v_cmp_le_i32_e32 vcc, s14, v48
	v_cmp_eq_u32_e64 s[6:7], 3, v51
	v_cmp_eq_u32_e64 s[8:9], 4, v51
	s_waitcnt vmcnt(0)
	v_cndmask_b32_e32 v38, 0, v73, vcc
	s_nop 1
	v_pk_mul_f32 v[0:1], v[38:39], v[0:1] op_sel_hi:[0,1]
	v_cmp_eq_u32_e32 vcc, 1, v51
	v_pk_mul_f32 v[14:15], v[38:39], v[14:15] op_sel_hi:[0,1]
	v_pk_mul_f32 v[12:13], v[38:39], v[12:13] op_sel_hi:[0,1]
	;; [unrolled: 1-line block ×7, first 2 shown]
	v_cndmask_b32_e32 v38, v0, v1, vcc
	v_cmp_eq_u32_e32 vcc, 2, v51
	v_cmp_eq_u32_e64 s[10:11], 5, v51
	v_cmp_eq_u32_e64 s[12:13], 6, v51
	v_cndmask_b32_e32 v38, v38, v2, vcc
	v_cndmask_b32_e64 v38, v38, v3, s[6:7]
	v_cndmask_b32_e64 v38, v38, v4, s[8:9]
	;; [unrolled: 1-line block ×4, first 2 shown]
	v_cmp_eq_u32_e64 s[14:15], 7, v51
	v_cmp_eq_u32_e64 s[16:17], 8, v51
	v_cmp_eq_u32_e64 s[18:19], 9, v51
	v_cndmask_b32_e64 v38, v38, v7, s[14:15]
	v_cndmask_b32_e64 v38, v38, v8, s[16:17]
	v_cndmask_b32_e64 v38, v38, v9, s[18:19]
	v_cmp_eq_u32_e64 s[20:21], 10, v51
	v_cmp_eq_u32_e64 s[22:23], 11, v51
	v_cmp_eq_u32_e64 s[24:25], 12, v51
	v_cndmask_b32_e64 v38, v38, v10, s[20:21]
	v_cndmask_b32_e64 v38, v38, v11, s[22:23]
	v_cndmask_b32_e64 v38, v38, v12, s[24:25]
	;; [unrolled: 6-line block ×3, first 2 shown]
	ds_bpermute_b32 v38, v71, v38
	v_cmp_eq_u32_e64 s[34:35], 15, v52
	s_waitcnt lgkmcnt(0)
	v_cndmask_b32_e32 v2, v2, v38, vcc
	v_cmp_ne_u32_e32 vcc, 0, v51
	v_cndmask_b32_e64 v15, v15, v38, s[30:31]
	v_cndmask_b32_e64 v14, v14, v38, s[28:29]
	v_cndmask_b32_e32 v1, v1, v38, vcc
	v_cmp_eq_u32_e32 vcc, 0, v51
	v_cndmask_b32_e64 v13, v13, v38, s[26:27]
	v_cndmask_b32_e64 v12, v12, v38, s[24:25]
	v_cndmask_b32_e32 v0, v0, v38, vcc
	v_cmp_eq_u32_e32 vcc, 1, v52
	v_cndmask_b32_e64 v11, v11, v38, s[22:23]
	v_cndmask_b32_e64 v10, v10, v38, s[20:21]
	;; [unrolled: 1-line block ×9, first 2 shown]
	v_cndmask_b32_e32 v38, v0, v1, vcc
	v_cmp_eq_u32_e64 s[6:7], 2, v52
	v_cmp_eq_u32_e64 s[8:9], 3, v52
	v_cmp_eq_u32_e64 s[10:11], 4, v52
	v_cndmask_b32_e64 v38, v38, v2, s[6:7]
	v_cndmask_b32_e64 v38, v38, v3, s[8:9]
	v_cndmask_b32_e64 v38, v38, v4, s[10:11]
	v_cmp_eq_u32_e64 s[12:13], 5, v52
	v_cmp_eq_u32_e64 s[14:15], 6, v52
	v_cmp_eq_u32_e64 s[16:17], 7, v52
	v_cndmask_b32_e64 v38, v38, v5, s[12:13]
	v_cndmask_b32_e64 v38, v38, v6, s[14:15]
	v_cndmask_b32_e64 v38, v38, v7, s[16:17]
	;; [unrolled: 6-line block ×4, first 2 shown]
	v_cmp_eq_u32_e64 s[30:31], 14, v52
	s_nop 1
	v_cndmask_b32_e64 v38, v38, v14, s[30:31]
	v_cndmask_b32_e64 v38, v38, v15, s[34:35]
	ds_bpermute_b32 v38, v71, v38
	s_waitcnt lgkmcnt(0)
	v_cndmask_b32_e32 v1, v1, v38, vcc
	v_cmp_eq_u32_e32 vcc, 0, v52
	v_cndmask_b32_e64 v15, v15, v38, s[34:35]
	v_cndmask_b32_e64 v14, v14, v38, s[30:31]
	v_cndmask_b32_e32 v0, v0, v38, vcc
	v_cmp_eq_u32_e32 vcc, 1, v53
	v_cndmask_b32_e64 v13, v13, v38, s[28:29]
	v_cndmask_b32_e64 v12, v12, v38, s[26:27]
	v_cndmask_b32_e64 v11, v11, v38, s[24:25]
	v_cndmask_b32_e64 v10, v10, v38, s[22:23]
	v_cndmask_b32_e64 v9, v9, v38, s[20:21]
	v_cndmask_b32_e64 v8, v8, v38, s[18:19]
	v_cndmask_b32_e64 v7, v7, v38, s[16:17]
	v_cndmask_b32_e64 v6, v6, v38, s[14:15]
	v_cndmask_b32_e64 v5, v5, v38, s[12:13]
	v_cndmask_b32_e64 v4, v4, v38, s[10:11]
	v_cndmask_b32_e64 v3, v3, v38, s[8:9]
	v_cndmask_b32_e64 v2, v2, v38, s[6:7]
	v_cndmask_b32_e32 v38, v0, v1, vcc
	v_cmp_eq_u32_e64 s[6:7], 2, v53
	v_cmp_eq_u32_e64 s[8:9], 3, v53
	v_cmp_eq_u32_e64 s[10:11], 4, v53
	v_cndmask_b32_e64 v38, v38, v2, s[6:7]
	v_cndmask_b32_e64 v38, v38, v3, s[8:9]
	v_cndmask_b32_e64 v38, v38, v4, s[10:11]
	v_cmp_eq_u32_e64 s[12:13], 5, v53
	v_cmp_eq_u32_e64 s[14:15], 6, v53
	v_cmp_eq_u32_e64 s[16:17], 7, v53
	v_cndmask_b32_e64 v38, v38, v5, s[12:13]
	v_cndmask_b32_e64 v38, v38, v6, s[14:15]
	v_cndmask_b32_e64 v38, v38, v7, s[16:17]
	v_cmp_eq_u32_e64 s[18:19], 8, v53
	v_cmp_eq_u32_e64 s[20:21], 9, v53
	v_cmp_eq_u32_e64 s[22:23], 10, v53
	v_cndmask_b32_e64 v38, v38, v8, s[18:19]
	v_cndmask_b32_e64 v38, v38, v9, s[20:21]
	v_cndmask_b32_e64 v38, v38, v10, s[22:23]
	v_cmp_eq_u32_e64 s[24:25], 11, v53
	v_cmp_eq_u32_e64 s[26:27], 12, v53
	v_cmp_eq_u32_e64 s[28:29], 13, v53
	v_cndmask_b32_e64 v38, v38, v11, s[24:25]
	v_cndmask_b32_e64 v38, v38, v12, s[26:27]
	v_cndmask_b32_e64 v38, v38, v13, s[28:29]
	v_cmp_eq_u32_e64 s[30:31], 14, v53
	v_cmp_eq_u32_e64 s[34:35], 15, v53
	s_nop 0
	v_cndmask_b32_e64 v38, v38, v14, s[30:31]
	v_cndmask_b32_e64 v38, v38, v15, s[34:35]
	ds_bpermute_b32 v38, v71, v38
	s_waitcnt lgkmcnt(0)
	v_cndmask_b32_e32 v1, v1, v38, vcc
	v_cmp_eq_u32_e32 vcc, 0, v53
	v_cndmask_b32_e64 v15, v15, v38, s[34:35]
	v_cndmask_b32_e64 v14, v14, v38, s[30:31]
	v_cndmask_b32_e32 v0, v0, v38, vcc
	v_cmp_eq_u32_e32 vcc, 1, v54
	v_cndmask_b32_e64 v13, v13, v38, s[28:29]
	v_cndmask_b32_e64 v12, v12, v38, s[26:27]
	v_cndmask_b32_e64 v11, v11, v38, s[24:25]
	v_cndmask_b32_e64 v10, v10, v38, s[22:23]
	v_cndmask_b32_e64 v9, v9, v38, s[20:21]
	v_cndmask_b32_e64 v8, v8, v38, s[18:19]
	v_cndmask_b32_e64 v7, v7, v38, s[16:17]
	v_cndmask_b32_e64 v6, v6, v38, s[14:15]
	v_cndmask_b32_e64 v5, v5, v38, s[12:13]
	v_cndmask_b32_e64 v4, v4, v38, s[10:11]
	v_cndmask_b32_e64 v3, v3, v38, s[8:9]
	v_cndmask_b32_e64 v2, v2, v38, s[6:7]
	v_cndmask_b32_e32 v38, v0, v1, vcc
	v_cmp_eq_u32_e64 s[6:7], 2, v54
	v_cmp_eq_u32_e64 s[8:9], 3, v54
	v_cmp_eq_u32_e64 s[10:11], 4, v54
	v_cndmask_b32_e64 v38, v38, v2, s[6:7]
	v_cndmask_b32_e64 v38, v38, v3, s[8:9]
	v_cndmask_b32_e64 v38, v38, v4, s[10:11]
	v_cmp_eq_u32_e64 s[12:13], 5, v54
	v_cmp_eq_u32_e64 s[14:15], 6, v54
	v_cmp_eq_u32_e64 s[16:17], 7, v54
	v_cndmask_b32_e64 v38, v38, v5, s[12:13]
	v_cndmask_b32_e64 v38, v38, v6, s[14:15]
	v_cndmask_b32_e64 v38, v38, v7, s[16:17]
	v_cmp_eq_u32_e64 s[18:19], 8, v54
	v_cmp_eq_u32_e64 s[20:21], 9, v54
	v_cmp_eq_u32_e64 s[22:23], 10, v54
	v_cndmask_b32_e64 v38, v38, v8, s[18:19]
	v_cndmask_b32_e64 v38, v38, v9, s[20:21]
	v_cndmask_b32_e64 v38, v38, v10, s[22:23]
	v_cmp_eq_u32_e64 s[24:25], 11, v54
	v_cmp_eq_u32_e64 s[26:27], 12, v54
	v_cmp_eq_u32_e64 s[28:29], 13, v54
	v_cndmask_b32_e64 v38, v38, v11, s[24:25]
	v_cndmask_b32_e64 v38, v38, v12, s[26:27]
	v_cndmask_b32_e64 v38, v38, v13, s[28:29]
	v_cmp_eq_u32_e64 s[30:31], 14, v54
	;; [unrolled: 50-line block ×4, first 2 shown]
	v_cmp_eq_u32_e64 s[34:35], 15, v56
	s_nop 0
	v_cndmask_b32_e64 v38, v38, v14, s[30:31]
	v_cndmask_b32_e64 v38, v38, v15, s[34:35]
	ds_bpermute_b32 v38, v71, v38
	s_waitcnt lgkmcnt(0)
	v_cndmask_b32_e32 v1, v1, v38, vcc
	v_cmp_eq_u32_e32 vcc, 0, v56
	v_cndmask_b32_e64 v15, v15, v38, s[34:35]
	v_cndmask_b32_e64 v14, v14, v38, s[30:31]
	;; [unrolled: 1-line block ×14, first 2 shown]
	v_cndmask_b32_e32 v38, v0, v38, vcc
	v_cmp_eq_u32_e32 vcc, 1, v57
	v_cmp_eq_u32_e64 s[6:7], 2, v57
	v_cmp_eq_u32_e64 s[8:9], 3, v57
	v_cndmask_b32_e32 v0, v38, v1, vcc
	v_cndmask_b32_e64 v0, v0, v74, s[6:7]
	v_cndmask_b32_e64 v0, v0, v73, s[8:9]
	v_cmp_eq_u32_e64 s[10:11], 4, v57
	v_cmp_eq_u32_e64 s[12:13], 5, v57
	v_cmp_eq_u32_e64 s[14:15], 6, v57
	v_cndmask_b32_e64 v0, v0, v45, s[10:11]
	v_cndmask_b32_e64 v0, v0, v44, s[12:13]
	v_cndmask_b32_e64 v0, v0, v43, s[14:15]
	v_cmp_eq_u32_e64 s[16:17], 7, v57
	v_cmp_eq_u32_e64 s[18:19], 8, v57
	v_cmp_eq_u32_e64 s[20:21], 9, v57
	v_cndmask_b32_e64 v0, v0, v42, s[16:17]
	;; [unrolled: 6-line block ×4, first 2 shown]
	v_cndmask_b32_e64 v0, v0, v14, s[30:31]
	v_cndmask_b32_e64 v0, v0, v15, s[34:35]
	ds_bpermute_b32 v75, v71, v0
	s_waitcnt lgkmcnt(0)
	v_cndmask_b32_e32 v0, v1, v75, vcc
	v_cmp_eq_u32_e32 vcc, 0, v57
	v_cndmask_b32_e64 v4, v15, v75, s[34:35]
	v_cndmask_b32_e64 v15, v74, v75, s[6:7]
	v_cndmask_b32_e32 v1, v38, v75, vcc
	v_cmp_eq_u32_e32 vcc, 1, v58
	v_cndmask_b32_e64 v5, v14, v75, s[30:31]
	v_cndmask_b32_e64 v14, v73, v75, s[8:9]
	;; [unrolled: 4-line block ×7, first 2 shown]
	v_cndmask_b32_e32 v38, v38, v13, vcc
	v_cmp_eq_u32_e32 vcc, 7, v58
	s_nop 1
	v_cndmask_b32_e32 v38, v38, v12, vcc
	v_cmp_eq_u32_e32 vcc, 8, v58
	s_nop 1
	;; [unrolled: 3-line block ×9, first 2 shown]
	v_cndmask_b32_e32 v38, v38, v4, vcc
	ds_bpermute_b32 v38, v71, v38
	v_cmp_lt_i32_e32 vcc, s75, v59
	s_and_saveexec_b64 s[60:61], vcc
	s_cbranch_execz .LBB16_29
; %bb.21:                               ;   in Loop: Header=BB16_7 Depth=1
	s_mul_i32 s6, s73, s37
	s_ashr_i32 s7, s6, 31
	s_lshl_b64 s[6:7], s[6:7], 1
	v_cmp_eq_u32_e64 s[30:31], 1, v58
	s_add_u32 s8, s48, s6
	s_addc_u32 s9, s49, s7
	s_waitcnt lgkmcnt(0)
	v_cndmask_b32_e64 v0, v0, v38, s[30:31]
	v_cmp_eq_u32_e64 s[30:31], 0, v58
	s_ashr_i32 s55, s54, 31
	s_lshl_b64 s[6:7], s[54:55], 1
	v_cndmask_b32_e64 v1, v1, v38, s[30:31]
	v_cvt_f16_f32_e32 v39, v1
	v_cvt_f16_f32_sdwa v41, v0 dst_sel:WORD_1 dst_unused:UNUSED_PAD src0_sel:DWORD
	s_add_u32 s34, s8, s6
	s_addc_u32 s35, s9, s7
	v_cmp_eq_u32_e64 s[8:9], 15, v58
	v_cmp_eq_u32_e64 s[10:11], 14, v58
	;; [unrolled: 1-line block ×10, first 2 shown]
	v_cmp_eq_u32_e32 vcc, 5, v58
	v_cmp_eq_u32_e64 s[6:7], 4, v58
	v_cmp_eq_u32_e64 s[28:29], 3, v58
	;; [unrolled: 1-line block ×3, first 2 shown]
	v_lshl_add_u64 v[0:1], s[34:35], 0, v[16:17]
	v_cmp_lt_i32_e64 s[34:35], s75, v60
	v_lshl_add_u64 v[42:43], v[18:19], 1, v[0:1]
	v_or_b32_e32 v39, v41, v39
	;;#ASMSTART
	global_atomic_pk_add_f16 v[42:43], v39, off
	
	;;#ASMEND
	s_and_b64 exec, exec, s[34:35]
	s_cbranch_execz .LBB16_29
; %bb.22:                               ;   in Loop: Header=BB16_7 Depth=1
	v_cndmask_b32_e64 v14, v14, v38, s[28:29]
	v_cndmask_b32_e64 v15, v15, v38, s[30:31]
	v_cvt_f16_f32_e32 v39, v15
	v_cvt_f16_f32_sdwa v41, v14 dst_sel:WORD_1 dst_unused:UNUSED_PAD src0_sel:DWORD
	v_cndmask_b32_e64 v4, v4, v38, s[8:9]
	v_cndmask_b32_e64 v5, v5, v38, s[10:11]
	;; [unrolled: 1-line block ×10, first 2 shown]
	v_cndmask_b32_e32 v2, v2, v38, vcc
	v_cndmask_b32_e64 v3, v3, v38, s[6:7]
	v_cmp_lt_i32_e32 vcc, s75, v61
	v_lshl_add_u64 v[14:15], v[20:21], 1, v[0:1]
	v_or_b32_e32 v38, v41, v39
	;;#ASMSTART
	global_atomic_pk_add_f16 v[14:15], v38, off
	
	;;#ASMEND
	s_and_b64 exec, exec, vcc
	s_cbranch_execz .LBB16_29
; %bb.23:                               ;   in Loop: Header=BB16_7 Depth=1
	v_cvt_f16_f32_e32 v14, v3
	v_cvt_f16_f32_sdwa v15, v2 dst_sel:WORD_1 dst_unused:UNUSED_PAD src0_sel:DWORD
	v_cmp_lt_i32_e32 vcc, s75, v62
	v_lshl_add_u64 v[2:3], v[22:23], 1, v[0:1]
	v_or_b32_e32 v14, v15, v14
	;;#ASMSTART
	global_atomic_pk_add_f16 v[2:3], v14, off
	
	;;#ASMEND
	s_and_b64 exec, exec, vcc
	s_cbranch_execz .LBB16_29
; %bb.24:                               ;   in Loop: Header=BB16_7 Depth=1
	v_cvt_f16_f32_e32 v13, v13
	v_cvt_f16_f32_sdwa v12, v12 dst_sel:WORD_1 dst_unused:UNUSED_PAD src0_sel:DWORD
	;; [unrolled: 12-line block ×6, first 2 shown]
	v_lshl_add_u64 v[0:1], v[32:33], 1, v[0:1]
	v_or_b32_e32 v2, v3, v2
	;;#ASMSTART
	global_atomic_pk_add_f16 v[0:1], v2, off
	
	;;#ASMEND
.LBB16_29:                              ;   in Loop: Header=BB16_7 Depth=1
	s_or_b64 exec, exec, s[60:61]
	v_subrev_u32_e32 v72, s72, v72
.LBB16_30:                              ;   in Loop: Header=BB16_7 Depth=1
	s_or_b64 exec, exec, s[58:59]
.LBB16_31:                              ;   in Loop: Header=BB16_7 Depth=1
	s_andn2_saveexec_b64 s[6:7], s[56:57]
	s_cbranch_execz .LBB16_40
; %bb.32:                               ;   in Loop: Header=BB16_7 Depth=1
	v_cmp_gt_i32_e32 vcc, s72, v72
	s_and_saveexec_b64 s[8:9], vcc
	s_cbranch_execz .LBB16_39
; %bb.33:                               ;   in Loop: Header=BB16_7 Depth=1
	s_mul_i32 s10, s54, s39
	s_ashr_i32 s11, s10, 31
	s_waitcnt lgkmcnt(0)
	s_add_u32 s10, s46, s10
	s_addc_u32 s11, s47, s11
	s_ashr_i32 s12, s74, 31
	s_add_u32 s10, s10, s74
	s_addc_u32 s11, s11, s12
	v_lshl_add_u64 v[0:1], s[10:11], 0, v[36:37]
	v_lshl_add_u64 v[8:9], v[0:1], 0, v[34:35]
	s_mov_b64 s[10:11], 0
	s_branch .LBB16_35
.LBB16_34:                              ;   in Loop: Header=BB16_35 Depth=2
	s_or_b64 exec, exec, s[12:13]
	v_lshl_add_u32 v12, v10, 11, v67
	;;#ASMSTART
	s_waitcnt vmcnt(1)
	;;#ASMEND
	ds_write2_b32 v12, v4, v5 offset1:32
	ds_write2_b32 v12, v6, v7 offset0:64 offset1:96
	v_add_u32_e32 v4, 0x400, v12
	v_add_u32_e32 v72, s42, v72
	;;#ASMSTART
	s_waitcnt vmcnt(0)
	;;#ASMEND
	ds_write2_b32 v4, v0, v1 offset1:32
	ds_write2_b32 v4, v2, v3 offset0:64 offset1:96
	v_add_u32_e32 v0, 1, v47
	v_add_u32_e32 v40, s42, v10
	v_cmp_le_i32_e32 vcc, s72, v72
	ds_write_b32 v11, v0 offset:12
	v_add_u32_e32 v0, 2, v47
	s_or_b64 s[10:11], vcc, s[10:11]
	v_cmp_lt_i32_e32 vcc, 2, v40
	s_nop 1
	v_cndmask_b32_e32 v47, v47, v0, vcc
	s_andn2_b64 exec, exec, s[10:11]
	s_cbranch_execz .LBB16_38
.LBB16_35:                              ;   Parent Loop BB16_7 Depth=1
                                        ; =>  This Loop Header: Depth=2
                                        ;       Child Loop BB16_37 Depth 3
	v_cmp_gt_i32_e32 vcc, 3, v40
	s_nop 1
	v_cndmask_b32_e64 v0, -3, 0, vcc
	v_add_u32_e32 v10, v0, v40
	v_lshlrev_b32_e32 v0, 6, v72
	v_ashrrev_i32_e32 v1, 31, v0
	v_lshl_add_u64 v[0:1], v[8:9], 0, v[0:1]
	v_lshlrev_b32_e32 v11, 2, v10
	;;#ASMSTART
	global_load_dwordx4 v[4:7], v[0:1], off offset:0   sc0 sc1 nt  
	global_load_dwordx4 v[0:3], v[0:1], off offset:32  sc0 sc1 nt  
	
	;;#ASMEND
	ds_read_b32 v12, v11 offset:12300
	v_add_u32_e32 v11, 0x3000, v11
	s_waitcnt lgkmcnt(0)
	v_cmp_ne_u32_e32 vcc, v12, v47
	s_and_saveexec_b64 s[12:13], vcc
	s_cbranch_execz .LBB16_34
; %bb.36:                               ;   in Loop: Header=BB16_35 Depth=2
	s_mov_b64 s[14:15], 0
.LBB16_37:                              ;   Parent Loop BB16_7 Depth=1
                                        ;     Parent Loop BB16_35 Depth=2
                                        ; =>    This Inner Loop Header: Depth=3
	;;#ASMSTART
	s_sleep 0
	;;#ASMEND
	ds_read_b32 v12, v11 offset:12
	s_waitcnt lgkmcnt(0)
	v_cmp_eq_u32_e32 vcc, v12, v47
	s_or_b64 s[14:15], vcc, s[14:15]
	s_andn2_b64 exec, exec, s[14:15]
	s_cbranch_execnz .LBB16_37
	s_branch .LBB16_34
.LBB16_38:                              ;   in Loop: Header=BB16_7 Depth=1
	s_or_b64 exec, exec, s[10:11]
.LBB16_39:                              ;   in Loop: Header=BB16_7 Depth=1
	s_or_b64 exec, exec, s[8:9]
	v_subrev_u32_e32 v72, s72, v72
.LBB16_40:                              ;   in Loop: Header=BB16_7 Depth=1
	s_or_b64 exec, exec, s[6:7]
.LBB16_41:                              ;   in Loop: Header=BB16_7 Depth=1
	s_andn2_saveexec_b64 s[6:7], s[52:53]
	s_cbranch_execz .LBB16_6
; %bb.42:                               ;   in Loop: Header=BB16_7 Depth=1
	v_cmp_gt_i32_e32 vcc, s72, v72
	s_and_saveexec_b64 s[8:9], vcc
	s_cbranch_execz .LBB16_5
; %bb.43:                               ;   in Loop: Header=BB16_7 Depth=1
	s_mul_i32 s73, s73, s38
	s_ashr_i32 s10, s73, 31
	s_waitcnt lgkmcnt(0)
	s_add_u32 s11, s44, s73
	s_addc_u32 s12, s45, s10
	s_ashr_i32 s13, s74, 31
	v_cmp_le_i32_e32 vcc, s75, v68
	s_add_u32 s10, s11, s74
	s_addc_u32 s11, s12, s13
	v_cndmask_b32_e32 v0, 0, v69, vcc
	v_ashrrev_i32_e32 v1, 31, v0
	v_lshl_add_u64 v[0:1], s[10:11], 0, v[0:1]
	v_lshl_add_u64 v[8:9], v[0:1], 0, v[34:35]
	s_mov_b64 s[10:11], 0
	s_branch .LBB16_45
.LBB16_44:                              ;   in Loop: Header=BB16_45 Depth=2
	s_or_b64 exec, exec, s[12:13]
	v_lshl_or_b32 v12, v10, 11, v70
	;;#ASMSTART
	s_waitcnt vmcnt(1)
	;;#ASMEND
	ds_write2_b32 v12, v4, v5 offset1:32
	ds_write2_b32 v12, v6, v7 offset0:64 offset1:96
	v_add_u32_e32 v4, 0x400, v12
	v_add_u32_e32 v72, s41, v72
	;;#ASMSTART
	s_waitcnt vmcnt(0)
	;;#ASMEND
	ds_write2_b32 v4, v0, v1 offset1:32
	ds_write2_b32 v4, v2, v3 offset0:64 offset1:96
	v_add_u32_e32 v0, 1, v47
	v_add_u32_e32 v40, s41, v10
	v_cmp_le_i32_e32 vcc, s72, v72
	ds_write_b32 v11, v0
	v_add_u32_e32 v0, 2, v47
	s_or_b64 s[10:11], vcc, s[10:11]
	v_cmp_lt_i32_e32 vcc, 2, v40
	s_nop 1
	v_cndmask_b32_e32 v47, v47, v0, vcc
	s_andn2_b64 exec, exec, s[10:11]
	s_cbranch_execz .LBB16_4
.LBB16_45:                              ;   Parent Loop BB16_7 Depth=1
                                        ; =>  This Loop Header: Depth=2
                                        ;       Child Loop BB16_47 Depth 3
	v_cmp_gt_i32_e32 vcc, 3, v40
	s_nop 1
	v_cndmask_b32_e64 v0, -3, 0, vcc
	v_add_u32_e32 v10, v0, v40
	v_lshlrev_b32_e32 v0, 6, v72
	v_ashrrev_i32_e32 v1, 31, v0
	v_lshl_add_u64 v[0:1], v[8:9], 0, v[0:1]
	v_lshlrev_b32_e32 v11, 2, v10
	;;#ASMSTART
	global_load_dwordx4 v[4:7], v[0:1], off offset:0   
	global_load_dwordx4 v[0:3], v[0:1], off offset:32  
	
	;;#ASMEND
	ds_read_b32 v12, v11 offset:12288
	v_add_u32_e32 v11, 0x3000, v11
	s_waitcnt lgkmcnt(0)
	v_cmp_ne_u32_e32 vcc, v12, v47
	s_and_saveexec_b64 s[12:13], vcc
	s_cbranch_execz .LBB16_44
; %bb.46:                               ;   in Loop: Header=BB16_45 Depth=2
	s_mov_b64 s[14:15], 0
.LBB16_47:                              ;   Parent Loop BB16_7 Depth=1
                                        ;     Parent Loop BB16_45 Depth=2
                                        ; =>    This Inner Loop Header: Depth=3
	;;#ASMSTART
	s_sleep 0
	;;#ASMEND
	ds_read_b32 v12, v11
	s_waitcnt lgkmcnt(0)
	v_cmp_eq_u32_e32 vcc, v12, v47
	s_or_b64 s[14:15], vcc, s[14:15]
	s_andn2_b64 exec, exec, s[14:15]
	s_cbranch_execnz .LBB16_47
	s_branch .LBB16_44
.LBB16_48:
	s_endpgm
	.section	.rodata,"a",@progbits
	.p2align	6, 0x0
	.amdhsa_kernel _Z19_skinny_gemm_kernelILi1ELi1ELi3ELi32ELi4EEvPKhS1_P6__halfPKfiiiiiiii
		.amdhsa_group_segment_fixed_size 12312
		.amdhsa_private_segment_fixed_size 0
		.amdhsa_kernarg_size 64
		.amdhsa_user_sgpr_count 2
		.amdhsa_user_sgpr_dispatch_ptr 0
		.amdhsa_user_sgpr_queue_ptr 0
		.amdhsa_user_sgpr_kernarg_segment_ptr 1
		.amdhsa_user_sgpr_dispatch_id 0
		.amdhsa_user_sgpr_kernarg_preload_length 0
		.amdhsa_user_sgpr_kernarg_preload_offset 0
		.amdhsa_user_sgpr_private_segment_size 0
		.amdhsa_uses_dynamic_stack 0
		.amdhsa_enable_private_segment 0
		.amdhsa_system_sgpr_workgroup_id_x 1
		.amdhsa_system_sgpr_workgroup_id_y 0
		.amdhsa_system_sgpr_workgroup_id_z 0
		.amdhsa_system_sgpr_workgroup_info 0
		.amdhsa_system_vgpr_workitem_id 0
		.amdhsa_next_free_vgpr 80
		.amdhsa_next_free_sgpr 76
		.amdhsa_accum_offset 80
		.amdhsa_reserve_vcc 1
		.amdhsa_float_round_mode_32 0
		.amdhsa_float_round_mode_16_64 0
		.amdhsa_float_denorm_mode_32 3
		.amdhsa_float_denorm_mode_16_64 3
		.amdhsa_dx10_clamp 1
		.amdhsa_ieee_mode 1
		.amdhsa_fp16_overflow 0
		.amdhsa_tg_split 0
		.amdhsa_exception_fp_ieee_invalid_op 0
		.amdhsa_exception_fp_denorm_src 0
		.amdhsa_exception_fp_ieee_div_zero 0
		.amdhsa_exception_fp_ieee_overflow 0
		.amdhsa_exception_fp_ieee_underflow 0
		.amdhsa_exception_fp_ieee_inexact 0
		.amdhsa_exception_int_div_zero 0
	.end_amdhsa_kernel
	.section	.text._Z19_skinny_gemm_kernelILi1ELi1ELi3ELi32ELi4EEvPKhS1_P6__halfPKfiiiiiiii,"axG",@progbits,_Z19_skinny_gemm_kernelILi1ELi1ELi3ELi32ELi4EEvPKhS1_P6__halfPKfiiiiiiii,comdat
.Lfunc_end16:
	.size	_Z19_skinny_gemm_kernelILi1ELi1ELi3ELi32ELi4EEvPKhS1_P6__halfPKfiiiiiiii, .Lfunc_end16-_Z19_skinny_gemm_kernelILi1ELi1ELi3ELi32ELi4EEvPKhS1_P6__halfPKfiiiiiiii
                                        ; -- End function
	.set _Z19_skinny_gemm_kernelILi1ELi1ELi3ELi32ELi4EEvPKhS1_P6__halfPKfiiiiiiii.num_vgpr, 80
	.set _Z19_skinny_gemm_kernelILi1ELi1ELi3ELi32ELi4EEvPKhS1_P6__halfPKfiiiiiiii.num_agpr, 0
	.set _Z19_skinny_gemm_kernelILi1ELi1ELi3ELi32ELi4EEvPKhS1_P6__halfPKfiiiiiiii.numbered_sgpr, 76
	.set _Z19_skinny_gemm_kernelILi1ELi1ELi3ELi32ELi4EEvPKhS1_P6__halfPKfiiiiiiii.num_named_barrier, 0
	.set _Z19_skinny_gemm_kernelILi1ELi1ELi3ELi32ELi4EEvPKhS1_P6__halfPKfiiiiiiii.private_seg_size, 0
	.set _Z19_skinny_gemm_kernelILi1ELi1ELi3ELi32ELi4EEvPKhS1_P6__halfPKfiiiiiiii.uses_vcc, 1
	.set _Z19_skinny_gemm_kernelILi1ELi1ELi3ELi32ELi4EEvPKhS1_P6__halfPKfiiiiiiii.uses_flat_scratch, 0
	.set _Z19_skinny_gemm_kernelILi1ELi1ELi3ELi32ELi4EEvPKhS1_P6__halfPKfiiiiiiii.has_dyn_sized_stack, 0
	.set _Z19_skinny_gemm_kernelILi1ELi1ELi3ELi32ELi4EEvPKhS1_P6__halfPKfiiiiiiii.has_recursion, 0
	.set _Z19_skinny_gemm_kernelILi1ELi1ELi3ELi32ELi4EEvPKhS1_P6__halfPKfiiiiiiii.has_indirect_call, 0
	.section	.AMDGPU.csdata,"",@progbits
; Kernel info:
; codeLenInByte = 5972
; TotalNumSgprs: 82
; NumVgprs: 80
; NumAgprs: 0
; TotalNumVgprs: 80
; ScratchSize: 0
; MemoryBound: 0
; FloatMode: 240
; IeeeMode: 1
; LDSByteSize: 12312 bytes/workgroup (compile time only)
; SGPRBlocks: 10
; VGPRBlocks: 9
; NumSGPRsForWavesPerEU: 82
; NumVGPRsForWavesPerEU: 80
; AccumOffset: 80
; Occupancy: 6
; WaveLimiterHint : 0
; COMPUTE_PGM_RSRC2:SCRATCH_EN: 0
; COMPUTE_PGM_RSRC2:USER_SGPR: 2
; COMPUTE_PGM_RSRC2:TRAP_HANDLER: 0
; COMPUTE_PGM_RSRC2:TGID_X_EN: 1
; COMPUTE_PGM_RSRC2:TGID_Y_EN: 0
; COMPUTE_PGM_RSRC2:TGID_Z_EN: 0
; COMPUTE_PGM_RSRC2:TIDIG_COMP_CNT: 0
; COMPUTE_PGM_RSRC3_GFX90A:ACCUM_OFFSET: 19
; COMPUTE_PGM_RSRC3_GFX90A:TG_SPLIT: 0
	.section	.text._Z19_skinny_gemm_kernelILi1ELi1ELi3ELi32ELi8EEvPKhS1_P6__halfPKfiiiiiiii,"axG",@progbits,_Z19_skinny_gemm_kernelILi1ELi1ELi3ELi32ELi8EEvPKhS1_P6__halfPKfiiiiiiii,comdat
	.protected	_Z19_skinny_gemm_kernelILi1ELi1ELi3ELi32ELi8EEvPKhS1_P6__halfPKfiiiiiiii ; -- Begin function _Z19_skinny_gemm_kernelILi1ELi1ELi3ELi32ELi8EEvPKhS1_P6__halfPKfiiiiiiii
	.globl	_Z19_skinny_gemm_kernelILi1ELi1ELi3ELi32ELi8EEvPKhS1_P6__halfPKfiiiiiiii
	.p2align	8
	.type	_Z19_skinny_gemm_kernelILi1ELi1ELi3ELi32ELi8EEvPKhS1_P6__halfPKfiiiiiiii,@function
_Z19_skinny_gemm_kernelILi1ELi1ELi3ELi32ELi8EEvPKhS1_P6__halfPKfiiiiiiii: ; @_Z19_skinny_gemm_kernelILi1ELi1ELi3ELi32ELi8EEvPKhS1_P6__halfPKfiiiiiiii
; %bb.0:
	v_cmp_gt_u32_e32 vcc, 6, v0
	s_and_saveexec_b64 s[4:5], vcc
; %bb.1:
	v_lshlrev_b32_e32 v1, 2, v0
	v_mov_b32_e32 v2, 0
	ds_write_b32 v1, v2 offset:24576
; %bb.2:
	s_or_b64 exec, exec, s[4:5]
	s_load_dwordx8 s[36:43], s[0:1], 0x20
	s_waitcnt lgkmcnt(0)
	s_barrier
	s_add_i32 s3, s36, 31
	s_ashr_i32 s5, s3, 31
	s_add_i32 s4, s37, 31
	s_lshr_b32 s5, s5, 27
	s_ashr_i32 s6, s4, 31
	s_add_i32 s3, s3, s5
	s_ashr_i32 s33, s3, 5
	s_lshr_b32 s3, s6, 27
	s_add_i32 s4, s4, s3
	s_ashr_i32 s62, s4, 5
	s_mul_i32 s3, s62, s33
	s_mul_i32 s3, s3, s40
	s_add_i32 s4, s3, 0x12f
	s_mul_hi_i32 s4, s4, 0x6bca1af3
	s_lshr_b32 s5, s4, 31
	s_ashr_i32 s4, s4, 7
	s_add_i32 s4, s4, s5
	s_add_i32 s5, s2, 1
	s_mul_i32 s5, s4, s5
	v_cvt_f64_i32_e32 v[2:3], s3
	v_cvt_f64_u32_e32 v[4:5], s5
	v_min_f64 v[2:3], v[2:3], v[4:5]
	v_cvt_i32_f64_e32 v54, v[2:3]
	s_mul_i32 s63, s4, s2
	v_cmp_ge_i32_e32 vcc, s63, v54
	s_cbranch_vccnz .LBB17_48
; %bb.3:
	v_lshrrev_b32_e32 v1, 6, v0
	s_add_i32 s4, s42, s41
	s_load_dwordx8 s[44:51], s[0:1], 0x0
	v_cmp_le_i32_e64 s[0:1], s4, v1
	v_mov_b32_e32 v2, s41
	v_cmp_le_i32_e64 s[2:3], s41, v1
	v_mov_b32_e32 v3, s42
	v_cndmask_b32_e64 v3, 0, v3, s[0:1]
	v_cndmask_b32_e64 v2, 0, v2, s[2:3]
	s_abs_i32 s5, s40
	v_add_u32_e32 v2, v2, v3
	v_cvt_f32_u32_e32 v3, s5
	v_sub_u32_e32 v40, v1, v2
	s_ashr_i32 s6, s38, 31
	s_lshr_b32 s6, s6, 25
	v_rcp_iflag_f32_e32 v2, v3
	s_sub_i32 s9, 0, s5
	s_add_i32 s6, s38, s6
	s_ashr_i32 s6, s6, 7
	v_mul_f32_e32 v2, 0x4f7ffffe, v2
	v_cvt_u32_f32_e32 v2, v2
	s_abs_i32 s8, s6
	s_xor_b32 s7, s6, s40
	s_ashr_i32 s7, s7, 31
	v_readfirstlane_b32 s10, v2
	s_mul_i32 s9, s9, s10
	s_mul_hi_u32 s9, s10, s9
	s_add_i32 s10, s10, s9
	s_mul_hi_u32 s9, s8, s10
	s_mul_i32 s10, s9, s5
	s_sub_i32 s8, s8, s10
	s_add_i32 s10, s9, 1
	s_sub_i32 s11, s8, s5
	s_cmp_ge_u32 s8, s5
	s_cselect_b32 s9, s10, s9
	s_cselect_b32 s8, s11, s8
	s_add_i32 s10, s9, 1
	s_cmp_ge_u32 s8, s5
	s_cselect_b32 s5, s10, s9
	s_xor_b32 s5, s5, s7
	s_sub_i32 s64, s5, s7
	s_add_i32 s40, s40, -1
	s_mul_i32 s5, s64, s40
	s_add_i32 s4, s4, s43
	v_and_b32_e32 v56, 31, v0
	v_lshrrev_b32_e32 v2, 3, v0
	s_sub_i32 s65, s6, s5
	v_cmp_gt_i32_e64 s[4:5], s4, v1
	v_lshlrev_b32_e32 v1, 2, v56
	v_and_b32_e32 v3, 4, v2
	v_and_b32_e32 v5, 1, v0
	v_lshlrev_b32_e32 v2, 6, v3
	v_or_b32_e32 v4, 0x3000, v1
	v_or_b32_e32 v3, v3, v5
	;; [unrolled: 1-line block ×4, first 2 shown]
	v_lshlrev_b32_e32 v2, 1, v5
	v_or_b32_e32 v5, 2, v3
	v_sub_u32_e32 v68, 32, v5
	v_or_b32_e32 v5, 8, v3
	v_sub_u32_e32 v69, 32, v5
	;; [unrolled: 2-line block ×5, first 2 shown]
	v_mul_lo_u32 v18, s37, v3
	v_sub_u32_e32 v72, 32, v5
	v_or_b32_e32 v5, 24, v3
	v_or_b32_e32 v3, 26, v3
	v_sub_u32_e32 v74, 32, v3
	v_lshrrev_b32_e32 v3, 1, v0
	s_abs_i32 s66, s33
	v_and_b32_e32 v34, 16, v3
	v_cvt_f32_u32_e32 v3, s66
	v_sub_u32_e32 v73, 32, v5
	v_lshlrev_b32_e32 v5, 4, v0
	v_and_b32_e32 v5, 0x200, v5
	v_rcp_iflag_f32_e32 v3, v3
	s_abs_i32 s67, s62
	v_or_b32_e32 v78, v1, v5
	v_cvt_f32_u32_e32 v1, s67
	v_sub_u32_e32 v2, v0, v2
	v_add_u32_e32 v2, 1, v2
	s_lshl_b32 s6, s37, 1
	v_and_b32_e32 v6, 63, v2
	v_bitop3_b32 v59, v0, 1, v0 bitop3:0xc
	v_bitop3_b32 v60, v0, 3, 1 bitop3:0x6c
	;; [unrolled: 1-line block ×8, first 2 shown]
	v_and_b32_e32 v2, 30, v0
	v_add_u32_e32 v20, s6, v18
	s_mul_i32 s7, s37, 6
	v_bitop3_b32 v76, v0, 31, v0 bitop3:0xc
	v_mul_f32_e32 v0, 0x4f7ffffe, v3
	v_add_u32_e32 v22, s7, v20
	v_cvt_u32_f32_e32 v0, v0
	v_rcp_iflag_f32_e32 v1, v1
	v_add_u32_e32 v24, s6, v22
	v_add_u32_e32 v26, s7, v24
	;; [unrolled: 1-line block ×4, first 2 shown]
	v_readfirstlane_b32 s7, v0
	v_mul_f32_e32 v0, 0x4f7ffffe, v1
	v_cvt_u32_f32_e32 v0, v0
	v_add_u32_e32 v32, s6, v30
	s_sub_i32 s6, 0, s66
	s_mul_i32 s6, s6, s7
	s_mul_hi_u32 s6, s7, s6
	s_add_i32 s69, s7, s6
	s_sub_i32 s6, 0, s67
	v_readfirstlane_b32 s7, v0
	v_mbcnt_lo_u32_b32 v0, -1, 0
	s_mul_i32 s6, s6, s7
	v_mbcnt_hi_u32_b32 v0, -1, v0
	v_mov_b32_e32 v17, 0
	v_mul_lo_u32 v36, s39, v56
	s_mul_hi_u32 s6, s7, s6
	v_and_or_b32 v0, v0, 64, v6
	v_cndmask_b32_e64 v55, 0, 1, s[0:1]
	v_ashrrev_i32_e32 v19, 31, v18
	v_ashrrev_i32_e32 v21, 31, v20
	;; [unrolled: 1-line block ×9, first 2 shown]
	v_mov_b32_e32 v35, v17
	v_or_b32_e32 v75, v4, v5
	v_mul_lo_u32 v77, s38, v56
	s_ashr_i32 s68, s33, 31
	s_ashr_i32 s70, s62, 31
	s_add_i32 s71, s7, s6
	v_lshlrev_b32_e32 v16, 1, v2
	v_lshlrev_b32_e32 v79, 2, v0
	v_mov_b32_e32 v80, v40
	s_branch .LBB17_7
.LBB17_4:                               ;   in Loop: Header=BB17_7 Depth=1
	s_or_b64 exec, exec, s[10:11]
.LBB17_5:                               ;   in Loop: Header=BB17_7 Depth=1
	s_or_b64 exec, exec, s[8:9]
	v_subrev_u32_e32 v80, s72, v80
.LBB17_6:                               ;   in Loop: Header=BB17_7 Depth=1
	s_or_b64 exec, exec, s[6:7]
	s_add_i32 s63, s63, 1
	v_cmp_ge_i32_e32 vcc, s63, v54
	s_cbranch_vccnz .LBB17_48
.LBB17_7:                               ; =>This Loop Header: Depth=1
                                        ;     Child Loop BB17_13 Depth 2
                                        ;       Child Loop BB17_15 Depth 3
                                        ;       Child Loop BB17_18 Depth 3
                                        ;     Child Loop BB17_35 Depth 2
                                        ;       Child Loop BB17_37 Depth 3
                                        ;     Child Loop BB17_45 Depth 2
                                        ;       Child Loop BB17_47 Depth 3
	s_abs_i32 s7, s63
	s_mul_hi_u32 s8, s7, s69
	s_mul_i32 s9, s8, s66
	s_ashr_i32 s6, s63, 31
	s_sub_i32 s7, s7, s9
	s_xor_b32 s6, s6, s68
	s_add_i32 s9, s8, 1
	s_sub_i32 s10, s7, s66
	s_cmp_ge_u32 s7, s66
	s_cselect_b32 s8, s9, s8
	s_cselect_b32 s7, s10, s7
	s_add_i32 s9, s8, 1
	s_cmp_ge_u32 s7, s66
	s_cselect_b32 s7, s9, s8
	s_xor_b32 s7, s7, s6
	s_sub_i32 s6, s7, s6
	s_abs_i32 s8, s6
	s_mul_i32 s7, s6, s33
	s_mul_hi_u32 s9, s8, s71
	s_sub_i32 s7, s63, s7
	s_mul_i32 s10, s9, s67
	s_lshl_b32 s73, s7, 5
	s_ashr_i32 s7, s6, 31
	s_sub_i32 s8, s8, s10
	s_xor_b32 s7, s7, s70
	s_add_i32 s10, s9, 1
	s_sub_i32 s11, s8, s67
	s_cmp_ge_u32 s8, s67
	s_cselect_b32 s9, s10, s9
	s_cselect_b32 s8, s11, s8
	s_add_i32 s10, s9, 1
	s_cmp_ge_u32 s8, s67
	s_cselect_b32 s8, s10, s9
	s_xor_b32 s8, s8, s7
	s_sub_i32 s7, s8, s7
	s_mul_i32 s8, s7, s64
	s_lshl_b32 s74, s8, 7
	s_cmp_eq_u32 s7, s40
	s_cselect_b32 s72, s65, s64
	s_sub_i32 s75, s73, s36
	s_add_i32 s75, s75, 32
	s_and_saveexec_b64 s[8:9], s[2:3]
	s_xor_b64 s[52:53], exec, s[8:9]
	s_cbranch_execz .LBB17_41
; %bb.8:                                ;   in Loop: Header=BB17_7 Depth=1
	s_mul_i32 s7, s7, s62
	s_sub_i32 s6, s6, s7
	s_lshl_b32 s6, s6, 5
	s_sub_i32 s14, s6, s37
	s_add_i32 s14, s14, 32
	s_max_i32 s7, s14, 0
	s_sub_i32 s54, s6, s7
	s_and_saveexec_b64 s[6:7], s[0:1]
	s_xor_b64 s[56:57], exec, s[6:7]
	s_cbranch_execz .LBB17_31
; %bb.9:                                ;   in Loop: Header=BB17_7 Depth=1
	s_and_saveexec_b64 s[58:59], s[4:5]
	s_cbranch_execz .LBB17_30
; %bb.10:                               ;   in Loop: Header=BB17_7 Depth=1
	s_waitcnt lgkmcnt(0)
	global_load_dword v81, v17, s[50:51]
	v_mov_b32_e32 v15, 0
	v_cmp_gt_i32_e32 vcc, s72, v80
	v_mov_b32_e32 v14, v15
	v_mov_b32_e32 v13, v15
	;; [unrolled: 1-line block ×15, first 2 shown]
	s_and_saveexec_b64 s[6:7], vcc
	s_cbranch_execz .LBB17_20
; %bb.11:                               ;   in Loop: Header=BB17_7 Depth=1
	v_mov_b32_e32 v0, 0
	s_mov_b64 s[8:9], 0
	v_mov_b32_e32 v1, v0
	v_mov_b32_e32 v2, v0
	;; [unrolled: 1-line block ×15, first 2 shown]
	s_branch .LBB17_13
.LBB17_12:                              ;   in Loop: Header=BB17_13 Depth=2
	s_or_b64 exec, exec, s[10:11]
	v_add_u32_e32 v85, v58, v85
	ds_read2_b32 v[86:87], v85 offset1:32
	v_add_u32_e32 v80, s43, v80
	s_waitcnt lgkmcnt(0)
	v_mfma_f32_32x32x16_fp8_fp8 v[0:15], v[52:53], v[86:87], v[0:15]
	ds_read2_b32 v[52:53], v85 offset0:128 offset1:160
	s_waitcnt lgkmcnt(0)
	v_mfma_f32_32x32x16_fp8_fp8 v[0:15], v[50:51], v[52:53], v[0:15]
	v_add_u32_e32 v52, 0x400, v85
	ds_read2_b32 v[50:51], v52 offset1:32
	s_waitcnt lgkmcnt(0)
	v_mfma_f32_32x32x16_fp8_fp8 v[0:15], v[48:49], v[50:51], v[0:15]
	ds_read2_b32 v[48:49], v52 offset0:128 offset1:160
	s_waitcnt lgkmcnt(0)
	v_mfma_f32_32x32x16_fp8_fp8 v[0:15], v[46:47], v[48:49], v[0:15]
	v_add_u32_e32 v48, 0x800, v85
	ds_read2_b32 v[46:47], v48 offset1:32
	;; [unrolled: 7-line block ×3, first 2 shown]
	ds_read2_b32 v[44:45], v44 offset0:128 offset1:160
	ds_write_b32 v83, v84 offset:24580
	s_waitcnt lgkmcnt(2)
	v_mfma_f32_32x32x16_fp8_fp8 v[0:15], v[40:41], v[42:43], v[0:15]
	v_add_u32_e32 v40, s43, v82
	v_add_u32_e32 v41, 2, v55
	v_cmp_lt_i32_e32 vcc, 2, v40
	s_nop 1
	v_cndmask_b32_e32 v55, v55, v41, vcc
	v_cmp_le_i32_e32 vcc, s72, v80
	s_waitcnt lgkmcnt(1)
	v_mfma_f32_32x32x16_fp8_fp8 v[0:15], v[38:39], v[44:45], v[0:15]
	s_or_b64 s[8:9], vcc, s[8:9]
	s_andn2_b64 exec, exec, s[8:9]
	s_cbranch_execz .LBB17_19
.LBB17_13:                              ;   Parent Loop BB17_7 Depth=1
                                        ; =>  This Loop Header: Depth=2
                                        ;       Child Loop BB17_15 Depth 3
                                        ;       Child Loop BB17_18 Depth 3
	v_cmp_gt_i32_e32 vcc, 3, v40
	s_nop 1
	v_cndmask_b32_e64 v38, -3, 0, vcc
	v_add_u32_e32 v82, v38, v40
	v_lshlrev_b32_e32 v83, 3, v82
	ds_read_b32 v38, v83 offset:24576
	s_waitcnt lgkmcnt(0)
	v_cmp_ne_u32_e32 vcc, v38, v55
	s_and_saveexec_b64 s[10:11], vcc
	s_cbranch_execz .LBB17_16
; %bb.14:                               ;   in Loop: Header=BB17_13 Depth=2
	s_mov_b64 s[12:13], 0
.LBB17_15:                              ;   Parent Loop BB17_7 Depth=1
                                        ;     Parent Loop BB17_13 Depth=2
                                        ; =>    This Inner Loop Header: Depth=3
	;;#ASMSTART
	s_sleep 0
	;;#ASMEND
	ds_read_b32 v38, v83 offset:24576
	s_waitcnt lgkmcnt(0)
	v_cmp_eq_u32_e32 vcc, v38, v55
	s_or_b64 s[12:13], vcc, s[12:13]
	s_andn2_b64 exec, exec, s[12:13]
	s_cbranch_execnz .LBB17_15
.LBB17_16:                              ;   in Loop: Header=BB17_13 Depth=2
	s_or_b64 exec, exec, s[10:11]
	v_lshlrev_b32_e32 v85, 12, v82
	v_or_b32_e32 v38, v57, v85
	v_add_u32_e32 v39, 0x400, v38
	ds_read2_b32 v[52:53], v38 offset1:32
	ds_read2_b32 v[50:51], v38 offset0:128 offset1:160
	ds_read2_b32 v[48:49], v39 offset1:32
	ds_read2_b32 v[46:47], v39 offset0:128 offset1:160
	v_add_u32_e32 v39, 0x800, v38
	v_add_u32_e32 v38, 0xc00, v38
	ds_read2_b32 v[44:45], v39 offset1:32
	ds_read2_b32 v[42:43], v39 offset0:128 offset1:160
	ds_read2_b32 v[40:41], v38 offset1:32
	ds_read_b32 v86, v83 offset:24580
	ds_read2_b32 v[38:39], v38 offset0:128 offset1:160
	v_add_u32_e32 v84, 1, v55
	ds_write_b32 v83, v84 offset:24576
	s_waitcnt lgkmcnt(2)
	v_cmp_ne_u32_e32 vcc, v86, v55
	s_and_saveexec_b64 s[10:11], vcc
	s_cbranch_execz .LBB17_12
; %bb.17:                               ;   in Loop: Header=BB17_13 Depth=2
	s_mov_b64 s[12:13], 0
.LBB17_18:                              ;   Parent Loop BB17_7 Depth=1
                                        ;     Parent Loop BB17_13 Depth=2
                                        ; =>    This Inner Loop Header: Depth=3
	;;#ASMSTART
	s_sleep 0
	;;#ASMEND
	ds_read_b32 v86, v83 offset:24580
	s_waitcnt lgkmcnt(0)
	v_cmp_eq_u32_e32 vcc, v86, v55
	s_or_b64 s[12:13], vcc, s[12:13]
	s_andn2_b64 exec, exec, s[12:13]
	s_cbranch_execnz .LBB17_18
	s_branch .LBB17_12
.LBB17_19:                              ;   in Loop: Header=BB17_7 Depth=1
	s_or_b64 exec, exec, s[8:9]
.LBB17_20:                              ;   in Loop: Header=BB17_7 Depth=1
	s_or_b64 exec, exec, s[6:7]
	v_cmp_le_i32_e32 vcc, s14, v56
	v_cmp_eq_u32_e64 s[6:7], 3, v59
	v_cmp_eq_u32_e64 s[8:9], 4, v59
	s_waitcnt vmcnt(0)
	v_cndmask_b32_e32 v38, 0, v81, vcc
	s_nop 1
	v_pk_mul_f32 v[0:1], v[38:39], v[0:1] op_sel_hi:[0,1]
	v_cmp_eq_u32_e32 vcc, 1, v59
	v_pk_mul_f32 v[14:15], v[38:39], v[14:15] op_sel_hi:[0,1]
	v_pk_mul_f32 v[12:13], v[38:39], v[12:13] op_sel_hi:[0,1]
	;; [unrolled: 1-line block ×7, first 2 shown]
	v_cndmask_b32_e32 v38, v0, v1, vcc
	v_cmp_eq_u32_e32 vcc, 2, v59
	v_cmp_eq_u32_e64 s[10:11], 5, v59
	v_cmp_eq_u32_e64 s[12:13], 6, v59
	v_cndmask_b32_e32 v38, v38, v2, vcc
	v_cndmask_b32_e64 v38, v38, v3, s[6:7]
	v_cndmask_b32_e64 v38, v38, v4, s[8:9]
	;; [unrolled: 1-line block ×4, first 2 shown]
	v_cmp_eq_u32_e64 s[14:15], 7, v59
	v_cmp_eq_u32_e64 s[16:17], 8, v59
	v_cmp_eq_u32_e64 s[18:19], 9, v59
	v_cndmask_b32_e64 v38, v38, v7, s[14:15]
	v_cndmask_b32_e64 v38, v38, v8, s[16:17]
	v_cndmask_b32_e64 v38, v38, v9, s[18:19]
	v_cmp_eq_u32_e64 s[20:21], 10, v59
	v_cmp_eq_u32_e64 s[22:23], 11, v59
	v_cmp_eq_u32_e64 s[24:25], 12, v59
	v_cndmask_b32_e64 v38, v38, v10, s[20:21]
	v_cndmask_b32_e64 v38, v38, v11, s[22:23]
	v_cndmask_b32_e64 v38, v38, v12, s[24:25]
	v_cmp_eq_u32_e64 s[26:27], 13, v59
	v_cmp_eq_u32_e64 s[28:29], 14, v59
	v_cmp_eq_u32_e64 s[30:31], 15, v59
	v_cndmask_b32_e64 v38, v38, v13, s[26:27]
	v_cndmask_b32_e64 v38, v38, v14, s[28:29]
	v_cndmask_b32_e64 v38, v38, v15, s[30:31]
	ds_bpermute_b32 v38, v79, v38
	v_cmp_eq_u32_e64 s[34:35], 15, v60
	s_waitcnt lgkmcnt(0)
	v_cndmask_b32_e32 v2, v2, v38, vcc
	v_cmp_ne_u32_e32 vcc, 0, v59
	v_cndmask_b32_e64 v15, v15, v38, s[30:31]
	v_cndmask_b32_e64 v14, v14, v38, s[28:29]
	v_cndmask_b32_e32 v1, v1, v38, vcc
	v_cmp_eq_u32_e32 vcc, 0, v59
	v_cndmask_b32_e64 v13, v13, v38, s[26:27]
	v_cndmask_b32_e64 v12, v12, v38, s[24:25]
	v_cndmask_b32_e32 v0, v0, v38, vcc
	v_cmp_eq_u32_e32 vcc, 1, v60
	v_cndmask_b32_e64 v11, v11, v38, s[22:23]
	v_cndmask_b32_e64 v10, v10, v38, s[20:21]
	;; [unrolled: 1-line block ×9, first 2 shown]
	v_cndmask_b32_e32 v38, v0, v1, vcc
	v_cmp_eq_u32_e64 s[6:7], 2, v60
	v_cmp_eq_u32_e64 s[8:9], 3, v60
	v_cmp_eq_u32_e64 s[10:11], 4, v60
	v_cndmask_b32_e64 v38, v38, v2, s[6:7]
	v_cndmask_b32_e64 v38, v38, v3, s[8:9]
	v_cndmask_b32_e64 v38, v38, v4, s[10:11]
	v_cmp_eq_u32_e64 s[12:13], 5, v60
	v_cmp_eq_u32_e64 s[14:15], 6, v60
	v_cmp_eq_u32_e64 s[16:17], 7, v60
	v_cndmask_b32_e64 v38, v38, v5, s[12:13]
	v_cndmask_b32_e64 v38, v38, v6, s[14:15]
	v_cndmask_b32_e64 v38, v38, v7, s[16:17]
	;; [unrolled: 6-line block ×4, first 2 shown]
	v_cmp_eq_u32_e64 s[30:31], 14, v60
	s_nop 1
	v_cndmask_b32_e64 v38, v38, v14, s[30:31]
	v_cndmask_b32_e64 v38, v38, v15, s[34:35]
	ds_bpermute_b32 v38, v79, v38
	s_waitcnt lgkmcnt(0)
	v_cndmask_b32_e32 v1, v1, v38, vcc
	v_cmp_eq_u32_e32 vcc, 0, v60
	v_cndmask_b32_e64 v15, v15, v38, s[34:35]
	v_cndmask_b32_e64 v14, v14, v38, s[30:31]
	v_cndmask_b32_e32 v0, v0, v38, vcc
	v_cmp_eq_u32_e32 vcc, 1, v61
	v_cndmask_b32_e64 v13, v13, v38, s[28:29]
	v_cndmask_b32_e64 v12, v12, v38, s[26:27]
	v_cndmask_b32_e64 v11, v11, v38, s[24:25]
	v_cndmask_b32_e64 v10, v10, v38, s[22:23]
	v_cndmask_b32_e64 v9, v9, v38, s[20:21]
	v_cndmask_b32_e64 v8, v8, v38, s[18:19]
	v_cndmask_b32_e64 v7, v7, v38, s[16:17]
	v_cndmask_b32_e64 v6, v6, v38, s[14:15]
	v_cndmask_b32_e64 v5, v5, v38, s[12:13]
	v_cndmask_b32_e64 v4, v4, v38, s[10:11]
	v_cndmask_b32_e64 v3, v3, v38, s[8:9]
	v_cndmask_b32_e64 v2, v2, v38, s[6:7]
	v_cndmask_b32_e32 v38, v0, v1, vcc
	v_cmp_eq_u32_e64 s[6:7], 2, v61
	v_cmp_eq_u32_e64 s[8:9], 3, v61
	v_cmp_eq_u32_e64 s[10:11], 4, v61
	v_cndmask_b32_e64 v38, v38, v2, s[6:7]
	v_cndmask_b32_e64 v38, v38, v3, s[8:9]
	v_cndmask_b32_e64 v38, v38, v4, s[10:11]
	v_cmp_eq_u32_e64 s[12:13], 5, v61
	v_cmp_eq_u32_e64 s[14:15], 6, v61
	v_cmp_eq_u32_e64 s[16:17], 7, v61
	v_cndmask_b32_e64 v38, v38, v5, s[12:13]
	v_cndmask_b32_e64 v38, v38, v6, s[14:15]
	v_cndmask_b32_e64 v38, v38, v7, s[16:17]
	v_cmp_eq_u32_e64 s[18:19], 8, v61
	v_cmp_eq_u32_e64 s[20:21], 9, v61
	v_cmp_eq_u32_e64 s[22:23], 10, v61
	v_cndmask_b32_e64 v38, v38, v8, s[18:19]
	v_cndmask_b32_e64 v38, v38, v9, s[20:21]
	v_cndmask_b32_e64 v38, v38, v10, s[22:23]
	v_cmp_eq_u32_e64 s[24:25], 11, v61
	v_cmp_eq_u32_e64 s[26:27], 12, v61
	v_cmp_eq_u32_e64 s[28:29], 13, v61
	v_cndmask_b32_e64 v38, v38, v11, s[24:25]
	v_cndmask_b32_e64 v38, v38, v12, s[26:27]
	v_cndmask_b32_e64 v38, v38, v13, s[28:29]
	v_cmp_eq_u32_e64 s[30:31], 14, v61
	v_cmp_eq_u32_e64 s[34:35], 15, v61
	s_nop 0
	v_cndmask_b32_e64 v38, v38, v14, s[30:31]
	v_cndmask_b32_e64 v38, v38, v15, s[34:35]
	ds_bpermute_b32 v38, v79, v38
	s_waitcnt lgkmcnt(0)
	v_cndmask_b32_e32 v1, v1, v38, vcc
	v_cmp_eq_u32_e32 vcc, 0, v61
	v_cndmask_b32_e64 v15, v15, v38, s[34:35]
	v_cndmask_b32_e64 v14, v14, v38, s[30:31]
	v_cndmask_b32_e32 v0, v0, v38, vcc
	v_cmp_eq_u32_e32 vcc, 1, v62
	v_cndmask_b32_e64 v13, v13, v38, s[28:29]
	v_cndmask_b32_e64 v12, v12, v38, s[26:27]
	v_cndmask_b32_e64 v11, v11, v38, s[24:25]
	v_cndmask_b32_e64 v10, v10, v38, s[22:23]
	v_cndmask_b32_e64 v9, v9, v38, s[20:21]
	v_cndmask_b32_e64 v8, v8, v38, s[18:19]
	v_cndmask_b32_e64 v7, v7, v38, s[16:17]
	v_cndmask_b32_e64 v6, v6, v38, s[14:15]
	v_cndmask_b32_e64 v5, v5, v38, s[12:13]
	v_cndmask_b32_e64 v4, v4, v38, s[10:11]
	v_cndmask_b32_e64 v3, v3, v38, s[8:9]
	v_cndmask_b32_e64 v2, v2, v38, s[6:7]
	v_cndmask_b32_e32 v38, v0, v1, vcc
	v_cmp_eq_u32_e64 s[6:7], 2, v62
	v_cmp_eq_u32_e64 s[8:9], 3, v62
	v_cmp_eq_u32_e64 s[10:11], 4, v62
	v_cndmask_b32_e64 v38, v38, v2, s[6:7]
	v_cndmask_b32_e64 v38, v38, v3, s[8:9]
	v_cndmask_b32_e64 v38, v38, v4, s[10:11]
	v_cmp_eq_u32_e64 s[12:13], 5, v62
	v_cmp_eq_u32_e64 s[14:15], 6, v62
	v_cmp_eq_u32_e64 s[16:17], 7, v62
	v_cndmask_b32_e64 v38, v38, v5, s[12:13]
	v_cndmask_b32_e64 v38, v38, v6, s[14:15]
	v_cndmask_b32_e64 v38, v38, v7, s[16:17]
	v_cmp_eq_u32_e64 s[18:19], 8, v62
	v_cmp_eq_u32_e64 s[20:21], 9, v62
	v_cmp_eq_u32_e64 s[22:23], 10, v62
	v_cndmask_b32_e64 v38, v38, v8, s[18:19]
	v_cndmask_b32_e64 v38, v38, v9, s[20:21]
	v_cndmask_b32_e64 v38, v38, v10, s[22:23]
	v_cmp_eq_u32_e64 s[24:25], 11, v62
	v_cmp_eq_u32_e64 s[26:27], 12, v62
	v_cmp_eq_u32_e64 s[28:29], 13, v62
	v_cndmask_b32_e64 v38, v38, v11, s[24:25]
	v_cndmask_b32_e64 v38, v38, v12, s[26:27]
	v_cndmask_b32_e64 v38, v38, v13, s[28:29]
	v_cmp_eq_u32_e64 s[30:31], 14, v62
	;; [unrolled: 50-line block ×4, first 2 shown]
	v_cmp_eq_u32_e64 s[34:35], 15, v64
	s_nop 0
	v_cndmask_b32_e64 v38, v38, v14, s[30:31]
	v_cndmask_b32_e64 v38, v38, v15, s[34:35]
	ds_bpermute_b32 v38, v79, v38
	s_waitcnt lgkmcnt(0)
	v_cndmask_b32_e32 v1, v1, v38, vcc
	v_cmp_eq_u32_e32 vcc, 0, v64
	v_cndmask_b32_e64 v15, v15, v38, s[34:35]
	v_cndmask_b32_e64 v14, v14, v38, s[30:31]
	v_cndmask_b32_e64 v13, v13, v38, s[28:29]
	v_cndmask_b32_e64 v12, v12, v38, s[26:27]
	v_cndmask_b32_e64 v11, v11, v38, s[24:25]
	v_cndmask_b32_e64 v10, v10, v38, s[22:23]
	v_cndmask_b32_e64 v39, v9, v38, s[20:21]
	v_cndmask_b32_e64 v41, v8, v38, s[18:19]
	v_cndmask_b32_e64 v42, v7, v38, s[16:17]
	v_cndmask_b32_e64 v43, v6, v38, s[14:15]
	v_cndmask_b32_e64 v44, v5, v38, s[12:13]
	v_cndmask_b32_e64 v45, v4, v38, s[10:11]
	v_cndmask_b32_e64 v46, v3, v38, s[8:9]
	v_cndmask_b32_e64 v47, v2, v38, s[6:7]
	v_cndmask_b32_e32 v38, v0, v38, vcc
	v_cmp_eq_u32_e32 vcc, 1, v65
	v_cmp_eq_u32_e64 s[6:7], 2, v65
	v_cmp_eq_u32_e64 s[8:9], 3, v65
	v_cndmask_b32_e32 v0, v38, v1, vcc
	v_cndmask_b32_e64 v0, v0, v47, s[6:7]
	v_cndmask_b32_e64 v0, v0, v46, s[8:9]
	v_cmp_eq_u32_e64 s[10:11], 4, v65
	v_cmp_eq_u32_e64 s[12:13], 5, v65
	v_cmp_eq_u32_e64 s[14:15], 6, v65
	v_cndmask_b32_e64 v0, v0, v45, s[10:11]
	v_cndmask_b32_e64 v0, v0, v44, s[12:13]
	v_cndmask_b32_e64 v0, v0, v43, s[14:15]
	v_cmp_eq_u32_e64 s[16:17], 7, v65
	v_cmp_eq_u32_e64 s[18:19], 8, v65
	v_cmp_eq_u32_e64 s[20:21], 9, v65
	v_cndmask_b32_e64 v0, v0, v42, s[16:17]
	v_cndmask_b32_e64 v0, v0, v41, s[18:19]
	v_cndmask_b32_e64 v0, v0, v39, s[20:21]
	v_cmp_eq_u32_e64 s[22:23], 10, v65
	v_cmp_eq_u32_e64 s[24:25], 11, v65
	v_cmp_eq_u32_e64 s[26:27], 12, v65
	v_cndmask_b32_e64 v0, v0, v10, s[22:23]
	v_cndmask_b32_e64 v0, v0, v11, s[24:25]
	v_cndmask_b32_e64 v0, v0, v12, s[26:27]
	v_cmp_eq_u32_e64 s[28:29], 13, v65
	v_cmp_eq_u32_e64 s[30:31], 14, v65
	v_cmp_eq_u32_e64 s[34:35], 15, v65
	v_cndmask_b32_e64 v0, v0, v13, s[28:29]
	v_cndmask_b32_e64 v0, v0, v14, s[30:31]
	v_cndmask_b32_e64 v0, v0, v15, s[34:35]
	ds_bpermute_b32 v48, v79, v0
	s_waitcnt lgkmcnt(0)
	v_cndmask_b32_e32 v0, v1, v48, vcc
	v_cmp_eq_u32_e32 vcc, 0, v65
	v_cndmask_b32_e64 v4, v15, v48, s[34:35]
	v_cndmask_b32_e64 v15, v47, v48, s[6:7]
	v_cndmask_b32_e32 v1, v38, v48, vcc
	v_cmp_eq_u32_e32 vcc, 1, v66
	v_cndmask_b32_e64 v5, v14, v48, s[30:31]
	v_cndmask_b32_e64 v14, v46, v48, s[8:9]
	;; [unrolled: 4-line block ×7, first 2 shown]
	v_cndmask_b32_e32 v38, v38, v13, vcc
	v_cmp_eq_u32_e32 vcc, 7, v66
	s_nop 1
	v_cndmask_b32_e32 v38, v38, v12, vcc
	v_cmp_eq_u32_e32 vcc, 8, v66
	s_nop 1
	;; [unrolled: 3-line block ×9, first 2 shown]
	v_cndmask_b32_e32 v38, v38, v4, vcc
	ds_bpermute_b32 v38, v79, v38
	v_cmp_lt_i32_e32 vcc, s75, v67
	s_and_saveexec_b64 s[60:61], vcc
	s_cbranch_execz .LBB17_29
; %bb.21:                               ;   in Loop: Header=BB17_7 Depth=1
	s_mul_i32 s6, s73, s37
	s_ashr_i32 s7, s6, 31
	s_lshl_b64 s[6:7], s[6:7], 1
	v_cmp_eq_u32_e64 s[30:31], 1, v66
	s_add_u32 s8, s48, s6
	s_addc_u32 s9, s49, s7
	s_waitcnt lgkmcnt(0)
	v_cndmask_b32_e64 v0, v0, v38, s[30:31]
	v_cmp_eq_u32_e64 s[30:31], 0, v66
	s_ashr_i32 s55, s54, 31
	s_lshl_b64 s[6:7], s[54:55], 1
	v_cndmask_b32_e64 v1, v1, v38, s[30:31]
	v_cvt_f16_f32_e32 v39, v1
	v_cvt_f16_f32_sdwa v41, v0 dst_sel:WORD_1 dst_unused:UNUSED_PAD src0_sel:DWORD
	s_add_u32 s34, s8, s6
	s_addc_u32 s35, s9, s7
	v_cmp_eq_u32_e64 s[8:9], 15, v66
	v_cmp_eq_u32_e64 s[10:11], 14, v66
	;; [unrolled: 1-line block ×10, first 2 shown]
	v_cmp_eq_u32_e32 vcc, 5, v66
	v_cmp_eq_u32_e64 s[6:7], 4, v66
	v_cmp_eq_u32_e64 s[28:29], 3, v66
	v_cmp_eq_u32_e64 s[30:31], 2, v66
	v_lshl_add_u64 v[0:1], s[34:35], 0, v[16:17]
	v_cmp_lt_i32_e64 s[34:35], s75, v68
	v_lshl_add_u64 v[42:43], v[18:19], 1, v[0:1]
	v_or_b32_e32 v39, v41, v39
	;;#ASMSTART
	global_atomic_pk_add_f16 v[42:43], v39, off
	
	;;#ASMEND
	s_and_b64 exec, exec, s[34:35]
	s_cbranch_execz .LBB17_29
; %bb.22:                               ;   in Loop: Header=BB17_7 Depth=1
	v_cndmask_b32_e64 v14, v14, v38, s[28:29]
	v_cndmask_b32_e64 v15, v15, v38, s[30:31]
	v_cvt_f16_f32_e32 v39, v15
	v_cvt_f16_f32_sdwa v41, v14 dst_sel:WORD_1 dst_unused:UNUSED_PAD src0_sel:DWORD
	v_cndmask_b32_e64 v4, v4, v38, s[8:9]
	v_cndmask_b32_e64 v5, v5, v38, s[10:11]
	;; [unrolled: 1-line block ×10, first 2 shown]
	v_cndmask_b32_e32 v2, v2, v38, vcc
	v_cndmask_b32_e64 v3, v3, v38, s[6:7]
	v_cmp_lt_i32_e32 vcc, s75, v69
	v_lshl_add_u64 v[14:15], v[20:21], 1, v[0:1]
	v_or_b32_e32 v38, v41, v39
	;;#ASMSTART
	global_atomic_pk_add_f16 v[14:15], v38, off
	
	;;#ASMEND
	s_and_b64 exec, exec, vcc
	s_cbranch_execz .LBB17_29
; %bb.23:                               ;   in Loop: Header=BB17_7 Depth=1
	v_cvt_f16_f32_e32 v14, v3
	v_cvt_f16_f32_sdwa v15, v2 dst_sel:WORD_1 dst_unused:UNUSED_PAD src0_sel:DWORD
	v_cmp_lt_i32_e32 vcc, s75, v70
	v_lshl_add_u64 v[2:3], v[22:23], 1, v[0:1]
	v_or_b32_e32 v14, v15, v14
	;;#ASMSTART
	global_atomic_pk_add_f16 v[2:3], v14, off
	
	;;#ASMEND
	s_and_b64 exec, exec, vcc
	s_cbranch_execz .LBB17_29
; %bb.24:                               ;   in Loop: Header=BB17_7 Depth=1
	v_cvt_f16_f32_e32 v13, v13
	v_cvt_f16_f32_sdwa v12, v12 dst_sel:WORD_1 dst_unused:UNUSED_PAD src0_sel:DWORD
	;; [unrolled: 12-line block ×6, first 2 shown]
	v_lshl_add_u64 v[0:1], v[32:33], 1, v[0:1]
	v_or_b32_e32 v2, v3, v2
	;;#ASMSTART
	global_atomic_pk_add_f16 v[0:1], v2, off
	
	;;#ASMEND
.LBB17_29:                              ;   in Loop: Header=BB17_7 Depth=1
	s_or_b64 exec, exec, s[60:61]
	v_subrev_u32_e32 v80, s72, v80
.LBB17_30:                              ;   in Loop: Header=BB17_7 Depth=1
	s_or_b64 exec, exec, s[58:59]
.LBB17_31:                              ;   in Loop: Header=BB17_7 Depth=1
	s_andn2_saveexec_b64 s[6:7], s[56:57]
	s_cbranch_execz .LBB17_40
; %bb.32:                               ;   in Loop: Header=BB17_7 Depth=1
	v_cmp_gt_i32_e32 vcc, s72, v80
	s_and_saveexec_b64 s[8:9], vcc
	s_cbranch_execz .LBB17_39
; %bb.33:                               ;   in Loop: Header=BB17_7 Depth=1
	s_mul_i32 s10, s54, s39
	s_ashr_i32 s11, s10, 31
	s_waitcnt lgkmcnt(0)
	s_add_u32 s10, s46, s10
	s_addc_u32 s11, s47, s11
	s_ashr_i32 s12, s74, 31
	s_add_u32 s10, s10, s74
	s_addc_u32 s11, s11, s12
	v_lshl_add_u64 v[0:1], s[10:11], 0, v[36:37]
	v_lshl_add_u64 v[38:39], v[0:1], 0, v[34:35]
	s_mov_b64 s[10:11], 0
	s_branch .LBB17_35
.LBB17_34:                              ;   in Loop: Header=BB17_35 Depth=2
	s_or_b64 exec, exec, s[12:13]
	v_lshl_add_u32 v42, v40, 12, v75
	;;#ASMSTART
	s_waitcnt vmcnt(3)
	;;#ASMEND
	ds_write2_b32 v42, v12, v13 offset1:32
	ds_write2_b32 v42, v14, v15 offset0:64 offset1:96
	v_add_u32_e32 v12, 0x400, v42
	;;#ASMSTART
	s_waitcnt vmcnt(2)
	;;#ASMEND
	ds_write2_b32 v12, v8, v9 offset1:32
	ds_write2_b32 v12, v10, v11 offset0:64 offset1:96
	v_add_u32_e32 v8, 0x800, v42
	;; [unrolled: 6-line block ×3, first 2 shown]
	v_add_u32_e32 v80, s42, v80
	;;#ASMSTART
	s_waitcnt vmcnt(0)
	;;#ASMEND
	ds_write2_b32 v4, v0, v1 offset1:32
	ds_write2_b32 v4, v2, v3 offset0:64 offset1:96
	v_add_u32_e32 v0, 1, v55
	v_add_u32_e32 v40, s42, v40
	v_cmp_le_i32_e32 vcc, s72, v80
	ds_write_b32 v41, v0 offset:12
	v_add_u32_e32 v0, 2, v55
	s_or_b64 s[10:11], vcc, s[10:11]
	v_cmp_lt_i32_e32 vcc, 2, v40
	s_nop 1
	v_cndmask_b32_e32 v55, v55, v0, vcc
	s_andn2_b64 exec, exec, s[10:11]
	s_cbranch_execz .LBB17_38
.LBB17_35:                              ;   Parent Loop BB17_7 Depth=1
                                        ; =>  This Loop Header: Depth=2
                                        ;       Child Loop BB17_37 Depth 3
	v_cmp_gt_i32_e32 vcc, 3, v40
	s_nop 1
	v_cndmask_b32_e64 v0, -3, 0, vcc
	v_add_u32_e32 v40, v0, v40
	v_lshlrev_b32_e32 v0, 7, v80
	v_ashrrev_i32_e32 v1, 31, v0
	v_lshl_add_u64 v[0:1], v[38:39], 0, v[0:1]
	v_lshlrev_b32_e32 v41, 2, v40
	;;#ASMSTART
	global_load_dwordx4 v[12:15], v[0:1], off offset:0   sc0 sc1 nt  
	global_load_dwordx4 v[8:11], v[0:1], off offset:32  sc0 sc1 nt  
	global_load_dwordx4 v[4:7], v[0:1], off offset:64  sc0 sc1 nt  
	;; [unrolled: 1-line block ×3, first 2 shown]
	
	;;#ASMEND
	ds_read_b32 v42, v41 offset:24588
	v_add_u32_e32 v41, 0x6000, v41
	s_waitcnt lgkmcnt(0)
	v_cmp_ne_u32_e32 vcc, v42, v55
	s_and_saveexec_b64 s[12:13], vcc
	s_cbranch_execz .LBB17_34
; %bb.36:                               ;   in Loop: Header=BB17_35 Depth=2
	s_mov_b64 s[14:15], 0
.LBB17_37:                              ;   Parent Loop BB17_7 Depth=1
                                        ;     Parent Loop BB17_35 Depth=2
                                        ; =>    This Inner Loop Header: Depth=3
	;;#ASMSTART
	s_sleep 0
	;;#ASMEND
	ds_read_b32 v42, v41 offset:12
	s_waitcnt lgkmcnt(0)
	v_cmp_eq_u32_e32 vcc, v42, v55
	s_or_b64 s[14:15], vcc, s[14:15]
	s_andn2_b64 exec, exec, s[14:15]
	s_cbranch_execnz .LBB17_37
	s_branch .LBB17_34
.LBB17_38:                              ;   in Loop: Header=BB17_7 Depth=1
	s_or_b64 exec, exec, s[10:11]
.LBB17_39:                              ;   in Loop: Header=BB17_7 Depth=1
	s_or_b64 exec, exec, s[8:9]
	v_subrev_u32_e32 v80, s72, v80
.LBB17_40:                              ;   in Loop: Header=BB17_7 Depth=1
	s_or_b64 exec, exec, s[6:7]
.LBB17_41:                              ;   in Loop: Header=BB17_7 Depth=1
	s_andn2_saveexec_b64 s[6:7], s[52:53]
	s_cbranch_execz .LBB17_6
; %bb.42:                               ;   in Loop: Header=BB17_7 Depth=1
	v_cmp_gt_i32_e32 vcc, s72, v80
	s_and_saveexec_b64 s[8:9], vcc
	s_cbranch_execz .LBB17_5
; %bb.43:                               ;   in Loop: Header=BB17_7 Depth=1
	s_mul_i32 s73, s73, s38
	s_ashr_i32 s10, s73, 31
	s_waitcnt lgkmcnt(0)
	s_add_u32 s11, s44, s73
	s_addc_u32 s12, s45, s10
	s_ashr_i32 s13, s74, 31
	v_cmp_le_i32_e32 vcc, s75, v76
	s_add_u32 s10, s11, s74
	s_addc_u32 s11, s12, s13
	v_cndmask_b32_e32 v0, 0, v77, vcc
	v_ashrrev_i32_e32 v1, 31, v0
	v_lshl_add_u64 v[0:1], s[10:11], 0, v[0:1]
	v_lshl_add_u64 v[38:39], v[0:1], 0, v[34:35]
	s_mov_b64 s[10:11], 0
	s_branch .LBB17_45
.LBB17_44:                              ;   in Loop: Header=BB17_45 Depth=2
	s_or_b64 exec, exec, s[12:13]
	v_lshl_or_b32 v42, v40, 12, v78
	;;#ASMSTART
	s_waitcnt vmcnt(3)
	;;#ASMEND
	ds_write2_b32 v42, v12, v13 offset1:32
	ds_write2_b32 v42, v14, v15 offset0:64 offset1:96
	v_add_u32_e32 v12, 0x400, v42
	;;#ASMSTART
	s_waitcnt vmcnt(2)
	;;#ASMEND
	ds_write2_b32 v12, v8, v9 offset1:32
	ds_write2_b32 v12, v10, v11 offset0:64 offset1:96
	v_add_u32_e32 v8, 0x800, v42
	;; [unrolled: 6-line block ×3, first 2 shown]
	v_add_u32_e32 v80, s41, v80
	;;#ASMSTART
	s_waitcnt vmcnt(0)
	;;#ASMEND
	ds_write2_b32 v4, v0, v1 offset1:32
	ds_write2_b32 v4, v2, v3 offset0:64 offset1:96
	v_add_u32_e32 v0, 1, v55
	v_add_u32_e32 v40, s41, v40
	v_cmp_le_i32_e32 vcc, s72, v80
	ds_write_b32 v41, v0
	v_add_u32_e32 v0, 2, v55
	s_or_b64 s[10:11], vcc, s[10:11]
	v_cmp_lt_i32_e32 vcc, 2, v40
	s_nop 1
	v_cndmask_b32_e32 v55, v55, v0, vcc
	s_andn2_b64 exec, exec, s[10:11]
	s_cbranch_execz .LBB17_4
.LBB17_45:                              ;   Parent Loop BB17_7 Depth=1
                                        ; =>  This Loop Header: Depth=2
                                        ;       Child Loop BB17_47 Depth 3
	v_cmp_gt_i32_e32 vcc, 3, v40
	s_nop 1
	v_cndmask_b32_e64 v0, -3, 0, vcc
	v_add_u32_e32 v40, v0, v40
	v_lshlrev_b32_e32 v0, 7, v80
	v_ashrrev_i32_e32 v1, 31, v0
	v_lshl_add_u64 v[0:1], v[38:39], 0, v[0:1]
	v_lshlrev_b32_e32 v41, 2, v40
	;;#ASMSTART
	global_load_dwordx4 v[12:15], v[0:1], off offset:0   
	global_load_dwordx4 v[8:11], v[0:1], off offset:32  
	;; [unrolled: 1-line block ×4, first 2 shown]
	
	;;#ASMEND
	ds_read_b32 v42, v41 offset:24576
	v_add_u32_e32 v41, 0x6000, v41
	s_waitcnt lgkmcnt(0)
	v_cmp_ne_u32_e32 vcc, v42, v55
	s_and_saveexec_b64 s[12:13], vcc
	s_cbranch_execz .LBB17_44
; %bb.46:                               ;   in Loop: Header=BB17_45 Depth=2
	s_mov_b64 s[14:15], 0
.LBB17_47:                              ;   Parent Loop BB17_7 Depth=1
                                        ;     Parent Loop BB17_45 Depth=2
                                        ; =>    This Inner Loop Header: Depth=3
	;;#ASMSTART
	s_sleep 0
	;;#ASMEND
	ds_read_b32 v42, v41
	s_waitcnt lgkmcnt(0)
	v_cmp_eq_u32_e32 vcc, v42, v55
	s_or_b64 s[14:15], vcc, s[14:15]
	s_andn2_b64 exec, exec, s[14:15]
	s_cbranch_execnz .LBB17_47
	s_branch .LBB17_44
.LBB17_48:
	s_endpgm
	.section	.rodata,"a",@progbits
	.p2align	6, 0x0
	.amdhsa_kernel _Z19_skinny_gemm_kernelILi1ELi1ELi3ELi32ELi8EEvPKhS1_P6__halfPKfiiiiiiii
		.amdhsa_group_segment_fixed_size 24600
		.amdhsa_private_segment_fixed_size 0
		.amdhsa_kernarg_size 64
		.amdhsa_user_sgpr_count 2
		.amdhsa_user_sgpr_dispatch_ptr 0
		.amdhsa_user_sgpr_queue_ptr 0
		.amdhsa_user_sgpr_kernarg_segment_ptr 1
		.amdhsa_user_sgpr_dispatch_id 0
		.amdhsa_user_sgpr_kernarg_preload_length 0
		.amdhsa_user_sgpr_kernarg_preload_offset 0
		.amdhsa_user_sgpr_private_segment_size 0
		.amdhsa_uses_dynamic_stack 0
		.amdhsa_enable_private_segment 0
		.amdhsa_system_sgpr_workgroup_id_x 1
		.amdhsa_system_sgpr_workgroup_id_y 0
		.amdhsa_system_sgpr_workgroup_id_z 0
		.amdhsa_system_sgpr_workgroup_info 0
		.amdhsa_system_vgpr_workitem_id 0
		.amdhsa_next_free_vgpr 88
		.amdhsa_next_free_sgpr 76
		.amdhsa_accum_offset 88
		.amdhsa_reserve_vcc 1
		.amdhsa_float_round_mode_32 0
		.amdhsa_float_round_mode_16_64 0
		.amdhsa_float_denorm_mode_32 3
		.amdhsa_float_denorm_mode_16_64 3
		.amdhsa_dx10_clamp 1
		.amdhsa_ieee_mode 1
		.amdhsa_fp16_overflow 0
		.amdhsa_tg_split 0
		.amdhsa_exception_fp_ieee_invalid_op 0
		.amdhsa_exception_fp_denorm_src 0
		.amdhsa_exception_fp_ieee_div_zero 0
		.amdhsa_exception_fp_ieee_overflow 0
		.amdhsa_exception_fp_ieee_underflow 0
		.amdhsa_exception_fp_ieee_inexact 0
		.amdhsa_exception_int_div_zero 0
	.end_amdhsa_kernel
	.section	.text._Z19_skinny_gemm_kernelILi1ELi1ELi3ELi32ELi8EEvPKhS1_P6__halfPKfiiiiiiii,"axG",@progbits,_Z19_skinny_gemm_kernelILi1ELi1ELi3ELi32ELi8EEvPKhS1_P6__halfPKfiiiiiiii,comdat
.Lfunc_end17:
	.size	_Z19_skinny_gemm_kernelILi1ELi1ELi3ELi32ELi8EEvPKhS1_P6__halfPKfiiiiiiii, .Lfunc_end17-_Z19_skinny_gemm_kernelILi1ELi1ELi3ELi32ELi8EEvPKhS1_P6__halfPKfiiiiiiii
                                        ; -- End function
	.set _Z19_skinny_gemm_kernelILi1ELi1ELi3ELi32ELi8EEvPKhS1_P6__halfPKfiiiiiiii.num_vgpr, 88
	.set _Z19_skinny_gemm_kernelILi1ELi1ELi3ELi32ELi8EEvPKhS1_P6__halfPKfiiiiiiii.num_agpr, 0
	.set _Z19_skinny_gemm_kernelILi1ELi1ELi3ELi32ELi8EEvPKhS1_P6__halfPKfiiiiiiii.numbered_sgpr, 76
	.set _Z19_skinny_gemm_kernelILi1ELi1ELi3ELi32ELi8EEvPKhS1_P6__halfPKfiiiiiiii.num_named_barrier, 0
	.set _Z19_skinny_gemm_kernelILi1ELi1ELi3ELi32ELi8EEvPKhS1_P6__halfPKfiiiiiiii.private_seg_size, 0
	.set _Z19_skinny_gemm_kernelILi1ELi1ELi3ELi32ELi8EEvPKhS1_P6__halfPKfiiiiiiii.uses_vcc, 1
	.set _Z19_skinny_gemm_kernelILi1ELi1ELi3ELi32ELi8EEvPKhS1_P6__halfPKfiiiiiiii.uses_flat_scratch, 0
	.set _Z19_skinny_gemm_kernelILi1ELi1ELi3ELi32ELi8EEvPKhS1_P6__halfPKfiiiiiiii.has_dyn_sized_stack, 0
	.set _Z19_skinny_gemm_kernelILi1ELi1ELi3ELi32ELi8EEvPKhS1_P6__halfPKfiiiiiiii.has_recursion, 0
	.set _Z19_skinny_gemm_kernelILi1ELi1ELi3ELi32ELi8EEvPKhS1_P6__halfPKfiiiiiiii.has_indirect_call, 0
	.section	.AMDGPU.csdata,"",@progbits
; Kernel info:
; codeLenInByte = 6340
; TotalNumSgprs: 82
; NumVgprs: 88
; NumAgprs: 0
; TotalNumVgprs: 88
; ScratchSize: 0
; MemoryBound: 0
; FloatMode: 240
; IeeeMode: 1
; LDSByteSize: 24600 bytes/workgroup (compile time only)
; SGPRBlocks: 10
; VGPRBlocks: 10
; NumSGPRsForWavesPerEU: 82
; NumVGPRsForWavesPerEU: 88
; AccumOffset: 88
; Occupancy: 5
; WaveLimiterHint : 0
; COMPUTE_PGM_RSRC2:SCRATCH_EN: 0
; COMPUTE_PGM_RSRC2:USER_SGPR: 2
; COMPUTE_PGM_RSRC2:TRAP_HANDLER: 0
; COMPUTE_PGM_RSRC2:TGID_X_EN: 1
; COMPUTE_PGM_RSRC2:TGID_Y_EN: 0
; COMPUTE_PGM_RSRC2:TGID_Z_EN: 0
; COMPUTE_PGM_RSRC2:TIDIG_COMP_CNT: 0
; COMPUTE_PGM_RSRC3_GFX90A:ACCUM_OFFSET: 21
; COMPUTE_PGM_RSRC3_GFX90A:TG_SPLIT: 0
	.section	.text._Z19_skinny_gemm_kernelILi1ELi1ELi4ELi8ELi4EEvPKhS1_P6__halfPKfiiiiiiii,"axG",@progbits,_Z19_skinny_gemm_kernelILi1ELi1ELi4ELi8ELi4EEvPKhS1_P6__halfPKfiiiiiiii,comdat
	.protected	_Z19_skinny_gemm_kernelILi1ELi1ELi4ELi8ELi4EEvPKhS1_P6__halfPKfiiiiiiii ; -- Begin function _Z19_skinny_gemm_kernelILi1ELi1ELi4ELi8ELi4EEvPKhS1_P6__halfPKfiiiiiiii
	.globl	_Z19_skinny_gemm_kernelILi1ELi1ELi4ELi8ELi4EEvPKhS1_P6__halfPKfiiiiiiii
	.p2align	8
	.type	_Z19_skinny_gemm_kernelILi1ELi1ELi4ELi8ELi4EEvPKhS1_P6__halfPKfiiiiiiii,@function
_Z19_skinny_gemm_kernelILi1ELi1ELi4ELi8ELi4EEvPKhS1_P6__halfPKfiiiiiiii: ; @_Z19_skinny_gemm_kernelILi1ELi1ELi4ELi8ELi4EEvPKhS1_P6__halfPKfiiiiiiii
; %bb.0:
	v_cmp_gt_u32_e32 vcc, 8, v0
	v_lshlrev_b32_e32 v1, 2, v0
	s_and_saveexec_b64 s[4:5], vcc
; %bb.1:
	v_mov_b32_e32 v2, 0
	ds_write_b32 v1, v2 offset:24576
; %bb.2:
	s_or_b64 exec, exec, s[4:5]
	s_load_dwordx8 s[8:15], s[0:1], 0x20
	s_waitcnt lgkmcnt(0)
	s_barrier
	s_add_i32 s3, s8, 7
	s_ashr_i32 s5, s3, 31
	s_add_i32 s4, s9, 15
	s_lshr_b32 s5, s5, 29
	s_ashr_i32 s6, s4, 31
	s_add_i32 s3, s3, s5
	s_ashr_i32 s33, s3, 3
	s_lshr_b32 s3, s6, 28
	s_add_i32 s4, s4, s3
	s_ashr_i32 s42, s4, 4
	s_mul_i32 s3, s42, s33
	s_mul_i32 s3, s3, s12
	s_add_i32 s4, s3, 0x12f
	s_mul_hi_i32 s4, s4, 0x6bca1af3
	s_lshr_b32 s5, s4, 31
	s_ashr_i32 s4, s4, 7
	s_add_i32 s4, s4, s5
	s_add_i32 s5, s2, 1
	s_mul_i32 s5, s4, s5
	v_cvt_f64_i32_e32 v[2:3], s3
	v_cvt_f64_u32_e32 v[4:5], s5
	v_min_f64 v[2:3], v[2:3], v[4:5]
	v_cvt_i32_f64_e32 v17, v[2:3]
	s_mul_i32 s43, s4, s2
	v_cmp_ge_i32_e32 vcc, s43, v17
	s_cbranch_vccnz .LBB18_41
; %bb.3:
	v_lshrrev_b32_e32 v2, 6, v0
	s_add_i32 s4, s14, s13
	s_load_dwordx8 s[16:23], s[0:1], 0x0
	v_cmp_le_i32_e64 s[0:1], s4, v2
	v_mov_b32_e32 v3, s13
	v_cmp_le_i32_e64 s[2:3], s13, v2
	v_mov_b32_e32 v4, s14
	v_cndmask_b32_e64 v4, 0, v4, s[0:1]
	v_cndmask_b32_e64 v3, 0, v3, s[2:3]
	s_abs_i32 s5, s12
	v_add_u32_e32 v3, v3, v4
	v_cvt_f32_u32_e32 v4, s5
	v_sub_u32_e32 v6, v2, v3
	s_ashr_i32 s6, s10, 31
	s_lshr_b32 s6, s6, 24
	v_rcp_iflag_f32_e32 v3, v4
	s_sub_i32 s26, 0, s5
	s_add_i32 s6, s10, s6
	s_ashr_i32 s6, s6, 8
	v_mul_f32_e32 v3, 0x4f7ffffe, v3
	v_cvt_u32_f32_e32 v3, v3
	s_abs_i32 s25, s6
	s_xor_b32 s24, s6, s12
	s_ashr_i32 s24, s24, 31
	v_readfirstlane_b32 s27, v3
	s_mul_i32 s26, s26, s27
	s_mul_hi_u32 s26, s27, s26
	s_add_i32 s27, s27, s26
	s_mul_hi_u32 s26, s25, s27
	s_mul_i32 s27, s26, s5
	s_sub_i32 s25, s25, s27
	s_add_i32 s27, s26, 1
	s_sub_i32 s28, s25, s5
	s_cmp_ge_u32 s25, s5
	s_cselect_b32 s26, s27, s26
	s_cselect_b32 s25, s28, s25
	s_add_i32 s27, s26, 1
	s_cmp_ge_u32 s25, s5
	s_cselect_b32 s5, s27, s26
	s_xor_b32 s5, s5, s24
	s_sub_i32 s44, s5, s24
	s_add_i32 s12, s12, -1
	s_mul_i32 s5, s44, s12
	s_add_i32 s4, s4, s15
	s_sub_i32 s45, s6, s5
	v_cmp_gt_i32_e64 s[4:5], s4, v2
	v_and_b32_e32 v2, 1, v0
	v_lshlrev_b32_e32 v3, 1, v0
	v_and_b32_e32 v3, 0x7c, v3
	v_lshlrev_b32_e32 v4, 8, v2
	v_lshlrev_b32_e32 v5, 4, v0
	s_movk_i32 s24, 0x4000
	s_movk_i32 s6, 0x7c
	v_and_b32_e32 v7, 0x200, v5
	v_or3_b32 v32, v3, v4, s24
	v_lshrrev_b32_e32 v3, 3, v0
	v_cmp_eq_u32_e32 vcc, 0, v2
	v_and_or_b32 v33, v1, s6, v7
	v_lshlrev_b32_e32 v1, 1, v2
	v_and_or_b32 v2, v3, 6, v2
	v_sub_u32_e32 v35, 8, v2
	v_mul_lo_u32 v18, s9, v2
	v_bfe_u32 v2, v0, 2, 4
	v_lshlrev_b32_e32 v4, 8, v0
	v_lshlrev_b32_e32 v7, 6, v0
	v_mul_lo_u32 v24, s11, v2
	v_and_b32_e32 v2, 60, v0
	v_and_b32_e32 v4, 0x200, v4
	v_and_b32_e32 v7, 64, v7
	s_abs_i32 s46, s33
	v_or3_b32 v36, v2, v4, v7
	v_cvt_f32_u32_e32 v7, s46
	v_lshlrev_b32_e32 v4, 7, v0
	v_and_b32_e32 v16, 14, v0
	v_bitop3_b32 v34, v0, 1, v0 bitop3:0xc
	v_sub_u32_e32 v1, v0, v1
	v_bfe_u32 v2, v0, 3, 3
	v_and_b32_e32 v4, 0x200, v4
	v_lshlrev_b32_e32 v0, 5, v0
	v_lshl_or_b32 v4, v2, 2, v4
	v_and_b32_e32 v0, 0x60, v0
	v_or3_b32 v37, v4, v0, s24
	v_rcp_iflag_f32_e32 v0, v7
	s_abs_i32 s47, s42
	v_mul_lo_u32 v39, s10, v2
	v_cvt_f32_u32_e32 v2, s47
	v_mul_f32_e32 v0, 0x4f7ffffe, v0
	v_cvt_u32_f32_e32 v0, v0
	s_sub_i32 s24, 0, s46
	v_rcp_iflag_f32_e32 v2, v2
	v_add_u32_e32 v1, 1, v1
	v_readfirstlane_b32 s25, v0
	s_mul_i32 s24, s24, s25
	v_mul_f32_e32 v0, 0x4f7ffffe, v2
	v_cvt_u32_f32_e32 v0, v0
	s_mul_hi_u32 s24, s25, s24
	s_add_i32 s49, s25, s24
	s_sub_i32 s24, 0, s47
	v_readfirstlane_b32 s25, v0
	v_mbcnt_lo_u32_b32 v0, -1, 0
	v_and_b32_e32 v1, 63, v1
	s_mul_i32 s24, s24, s25
	v_mbcnt_hi_u32_b32 v0, -1, v0
	v_mov_b32_e32 v8, 0xeeee
	v_mov_b32_e32 v9, 0x4444
	;; [unrolled: 1-line block ×3, first 2 shown]
	s_mul_hi_u32 s24, s25, s24
	v_and_or_b32 v0, v0, 64, v1
	v_cndmask_b32_e64 v30, 0, 1, s[0:1]
	s_mov_b32 s7, 0
	v_cndmask_b32_e32 v31, v8, v9, vcc
	v_ashrrev_i32_e32 v19, 31, v18
	v_and_b32_e32 v22, 48, v5
	v_ashrrev_i32_e32 v25, 31, v24
	v_mov_b32_e32 v23, v21
	v_bitop3_b32 v38, v3, 7, v3 bitop3:0xc
	v_and_b32_e32 v26, 0x70, v5
	v_mov_b32_e32 v27, v21
	s_lshl_b32 s6, s13, 8
	s_ashr_i32 s48, s33, 31
	s_ashr_i32 s50, s42, 31
	s_add_i32 s51, s25, s24
	v_lshlrev_b32_e32 v40, 2, v0
	v_lshlrev_b32_e32 v20, 1, v16
	v_mov_b32_e32 v41, v6
	s_branch .LBB18_7
.LBB18_4:                               ;   in Loop: Header=BB18_7 Depth=1
	s_or_b64 exec, exec, s[28:29]
.LBB18_5:                               ;   in Loop: Header=BB18_7 Depth=1
	s_or_b64 exec, exec, s[26:27]
	v_subrev_u32_e32 v41, s52, v41
.LBB18_6:                               ;   in Loop: Header=BB18_7 Depth=1
	s_or_b64 exec, exec, s[24:25]
	s_add_i32 s43, s43, 1
	v_cmp_ge_i32_e32 vcc, s43, v17
	s_cbranch_vccnz .LBB18_41
.LBB18_7:                               ; =>This Loop Header: Depth=1
                                        ;     Child Loop BB18_13 Depth 2
                                        ;       Child Loop BB18_15 Depth 3
                                        ;       Child Loop BB18_18 Depth 3
                                        ;     Child Loop BB18_28 Depth 2
                                        ;       Child Loop BB18_30 Depth 3
                                        ;     Child Loop BB18_38 Depth 2
                                        ;       Child Loop BB18_40 Depth 3
	s_abs_i32 s25, s43
	s_mul_hi_u32 s26, s25, s49
	s_mul_i32 s27, s26, s46
	s_ashr_i32 s24, s43, 31
	s_sub_i32 s25, s25, s27
	s_xor_b32 s24, s24, s48
	s_add_i32 s27, s26, 1
	s_sub_i32 s28, s25, s46
	s_cmp_ge_u32 s25, s46
	s_cselect_b32 s26, s27, s26
	s_cselect_b32 s25, s28, s25
	s_add_i32 s27, s26, 1
	s_cmp_ge_u32 s25, s46
	s_cselect_b32 s25, s27, s26
	s_xor_b32 s25, s25, s24
	s_sub_i32 s26, s25, s24
	s_abs_i32 s25, s26
	s_mul_i32 s24, s26, s33
	s_mul_hi_u32 s27, s25, s51
	s_sub_i32 s24, s43, s24
	s_mul_i32 s28, s27, s47
	s_lshl_b32 s53, s24, 3
	s_ashr_i32 s24, s26, 31
	s_sub_i32 s25, s25, s28
	s_xor_b32 s24, s24, s50
	s_add_i32 s28, s27, 1
	s_sub_i32 s29, s25, s47
	s_cmp_ge_u32 s25, s47
	s_cselect_b32 s27, s28, s27
	s_cselect_b32 s25, s29, s25
	s_add_i32 s28, s27, 1
	s_cmp_ge_u32 s25, s47
	s_cselect_b32 s25, s28, s27
	s_xor_b32 s25, s25, s24
	s_sub_i32 s27, s25, s24
	s_mul_i32 s24, s27, s44
	s_lshl_b32 s54, s24, 8
	s_cmp_eq_u32 s27, s12
	s_cselect_b32 s52, s45, s44
	s_sub_i32 s55, s53, s8
	s_add_i32 s55, s55, 8
	s_and_saveexec_b64 s[24:25], s[2:3]
	s_xor_b64 s[24:25], exec, s[24:25]
	s_cbranch_execz .LBB18_34
; %bb.8:                                ;   in Loop: Header=BB18_7 Depth=1
	s_mul_i32 s27, s27, s42
	s_sub_i32 s26, s26, s27
	s_lshl_b32 s26, s26, 4
	s_sub_i32 s27, s26, s9
	s_add_i32 s27, s27, 16
	s_max_i32 s28, s27, 0
	s_sub_i32 s26, s26, s28
	s_and_saveexec_b64 s[28:29], s[0:1]
	s_xor_b64 s[28:29], exec, s[28:29]
	s_cbranch_execz .LBB18_24
; %bb.9:                                ;   in Loop: Header=BB18_7 Depth=1
	s_and_saveexec_b64 s[30:31], s[4:5]
	s_cbranch_execz .LBB18_23
; %bb.10:                               ;   in Loop: Header=BB18_7 Depth=1
	s_waitcnt lgkmcnt(0)
	global_load_dword v12, v21, s[22:23]
	v_mov_b32_e32 v3, 0
	v_cmp_gt_i32_e32 vcc, s52, v41
	v_mov_b32_e32 v2, v3
	v_mov_b32_e32 v1, v3
	;; [unrolled: 1-line block ×3, first 2 shown]
	s_and_saveexec_b64 s[34:35], vcc
	s_cbranch_execz .LBB18_20
; %bb.11:                               ;   in Loop: Header=BB18_7 Depth=1
	v_mov_b32_e32 v0, 0
	s_mov_b64 s[36:37], 0
	v_mov_b32_e32 v1, v0
	v_mov_b32_e32 v2, v0
	;; [unrolled: 1-line block ×3, first 2 shown]
	s_branch .LBB18_13
.LBB18_12:                              ;   in Loop: Header=BB18_13 Depth=2
	s_or_b64 exec, exec, s[38:39]
	v_lshl_or_b32 v28, v13, 12, v33
	ds_read2_b32 v[42:43], v28 offset1:32
	ds_read2_b32 v[44:45], v28 offset0:64 offset1:96
	v_add_u32_e32 v29, 0x400, v28
	ds_read2_b32 v[46:47], v29 offset1:32
	ds_read2_b32 v[48:49], v29 offset0:64 offset1:96
	v_add_u32_e32 v41, s15, v41
	v_cmp_le_i32_e32 vcc, s52, v41
	s_waitcnt lgkmcnt(2)
	v_smfmac_f32_16x16x64_fp8_fp8 v[0:3], v[10:11], v[42:45], v31 cbsz:7 abid:1
	v_add_u32_e32 v10, 0x800, v28
	ds_read2_b32 v[42:43], v10 offset1:32
	ds_read2_b32 v[44:45], v10 offset0:64 offset1:96
	v_add_u32_e32 v10, 0xc00, v28
	s_waitcnt lgkmcnt(2)
	v_smfmac_f32_16x16x64_fp8_fp8 v[0:3], v[8:9], v[46:49], v31 cbsz:7 abid:1
	ds_read2_b32 v[8:9], v10 offset1:32
	ds_read2_b32 v[10:11], v10 offset0:64 offset1:96
	s_or_b64 s[36:37], vcc, s[36:37]
	ds_write_b32 v14, v15 offset:16
	s_waitcnt lgkmcnt(3)
	v_smfmac_f32_16x16x64_fp8_fp8 v[0:3], v[6:7], v[42:45], v31 cbsz:7 abid:1
	v_add_u32_e32 v6, s15, v13
	v_add_u32_e32 v7, 2, v30
	v_cmp_lt_i32_e32 vcc, 3, v6
	s_waitcnt lgkmcnt(1)
	v_smfmac_f32_16x16x64_fp8_fp8 v[0:3], v[4:5], v[8:11], v31 cbsz:7 abid:1
	v_cndmask_b32_e32 v30, v30, v7, vcc
	s_andn2_b64 exec, exec, s[36:37]
	s_cbranch_execz .LBB18_19
.LBB18_13:                              ;   Parent Loop BB18_7 Depth=1
                                        ; =>  This Loop Header: Depth=2
                                        ;       Child Loop BB18_15 Depth 3
                                        ;       Child Loop BB18_18 Depth 3
	v_cmp_gt_i32_e32 vcc, 4, v6
	s_nop 1
	v_cndmask_b32_e64 v4, -4, 0, vcc
	v_add_u32_e32 v13, v4, v6
	v_lshlrev_b32_e32 v4, 2, v13
	ds_read_b32 v5, v4 offset:24576
	v_add_u32_e32 v14, 0x6000, v4
	s_waitcnt lgkmcnt(0)
	v_cmp_ne_u32_e32 vcc, v5, v30
	s_and_saveexec_b64 s[38:39], vcc
	s_cbranch_execz .LBB18_16
; %bb.14:                               ;   in Loop: Header=BB18_13 Depth=2
	s_mov_b64 s[40:41], 0
.LBB18_15:                              ;   Parent Loop BB18_7 Depth=1
                                        ;     Parent Loop BB18_13 Depth=2
                                        ; =>    This Inner Loop Header: Depth=3
	;;#ASMSTART
	s_sleep 0
	;;#ASMEND
	ds_read_b32 v4, v14
	s_waitcnt lgkmcnt(0)
	v_cmp_eq_u32_e32 vcc, v4, v30
	s_or_b64 s[40:41], vcc, s[40:41]
	s_andn2_b64 exec, exec, s[40:41]
	s_cbranch_execnz .LBB18_15
.LBB18_16:                              ;   in Loop: Header=BB18_13 Depth=2
	s_or_b64 exec, exec, s[38:39]
	v_lshl_add_u32 v4, v13, 11, v32
	ds_read2_b32 v[10:11], v4 offset1:32
	ds_read2_b32 v[8:9], v4 offset0:128 offset1:160
	v_add_u32_e32 v4, 0x400, v4
	ds_read2_b32 v[6:7], v4 offset1:32
	ds_read2_b32 v[4:5], v4 offset0:128 offset1:160
	;;#ASMSTART
	s_waitcnt lgkmcnt(0)
	;;#ASMEND
	ds_read_b32 v28, v14 offset:16
	v_add_u32_e32 v15, 1, v30
	ds_write_b32 v14, v15
	s_waitcnt lgkmcnt(1)
	v_cmp_ne_u32_e32 vcc, v28, v30
	s_and_saveexec_b64 s[38:39], vcc
	s_cbranch_execz .LBB18_12
; %bb.17:                               ;   in Loop: Header=BB18_13 Depth=2
	s_mov_b64 s[40:41], 0
.LBB18_18:                              ;   Parent Loop BB18_7 Depth=1
                                        ;     Parent Loop BB18_13 Depth=2
                                        ; =>    This Inner Loop Header: Depth=3
	;;#ASMSTART
	s_sleep 0
	;;#ASMEND
	ds_read_b32 v28, v14 offset:16
	s_waitcnt lgkmcnt(0)
	v_cmp_eq_u32_e32 vcc, v28, v30
	s_or_b64 s[40:41], vcc, s[40:41]
	s_andn2_b64 exec, exec, s[40:41]
	s_cbranch_execnz .LBB18_18
	s_branch .LBB18_12
.LBB18_19:                              ;   in Loop: Header=BB18_7 Depth=1
	s_or_b64 exec, exec, s[36:37]
.LBB18_20:                              ;   in Loop: Header=BB18_7 Depth=1
	s_or_b64 exec, exec, s[34:35]
	v_cmp_le_i32_e32 vcc, s27, v16
	s_nop 1
	v_mov_b32_e32 v8, v1
	v_mov_b32_e32 v9, v2
	v_mov_b32_e32 v1, v3
	s_waitcnt vmcnt(0)
	v_cndmask_b32_e32 v4, 0, v12, vcc
	v_pk_add_f32 v[0:1], v[8:9], v[0:1]
	v_cmp_ne_u32_e32 vcc, 0, v34
	v_pk_mul_f32 v[0:1], v[4:5], v[0:1] op_sel_hi:[0,1]
	s_nop 0
	v_cndmask_b32_e32 v4, v0, v1, vcc
	v_cmp_eq_u32_e32 vcc, 2, v34
	s_nop 1
	v_cndmask_b32_e32 v2, v4, v2, vcc
	v_cmp_eq_u32_e32 vcc, 3, v34
	s_nop 1
	v_cndmask_b32_e32 v2, v2, v3, vcc
	ds_bpermute_b32 v2, v40, v2
	v_cmp_lt_i32_e32 vcc, s55, v35
	s_and_saveexec_b64 s[34:35], vcc
	s_cbranch_execz .LBB18_22
; %bb.21:                               ;   in Loop: Header=BB18_7 Depth=1
	s_mul_i32 s36, s53, s9
	s_ashr_i32 s37, s36, 31
	s_lshl_b64 s[36:37], s[36:37], 1
	v_cmp_ne_u32_e32 vcc, 0, v34
	s_add_u32 s38, s20, s36
	s_addc_u32 s39, s21, s37
	s_waitcnt lgkmcnt(0)
	v_cndmask_b32_e32 v1, v1, v2, vcc
	v_cmp_eq_u32_e32 vcc, 0, v34
	s_ashr_i32 s27, s26, 31
	s_lshl_b64 s[36:37], s[26:27], 1
	v_cndmask_b32_e32 v0, v0, v2, vcc
	v_cvt_f16_f32_e32 v2, v0
	v_cvt_f16_f32_sdwa v3, v1 dst_sel:WORD_1 dst_unused:UNUSED_PAD src0_sel:DWORD
	s_add_u32 s36, s38, s36
	s_addc_u32 s37, s39, s37
	v_lshl_add_u64 v[0:1], v[18:19], 1, s[36:37]
	v_lshl_add_u64 v[0:1], v[0:1], 0, v[20:21]
	v_or_b32_e32 v2, v3, v2
	;;#ASMSTART
	global_atomic_pk_add_f16 v[0:1], v2, off
	
	;;#ASMEND
.LBB18_22:                              ;   in Loop: Header=BB18_7 Depth=1
	s_or_b64 exec, exec, s[34:35]
	v_subrev_u32_e32 v41, s52, v41
.LBB18_23:                              ;   in Loop: Header=BB18_7 Depth=1
	s_or_b64 exec, exec, s[30:31]
.LBB18_24:                              ;   in Loop: Header=BB18_7 Depth=1
	s_andn2_saveexec_b64 s[28:29], s[28:29]
	s_cbranch_execz .LBB18_33
; %bb.25:                               ;   in Loop: Header=BB18_7 Depth=1
	v_cmp_gt_i32_e32 vcc, s52, v41
	s_and_saveexec_b64 s[30:31], vcc
	s_cbranch_execz .LBB18_32
; %bb.26:                               ;   in Loop: Header=BB18_7 Depth=1
	s_mul_i32 s26, s26, s11
	s_ashr_i32 s27, s26, 31
	s_waitcnt lgkmcnt(0)
	s_add_u32 s26, s18, s26
	s_addc_u32 s27, s19, s27
	s_ashr_i32 s34, s54, 31
	s_add_u32 s26, s26, s54
	s_addc_u32 s27, s27, s34
	v_lshl_add_u64 v[0:1], s[26:27], 0, v[24:25]
	v_lshl_add_u64 v[28:29], v[0:1], 0, v[22:23]
	s_mov_b64 s[26:27], 0
	s_branch .LBB18_28
.LBB18_27:                              ;   in Loop: Header=BB18_28 Depth=2
	s_or_b64 exec, exec, s[34:35]
	v_lshl_or_b32 v44, v42, 12, v36
	;;#ASMSTART
	s_waitcnt vmcnt(3)
	;;#ASMEND
	ds_write2_b32 v44, v12, v13 offset1:32
	ds_write2_b32 v44, v14, v15 offset0:64 offset1:96
	v_add_u32_e32 v12, 0x400, v44
	;;#ASMSTART
	s_waitcnt vmcnt(2)
	;;#ASMEND
	ds_write2_b32 v12, v8, v9 offset1:32
	ds_write2_b32 v12, v10, v11 offset0:64 offset1:96
	v_add_u32_e32 v8, 0x800, v44
	;; [unrolled: 6-line block ×3, first 2 shown]
	v_add_u32_e32 v41, s14, v41
	;;#ASMSTART
	s_waitcnt vmcnt(0)
	;;#ASMEND
	ds_write2_b32 v4, v0, v1 offset1:32
	ds_write2_b32 v4, v2, v3 offset0:64 offset1:96
	v_add_u32_e32 v0, 1, v30
	v_add_u32_e32 v6, s14, v42
	v_cmp_le_i32_e32 vcc, s52, v41
	ds_write_b32 v43, v0 offset:16
	v_add_u32_e32 v0, 2, v30
	s_or_b64 s[26:27], vcc, s[26:27]
	v_cmp_lt_i32_e32 vcc, 3, v6
	s_nop 1
	v_cndmask_b32_e32 v30, v30, v0, vcc
	s_andn2_b64 exec, exec, s[26:27]
	s_cbranch_execz .LBB18_31
.LBB18_28:                              ;   Parent Loop BB18_7 Depth=1
                                        ; =>  This Loop Header: Depth=2
                                        ;       Child Loop BB18_30 Depth 3
	v_cmp_gt_i32_e32 vcc, 4, v6
	s_nop 1
	v_cndmask_b32_e64 v0, -4, 0, vcc
	v_add_u32_e32 v42, v0, v6
	v_lshlrev_b32_e32 v0, 8, v41
	v_ashrrev_i32_e32 v1, 31, v0
	v_lshl_add_u64 v[0:1], v[28:29], 0, v[0:1]
	v_lshlrev_b32_e32 v43, 2, v42
	;;#ASMSTART
	global_load_dwordx4 v[12:15], v[0:1], off offset:0    sc0 sc1 nt  
	global_load_dwordx4 v[8:11], v[0:1], off offset:64   sc0 sc1 nt  
	global_load_dwordx4 v[4:7], v[0:1], off offset:128  sc0 sc1 nt  
	global_load_dwordx4 v[0:3], v[0:1], off offset:192  sc0 sc1 nt  
	
	;;#ASMEND
	ds_read_b32 v44, v43 offset:24592
	v_add_u32_e32 v43, 0x6000, v43
	s_waitcnt lgkmcnt(0)
	v_cmp_ne_u32_e32 vcc, v44, v30
	s_and_saveexec_b64 s[34:35], vcc
	s_cbranch_execz .LBB18_27
; %bb.29:                               ;   in Loop: Header=BB18_28 Depth=2
	s_mov_b64 s[36:37], 0
.LBB18_30:                              ;   Parent Loop BB18_7 Depth=1
                                        ;     Parent Loop BB18_28 Depth=2
                                        ; =>    This Inner Loop Header: Depth=3
	;;#ASMSTART
	s_sleep 0
	;;#ASMEND
	ds_read_b32 v44, v43 offset:16
	s_waitcnt lgkmcnt(0)
	v_cmp_eq_u32_e32 vcc, v44, v30
	s_or_b64 s[36:37], vcc, s[36:37]
	s_andn2_b64 exec, exec, s[36:37]
	s_cbranch_execnz .LBB18_30
	s_branch .LBB18_27
.LBB18_31:                              ;   in Loop: Header=BB18_7 Depth=1
	s_or_b64 exec, exec, s[26:27]
.LBB18_32:                              ;   in Loop: Header=BB18_7 Depth=1
	s_or_b64 exec, exec, s[30:31]
	v_subrev_u32_e32 v41, s52, v41
.LBB18_33:                              ;   in Loop: Header=BB18_7 Depth=1
	s_or_b64 exec, exec, s[28:29]
.LBB18_34:                              ;   in Loop: Header=BB18_7 Depth=1
	s_andn2_saveexec_b64 s[24:25], s[24:25]
	s_cbranch_execz .LBB18_6
; %bb.35:                               ;   in Loop: Header=BB18_7 Depth=1
	v_cmp_gt_i32_e32 vcc, s52, v41
	s_and_saveexec_b64 s[26:27], vcc
	s_cbranch_execz .LBB18_5
; %bb.36:                               ;   in Loop: Header=BB18_7 Depth=1
	s_mul_i32 s53, s53, s10
	s_ashr_i32 s28, s53, 31
	s_waitcnt lgkmcnt(0)
	s_add_u32 s29, s16, s53
	s_addc_u32 s30, s17, s28
	s_ashr_i32 s31, s54, 31
	v_cmp_le_i32_e32 vcc, s55, v38
	s_add_u32 s28, s29, s54
	s_addc_u32 s29, s30, s31
	v_cndmask_b32_e32 v0, 0, v39, vcc
	v_ashrrev_i32_e32 v1, 31, v0
	v_lshl_add_u64 v[0:1], s[28:29], 0, v[0:1]
	v_lshlrev_b32_e32 v2, 8, v41
	v_lshl_add_u64 v[0:1], v[0:1], 0, v[26:27]
	v_ashrrev_i32_e32 v3, 31, v2
	v_lshl_add_u64 v[8:9], v[0:1], 0, v[2:3]
	s_mov_b64 s[28:29], 0
	s_branch .LBB18_38
.LBB18_37:                              ;   in Loop: Header=BB18_38 Depth=2
	s_or_b64 exec, exec, s[30:31]
	;;#ASMSTART
	s_waitcnt vmcnt(1)
	v_pack_b32_f16 v12, v4, v5, op_sel:[0,0]
	v_pack_b32_f16 v13, v4, v5, op_sel:[1,1]
	;; [unrolled: 1-line block ×4, first 2 shown]
	v_swap_b32 v12, v4
	v_swap_b32 v13, v6
	;; [unrolled: 1-line block ×4, first 2 shown]
	;;#ASMEND
	v_add_u32_e32 v41, s13, v41
	v_lshl_add_u32 v12, v10, 11, v37
	ds_write2_b32 v12, v4, v5 offset1:32
	ds_write2_b32 v12, v6, v7 offset0:64 offset1:96
	;;#ASMSTART
	s_waitcnt vmcnt(0)
	v_pack_b32_f16 v4, v0, v1, op_sel:[0,0]
	v_pack_b32_f16 v5, v0, v1, op_sel:[1,1]
	;; [unrolled: 1-line block ×4, first 2 shown]
	v_swap_b32 v4, v0
	v_swap_b32 v5, v2
	;; [unrolled: 1-line block ×4, first 2 shown]
	;;#ASMEND
	v_cmp_le_i32_e32 vcc, s52, v41
	v_add_u32_e32 v4, 0x400, v12
	ds_write2_b32 v4, v0, v1 offset1:32
	ds_write2_b32 v4, v2, v3 offset0:64 offset1:96
	v_add_u32_e32 v0, 1, v30
	v_add_u32_e32 v6, s13, v10
	ds_write_b32 v11, v0
	v_add_u32_e32 v0, 2, v30
	s_or_b64 s[28:29], vcc, s[28:29]
	v_cmp_lt_i32_e32 vcc, 3, v6
	v_lshl_add_u64 v[8:9], v[8:9], 0, s[6:7]
	s_nop 0
	v_cndmask_b32_e32 v30, v30, v0, vcc
	s_andn2_b64 exec, exec, s[28:29]
	s_cbranch_execz .LBB18_4
.LBB18_38:                              ;   Parent Loop BB18_7 Depth=1
                                        ; =>  This Loop Header: Depth=2
                                        ;       Child Loop BB18_40 Depth 3
	v_cmp_gt_i32_e32 vcc, 4, v6
	s_nop 1
	v_cndmask_b32_e64 v0, -4, 0, vcc
	v_add_u32_e32 v10, v0, v6
	v_lshlrev_b32_e32 v11, 2, v10
	;;#ASMSTART
	global_load_dwordx4 v[4:7], v[8:9], off offset:0  
	global_load_dwordx4 v[0:3], v[8:9], off offset:128
	
	;;#ASMEND
	ds_read_b32 v12, v11 offset:24576
	v_add_u32_e32 v11, 0x6000, v11
	s_waitcnt lgkmcnt(0)
	v_cmp_ne_u32_e32 vcc, v12, v30
	s_and_saveexec_b64 s[30:31], vcc
	s_cbranch_execz .LBB18_37
; %bb.39:                               ;   in Loop: Header=BB18_38 Depth=2
	s_mov_b64 s[34:35], 0
.LBB18_40:                              ;   Parent Loop BB18_7 Depth=1
                                        ;     Parent Loop BB18_38 Depth=2
                                        ; =>    This Inner Loop Header: Depth=3
	;;#ASMSTART
	s_sleep 0
	;;#ASMEND
	ds_read_b32 v12, v11
	s_waitcnt lgkmcnt(0)
	v_cmp_eq_u32_e32 vcc, v12, v30
	s_or_b64 s[34:35], vcc, s[34:35]
	s_andn2_b64 exec, exec, s[34:35]
	s_cbranch_execnz .LBB18_40
	s_branch .LBB18_37
.LBB18_41:
	s_endpgm
	.section	.rodata,"a",@progbits
	.p2align	6, 0x0
	.amdhsa_kernel _Z19_skinny_gemm_kernelILi1ELi1ELi4ELi8ELi4EEvPKhS1_P6__halfPKfiiiiiiii
		.amdhsa_group_segment_fixed_size 24608
		.amdhsa_private_segment_fixed_size 0
		.amdhsa_kernarg_size 64
		.amdhsa_user_sgpr_count 2
		.amdhsa_user_sgpr_dispatch_ptr 0
		.amdhsa_user_sgpr_queue_ptr 0
		.amdhsa_user_sgpr_kernarg_segment_ptr 1
		.amdhsa_user_sgpr_dispatch_id 0
		.amdhsa_user_sgpr_kernarg_preload_length 0
		.amdhsa_user_sgpr_kernarg_preload_offset 0
		.amdhsa_user_sgpr_private_segment_size 0
		.amdhsa_uses_dynamic_stack 0
		.amdhsa_enable_private_segment 0
		.amdhsa_system_sgpr_workgroup_id_x 1
		.amdhsa_system_sgpr_workgroup_id_y 0
		.amdhsa_system_sgpr_workgroup_id_z 0
		.amdhsa_system_sgpr_workgroup_info 0
		.amdhsa_system_vgpr_workitem_id 0
		.amdhsa_next_free_vgpr 50
		.amdhsa_next_free_sgpr 56
		.amdhsa_accum_offset 52
		.amdhsa_reserve_vcc 1
		.amdhsa_float_round_mode_32 0
		.amdhsa_float_round_mode_16_64 0
		.amdhsa_float_denorm_mode_32 3
		.amdhsa_float_denorm_mode_16_64 3
		.amdhsa_dx10_clamp 1
		.amdhsa_ieee_mode 1
		.amdhsa_fp16_overflow 0
		.amdhsa_tg_split 0
		.amdhsa_exception_fp_ieee_invalid_op 0
		.amdhsa_exception_fp_denorm_src 0
		.amdhsa_exception_fp_ieee_div_zero 0
		.amdhsa_exception_fp_ieee_overflow 0
		.amdhsa_exception_fp_ieee_underflow 0
		.amdhsa_exception_fp_ieee_inexact 0
		.amdhsa_exception_int_div_zero 0
	.end_amdhsa_kernel
	.section	.text._Z19_skinny_gemm_kernelILi1ELi1ELi4ELi8ELi4EEvPKhS1_P6__halfPKfiiiiiiii,"axG",@progbits,_Z19_skinny_gemm_kernelILi1ELi1ELi4ELi8ELi4EEvPKhS1_P6__halfPKfiiiiiiii,comdat
.Lfunc_end18:
	.size	_Z19_skinny_gemm_kernelILi1ELi1ELi4ELi8ELi4EEvPKhS1_P6__halfPKfiiiiiiii, .Lfunc_end18-_Z19_skinny_gemm_kernelILi1ELi1ELi4ELi8ELi4EEvPKhS1_P6__halfPKfiiiiiiii
                                        ; -- End function
	.set _Z19_skinny_gemm_kernelILi1ELi1ELi4ELi8ELi4EEvPKhS1_P6__halfPKfiiiiiiii.num_vgpr, 50
	.set _Z19_skinny_gemm_kernelILi1ELi1ELi4ELi8ELi4EEvPKhS1_P6__halfPKfiiiiiiii.num_agpr, 0
	.set _Z19_skinny_gemm_kernelILi1ELi1ELi4ELi8ELi4EEvPKhS1_P6__halfPKfiiiiiiii.numbered_sgpr, 56
	.set _Z19_skinny_gemm_kernelILi1ELi1ELi4ELi8ELi4EEvPKhS1_P6__halfPKfiiiiiiii.num_named_barrier, 0
	.set _Z19_skinny_gemm_kernelILi1ELi1ELi4ELi8ELi4EEvPKhS1_P6__halfPKfiiiiiiii.private_seg_size, 0
	.set _Z19_skinny_gemm_kernelILi1ELi1ELi4ELi8ELi4EEvPKhS1_P6__halfPKfiiiiiiii.uses_vcc, 1
	.set _Z19_skinny_gemm_kernelILi1ELi1ELi4ELi8ELi4EEvPKhS1_P6__halfPKfiiiiiiii.uses_flat_scratch, 0
	.set _Z19_skinny_gemm_kernelILi1ELi1ELi4ELi8ELi4EEvPKhS1_P6__halfPKfiiiiiiii.has_dyn_sized_stack, 0
	.set _Z19_skinny_gemm_kernelILi1ELi1ELi4ELi8ELi4EEvPKhS1_P6__halfPKfiiiiiiii.has_recursion, 0
	.set _Z19_skinny_gemm_kernelILi1ELi1ELi4ELi8ELi4EEvPKhS1_P6__halfPKfiiiiiiii.has_indirect_call, 0
	.section	.AMDGPU.csdata,"",@progbits
; Kernel info:
; codeLenInByte = 2936
; TotalNumSgprs: 62
; NumVgprs: 50
; NumAgprs: 0
; TotalNumVgprs: 50
; ScratchSize: 0
; MemoryBound: 0
; FloatMode: 240
; IeeeMode: 1
; LDSByteSize: 24608 bytes/workgroup (compile time only)
; SGPRBlocks: 7
; VGPRBlocks: 6
; NumSGPRsForWavesPerEU: 62
; NumVGPRsForWavesPerEU: 50
; AccumOffset: 52
; Occupancy: 8
; WaveLimiterHint : 0
; COMPUTE_PGM_RSRC2:SCRATCH_EN: 0
; COMPUTE_PGM_RSRC2:USER_SGPR: 2
; COMPUTE_PGM_RSRC2:TRAP_HANDLER: 0
; COMPUTE_PGM_RSRC2:TGID_X_EN: 1
; COMPUTE_PGM_RSRC2:TGID_Y_EN: 0
; COMPUTE_PGM_RSRC2:TGID_Z_EN: 0
; COMPUTE_PGM_RSRC2:TIDIG_COMP_CNT: 0
; COMPUTE_PGM_RSRC3_GFX90A:ACCUM_OFFSET: 12
; COMPUTE_PGM_RSRC3_GFX90A:TG_SPLIT: 0
	.section	.text._Z19_skinny_gemm_kernelILi1ELi1ELi4ELi8ELi8EEvPKhS1_P6__halfPKfiiiiiiii,"axG",@progbits,_Z19_skinny_gemm_kernelILi1ELi1ELi4ELi8ELi8EEvPKhS1_P6__halfPKfiiiiiiii,comdat
	.protected	_Z19_skinny_gemm_kernelILi1ELi1ELi4ELi8ELi8EEvPKhS1_P6__halfPKfiiiiiiii ; -- Begin function _Z19_skinny_gemm_kernelILi1ELi1ELi4ELi8ELi8EEvPKhS1_P6__halfPKfiiiiiiii
	.globl	_Z19_skinny_gemm_kernelILi1ELi1ELi4ELi8ELi8EEvPKhS1_P6__halfPKfiiiiiiii
	.p2align	8
	.type	_Z19_skinny_gemm_kernelILi1ELi1ELi4ELi8ELi8EEvPKhS1_P6__halfPKfiiiiiiii,@function
_Z19_skinny_gemm_kernelILi1ELi1ELi4ELi8ELi8EEvPKhS1_P6__halfPKfiiiiiiii: ; @_Z19_skinny_gemm_kernelILi1ELi1ELi4ELi8ELi8EEvPKhS1_P6__halfPKfiiiiiiii
; %bb.0:
	v_cmp_gt_u32_e32 vcc, 8, v0
	v_lshlrev_b32_e32 v1, 2, v0
	s_and_saveexec_b64 s[4:5], vcc
; %bb.1:
	v_mov_b32_e32 v2, 0
	ds_write_b32 v1, v2 offset:49152
; %bb.2:
	s_or_b64 exec, exec, s[4:5]
	s_load_dwordx8 s[8:15], s[0:1], 0x20
	s_waitcnt lgkmcnt(0)
	s_barrier
	s_add_i32 s3, s8, 7
	s_ashr_i32 s5, s3, 31
	s_add_i32 s4, s9, 15
	s_lshr_b32 s5, s5, 29
	s_ashr_i32 s6, s4, 31
	s_add_i32 s3, s3, s5
	s_ashr_i32 s11, s3, 3
	s_lshr_b32 s3, s6, 28
	s_add_i32 s4, s4, s3
	s_ashr_i32 s33, s4, 4
	s_mul_i32 s3, s33, s11
	s_mul_i32 s3, s3, s12
	s_add_i32 s4, s3, 0x12f
	s_mul_hi_i32 s4, s4, 0x6bca1af3
	s_lshr_b32 s5, s4, 31
	s_ashr_i32 s4, s4, 7
	s_add_i32 s4, s4, s5
	s_add_i32 s5, s2, 1
	s_mul_i32 s5, s4, s5
	v_cvt_f64_i32_e32 v[2:3], s3
	v_cvt_f64_u32_e32 v[4:5], s5
	v_min_f64 v[2:3], v[2:3], v[4:5]
	v_cvt_i32_f64_e32 v9, v[2:3]
	s_mul_i32 s38, s4, s2
	v_cmp_ge_i32_e32 vcc, s38, v9
	s_cbranch_vccnz .LBB19_41
; %bb.3:
	v_lshrrev_b32_e32 v2, 6, v0
	s_add_i32 s4, s14, s13
	s_load_dwordx2 s[6:7], s[0:1], 0x0
	s_load_dwordx4 s[16:19], s[0:1], 0x10
	v_cmp_le_i32_e64 s[0:1], s4, v2
	v_mov_b32_e32 v3, s13
	v_cmp_le_i32_e64 s[2:3], s13, v2
	v_mov_b32_e32 v4, s14
	v_cndmask_b32_e64 v4, 0, v4, s[0:1]
	v_cndmask_b32_e64 v3, 0, v3, s[2:3]
	s_abs_i32 s5, s12
	v_add_u32_e32 v3, v3, v4
	v_cvt_f32_u32_e32 v4, s5
	v_sub_u32_e32 v6, v2, v3
	s_ashr_i32 s20, s10, 31
	s_lshr_b32 s20, s20, 23
	v_rcp_iflag_f32_e32 v3, v4
	s_sub_i32 s24, 0, s5
	s_add_i32 s20, s10, s20
	s_ashr_i32 s20, s20, 9
	v_mul_f32_e32 v3, 0x4f7ffffe, v3
	v_cvt_u32_f32_e32 v3, v3
	s_abs_i32 s23, s20
	s_xor_b32 s22, s20, s12
	s_ashr_i32 s22, s22, 31
	v_readfirstlane_b32 s25, v3
	s_mul_i32 s24, s24, s25
	s_mul_hi_u32 s24, s25, s24
	s_add_i32 s25, s25, s24
	s_mul_hi_u32 s24, s23, s25
	s_mul_i32 s25, s24, s5
	s_sub_i32 s23, s23, s25
	s_add_i32 s25, s24, 1
	s_sub_i32 s26, s23, s5
	s_cmp_ge_u32 s23, s5
	s_cselect_b32 s24, s25, s24
	s_cselect_b32 s23, s26, s23
	s_add_i32 s25, s24, 1
	s_cmp_ge_u32 s23, s5
	s_cselect_b32 s5, s25, s24
	s_xor_b32 s5, s5, s22
	s_sub_i32 s39, s5, s22
	s_add_i32 s12, s12, -1
	s_mul_i32 s5, s39, s12
	s_add_i32 s4, s4, s15
	s_sub_i32 s40, s20, s5
	v_cmp_gt_i32_e64 s[4:5], s4, v2
	v_and_b32_e32 v2, 1, v0
	v_lshlrev_b32_e32 v3, 1, v0
	v_and_b32_e32 v3, 0x7c, v3
	v_lshlrev_b32_e32 v4, 8, v2
	v_lshlrev_b32_e32 v5, 4, v0
	s_mov_b32 s22, 0x8000
	s_movk_i32 s20, 0x7c
	v_and_b32_e32 v7, 0x200, v5
	v_or3_b32 v30, v3, v4, s22
	v_lshrrev_b32_e32 v3, 3, v0
	v_mov_b32_e32 v8, 0xeeee
	v_mov_b32_e32 v10, 0x4444
	v_cmp_eq_u32_e32 vcc, 0, v2
	v_and_or_b32 v31, v1, s20, v7
	v_lshlrev_b32_e32 v1, 1, v2
	v_and_or_b32 v2, v3, 6, v2
	v_lshlrev_b32_e32 v4, 7, v0
	v_cndmask_b32_e32 v29, v8, v10, vcc
	v_and_b32_e32 v8, 14, v0
	v_bitop3_b32 v32, v0, 1, v0 bitop3:0xc
	v_sub_u32_e32 v1, v0, v1
	v_sub_u32_e32 v33, 8, v2
	v_mul_lo_u32 v10, s9, v2
	v_bfe_u32 v2, v0, 3, 3
	v_and_b32_e32 v4, 0x200, v4
	v_lshlrev_b32_e32 v0, 5, v0
	v_lshl_or_b32 v4, v2, 2, v4
	v_and_b32_e32 v0, 0x60, v0
	s_abs_i32 s41, s11
	v_or3_b32 v34, v4, v0, s22
	v_cvt_f32_u32_e32 v0, s41
	s_abs_i32 s43, s33
	v_mul_lo_u32 v36, s10, v2
	v_cvt_f32_u32_e32 v2, s43
	v_rcp_iflag_f32_e32 v0, v0
	s_sub_i32 s22, 0, s41
	v_add_u32_e32 v1, 1, v1
	v_rcp_iflag_f32_e32 v2, v2
	v_mul_f32_e32 v0, 0x4f7ffffe, v0
	v_cvt_u32_f32_e32 v0, v0
	v_and_b32_e32 v1, 63, v1
	v_mov_b32_e32 v13, 0
	v_cndmask_b32_e64 v28, 0, 1, s[0:1]
	v_readfirstlane_b32 s23, v0
	v_mul_f32_e32 v0, 0x4f7ffffe, v2
	v_cvt_u32_f32_e32 v0, v0
	s_mul_i32 s22, s22, s23
	s_mul_hi_u32 s22, s23, s22
	s_add_i32 s45, s23, s22
	s_sub_i32 s22, 0, s43
	v_readfirstlane_b32 s23, v0
	v_mbcnt_lo_u32_b32 v0, -1, 0
	s_mul_i32 s22, s22, s23
	v_mbcnt_hi_u32_b32 v0, -1, v0
	s_mul_hi_u32 s22, s23, s22
	v_and_or_b32 v0, v0, 64, v1
	s_mov_b32 s21, 0
	v_ashrrev_i32_e32 v11, 31, v10
	s_lshl_b32 s42, s39, 9
	v_bitop3_b32 v35, v3, 7, v3 bitop3:0xc
	v_and_b32_e32 v14, 0x70, v5
	v_mov_b32_e32 v15, v13
	s_lshl_b32 s20, s13, 9
	s_ashr_i32 s44, s11, 31
	s_ashr_i32 s46, s33, 31
	s_add_i32 s47, s23, s22
	v_lshlrev_b32_e32 v37, 2, v0
	v_lshlrev_b32_e32 v12, 1, v8
	v_mov_b32_e32 v38, v6
	s_branch .LBB19_7
.LBB19_4:                               ;   in Loop: Header=BB19_7 Depth=1
	s_or_b64 exec, exec, s[26:27]
.LBB19_5:                               ;   in Loop: Header=BB19_7 Depth=1
	s_or_b64 exec, exec, s[24:25]
	v_subrev_u32_e32 v38, s48, v38
.LBB19_6:                               ;   in Loop: Header=BB19_7 Depth=1
	s_or_b64 exec, exec, s[22:23]
	s_add_i32 s38, s38, 1
	v_cmp_ge_i32_e32 vcc, s38, v9
	s_cbranch_vccnz .LBB19_41
.LBB19_7:                               ; =>This Loop Header: Depth=1
                                        ;     Child Loop BB19_13 Depth 2
                                        ;       Child Loop BB19_15 Depth 3
                                        ;       Child Loop BB19_18 Depth 3
                                        ;     Child Loop BB19_28 Depth 2
                                        ;       Child Loop BB19_30 Depth 3
                                        ;     Child Loop BB19_38 Depth 2
                                        ;       Child Loop BB19_40 Depth 3
	s_abs_i32 s23, s38
	s_mul_hi_u32 s24, s23, s45
	s_mul_i32 s25, s24, s41
	s_ashr_i32 s22, s38, 31
	s_sub_i32 s23, s23, s25
	s_xor_b32 s22, s22, s44
	s_add_i32 s25, s24, 1
	s_sub_i32 s26, s23, s41
	s_cmp_ge_u32 s23, s41
	s_cselect_b32 s24, s25, s24
	s_cselect_b32 s23, s26, s23
	s_add_i32 s25, s24, 1
	s_cmp_ge_u32 s23, s41
	s_cselect_b32 s23, s25, s24
	s_xor_b32 s23, s23, s22
	s_sub_i32 s52, s23, s22
	s_abs_i32 s23, s52
	s_mul_i32 s22, s52, s11
	s_mul_hi_u32 s24, s23, s47
	s_sub_i32 s22, s38, s22
	s_mul_i32 s25, s24, s43
	s_lshl_b32 s49, s22, 3
	s_ashr_i32 s22, s52, 31
	s_sub_i32 s23, s23, s25
	s_xor_b32 s22, s22, s46
	s_add_i32 s25, s24, 1
	s_sub_i32 s26, s23, s43
	s_cmp_ge_u32 s23, s43
	s_cselect_b32 s24, s25, s24
	s_cselect_b32 s23, s26, s23
	s_add_i32 s25, s24, 1
	s_cmp_ge_u32 s23, s43
	s_cselect_b32 s23, s25, s24
	s_xor_b32 s23, s23, s22
	s_sub_i32 s51, s23, s22
	s_cmp_eq_u32 s51, s12
	s_cselect_b32 s48, s40, s39
	s_sub_i32 s50, s49, s8
	s_add_i32 s50, s50, 8
	s_and_saveexec_b64 s[22:23], s[2:3]
	s_xor_b64 s[22:23], exec, s[22:23]
	s_cbranch_execz .LBB19_34
; %bb.8:                                ;   in Loop: Header=BB19_7 Depth=1
	s_and_saveexec_b64 s[24:25], s[0:1]
	s_xor_b64 s[24:25], exec, s[24:25]
	s_cbranch_execz .LBB19_24
; %bb.9:                                ;   in Loop: Header=BB19_7 Depth=1
	s_and_saveexec_b64 s[26:27], s[4:5]
	s_cbranch_execz .LBB19_23
; %bb.10:                               ;   in Loop: Header=BB19_7 Depth=1
	s_waitcnt lgkmcnt(0)
	global_load_dword v39, v13, s[18:19]
	v_mov_b32_e32 v3, 0
	v_cmp_gt_i32_e32 vcc, s48, v38
	v_mov_b32_e32 v2, v3
	v_mov_b32_e32 v1, v3
	v_mov_b32_e32 v0, v3
	s_and_saveexec_b64 s[28:29], vcc
	s_cbranch_execz .LBB19_20
; %bb.11:                               ;   in Loop: Header=BB19_7 Depth=1
	v_mov_b32_e32 v0, 0
	s_mov_b64 s[30:31], 0
	v_mov_b32_e32 v1, v0
	v_mov_b32_e32 v2, v0
	;; [unrolled: 1-line block ×3, first 2 shown]
	s_branch .LBB19_13
.LBB19_12:                              ;   in Loop: Header=BB19_13 Depth=2
	s_or_b64 exec, exec, s[34:35]
	v_lshl_or_b32 v43, v40, 13, v31
	ds_read2_b32 v[44:45], v43 offset1:32
	ds_read2_b32 v[46:47], v43 offset0:64 offset1:96
	v_add_u32_e32 v50, 0x400, v43
	ds_read2_b32 v[48:49], v50 offset1:32
	ds_read2_b32 v[50:51], v50 offset0:64 offset1:96
	v_add_u32_e32 v38, s15, v38
	v_cmp_le_i32_e32 vcc, s48, v38
	s_waitcnt lgkmcnt(2)
	v_smfmac_f32_16x16x64_fp8_fp8 v[0:3], v[26:27], v[44:47], v29 cbsz:7 abid:1
	v_add_u32_e32 v26, 0x800, v43
	ds_read2_b32 v[44:45], v26 offset1:32
	ds_read2_b32 v[46:47], v26 offset0:64 offset1:96
	v_add_u32_e32 v26, 0xc00, v43
	s_waitcnt lgkmcnt(2)
	v_smfmac_f32_16x16x64_fp8_fp8 v[0:3], v[24:25], v[48:51], v29 cbsz:7 abid:1
	ds_read2_b32 v[24:25], v26 offset1:32
	ds_read2_b32 v[26:27], v26 offset0:64 offset1:96
	s_or_b64 s[30:31], vcc, s[30:31]
	s_waitcnt lgkmcnt(2)
	v_smfmac_f32_16x16x64_fp8_fp8 v[0:3], v[22:23], v[44:47], v29 cbsz:7 abid:1
	v_add_u32_e32 v22, 0x1000, v43
	ds_read2_b32 v[44:45], v22 offset1:32
	ds_read2_b32 v[46:47], v22 offset0:64 offset1:96
	v_add_u32_e32 v22, 0x1400, v43
	s_waitcnt lgkmcnt(2)
	v_smfmac_f32_16x16x64_fp8_fp8 v[0:3], v[20:21], v[24:27], v29 cbsz:7 abid:1
	ds_read2_b32 v[20:21], v22 offset1:32
	ds_read2_b32 v[22:23], v22 offset0:64 offset1:96
	s_waitcnt lgkmcnt(2)
	v_smfmac_f32_16x16x64_fp8_fp8 v[0:3], v[18:19], v[44:47], v29 cbsz:7 abid:1
	v_add_u32_e32 v18, 0x1800, v43
	ds_read2_b32 v[24:25], v18 offset1:32
	ds_read2_b32 v[26:27], v18 offset0:64 offset1:96
	v_add_u32_e32 v18, 0x1c00, v43
	s_waitcnt lgkmcnt(2)
	v_smfmac_f32_16x16x64_fp8_fp8 v[0:3], v[16:17], v[20:23], v29 cbsz:7 abid:1
	ds_read2_b32 v[16:17], v18 offset1:32
	ds_read2_b32 v[18:19], v18 offset0:64 offset1:96
	ds_write_b32 v41, v42 offset:16
	s_waitcnt lgkmcnt(3)
	v_smfmac_f32_16x16x64_fp8_fp8 v[0:3], v[6:7], v[24:27], v29 cbsz:7 abid:1
	v_add_u32_e32 v6, s15, v40
	v_add_u32_e32 v7, 2, v28
	v_cmp_lt_i32_e32 vcc, 3, v6
	s_waitcnt lgkmcnt(1)
	v_smfmac_f32_16x16x64_fp8_fp8 v[0:3], v[4:5], v[16:19], v29 cbsz:7 abid:1
	v_cndmask_b32_e32 v28, v28, v7, vcc
	s_andn2_b64 exec, exec, s[30:31]
	s_cbranch_execz .LBB19_19
.LBB19_13:                              ;   Parent Loop BB19_7 Depth=1
                                        ; =>  This Loop Header: Depth=2
                                        ;       Child Loop BB19_15 Depth 3
                                        ;       Child Loop BB19_18 Depth 3
	v_cmp_gt_i32_e32 vcc, 4, v6
	s_nop 1
	v_cndmask_b32_e64 v4, -4, 0, vcc
	v_add_u32_e32 v40, v4, v6
	v_lshlrev_b32_e32 v4, 2, v40
	ds_read_b32 v5, v4 offset:49152
	v_add_u32_e32 v41, 0xc000, v4
	s_waitcnt lgkmcnt(0)
	v_cmp_ne_u32_e32 vcc, v5, v28
	s_and_saveexec_b64 s[34:35], vcc
	s_cbranch_execz .LBB19_16
; %bb.14:                               ;   in Loop: Header=BB19_13 Depth=2
	s_mov_b64 s[36:37], 0
.LBB19_15:                              ;   Parent Loop BB19_7 Depth=1
                                        ;     Parent Loop BB19_13 Depth=2
                                        ; =>    This Inner Loop Header: Depth=3
	;;#ASMSTART
	s_sleep 0
	;;#ASMEND
	ds_read_b32 v4, v41
	s_waitcnt lgkmcnt(0)
	v_cmp_eq_u32_e32 vcc, v4, v28
	s_or_b64 s[36:37], vcc, s[36:37]
	s_andn2_b64 exec, exec, s[36:37]
	s_cbranch_execnz .LBB19_15
.LBB19_16:                              ;   in Loop: Header=BB19_13 Depth=2
	s_or_b64 exec, exec, s[34:35]
	v_lshl_add_u32 v4, v40, 12, v30
	v_add_u32_e32 v5, 0x400, v4
	ds_read2_b32 v[26:27], v4 offset1:32
	ds_read2_b32 v[24:25], v4 offset0:128 offset1:160
	ds_read2_b32 v[22:23], v5 offset1:32
	ds_read2_b32 v[20:21], v5 offset0:128 offset1:160
	v_add_u32_e32 v5, 0x800, v4
	v_add_u32_e32 v4, 0xc00, v4
	ds_read2_b32 v[18:19], v5 offset1:32
	ds_read2_b32 v[16:17], v5 offset0:128 offset1:160
	ds_read2_b32 v[6:7], v4 offset1:32
	ds_read2_b32 v[4:5], v4 offset0:128 offset1:160
	;;#ASMSTART
	s_waitcnt lgkmcnt(0)
	;;#ASMEND
	ds_read_b32 v43, v41 offset:16
	v_add_u32_e32 v42, 1, v28
	ds_write_b32 v41, v42
	s_waitcnt lgkmcnt(1)
	v_cmp_ne_u32_e32 vcc, v43, v28
	s_and_saveexec_b64 s[34:35], vcc
	s_cbranch_execz .LBB19_12
; %bb.17:                               ;   in Loop: Header=BB19_13 Depth=2
	s_mov_b64 s[36:37], 0
.LBB19_18:                              ;   Parent Loop BB19_7 Depth=1
                                        ;     Parent Loop BB19_13 Depth=2
                                        ; =>    This Inner Loop Header: Depth=3
	;;#ASMSTART
	s_sleep 0
	;;#ASMEND
	ds_read_b32 v43, v41 offset:16
	s_waitcnt lgkmcnt(0)
	v_cmp_eq_u32_e32 vcc, v43, v28
	s_or_b64 s[36:37], vcc, s[36:37]
	s_andn2_b64 exec, exec, s[36:37]
	s_cbranch_execnz .LBB19_18
	s_branch .LBB19_12
.LBB19_19:                              ;   in Loop: Header=BB19_7 Depth=1
	s_or_b64 exec, exec, s[30:31]
.LBB19_20:                              ;   in Loop: Header=BB19_7 Depth=1
	s_or_b64 exec, exec, s[28:29]
	s_mul_i32 s28, s51, s33
	s_sub_i32 s28, s52, s28
	s_lshl_b32 s30, s28, 4
	s_sub_i32 s31, s30, s9
	s_add_i32 s31, s31, 16
	v_cmp_le_i32_e32 vcc, s31, v8
	v_mov_b32_e32 v16, v1
	v_mov_b32_e32 v17, v2
	;; [unrolled: 1-line block ×3, first 2 shown]
	s_waitcnt vmcnt(0)
	v_cndmask_b32_e32 v4, 0, v39, vcc
	v_pk_add_f32 v[0:1], v[16:17], v[0:1]
	v_cmp_ne_u32_e32 vcc, 0, v32
	v_pk_mul_f32 v[0:1], v[4:5], v[0:1] op_sel_hi:[0,1]
	s_nop 0
	v_cndmask_b32_e32 v4, v0, v1, vcc
	v_cmp_eq_u32_e32 vcc, 2, v32
	s_nop 1
	v_cndmask_b32_e32 v2, v4, v2, vcc
	v_cmp_eq_u32_e32 vcc, 3, v32
	s_nop 1
	v_cndmask_b32_e32 v2, v2, v3, vcc
	ds_bpermute_b32 v2, v37, v2
	v_cmp_lt_i32_e32 vcc, s50, v33
	s_and_saveexec_b64 s[28:29], vcc
	s_cbranch_execz .LBB19_22
; %bb.21:                               ;   in Loop: Header=BB19_7 Depth=1
	s_mul_i32 s34, s49, s9
	s_max_i32 s31, s31, 0
	s_ashr_i32 s35, s34, 31
	s_sub_i32 s30, s30, s31
	s_lshl_b64 s[34:35], s[34:35], 1
	v_cmp_ne_u32_e32 vcc, 0, v32
	s_add_u32 s34, s16, s34
	s_addc_u32 s35, s17, s35
	s_waitcnt lgkmcnt(0)
	v_cndmask_b32_e32 v1, v1, v2, vcc
	v_cmp_eq_u32_e32 vcc, 0, v32
	s_ashr_i32 s31, s30, 31
	s_lshl_b64 s[30:31], s[30:31], 1
	v_cndmask_b32_e32 v0, v0, v2, vcc
	v_cvt_f16_f32_e32 v2, v0
	v_cvt_f16_f32_sdwa v3, v1 dst_sel:WORD_1 dst_unused:UNUSED_PAD src0_sel:DWORD
	s_add_u32 s30, s34, s30
	s_addc_u32 s31, s35, s31
	v_lshl_add_u64 v[0:1], v[10:11], 1, s[30:31]
	v_lshl_add_u64 v[0:1], v[0:1], 0, v[12:13]
	v_or_b32_e32 v2, v3, v2
	;;#ASMSTART
	global_atomic_pk_add_f16 v[0:1], v2, off
	
	;;#ASMEND
.LBB19_22:                              ;   in Loop: Header=BB19_7 Depth=1
	s_or_b64 exec, exec, s[28:29]
	v_subrev_u32_e32 v38, s48, v38
.LBB19_23:                              ;   in Loop: Header=BB19_7 Depth=1
	s_or_b64 exec, exec, s[26:27]
.LBB19_24:                              ;   in Loop: Header=BB19_7 Depth=1
	s_andn2_saveexec_b64 s[24:25], s[24:25]
	s_cbranch_execz .LBB19_33
; %bb.25:                               ;   in Loop: Header=BB19_7 Depth=1
	v_cmp_gt_i32_e32 vcc, s48, v38
	s_and_saveexec_b64 s[26:27], vcc
	s_cbranch_execz .LBB19_32
; %bb.26:                               ;   in Loop: Header=BB19_7 Depth=1
	s_mov_b64 s[28:29], 0
	s_branch .LBB19_28
.LBB19_27:                              ;   in Loop: Header=BB19_28 Depth=2
	s_or_b64 exec, exec, s[30:31]
	v_add_u32_e32 v38, s14, v38
	v_add_u32_e32 v6, s14, v0
	v_cmp_le_i32_e32 vcc, s48, v38
	v_add_u32_e32 v0, 2, v28
	s_or_b64 s[28:29], vcc, s[28:29]
	v_cmp_lt_i32_e32 vcc, 3, v6
	v_add_u32_e32 v2, 1, v28
	;;#ASMSTART
	s_waitcnt vmcnt(3)
	;;#ASMEND
	;;#ASMSTART
	s_waitcnt vmcnt(2)
	;;#ASMEND
	;; [unrolled: 3-line block ×4, first 2 shown]
	s_nop 0
	v_cndmask_b32_e32 v28, v28, v0, vcc
	ds_write_b32 v1, v2 offset:16
	s_andn2_b64 exec, exec, s[28:29]
	s_cbranch_execz .LBB19_31
.LBB19_28:                              ;   Parent Loop BB19_7 Depth=1
                                        ; =>  This Loop Header: Depth=2
                                        ;       Child Loop BB19_30 Depth 3
	v_cmp_gt_i32_e32 vcc, 4, v6
	s_nop 1
	v_cndmask_b32_e64 v0, -4, 0, vcc
	v_add_u32_e32 v0, v0, v6
	v_lshlrev_b32_e32 v1, 2, v0
	s_waitcnt lgkmcnt(0)
	ds_read_b32 v2, v1 offset:49168
	v_add_u32_e32 v1, 0xc000, v1
	s_waitcnt lgkmcnt(0)
	v_cmp_ne_u32_e32 vcc, v2, v28
	s_and_saveexec_b64 s[30:31], vcc
	s_cbranch_execz .LBB19_27
; %bb.29:                               ;   in Loop: Header=BB19_28 Depth=2
	s_mov_b64 s[34:35], 0
.LBB19_30:                              ;   Parent Loop BB19_7 Depth=1
                                        ;     Parent Loop BB19_28 Depth=2
                                        ; =>    This Inner Loop Header: Depth=3
	;;#ASMSTART
	s_sleep 0
	;;#ASMEND
	ds_read_b32 v2, v1 offset:16
	s_waitcnt lgkmcnt(0)
	v_cmp_eq_u32_e32 vcc, v2, v28
	s_or_b64 s[34:35], vcc, s[34:35]
	s_andn2_b64 exec, exec, s[34:35]
	s_cbranch_execnz .LBB19_30
	s_branch .LBB19_27
.LBB19_31:                              ;   in Loop: Header=BB19_7 Depth=1
	s_or_b64 exec, exec, s[28:29]
.LBB19_32:                              ;   in Loop: Header=BB19_7 Depth=1
	s_or_b64 exec, exec, s[26:27]
	v_subrev_u32_e32 v38, s48, v38
.LBB19_33:                              ;   in Loop: Header=BB19_7 Depth=1
	s_or_b64 exec, exec, s[24:25]
.LBB19_34:                              ;   in Loop: Header=BB19_7 Depth=1
	s_andn2_saveexec_b64 s[22:23], s[22:23]
	s_cbranch_execz .LBB19_6
; %bb.35:                               ;   in Loop: Header=BB19_7 Depth=1
	v_cmp_gt_i32_e32 vcc, s48, v38
	s_and_saveexec_b64 s[24:25], vcc
	s_cbranch_execz .LBB19_5
; %bb.36:                               ;   in Loop: Header=BB19_7 Depth=1
	s_mul_i32 s49, s49, s10
	s_ashr_i32 s26, s49, 31
	s_waitcnt lgkmcnt(0)
	s_add_u32 s27, s6, s49
	s_mul_i32 s51, s51, s42
	s_addc_u32 s28, s7, s26
	s_ashr_i32 s29, s51, 31
	v_cmp_le_i32_e32 vcc, s50, v35
	s_add_u32 s26, s27, s51
	s_addc_u32 s27, s28, s29
	v_cndmask_b32_e32 v0, 0, v36, vcc
	v_ashrrev_i32_e32 v1, 31, v0
	v_lshl_add_u64 v[0:1], s[26:27], 0, v[0:1]
	v_lshlrev_b32_e32 v2, 9, v38
	v_lshl_add_u64 v[0:1], v[0:1], 0, v[14:15]
	v_ashrrev_i32_e32 v3, 31, v2
	v_lshl_add_u64 v[16:17], v[0:1], 0, v[2:3]
	s_mov_b64 s[26:27], 0
	s_branch .LBB19_38
.LBB19_37:                              ;   in Loop: Header=BB19_38 Depth=2
	s_or_b64 exec, exec, s[28:29]
	;;#ASMSTART
	s_waitcnt vmcnt(1)
	v_pack_b32_f16 v20, v4, v5, op_sel:[0,0]
	v_pack_b32_f16 v21, v4, v5, op_sel:[1,1]
	;; [unrolled: 1-line block ×4, first 2 shown]
	v_swap_b32 v20, v4
	v_swap_b32 v21, v6
	;; [unrolled: 1-line block ×4, first 2 shown]
	;;#ASMEND
	v_add_u32_e32 v38, s13, v38
	v_lshl_add_u32 v20, v18, 12, v34
	ds_write2_b32 v20, v4, v5 offset1:32
	ds_write2_b32 v20, v6, v7 offset0:64 offset1:96
	;;#ASMSTART
	s_waitcnt vmcnt(0)
	v_pack_b32_f16 v4, v0, v1, op_sel:[0,0]
	v_pack_b32_f16 v5, v0, v1, op_sel:[1,1]
	;; [unrolled: 1-line block ×4, first 2 shown]
	v_swap_b32 v4, v0
	v_swap_b32 v5, v2
	;; [unrolled: 1-line block ×4, first 2 shown]
	;;#ASMEND
	v_cmp_le_i32_e32 vcc, s48, v38
	v_add_u32_e32 v4, 0x400, v20
	ds_write2_b32 v4, v0, v1 offset1:32
	ds_write2_b32 v4, v2, v3 offset0:64 offset1:96
	v_add_u32_e32 v0, 1, v28
	v_add_u32_e32 v6, s13, v18
	ds_write_b32 v19, v0
	v_add_u32_e32 v0, 2, v28
	s_or_b64 s[26:27], vcc, s[26:27]
	v_cmp_lt_i32_e32 vcc, 3, v6
	v_lshl_add_u64 v[16:17], v[16:17], 0, s[20:21]
	s_nop 0
	v_cndmask_b32_e32 v28, v28, v0, vcc
	s_andn2_b64 exec, exec, s[26:27]
	s_cbranch_execz .LBB19_4
.LBB19_38:                              ;   Parent Loop BB19_7 Depth=1
                                        ; =>  This Loop Header: Depth=2
                                        ;       Child Loop BB19_40 Depth 3
	v_cmp_gt_i32_e32 vcc, 4, v6
	s_nop 1
	v_cndmask_b32_e64 v0, -4, 0, vcc
	v_add_u32_e32 v18, v0, v6
	v_lshlrev_b32_e32 v19, 2, v18
	;;#ASMSTART
	global_load_dwordx4 v[4:7], v[16:17], off offset:0  
	global_load_dwordx4 v[0:3], v[16:17], off offset:128
	
	;;#ASMEND
	ds_read_b32 v20, v19 offset:49152
	v_add_u32_e32 v19, 0xc000, v19
	s_waitcnt lgkmcnt(0)
	v_cmp_ne_u32_e32 vcc, v20, v28
	s_and_saveexec_b64 s[28:29], vcc
	s_cbranch_execz .LBB19_37
; %bb.39:                               ;   in Loop: Header=BB19_38 Depth=2
	s_mov_b64 s[30:31], 0
.LBB19_40:                              ;   Parent Loop BB19_7 Depth=1
                                        ;     Parent Loop BB19_38 Depth=2
                                        ; =>    This Inner Loop Header: Depth=3
	;;#ASMSTART
	s_sleep 0
	;;#ASMEND
	ds_read_b32 v20, v19
	s_waitcnt lgkmcnt(0)
	v_cmp_eq_u32_e32 vcc, v20, v28
	s_or_b64 s[30:31], vcc, s[30:31]
	s_andn2_b64 exec, exec, s[30:31]
	s_cbranch_execnz .LBB19_40
	s_branch .LBB19_37
.LBB19_41:
	s_endpgm
	.section	.rodata,"a",@progbits
	.p2align	6, 0x0
	.amdhsa_kernel _Z19_skinny_gemm_kernelILi1ELi1ELi4ELi8ELi8EEvPKhS1_P6__halfPKfiiiiiiii
		.amdhsa_group_segment_fixed_size 49184
		.amdhsa_private_segment_fixed_size 0
		.amdhsa_kernarg_size 64
		.amdhsa_user_sgpr_count 2
		.amdhsa_user_sgpr_dispatch_ptr 0
		.amdhsa_user_sgpr_queue_ptr 0
		.amdhsa_user_sgpr_kernarg_segment_ptr 1
		.amdhsa_user_sgpr_dispatch_id 0
		.amdhsa_user_sgpr_kernarg_preload_length 0
		.amdhsa_user_sgpr_kernarg_preload_offset 0
		.amdhsa_user_sgpr_private_segment_size 0
		.amdhsa_uses_dynamic_stack 0
		.amdhsa_enable_private_segment 0
		.amdhsa_system_sgpr_workgroup_id_x 1
		.amdhsa_system_sgpr_workgroup_id_y 0
		.amdhsa_system_sgpr_workgroup_id_z 0
		.amdhsa_system_sgpr_workgroup_info 0
		.amdhsa_system_vgpr_workitem_id 0
		.amdhsa_next_free_vgpr 52
		.amdhsa_next_free_sgpr 53
		.amdhsa_accum_offset 52
		.amdhsa_reserve_vcc 1
		.amdhsa_float_round_mode_32 0
		.amdhsa_float_round_mode_16_64 0
		.amdhsa_float_denorm_mode_32 3
		.amdhsa_float_denorm_mode_16_64 3
		.amdhsa_dx10_clamp 1
		.amdhsa_ieee_mode 1
		.amdhsa_fp16_overflow 0
		.amdhsa_tg_split 0
		.amdhsa_exception_fp_ieee_invalid_op 0
		.amdhsa_exception_fp_denorm_src 0
		.amdhsa_exception_fp_ieee_div_zero 0
		.amdhsa_exception_fp_ieee_overflow 0
		.amdhsa_exception_fp_ieee_underflow 0
		.amdhsa_exception_fp_ieee_inexact 0
		.amdhsa_exception_int_div_zero 0
	.end_amdhsa_kernel
	.section	.text._Z19_skinny_gemm_kernelILi1ELi1ELi4ELi8ELi8EEvPKhS1_P6__halfPKfiiiiiiii,"axG",@progbits,_Z19_skinny_gemm_kernelILi1ELi1ELi4ELi8ELi8EEvPKhS1_P6__halfPKfiiiiiiii,comdat
.Lfunc_end19:
	.size	_Z19_skinny_gemm_kernelILi1ELi1ELi4ELi8ELi8EEvPKhS1_P6__halfPKfiiiiiiii, .Lfunc_end19-_Z19_skinny_gemm_kernelILi1ELi1ELi4ELi8ELi8EEvPKhS1_P6__halfPKfiiiiiiii
                                        ; -- End function
	.set _Z19_skinny_gemm_kernelILi1ELi1ELi4ELi8ELi8EEvPKhS1_P6__halfPKfiiiiiiii.num_vgpr, 52
	.set _Z19_skinny_gemm_kernelILi1ELi1ELi4ELi8ELi8EEvPKhS1_P6__halfPKfiiiiiiii.num_agpr, 0
	.set _Z19_skinny_gemm_kernelILi1ELi1ELi4ELi8ELi8EEvPKhS1_P6__halfPKfiiiiiiii.numbered_sgpr, 53
	.set _Z19_skinny_gemm_kernelILi1ELi1ELi4ELi8ELi8EEvPKhS1_P6__halfPKfiiiiiiii.num_named_barrier, 0
	.set _Z19_skinny_gemm_kernelILi1ELi1ELi4ELi8ELi8EEvPKhS1_P6__halfPKfiiiiiiii.private_seg_size, 0
	.set _Z19_skinny_gemm_kernelILi1ELi1ELi4ELi8ELi8EEvPKhS1_P6__halfPKfiiiiiiii.uses_vcc, 1
	.set _Z19_skinny_gemm_kernelILi1ELi1ELi4ELi8ELi8EEvPKhS1_P6__halfPKfiiiiiiii.uses_flat_scratch, 0
	.set _Z19_skinny_gemm_kernelILi1ELi1ELi4ELi8ELi8EEvPKhS1_P6__halfPKfiiiiiiii.has_dyn_sized_stack, 0
	.set _Z19_skinny_gemm_kernelILi1ELi1ELi4ELi8ELi8EEvPKhS1_P6__halfPKfiiiiiiii.has_recursion, 0
	.set _Z19_skinny_gemm_kernelILi1ELi1ELi4ELi8ELi8EEvPKhS1_P6__halfPKfiiiiiiii.has_indirect_call, 0
	.section	.AMDGPU.csdata,"",@progbits
; Kernel info:
; codeLenInByte = 2856
; TotalNumSgprs: 59
; NumVgprs: 52
; NumAgprs: 0
; TotalNumVgprs: 52
; ScratchSize: 0
; MemoryBound: 0
; FloatMode: 240
; IeeeMode: 1
; LDSByteSize: 49184 bytes/workgroup (compile time only)
; SGPRBlocks: 7
; VGPRBlocks: 6
; NumSGPRsForWavesPerEU: 59
; NumVGPRsForWavesPerEU: 52
; AccumOffset: 52
; Occupancy: 8
; WaveLimiterHint : 0
; COMPUTE_PGM_RSRC2:SCRATCH_EN: 0
; COMPUTE_PGM_RSRC2:USER_SGPR: 2
; COMPUTE_PGM_RSRC2:TRAP_HANDLER: 0
; COMPUTE_PGM_RSRC2:TGID_X_EN: 1
; COMPUTE_PGM_RSRC2:TGID_Y_EN: 0
; COMPUTE_PGM_RSRC2:TGID_Z_EN: 0
; COMPUTE_PGM_RSRC2:TIDIG_COMP_CNT: 0
; COMPUTE_PGM_RSRC3_GFX90A:ACCUM_OFFSET: 12
; COMPUTE_PGM_RSRC3_GFX90A:TG_SPLIT: 0
	.section	.text._Z19_skinny_gemm_kernelILi1ELi1ELi4ELi16ELi4EEvPKhS1_P6__halfPKfiiiiiiii,"axG",@progbits,_Z19_skinny_gemm_kernelILi1ELi1ELi4ELi16ELi4EEvPKhS1_P6__halfPKfiiiiiiii,comdat
	.protected	_Z19_skinny_gemm_kernelILi1ELi1ELi4ELi16ELi4EEvPKhS1_P6__halfPKfiiiiiiii ; -- Begin function _Z19_skinny_gemm_kernelILi1ELi1ELi4ELi16ELi4EEvPKhS1_P6__halfPKfiiiiiiii
	.globl	_Z19_skinny_gemm_kernelILi1ELi1ELi4ELi16ELi4EEvPKhS1_P6__halfPKfiiiiiiii
	.p2align	8
	.type	_Z19_skinny_gemm_kernelILi1ELi1ELi4ELi16ELi4EEvPKhS1_P6__halfPKfiiiiiiii,@function
_Z19_skinny_gemm_kernelILi1ELi1ELi4ELi16ELi4EEvPKhS1_P6__halfPKfiiiiiiii: ; @_Z19_skinny_gemm_kernelILi1ELi1ELi4ELi16ELi4EEvPKhS1_P6__halfPKfiiiiiiii
; %bb.0:
	v_cmp_gt_u32_e32 vcc, 8, v0
	v_lshlrev_b32_e32 v1, 2, v0
	s_and_saveexec_b64 s[4:5], vcc
; %bb.1:
	v_mov_b32_e32 v2, 0
	ds_write_b32 v1, v2 offset:16384
; %bb.2:
	s_or_b64 exec, exec, s[4:5]
	s_load_dwordx8 s[12:19], s[0:1], 0x20
	s_waitcnt lgkmcnt(0)
	s_barrier
	s_add_i32 s3, s12, 15
	s_ashr_i32 s5, s3, 31
	s_add_i32 s4, s13, 15
	s_lshr_b32 s5, s5, 28
	s_ashr_i32 s6, s4, 31
	s_add_i32 s3, s3, s5
	s_ashr_i32 s33, s3, 4
	s_lshr_b32 s3, s6, 28
	s_add_i32 s4, s4, s3
	s_ashr_i32 s42, s4, 4
	s_mul_i32 s3, s42, s33
	s_mul_i32 s3, s3, s16
	s_add_i32 s4, s3, 0x12f
	s_mul_hi_i32 s4, s4, 0x6bca1af3
	s_lshr_b32 s5, s4, 31
	s_ashr_i32 s4, s4, 7
	s_add_i32 s4, s4, s5
	s_add_i32 s5, s2, 1
	s_mul_i32 s5, s4, s5
	v_cvt_f64_i32_e32 v[2:3], s3
	v_cvt_f64_u32_e32 v[4:5], s5
	v_min_f64 v[2:3], v[2:3], v[4:5]
	v_cvt_i32_f64_e32 v9, v[2:3]
	s_mul_i32 s43, s4, s2
	v_cmp_ge_i32_e32 vcc, s43, v9
	s_cbranch_vccnz .LBB20_42
; %bb.3:
	v_lshrrev_b32_e32 v2, 6, v0
	s_add_i32 s4, s18, s17
	s_load_dwordx8 s[20:27], s[0:1], 0x0
	v_cmp_le_i32_e64 s[0:1], s4, v2
	v_mov_b32_e32 v3, s17
	v_cmp_le_i32_e64 s[2:3], s17, v2
	v_mov_b32_e32 v4, s18
	v_cndmask_b32_e64 v4, 0, v4, s[0:1]
	v_cndmask_b32_e64 v3, 0, v3, s[2:3]
	s_abs_i32 s5, s16
	v_add_u32_e32 v3, v3, v4
	v_cvt_f32_u32_e32 v4, s5
	v_sub_u32_e32 v18, v2, v3
	s_ashr_i32 s6, s14, 31
	s_lshr_b32 s6, s6, 25
	v_rcp_iflag_f32_e32 v3, v4
	s_sub_i32 s9, 0, s5
	s_add_i32 s6, s14, s6
	s_ashr_i32 s6, s6, 7
	v_mul_f32_e32 v3, 0x4f7ffffe, v3
	v_cvt_u32_f32_e32 v3, v3
	s_abs_i32 s8, s6
	s_xor_b32 s7, s6, s16
	s_ashr_i32 s7, s7, 31
	v_readfirstlane_b32 s10, v3
	s_mul_i32 s9, s9, s10
	s_mul_hi_u32 s9, s10, s9
	s_add_i32 s10, s10, s9
	s_mul_hi_u32 s9, s8, s10
	s_mul_i32 s10, s9, s5
	s_sub_i32 s8, s8, s10
	s_add_i32 s10, s9, 1
	s_sub_i32 s11, s8, s5
	s_cmp_ge_u32 s8, s5
	s_cselect_b32 s9, s10, s9
	s_cselect_b32 s8, s11, s8
	s_add_i32 s10, s9, 1
	s_cmp_ge_u32 s8, s5
	s_cselect_b32 s5, s10, s9
	s_xor_b32 s5, s5, s7
	s_sub_i32 s44, s5, s7
	s_add_i32 s16, s16, -1
	s_mul_i32 s5, s44, s16
	s_add_i32 s4, s4, s19
	s_sub_i32 s45, s6, s5
	v_cmp_gt_i32_e64 s[4:5], s4, v2
	v_lshlrev_b32_e32 v2, 1, v0
	v_lshlrev_b32_e32 v3, 4, v0
	v_and_b32_e32 v1, 60, v1
	v_and_b32_e32 v2, 64, v2
	;; [unrolled: 1-line block ×3, first 2 shown]
	s_abs_i32 s46, s33
	v_or3_b32 v21, v1, v2, v4
	v_and_b32_e32 v1, 1, v0
	v_cvt_f32_u32_e32 v6, s46
	v_lshlrev_b32_e32 v2, 1, v1
	v_lshrrev_b32_e32 v4, 2, v0
	v_and_b32_e32 v8, 14, v0
	v_sub_u32_e32 v2, v0, v2
	v_and_or_b32 v23, v4, 12, v1
	v_bitop3_b32 v24, v0, 1, v0 bitop3:0xc
	v_bitop3_b32 v25, v0, 3, 1 bitop3:0x6c
	v_and_b32_e32 v12, 48, v3
	v_bfe_u32 v1, v0, 2, 4
	v_and_b32_e32 v3, 60, v0
	v_lshlrev_b32_e32 v5, 8, v0
	v_lshlrev_b32_e32 v0, 6, v0
	v_and_b32_e32 v5, 0x200, v5
	v_and_b32_e32 v0, 64, v0
	v_or3_b32 v26, v3, v5, v0
	v_rcp_iflag_f32_e32 v0, v6
	s_abs_i32 s47, s42
	v_mul_lo_u32 v14, s15, v1
	v_mul_lo_u32 v29, s14, v1
	v_cvt_f32_u32_e32 v1, s47
	v_mul_f32_e32 v0, 0x4f7ffffe, v0
	v_cvt_u32_f32_e32 v0, v0
	v_mad_u64_u32 v[10:11], s[6:7], s13, v23, v[8:9]
	v_rcp_iflag_f32_e32 v1, v1
	v_readfirstlane_b32 s7, v0
	s_sub_i32 s6, 0, s46
	s_mul_i32 s6, s6, s7
	v_mul_f32_e32 v0, 0x4f7ffffe, v1
	v_cvt_u32_f32_e32 v0, v0
	s_mul_hi_u32 s6, s7, s6
	v_add_u32_e32 v2, 1, v2
	s_add_i32 s49, s7, s6
	s_sub_i32 s6, 0, s47
	v_readfirstlane_b32 s7, v0
	v_mbcnt_lo_u32_b32 v0, -1, 0
	v_and_b32_e32 v2, 63, v2
	s_mul_i32 s6, s6, s7
	v_mbcnt_hi_u32_b32 v0, -1, v0
	s_mul_hi_u32 s6, s7, s6
	v_and_or_b32 v0, v0, 64, v2
	v_cndmask_b32_e64 v20, 0, 1, s[0:1]
	v_or_b32_e32 v22, 0x2000, v21
	v_ashrrev_i32_e32 v11, 31, v10
	s_ashr_i32 s11, s13, 31
	s_mov_b32 s10, s13
	v_ashrrev_i32_e32 v15, 31, v14
	v_mov_b32_e32 v13, 0
	v_or_b32_e32 v27, 0x2000, v26
	v_bitop3_b32 v28, v4, 15, v4 bitop3:0xc
	s_ashr_i32 s48, s33, 31
	s_ashr_i32 s50, s42, 31
	s_add_i32 s51, s7, s6
	v_lshlrev_b32_e32 v30, 2, v0
	v_mov_b32_e32 v31, v18
	s_branch .LBB20_7
.LBB20_4:                               ;   in Loop: Header=BB20_7 Depth=1
	s_or_b64 exec, exec, s[28:29]
.LBB20_5:                               ;   in Loop: Header=BB20_7 Depth=1
	s_or_b64 exec, exec, s[8:9]
	v_subrev_u32_e32 v31, s52, v31
.LBB20_6:                               ;   in Loop: Header=BB20_7 Depth=1
	s_or_b64 exec, exec, s[6:7]
	s_add_i32 s43, s43, 1
	v_cmp_ge_i32_e32 vcc, s43, v9
	s_cbranch_vccnz .LBB20_42
.LBB20_7:                               ; =>This Loop Header: Depth=1
                                        ;     Child Loop BB20_13 Depth 2
                                        ;       Child Loop BB20_15 Depth 3
                                        ;       Child Loop BB20_18 Depth 3
                                        ;     Child Loop BB20_29 Depth 2
                                        ;       Child Loop BB20_31 Depth 3
                                        ;     Child Loop BB20_39 Depth 2
                                        ;       Child Loop BB20_41 Depth 3
	s_abs_i32 s7, s43
	s_mul_hi_u32 s8, s7, s49
	s_mul_i32 s9, s8, s46
	s_ashr_i32 s6, s43, 31
	s_sub_i32 s7, s7, s9
	s_xor_b32 s6, s6, s48
	s_add_i32 s9, s8, 1
	s_sub_i32 s28, s7, s46
	s_cmp_ge_u32 s7, s46
	s_cselect_b32 s8, s9, s8
	s_cselect_b32 s7, s28, s7
	s_add_i32 s9, s8, 1
	s_cmp_ge_u32 s7, s46
	s_cselect_b32 s7, s9, s8
	s_xor_b32 s7, s7, s6
	s_sub_i32 s6, s7, s6
	s_abs_i32 s8, s6
	s_mul_i32 s7, s6, s33
	s_mul_hi_u32 s9, s8, s51
	s_sub_i32 s7, s43, s7
	s_mul_i32 s28, s9, s47
	s_lshl_b32 s53, s7, 4
	s_ashr_i32 s7, s6, 31
	s_sub_i32 s8, s8, s28
	s_xor_b32 s7, s7, s50
	s_add_i32 s28, s9, 1
	s_sub_i32 s29, s8, s47
	s_cmp_ge_u32 s8, s47
	s_cselect_b32 s9, s28, s9
	s_cselect_b32 s8, s29, s8
	s_add_i32 s28, s9, 1
	s_cmp_ge_u32 s8, s47
	s_cselect_b32 s8, s28, s9
	s_xor_b32 s8, s8, s7
	s_sub_i32 s7, s8, s7
	s_mul_i32 s8, s7, s44
	s_lshl_b32 s54, s8, 7
	s_cmp_eq_u32 s7, s16
	s_cselect_b32 s52, s45, s44
	s_sub_i32 s55, s53, s12
	s_add_i32 s55, s55, 16
	s_and_saveexec_b64 s[8:9], s[2:3]
	s_xor_b64 s[28:29], exec, s[8:9]
	s_cbranch_execz .LBB20_35
; %bb.8:                                ;   in Loop: Header=BB20_7 Depth=1
	s_mul_i32 s7, s7, s42
	s_sub_i32 s6, s6, s7
	s_lshl_b32 s6, s6, 4
	s_sub_i32 s31, s6, s13
	s_add_i32 s31, s31, 16
	s_max_i32 s7, s31, 0
	s_sub_i32 s30, s6, s7
	s_and_saveexec_b64 s[6:7], s[0:1]
	s_xor_b64 s[34:35], exec, s[6:7]
	s_cbranch_execz .LBB20_25
; %bb.9:                                ;   in Loop: Header=BB20_7 Depth=1
	s_and_saveexec_b64 s[36:37], s[4:5]
	s_cbranch_execz .LBB20_24
; %bb.10:                               ;   in Loop: Header=BB20_7 Depth=1
	s_waitcnt lgkmcnt(0)
	global_load_dword v32, v13, s[26:27]
	v_mov_b32_e32 v3, 0
	v_cmp_gt_i32_e32 vcc, s52, v31
	v_mov_b32_e32 v2, v3
	v_mov_b32_e32 v1, v3
	;; [unrolled: 1-line block ×3, first 2 shown]
	s_and_saveexec_b64 s[6:7], vcc
	s_cbranch_execz .LBB20_20
; %bb.11:                               ;   in Loop: Header=BB20_7 Depth=1
	v_mov_b32_e32 v0, 0
	s_mov_b64 s[8:9], 0
	v_mov_b32_e32 v1, v0
	v_mov_b32_e32 v2, v0
	;; [unrolled: 1-line block ×3, first 2 shown]
	s_branch .LBB20_13
.LBB20_12:                              ;   in Loop: Header=BB20_13 Depth=2
	s_or_b64 exec, exec, s[38:39]
	v_add_u32_e32 v40, v21, v36
	ds_read2_b32 v[36:37], v40 offset1:32
	ds_read2_b32 v[38:39], v40 offset0:128 offset1:160
	v_add_u32_e32 v40, 0x400, v40
	v_add_u32_e32 v31, s19, v31
	v_cmp_le_i32_e32 vcc, s52, v31
	s_waitcnt lgkmcnt(1)
	v_mfma_f32_16x16x32_fp8_fp8 v[0:3], v[36:37], v[16:17], v[0:3]
	ds_read2_b32 v[16:17], v40 offset1:32
	ds_read2_b32 v[36:37], v40 offset0:128 offset1:160
	s_or_b64 s[8:9], vcc, s[8:9]
	s_waitcnt lgkmcnt(2)
	v_mfma_f32_16x16x32_fp8_fp8 v[0:3], v[38:39], v[18:19], v[0:3]
	v_add_u32_e32 v18, s19, v34
	v_add_u32_e32 v19, 2, v20
	v_cmp_lt_i32_e32 vcc, 3, v18
	;;#ASMSTART
	s_waitcnt lgkmcnt(0)
	;;#ASMEND
	s_waitcnt lgkmcnt(1)
	v_mfma_f32_16x16x32_fp8_fp8 v[0:3], v[16:17], v[6:7], v[0:3]
	v_cndmask_b32_e32 v20, v20, v19, vcc
	ds_write_b32 v33, v35
	s_waitcnt lgkmcnt(1)
	v_mfma_f32_16x16x32_fp8_fp8 v[0:3], v[36:37], v[4:5], v[0:3]
	s_andn2_b64 exec, exec, s[8:9]
	s_cbranch_execz .LBB20_19
.LBB20_13:                              ;   Parent Loop BB20_7 Depth=1
                                        ; =>  This Loop Header: Depth=2
                                        ;       Child Loop BB20_15 Depth 3
                                        ;       Child Loop BB20_18 Depth 3
	v_cmp_gt_i32_e32 vcc, 4, v18
	s_nop 1
	v_cndmask_b32_e64 v4, -4, 0, vcc
	v_add_u32_e32 v34, v4, v18
	v_lshlrev_b32_e32 v4, 2, v34
	ds_read_b32 v5, v4 offset:16400
	v_add_u32_e32 v33, 0x4000, v4
	s_waitcnt lgkmcnt(0)
	v_cmp_ne_u32_e32 vcc, v5, v20
	s_and_saveexec_b64 s[38:39], vcc
	s_cbranch_execz .LBB20_16
; %bb.14:                               ;   in Loop: Header=BB20_13 Depth=2
	s_mov_b64 s[40:41], 0
.LBB20_15:                              ;   Parent Loop BB20_7 Depth=1
                                        ;     Parent Loop BB20_13 Depth=2
                                        ; =>    This Inner Loop Header: Depth=3
	;;#ASMSTART
	s_sleep 0
	;;#ASMEND
	ds_read_b32 v4, v33 offset:16
	s_waitcnt lgkmcnt(0)
	v_cmp_eq_u32_e32 vcc, v4, v20
	s_or_b64 s[40:41], vcc, s[40:41]
	s_andn2_b64 exec, exec, s[40:41]
	s_cbranch_execnz .LBB20_15
.LBB20_16:                              ;   in Loop: Header=BB20_13 Depth=2
	s_or_b64 exec, exec, s[38:39]
	v_lshlrev_b32_e32 v36, 11, v34
	v_add_u32_e32 v4, v22, v36
	ds_read2_b32 v[16:17], v4 offset1:32
	ds_read2_b32 v[18:19], v4 offset0:128 offset1:160
	v_add_u32_e32 v4, 0x400, v4
	ds_read2_b32 v[6:7], v4 offset1:32
	ds_read2_b32 v[4:5], v4 offset0:128 offset1:160
	;;#ASMSTART
	s_waitcnt lgkmcnt(0)
	;;#ASMEND
	ds_read_b32 v37, v33
	v_add_u32_e32 v35, 1, v20
	ds_write_b32 v33, v35 offset:16
	s_waitcnt lgkmcnt(1)
	v_cmp_ne_u32_e32 vcc, v37, v20
	s_and_saveexec_b64 s[38:39], vcc
	s_cbranch_execz .LBB20_12
; %bb.17:                               ;   in Loop: Header=BB20_13 Depth=2
	s_mov_b64 s[40:41], 0
.LBB20_18:                              ;   Parent Loop BB20_7 Depth=1
                                        ;     Parent Loop BB20_13 Depth=2
                                        ; =>    This Inner Loop Header: Depth=3
	;;#ASMSTART
	s_sleep 0
	;;#ASMEND
	ds_read_b32 v37, v33
	s_waitcnt lgkmcnt(0)
	v_cmp_eq_u32_e32 vcc, v37, v20
	s_or_b64 s[40:41], vcc, s[40:41]
	s_andn2_b64 exec, exec, s[40:41]
	s_cbranch_execnz .LBB20_18
	s_branch .LBB20_12
.LBB20_19:                              ;   in Loop: Header=BB20_7 Depth=1
	s_or_b64 exec, exec, s[8:9]
.LBB20_20:                              ;   in Loop: Header=BB20_7 Depth=1
	s_or_b64 exec, exec, s[6:7]
	v_cmp_le_i32_e32 vcc, s31, v8
	v_cmp_eq_u32_e64 s[6:7], 3, v24
	s_waitcnt vmcnt(0)
	v_cndmask_b32_e32 v4, 0, v32, vcc
	v_pk_mul_f32 v[6:7], v[4:5], v[2:3] op_sel_hi:[0,1]
	v_pk_mul_f32 v[4:5], v[4:5], v[0:1] op_sel_hi:[0,1]
	v_cmp_eq_u32_e32 vcc, 1, v24
	s_nop 1
	v_cndmask_b32_e32 v0, v4, v5, vcc
	v_cmp_eq_u32_e32 vcc, 2, v24
	s_nop 1
	v_cndmask_b32_e32 v0, v0, v6, vcc
	v_cndmask_b32_e64 v0, v0, v7, s[6:7]
	ds_bpermute_b32 v1, v30, v0
	s_waitcnt lgkmcnt(0)
	v_cndmask_b32_e32 v3, v6, v1, vcc
	v_cmp_ne_u32_e32 vcc, 0, v24
	v_cndmask_b32_e64 v2, v7, v1, s[6:7]
	s_max_i32 s6, s55, 0
	v_cndmask_b32_e32 v0, v5, v1, vcc
	v_cmp_eq_u32_e32 vcc, 0, v24
	v_add_u32_e32 v5, s6, v23
	s_nop 0
	v_cndmask_b32_e32 v1, v4, v1, vcc
	v_cmp_eq_u32_e32 vcc, 1, v25
	s_nop 1
	v_cndmask_b32_e32 v4, v1, v0, vcc
	v_cmp_eq_u32_e32 vcc, 2, v25
	;; [unrolled: 3-line block ×3, first 2 shown]
	s_nop 1
	v_cndmask_b32_e32 v4, v4, v2, vcc
	ds_bpermute_b32 v4, v30, v4
	v_cmp_gt_u32_e32 vcc, 16, v5
	s_and_saveexec_b64 s[38:39], vcc
	s_cbranch_execz .LBB20_23
; %bb.21:                               ;   in Loop: Header=BB20_7 Depth=1
	v_cmp_eq_u32_e64 s[8:9], 1, v25
	v_cmp_eq_u32_e32 vcc, 3, v25
	v_cmp_eq_u32_e64 s[6:7], 2, v25
	s_waitcnt lgkmcnt(0)
	v_cndmask_b32_e64 v0, v0, v4, s[8:9]
	v_cmp_eq_u32_e64 s[8:9], 0, v25
	v_cvt_f16_f32_sdwa v7, v0 dst_sel:WORD_1 dst_unused:UNUSED_PAD src0_sel:DWORD
	s_nop 0
	v_cndmask_b32_e64 v1, v1, v4, s[8:9]
	s_mul_i32 s8, s53, s13
	s_ashr_i32 s9, s8, 31
	s_lshl_b64 s[8:9], s[8:9], 1
	s_add_u32 s40, s24, s8
	s_addc_u32 s41, s25, s9
	s_ashr_i32 s31, s30, 31
	s_lshl_b64 s[8:9], s[30:31], 1
	v_cvt_f16_f32_e32 v6, v1
	s_add_u32 s8, s40, s8
	s_addc_u32 s9, s41, s9
	v_lshl_add_u64 v[0:1], v[10:11], 1, s[8:9]
	v_cmp_gt_u32_e64 s[8:9], 14, v5
	v_or_b32_e32 v6, v7, v6
	;;#ASMSTART
	global_atomic_pk_add_f16 v[0:1], v6, off
	
	;;#ASMEND
	s_and_b64 exec, exec, s[8:9]
	s_cbranch_execz .LBB20_23
; %bb.22:                               ;   in Loop: Header=BB20_7 Depth=1
	v_cndmask_b32_e32 v2, v2, v4, vcc
	v_cndmask_b32_e64 v3, v3, v4, s[6:7]
	v_cvt_f16_f32_e32 v3, v3
	v_cvt_f16_f32_sdwa v2, v2 dst_sel:WORD_1 dst_unused:UNUSED_PAD src0_sel:DWORD
	v_lshl_add_u64 v[0:1], s[10:11], 2, v[0:1]
	v_or_b32_e32 v2, v2, v3
	;;#ASMSTART
	global_atomic_pk_add_f16 v[0:1], v2, off
	
	;;#ASMEND
.LBB20_23:                              ;   in Loop: Header=BB20_7 Depth=1
	s_or_b64 exec, exec, s[38:39]
	v_subrev_u32_e32 v31, s52, v31
.LBB20_24:                              ;   in Loop: Header=BB20_7 Depth=1
	s_or_b64 exec, exec, s[36:37]
.LBB20_25:                              ;   in Loop: Header=BB20_7 Depth=1
	s_andn2_saveexec_b64 s[6:7], s[34:35]
	s_cbranch_execz .LBB20_34
; %bb.26:                               ;   in Loop: Header=BB20_7 Depth=1
	v_cmp_gt_i32_e32 vcc, s52, v31
	s_and_saveexec_b64 s[8:9], vcc
	s_cbranch_execz .LBB20_33
; %bb.27:                               ;   in Loop: Header=BB20_7 Depth=1
	s_mul_i32 s30, s30, s15
	s_ashr_i32 s31, s30, 31
	s_waitcnt lgkmcnt(0)
	s_add_u32 s30, s22, s30
	s_addc_u32 s31, s23, s31
	s_ashr_i32 s34, s54, 31
	s_add_u32 s30, s30, s54
	s_addc_u32 s31, s31, s34
	v_lshl_add_u64 v[0:1], s[30:31], 0, v[14:15]
	v_lshl_add_u64 v[16:17], v[0:1], 0, v[12:13]
	s_mov_b64 s[30:31], 0
	s_branch .LBB20_29
.LBB20_28:                              ;   in Loop: Header=BB20_29 Depth=2
	s_or_b64 exec, exec, s[34:35]
	v_lshl_add_u32 v32, v18, 11, v27
	;;#ASMSTART
	s_waitcnt vmcnt(1)
	;;#ASMEND
	ds_write2_b32 v32, v4, v5 offset1:32
	ds_write2_b32 v32, v6, v7 offset0:64 offset1:96
	v_add_u32_e32 v4, 0x400, v32
	v_add_u32_e32 v31, s18, v31
	;;#ASMSTART
	s_waitcnt vmcnt(0)
	;;#ASMEND
	ds_write2_b32 v4, v0, v1 offset1:32
	ds_write2_b32 v4, v2, v3 offset0:64 offset1:96
	v_add_u32_e32 v0, 1, v20
	v_add_u32_e32 v18, s18, v18
	v_cmp_le_i32_e32 vcc, s52, v31
	ds_write_b32 v19, v0 offset:16
	v_add_u32_e32 v0, 2, v20
	s_or_b64 s[30:31], vcc, s[30:31]
	v_cmp_lt_i32_e32 vcc, 3, v18
	s_nop 1
	v_cndmask_b32_e32 v20, v20, v0, vcc
	s_andn2_b64 exec, exec, s[30:31]
	s_cbranch_execz .LBB20_32
.LBB20_29:                              ;   Parent Loop BB20_7 Depth=1
                                        ; =>  This Loop Header: Depth=2
                                        ;       Child Loop BB20_31 Depth 3
	v_cmp_gt_i32_e32 vcc, 4, v18
	s_nop 1
	v_cndmask_b32_e64 v0, -4, 0, vcc
	v_add_u32_e32 v18, v0, v18
	v_lshlrev_b32_e32 v0, 7, v31
	v_ashrrev_i32_e32 v1, 31, v0
	v_lshl_add_u64 v[0:1], v[16:17], 0, v[0:1]
	v_lshlrev_b32_e32 v19, 2, v18
	;;#ASMSTART
	global_load_dwordx4 v[4:7], v[0:1], off offset:0   sc0 sc1 nt  
	global_load_dwordx4 v[0:3], v[0:1], off offset:64  sc0 sc1 nt  
	
	;;#ASMEND
	ds_read_b32 v32, v19 offset:16400
	v_add_u32_e32 v19, 0x4000, v19
	s_waitcnt lgkmcnt(0)
	v_cmp_ne_u32_e32 vcc, v32, v20
	s_and_saveexec_b64 s[34:35], vcc
	s_cbranch_execz .LBB20_28
; %bb.30:                               ;   in Loop: Header=BB20_29 Depth=2
	s_mov_b64 s[36:37], 0
.LBB20_31:                              ;   Parent Loop BB20_7 Depth=1
                                        ;     Parent Loop BB20_29 Depth=2
                                        ; =>    This Inner Loop Header: Depth=3
	;;#ASMSTART
	s_sleep 0
	;;#ASMEND
	ds_read_b32 v32, v19 offset:16
	s_waitcnt lgkmcnt(0)
	v_cmp_eq_u32_e32 vcc, v32, v20
	s_or_b64 s[36:37], vcc, s[36:37]
	s_andn2_b64 exec, exec, s[36:37]
	s_cbranch_execnz .LBB20_31
	s_branch .LBB20_28
.LBB20_32:                              ;   in Loop: Header=BB20_7 Depth=1
	s_or_b64 exec, exec, s[30:31]
.LBB20_33:                              ;   in Loop: Header=BB20_7 Depth=1
	s_or_b64 exec, exec, s[8:9]
	v_subrev_u32_e32 v31, s52, v31
.LBB20_34:                              ;   in Loop: Header=BB20_7 Depth=1
	s_or_b64 exec, exec, s[6:7]
.LBB20_35:                              ;   in Loop: Header=BB20_7 Depth=1
	s_andn2_saveexec_b64 s[6:7], s[28:29]
	s_cbranch_execz .LBB20_6
; %bb.36:                               ;   in Loop: Header=BB20_7 Depth=1
	v_cmp_gt_i32_e32 vcc, s52, v31
	s_and_saveexec_b64 s[8:9], vcc
	s_cbranch_execz .LBB20_5
; %bb.37:                               ;   in Loop: Header=BB20_7 Depth=1
	s_mul_i32 s53, s53, s14
	s_ashr_i32 s28, s53, 31
	s_waitcnt lgkmcnt(0)
	s_add_u32 s29, s20, s53
	s_addc_u32 s30, s21, s28
	s_ashr_i32 s31, s54, 31
	v_cmp_le_i32_e32 vcc, s55, v28
	s_add_u32 s28, s29, s54
	s_addc_u32 s29, s30, s31
	v_cndmask_b32_e32 v0, 0, v29, vcc
	v_ashrrev_i32_e32 v1, 31, v0
	v_lshl_add_u64 v[0:1], s[28:29], 0, v[0:1]
	v_lshl_add_u64 v[16:17], v[0:1], 0, v[12:13]
	s_mov_b64 s[28:29], 0
	s_branch .LBB20_39
.LBB20_38:                              ;   in Loop: Header=BB20_39 Depth=2
	s_or_b64 exec, exec, s[30:31]
	v_lshl_or_b32 v32, v18, 11, v26
	;;#ASMSTART
	s_waitcnt vmcnt(1)
	;;#ASMEND
	ds_write2_b32 v32, v4, v5 offset1:32
	ds_write2_b32 v32, v6, v7 offset0:64 offset1:96
	v_add_u32_e32 v4, 0x400, v32
	v_add_u32_e32 v31, s17, v31
	;;#ASMSTART
	s_waitcnt vmcnt(0)
	;;#ASMEND
	ds_write2_b32 v4, v0, v1 offset1:32
	ds_write2_b32 v4, v2, v3 offset0:64 offset1:96
	v_add_u32_e32 v0, 1, v20
	v_add_u32_e32 v18, s17, v18
	v_cmp_le_i32_e32 vcc, s52, v31
	ds_write_b32 v19, v0
	v_add_u32_e32 v0, 2, v20
	s_or_b64 s[28:29], vcc, s[28:29]
	v_cmp_lt_i32_e32 vcc, 3, v18
	s_nop 1
	v_cndmask_b32_e32 v20, v20, v0, vcc
	s_andn2_b64 exec, exec, s[28:29]
	s_cbranch_execz .LBB20_4
.LBB20_39:                              ;   Parent Loop BB20_7 Depth=1
                                        ; =>  This Loop Header: Depth=2
                                        ;       Child Loop BB20_41 Depth 3
	v_cmp_gt_i32_e32 vcc, 4, v18
	s_nop 1
	v_cndmask_b32_e64 v0, -4, 0, vcc
	v_add_u32_e32 v18, v0, v18
	v_lshlrev_b32_e32 v0, 7, v31
	v_ashrrev_i32_e32 v1, 31, v0
	v_lshl_add_u64 v[0:1], v[16:17], 0, v[0:1]
	v_lshlrev_b32_e32 v19, 2, v18
	;;#ASMSTART
	global_load_dwordx4 v[4:7], v[0:1], off offset:0   
	global_load_dwordx4 v[0:3], v[0:1], off offset:64  
	
	;;#ASMEND
	ds_read_b32 v32, v19 offset:16384
	v_add_u32_e32 v19, 0x4000, v19
	s_waitcnt lgkmcnt(0)
	v_cmp_ne_u32_e32 vcc, v32, v20
	s_and_saveexec_b64 s[30:31], vcc
	s_cbranch_execz .LBB20_38
; %bb.40:                               ;   in Loop: Header=BB20_39 Depth=2
	s_mov_b64 s[34:35], 0
.LBB20_41:                              ;   Parent Loop BB20_7 Depth=1
                                        ;     Parent Loop BB20_39 Depth=2
                                        ; =>    This Inner Loop Header: Depth=3
	;;#ASMSTART
	s_sleep 0
	;;#ASMEND
	ds_read_b32 v32, v19
	s_waitcnt lgkmcnt(0)
	v_cmp_eq_u32_e32 vcc, v32, v20
	s_or_b64 s[34:35], vcc, s[34:35]
	s_andn2_b64 exec, exec, s[34:35]
	s_cbranch_execnz .LBB20_41
	s_branch .LBB20_38
.LBB20_42:
	s_endpgm
	.section	.rodata,"a",@progbits
	.p2align	6, 0x0
	.amdhsa_kernel _Z19_skinny_gemm_kernelILi1ELi1ELi4ELi16ELi4EEvPKhS1_P6__halfPKfiiiiiiii
		.amdhsa_group_segment_fixed_size 16416
		.amdhsa_private_segment_fixed_size 0
		.amdhsa_kernarg_size 64
		.amdhsa_user_sgpr_count 2
		.amdhsa_user_sgpr_dispatch_ptr 0
		.amdhsa_user_sgpr_queue_ptr 0
		.amdhsa_user_sgpr_kernarg_segment_ptr 1
		.amdhsa_user_sgpr_dispatch_id 0
		.amdhsa_user_sgpr_kernarg_preload_length 0
		.amdhsa_user_sgpr_kernarg_preload_offset 0
		.amdhsa_user_sgpr_private_segment_size 0
		.amdhsa_uses_dynamic_stack 0
		.amdhsa_enable_private_segment 0
		.amdhsa_system_sgpr_workgroup_id_x 1
		.amdhsa_system_sgpr_workgroup_id_y 0
		.amdhsa_system_sgpr_workgroup_id_z 0
		.amdhsa_system_sgpr_workgroup_info 0
		.amdhsa_system_vgpr_workitem_id 0
		.amdhsa_next_free_vgpr 41
		.amdhsa_next_free_sgpr 56
		.amdhsa_accum_offset 44
		.amdhsa_reserve_vcc 1
		.amdhsa_float_round_mode_32 0
		.amdhsa_float_round_mode_16_64 0
		.amdhsa_float_denorm_mode_32 3
		.amdhsa_float_denorm_mode_16_64 3
		.amdhsa_dx10_clamp 1
		.amdhsa_ieee_mode 1
		.amdhsa_fp16_overflow 0
		.amdhsa_tg_split 0
		.amdhsa_exception_fp_ieee_invalid_op 0
		.amdhsa_exception_fp_denorm_src 0
		.amdhsa_exception_fp_ieee_div_zero 0
		.amdhsa_exception_fp_ieee_overflow 0
		.amdhsa_exception_fp_ieee_underflow 0
		.amdhsa_exception_fp_ieee_inexact 0
		.amdhsa_exception_int_div_zero 0
	.end_amdhsa_kernel
	.section	.text._Z19_skinny_gemm_kernelILi1ELi1ELi4ELi16ELi4EEvPKhS1_P6__halfPKfiiiiiiii,"axG",@progbits,_Z19_skinny_gemm_kernelILi1ELi1ELi4ELi16ELi4EEvPKhS1_P6__halfPKfiiiiiiii,comdat
.Lfunc_end20:
	.size	_Z19_skinny_gemm_kernelILi1ELi1ELi4ELi16ELi4EEvPKhS1_P6__halfPKfiiiiiiii, .Lfunc_end20-_Z19_skinny_gemm_kernelILi1ELi1ELi4ELi16ELi4EEvPKhS1_P6__halfPKfiiiiiiii
                                        ; -- End function
	.set _Z19_skinny_gemm_kernelILi1ELi1ELi4ELi16ELi4EEvPKhS1_P6__halfPKfiiiiiiii.num_vgpr, 41
	.set _Z19_skinny_gemm_kernelILi1ELi1ELi4ELi16ELi4EEvPKhS1_P6__halfPKfiiiiiiii.num_agpr, 0
	.set _Z19_skinny_gemm_kernelILi1ELi1ELi4ELi16ELi4EEvPKhS1_P6__halfPKfiiiiiiii.numbered_sgpr, 56
	.set _Z19_skinny_gemm_kernelILi1ELi1ELi4ELi16ELi4EEvPKhS1_P6__halfPKfiiiiiiii.num_named_barrier, 0
	.set _Z19_skinny_gemm_kernelILi1ELi1ELi4ELi16ELi4EEvPKhS1_P6__halfPKfiiiiiiii.private_seg_size, 0
	.set _Z19_skinny_gemm_kernelILi1ELi1ELi4ELi16ELi4EEvPKhS1_P6__halfPKfiiiiiiii.uses_vcc, 1
	.set _Z19_skinny_gemm_kernelILi1ELi1ELi4ELi16ELi4EEvPKhS1_P6__halfPKfiiiiiiii.uses_flat_scratch, 0
	.set _Z19_skinny_gemm_kernelILi1ELi1ELi4ELi16ELi4EEvPKhS1_P6__halfPKfiiiiiiii.has_dyn_sized_stack, 0
	.set _Z19_skinny_gemm_kernelILi1ELi1ELi4ELi16ELi4EEvPKhS1_P6__halfPKfiiiiiiii.has_recursion, 0
	.set _Z19_skinny_gemm_kernelILi1ELi1ELi4ELi16ELi4EEvPKhS1_P6__halfPKfiiiiiiii.has_indirect_call, 0
	.section	.AMDGPU.csdata,"",@progbits
; Kernel info:
; codeLenInByte = 2600
; TotalNumSgprs: 62
; NumVgprs: 41
; NumAgprs: 0
; TotalNumVgprs: 41
; ScratchSize: 0
; MemoryBound: 0
; FloatMode: 240
; IeeeMode: 1
; LDSByteSize: 16416 bytes/workgroup (compile time only)
; SGPRBlocks: 7
; VGPRBlocks: 5
; NumSGPRsForWavesPerEU: 62
; NumVGPRsForWavesPerEU: 41
; AccumOffset: 44
; Occupancy: 8
; WaveLimiterHint : 0
; COMPUTE_PGM_RSRC2:SCRATCH_EN: 0
; COMPUTE_PGM_RSRC2:USER_SGPR: 2
; COMPUTE_PGM_RSRC2:TRAP_HANDLER: 0
; COMPUTE_PGM_RSRC2:TGID_X_EN: 1
; COMPUTE_PGM_RSRC2:TGID_Y_EN: 0
; COMPUTE_PGM_RSRC2:TGID_Z_EN: 0
; COMPUTE_PGM_RSRC2:TIDIG_COMP_CNT: 0
; COMPUTE_PGM_RSRC3_GFX90A:ACCUM_OFFSET: 10
; COMPUTE_PGM_RSRC3_GFX90A:TG_SPLIT: 0
	.section	.text._Z19_skinny_gemm_kernelILi1ELi1ELi4ELi16ELi8EEvPKhS1_P6__halfPKfiiiiiiii,"axG",@progbits,_Z19_skinny_gemm_kernelILi1ELi1ELi4ELi16ELi8EEvPKhS1_P6__halfPKfiiiiiiii,comdat
	.protected	_Z19_skinny_gemm_kernelILi1ELi1ELi4ELi16ELi8EEvPKhS1_P6__halfPKfiiiiiiii ; -- Begin function _Z19_skinny_gemm_kernelILi1ELi1ELi4ELi16ELi8EEvPKhS1_P6__halfPKfiiiiiiii
	.globl	_Z19_skinny_gemm_kernelILi1ELi1ELi4ELi16ELi8EEvPKhS1_P6__halfPKfiiiiiiii
	.p2align	8
	.type	_Z19_skinny_gemm_kernelILi1ELi1ELi4ELi16ELi8EEvPKhS1_P6__halfPKfiiiiiiii,@function
_Z19_skinny_gemm_kernelILi1ELi1ELi4ELi16ELi8EEvPKhS1_P6__halfPKfiiiiiiii: ; @_Z19_skinny_gemm_kernelILi1ELi1ELi4ELi16ELi8EEvPKhS1_P6__halfPKfiiiiiiii
; %bb.0:
	v_cmp_gt_u32_e32 vcc, 8, v0
	v_lshlrev_b32_e32 v1, 2, v0
	s_and_saveexec_b64 s[4:5], vcc
; %bb.1:
	v_mov_b32_e32 v2, 0
	ds_write_b32 v1, v2 offset:32768
; %bb.2:
	s_or_b64 exec, exec, s[4:5]
	s_load_dwordx8 s[12:19], s[0:1], 0x20
	s_waitcnt lgkmcnt(0)
	s_barrier
	s_add_i32 s3, s12, 15
	s_ashr_i32 s5, s3, 31
	s_add_i32 s4, s13, 15
	s_lshr_b32 s5, s5, 28
	s_ashr_i32 s6, s4, 31
	s_add_i32 s3, s3, s5
	s_ashr_i32 s33, s3, 4
	s_lshr_b32 s3, s6, 28
	s_add_i32 s4, s4, s3
	s_ashr_i32 s42, s4, 4
	s_mul_i32 s3, s42, s33
	s_mul_i32 s3, s3, s16
	s_add_i32 s4, s3, 0x12f
	s_mul_hi_i32 s4, s4, 0x6bca1af3
	s_lshr_b32 s5, s4, 31
	s_ashr_i32 s4, s4, 7
	s_add_i32 s4, s4, s5
	s_add_i32 s5, s2, 1
	s_mul_i32 s5, s4, s5
	v_cvt_f64_i32_e32 v[2:3], s3
	v_cvt_f64_u32_e32 v[4:5], s5
	v_min_f64 v[2:3], v[2:3], v[4:5]
	v_cvt_i32_f64_e32 v17, v[2:3]
	s_mul_i32 s43, s4, s2
	v_cmp_ge_i32_e32 vcc, s43, v17
	s_cbranch_vccnz .LBB21_42
; %bb.3:
	v_lshrrev_b32_e32 v2, 6, v0
	s_add_i32 s4, s18, s17
	s_load_dwordx8 s[20:27], s[0:1], 0x0
	v_cmp_le_i32_e64 s[0:1], s4, v2
	v_mov_b32_e32 v3, s17
	v_cmp_le_i32_e64 s[2:3], s17, v2
	v_mov_b32_e32 v4, s18
	v_cndmask_b32_e64 v4, 0, v4, s[0:1]
	v_cndmask_b32_e64 v3, 0, v3, s[2:3]
	s_abs_i32 s5, s16
	v_add_u32_e32 v3, v3, v4
	v_cvt_f32_u32_e32 v4, s5
	v_sub_u32_e32 v6, v2, v3
	s_ashr_i32 s6, s14, 31
	s_lshr_b32 s6, s6, 24
	v_rcp_iflag_f32_e32 v3, v4
	s_sub_i32 s9, 0, s5
	s_add_i32 s6, s14, s6
	s_ashr_i32 s6, s6, 8
	v_mul_f32_e32 v3, 0x4f7ffffe, v3
	v_cvt_u32_f32_e32 v3, v3
	s_abs_i32 s8, s6
	s_xor_b32 s7, s6, s16
	s_ashr_i32 s7, s7, 31
	v_readfirstlane_b32 s10, v3
	s_mul_i32 s9, s9, s10
	s_mul_hi_u32 s9, s10, s9
	s_add_i32 s10, s10, s9
	s_mul_hi_u32 s9, s8, s10
	s_mul_i32 s10, s9, s5
	s_sub_i32 s8, s8, s10
	s_add_i32 s10, s9, 1
	s_sub_i32 s11, s8, s5
	s_cmp_ge_u32 s8, s5
	s_cselect_b32 s9, s10, s9
	s_cselect_b32 s8, s11, s8
	s_add_i32 s10, s9, 1
	s_cmp_ge_u32 s8, s5
	s_cselect_b32 s5, s10, s9
	s_xor_b32 s5, s5, s7
	s_sub_i32 s44, s5, s7
	s_add_i32 s16, s16, -1
	s_mul_i32 s5, s44, s16
	s_add_i32 s4, s4, s19
	s_sub_i32 s45, s6, s5
	v_cmp_gt_i32_e64 s[4:5], s4, v2
	v_lshlrev_b32_e32 v2, 1, v0
	v_lshlrev_b32_e32 v3, 4, v0
	v_and_b32_e32 v1, 60, v1
	v_and_b32_e32 v2, 64, v2
	;; [unrolled: 1-line block ×3, first 2 shown]
	s_abs_i32 s46, s33
	v_or3_b32 v29, v1, v2, v4
	v_and_b32_e32 v1, 1, v0
	v_cvt_f32_u32_e32 v7, s46
	v_lshlrev_b32_e32 v2, 1, v1
	v_lshrrev_b32_e32 v4, 2, v0
	v_and_b32_e32 v16, 14, v0
	v_sub_u32_e32 v2, v0, v2
	v_and_or_b32 v31, v4, 12, v1
	v_bitop3_b32 v32, v0, 1, v0 bitop3:0xc
	v_bitop3_b32 v33, v0, 3, 1 bitop3:0x6c
	v_and_b32_e32 v20, 48, v3
	v_bfe_u32 v1, v0, 2, 4
	v_and_b32_e32 v3, 60, v0
	v_lshlrev_b32_e32 v5, 8, v0
	v_lshlrev_b32_e32 v0, 6, v0
	v_and_b32_e32 v5, 0x200, v5
	v_and_b32_e32 v0, 64, v0
	v_or3_b32 v34, v3, v5, v0
	v_rcp_iflag_f32_e32 v0, v7
	s_abs_i32 s47, s42
	v_mul_lo_u32 v22, s15, v1
	v_mul_lo_u32 v37, s14, v1
	v_cvt_f32_u32_e32 v1, s47
	v_mul_f32_e32 v0, 0x4f7ffffe, v0
	v_cvt_u32_f32_e32 v0, v0
	v_mad_u64_u32 v[18:19], s[6:7], s13, v31, v[16:17]
	v_rcp_iflag_f32_e32 v1, v1
	v_readfirstlane_b32 s7, v0
	s_sub_i32 s6, 0, s46
	s_mul_i32 s6, s6, s7
	v_mul_f32_e32 v0, 0x4f7ffffe, v1
	v_cvt_u32_f32_e32 v0, v0
	s_mul_hi_u32 s6, s7, s6
	v_add_u32_e32 v2, 1, v2
	s_add_i32 s49, s7, s6
	s_sub_i32 s6, 0, s47
	v_readfirstlane_b32 s7, v0
	v_mbcnt_lo_u32_b32 v0, -1, 0
	v_and_b32_e32 v2, 63, v2
	s_mul_i32 s6, s6, s7
	v_mbcnt_hi_u32_b32 v0, -1, v0
	s_mul_hi_u32 s6, s7, s6
	v_and_or_b32 v0, v0, 64, v2
	v_cndmask_b32_e64 v28, 0, 1, s[0:1]
	v_or_b32_e32 v30, 0x4000, v29
	v_ashrrev_i32_e32 v19, 31, v18
	s_ashr_i32 s11, s13, 31
	s_mov_b32 s10, s13
	v_ashrrev_i32_e32 v23, 31, v22
	v_mov_b32_e32 v21, 0
	v_or_b32_e32 v35, 0x4000, v34
	v_bitop3_b32 v36, v4, 15, v4 bitop3:0xc
	s_ashr_i32 s48, s33, 31
	s_ashr_i32 s50, s42, 31
	s_add_i32 s51, s7, s6
	v_lshlrev_b32_e32 v38, 2, v0
	v_mov_b32_e32 v39, v6
	s_branch .LBB21_7
.LBB21_4:                               ;   in Loop: Header=BB21_7 Depth=1
	s_or_b64 exec, exec, s[28:29]
.LBB21_5:                               ;   in Loop: Header=BB21_7 Depth=1
	s_or_b64 exec, exec, s[8:9]
	v_subrev_u32_e32 v39, s52, v39
.LBB21_6:                               ;   in Loop: Header=BB21_7 Depth=1
	s_or_b64 exec, exec, s[6:7]
	s_add_i32 s43, s43, 1
	v_cmp_ge_i32_e32 vcc, s43, v17
	s_cbranch_vccnz .LBB21_42
.LBB21_7:                               ; =>This Loop Header: Depth=1
                                        ;     Child Loop BB21_13 Depth 2
                                        ;       Child Loop BB21_15 Depth 3
                                        ;       Child Loop BB21_18 Depth 3
                                        ;     Child Loop BB21_29 Depth 2
                                        ;       Child Loop BB21_31 Depth 3
                                        ;     Child Loop BB21_39 Depth 2
                                        ;       Child Loop BB21_41 Depth 3
	s_abs_i32 s7, s43
	s_mul_hi_u32 s8, s7, s49
	s_mul_i32 s9, s8, s46
	s_ashr_i32 s6, s43, 31
	s_sub_i32 s7, s7, s9
	s_xor_b32 s6, s6, s48
	s_add_i32 s9, s8, 1
	s_sub_i32 s28, s7, s46
	s_cmp_ge_u32 s7, s46
	s_cselect_b32 s8, s9, s8
	s_cselect_b32 s7, s28, s7
	s_add_i32 s9, s8, 1
	s_cmp_ge_u32 s7, s46
	s_cselect_b32 s7, s9, s8
	s_xor_b32 s7, s7, s6
	s_sub_i32 s6, s7, s6
	s_abs_i32 s8, s6
	s_mul_i32 s7, s6, s33
	s_mul_hi_u32 s9, s8, s51
	s_sub_i32 s7, s43, s7
	s_mul_i32 s28, s9, s47
	s_lshl_b32 s53, s7, 4
	s_ashr_i32 s7, s6, 31
	s_sub_i32 s8, s8, s28
	s_xor_b32 s7, s7, s50
	s_add_i32 s28, s9, 1
	s_sub_i32 s29, s8, s47
	s_cmp_ge_u32 s8, s47
	s_cselect_b32 s9, s28, s9
	s_cselect_b32 s8, s29, s8
	s_add_i32 s28, s9, 1
	s_cmp_ge_u32 s8, s47
	s_cselect_b32 s8, s28, s9
	s_xor_b32 s8, s8, s7
	s_sub_i32 s7, s8, s7
	s_mul_i32 s8, s7, s44
	s_lshl_b32 s54, s8, 8
	s_cmp_eq_u32 s7, s16
	s_cselect_b32 s52, s45, s44
	s_sub_i32 s55, s53, s12
	s_add_i32 s55, s55, 16
	s_and_saveexec_b64 s[8:9], s[2:3]
	s_xor_b64 s[28:29], exec, s[8:9]
	s_cbranch_execz .LBB21_35
; %bb.8:                                ;   in Loop: Header=BB21_7 Depth=1
	s_mul_i32 s7, s7, s42
	s_sub_i32 s6, s6, s7
	s_lshl_b32 s6, s6, 4
	s_sub_i32 s31, s6, s13
	s_add_i32 s31, s31, 16
	s_max_i32 s7, s31, 0
	s_sub_i32 s30, s6, s7
	s_and_saveexec_b64 s[6:7], s[0:1]
	s_xor_b64 s[34:35], exec, s[6:7]
	s_cbranch_execz .LBB21_25
; %bb.9:                                ;   in Loop: Header=BB21_7 Depth=1
	s_and_saveexec_b64 s[36:37], s[4:5]
	s_cbranch_execz .LBB21_24
; %bb.10:                               ;   in Loop: Header=BB21_7 Depth=1
	s_waitcnt lgkmcnt(0)
	global_load_dword v40, v21, s[26:27]
	v_mov_b32_e32 v3, 0
	v_cmp_gt_i32_e32 vcc, s52, v39
	v_mov_b32_e32 v2, v3
	v_mov_b32_e32 v1, v3
	;; [unrolled: 1-line block ×3, first 2 shown]
	s_and_saveexec_b64 s[6:7], vcc
	s_cbranch_execz .LBB21_20
; %bb.11:                               ;   in Loop: Header=BB21_7 Depth=1
	v_mov_b32_e32 v0, 0
	s_mov_b64 s[8:9], 0
	v_mov_b32_e32 v1, v0
	v_mov_b32_e32 v2, v0
	;; [unrolled: 1-line block ×3, first 2 shown]
	s_branch .LBB21_13
.LBB21_12:                              ;   in Loop: Header=BB21_13 Depth=2
	s_or_b64 exec, exec, s[38:39]
	v_add_u32_e32 v48, v29, v44
	ds_read2_b32 v[44:45], v48 offset1:32
	ds_read2_b32 v[46:47], v48 offset0:128 offset1:160
	v_add_u32_e32 v49, 0x400, v48
	v_add_u32_e32 v39, s19, v39
	v_cmp_le_i32_e32 vcc, s52, v39
	s_waitcnt lgkmcnt(1)
	v_mfma_f32_16x16x32_fp8_fp8 v[0:3], v[44:45], v[6:7], v[0:3]
	ds_read2_b32 v[6:7], v49 offset1:32
	v_add_u32_e32 v44, 0x800, v48
	s_or_b64 s[8:9], vcc, s[8:9]
	s_waitcnt lgkmcnt(1)
	v_mfma_f32_16x16x32_fp8_fp8 v[0:3], v[46:47], v[8:9], v[0:3]
	ds_read2_b32 v[8:9], v49 offset0:128 offset1:160
	s_waitcnt lgkmcnt(1)
	v_mfma_f32_16x16x32_fp8_fp8 v[0:3], v[6:7], v[12:13], v[0:3]
	ds_read2_b32 v[6:7], v44 offset1:32
	s_waitcnt lgkmcnt(1)
	v_mfma_f32_16x16x32_fp8_fp8 v[0:3], v[8:9], v[14:15], v[0:3]
	ds_read2_b32 v[8:9], v44 offset0:128 offset1:160
	v_add_u32_e32 v14, 0xc00, v48
	ds_read2_b32 v[12:13], v14 offset1:32
	s_waitcnt lgkmcnt(2)
	v_mfma_f32_16x16x32_fp8_fp8 v[0:3], v[6:7], v[24:25], v[0:3]
	v_add_u32_e32 v6, s19, v42
	v_add_u32_e32 v7, 2, v28
	v_cmp_lt_i32_e32 vcc, 3, v6
	s_waitcnt lgkmcnt(1)
	v_mfma_f32_16x16x32_fp8_fp8 v[0:3], v[8:9], v[26:27], v[0:3]
	ds_read2_b32 v[8:9], v14 offset0:128 offset1:160
	v_cndmask_b32_e32 v28, v28, v7, vcc
	;;#ASMSTART
	s_waitcnt lgkmcnt(0)
	;;#ASMEND
	s_waitcnt lgkmcnt(1)
	v_mfma_f32_16x16x32_fp8_fp8 v[0:3], v[12:13], v[10:11], v[0:3]
	ds_write_b32 v41, v43
	s_waitcnt lgkmcnt(1)
	v_mfma_f32_16x16x32_fp8_fp8 v[0:3], v[8:9], v[4:5], v[0:3]
	s_andn2_b64 exec, exec, s[8:9]
	s_cbranch_execz .LBB21_19
.LBB21_13:                              ;   Parent Loop BB21_7 Depth=1
                                        ; =>  This Loop Header: Depth=2
                                        ;       Child Loop BB21_15 Depth 3
                                        ;       Child Loop BB21_18 Depth 3
	v_cmp_gt_i32_e32 vcc, 4, v6
	s_nop 1
	v_cndmask_b32_e64 v4, -4, 0, vcc
	v_add_u32_e32 v42, v4, v6
	v_lshlrev_b32_e32 v4, 2, v42
	ds_read_b32 v5, v4 offset:32784
	v_add_u32_e32 v41, 0x8000, v4
	s_waitcnt lgkmcnt(0)
	v_cmp_ne_u32_e32 vcc, v5, v28
	s_and_saveexec_b64 s[38:39], vcc
	s_cbranch_execz .LBB21_16
; %bb.14:                               ;   in Loop: Header=BB21_13 Depth=2
	s_mov_b64 s[40:41], 0
.LBB21_15:                              ;   Parent Loop BB21_7 Depth=1
                                        ;     Parent Loop BB21_13 Depth=2
                                        ; =>    This Inner Loop Header: Depth=3
	;;#ASMSTART
	s_sleep 0
	;;#ASMEND
	ds_read_b32 v4, v41 offset:16
	s_waitcnt lgkmcnt(0)
	v_cmp_eq_u32_e32 vcc, v4, v28
	s_or_b64 s[40:41], vcc, s[40:41]
	s_andn2_b64 exec, exec, s[40:41]
	s_cbranch_execnz .LBB21_15
.LBB21_16:                              ;   in Loop: Header=BB21_13 Depth=2
	s_or_b64 exec, exec, s[38:39]
	v_lshlrev_b32_e32 v44, 12, v42
	v_add_u32_e32 v4, v30, v44
	v_add_u32_e32 v5, 0x400, v4
	ds_read2_b32 v[6:7], v4 offset1:32
	ds_read2_b32 v[8:9], v4 offset0:128 offset1:160
	ds_read2_b32 v[12:13], v5 offset1:32
	ds_read2_b32 v[14:15], v5 offset0:128 offset1:160
	v_add_u32_e32 v5, 0x800, v4
	v_add_u32_e32 v4, 0xc00, v4
	ds_read2_b32 v[24:25], v5 offset1:32
	ds_read2_b32 v[26:27], v5 offset0:128 offset1:160
	ds_read2_b32 v[10:11], v4 offset1:32
	ds_read2_b32 v[4:5], v4 offset0:128 offset1:160
	;;#ASMSTART
	s_waitcnt lgkmcnt(0)
	;;#ASMEND
	ds_read_b32 v45, v41
	v_add_u32_e32 v43, 1, v28
	ds_write_b32 v41, v43 offset:16
	s_waitcnt lgkmcnt(1)
	v_cmp_ne_u32_e32 vcc, v45, v28
	s_and_saveexec_b64 s[38:39], vcc
	s_cbranch_execz .LBB21_12
; %bb.17:                               ;   in Loop: Header=BB21_13 Depth=2
	s_mov_b64 s[40:41], 0
.LBB21_18:                              ;   Parent Loop BB21_7 Depth=1
                                        ;     Parent Loop BB21_13 Depth=2
                                        ; =>    This Inner Loop Header: Depth=3
	;;#ASMSTART
	s_sleep 0
	;;#ASMEND
	ds_read_b32 v45, v41
	s_waitcnt lgkmcnt(0)
	v_cmp_eq_u32_e32 vcc, v45, v28
	s_or_b64 s[40:41], vcc, s[40:41]
	s_andn2_b64 exec, exec, s[40:41]
	s_cbranch_execnz .LBB21_18
	s_branch .LBB21_12
.LBB21_19:                              ;   in Loop: Header=BB21_7 Depth=1
	s_or_b64 exec, exec, s[8:9]
.LBB21_20:                              ;   in Loop: Header=BB21_7 Depth=1
	s_or_b64 exec, exec, s[6:7]
	v_cmp_le_i32_e32 vcc, s31, v16
	v_cmp_eq_u32_e64 s[6:7], 3, v32
	s_waitcnt vmcnt(0)
	v_cndmask_b32_e32 v4, 0, v40, vcc
	v_pk_mul_f32 v[8:9], v[4:5], v[2:3] op_sel_hi:[0,1]
	v_pk_mul_f32 v[4:5], v[4:5], v[0:1] op_sel_hi:[0,1]
	v_cmp_eq_u32_e32 vcc, 1, v32
	s_nop 1
	v_cndmask_b32_e32 v0, v4, v5, vcc
	v_cmp_eq_u32_e32 vcc, 2, v32
	s_nop 1
	v_cndmask_b32_e32 v0, v0, v8, vcc
	v_cndmask_b32_e64 v0, v0, v9, s[6:7]
	ds_bpermute_b32 v1, v38, v0
	s_waitcnt lgkmcnt(0)
	v_cndmask_b32_e32 v3, v8, v1, vcc
	v_cmp_ne_u32_e32 vcc, 0, v32
	v_cndmask_b32_e64 v2, v9, v1, s[6:7]
	s_max_i32 s6, s55, 0
	v_cndmask_b32_e32 v0, v5, v1, vcc
	v_cmp_eq_u32_e32 vcc, 0, v32
	v_add_u32_e32 v5, s6, v31
	s_nop 0
	v_cndmask_b32_e32 v1, v4, v1, vcc
	v_cmp_eq_u32_e32 vcc, 1, v33
	s_nop 1
	v_cndmask_b32_e32 v4, v1, v0, vcc
	v_cmp_eq_u32_e32 vcc, 2, v33
	;; [unrolled: 3-line block ×3, first 2 shown]
	s_nop 1
	v_cndmask_b32_e32 v4, v4, v2, vcc
	ds_bpermute_b32 v4, v38, v4
	v_cmp_gt_u32_e32 vcc, 16, v5
	s_and_saveexec_b64 s[38:39], vcc
	s_cbranch_execz .LBB21_23
; %bb.21:                               ;   in Loop: Header=BB21_7 Depth=1
	v_cmp_eq_u32_e64 s[8:9], 1, v33
	v_cmp_eq_u32_e32 vcc, 3, v33
	v_cmp_eq_u32_e64 s[6:7], 2, v33
	s_waitcnt lgkmcnt(0)
	v_cndmask_b32_e64 v0, v0, v4, s[8:9]
	v_cmp_eq_u32_e64 s[8:9], 0, v33
	v_cvt_f16_f32_sdwa v8, v0 dst_sel:WORD_1 dst_unused:UNUSED_PAD src0_sel:DWORD
	s_nop 0
	v_cndmask_b32_e64 v1, v1, v4, s[8:9]
	s_mul_i32 s8, s53, s13
	s_ashr_i32 s9, s8, 31
	s_lshl_b64 s[8:9], s[8:9], 1
	s_add_u32 s40, s24, s8
	s_addc_u32 s41, s25, s9
	s_ashr_i32 s31, s30, 31
	s_lshl_b64 s[8:9], s[30:31], 1
	v_cvt_f16_f32_e32 v7, v1
	s_add_u32 s8, s40, s8
	s_addc_u32 s9, s41, s9
	v_lshl_add_u64 v[0:1], v[18:19], 1, s[8:9]
	v_cmp_gt_u32_e64 s[8:9], 14, v5
	v_or_b32_e32 v7, v8, v7
	;;#ASMSTART
	global_atomic_pk_add_f16 v[0:1], v7, off
	
	;;#ASMEND
	s_and_b64 exec, exec, s[8:9]
	s_cbranch_execz .LBB21_23
; %bb.22:                               ;   in Loop: Header=BB21_7 Depth=1
	v_cndmask_b32_e32 v2, v2, v4, vcc
	v_cndmask_b32_e64 v3, v3, v4, s[6:7]
	v_cvt_f16_f32_e32 v3, v3
	v_cvt_f16_f32_sdwa v2, v2 dst_sel:WORD_1 dst_unused:UNUSED_PAD src0_sel:DWORD
	v_lshl_add_u64 v[0:1], s[10:11], 2, v[0:1]
	v_or_b32_e32 v2, v2, v3
	;;#ASMSTART
	global_atomic_pk_add_f16 v[0:1], v2, off
	
	;;#ASMEND
.LBB21_23:                              ;   in Loop: Header=BB21_7 Depth=1
	s_or_b64 exec, exec, s[38:39]
	v_subrev_u32_e32 v39, s52, v39
.LBB21_24:                              ;   in Loop: Header=BB21_7 Depth=1
	s_or_b64 exec, exec, s[36:37]
.LBB21_25:                              ;   in Loop: Header=BB21_7 Depth=1
	s_andn2_saveexec_b64 s[6:7], s[34:35]
	s_cbranch_execz .LBB21_34
; %bb.26:                               ;   in Loop: Header=BB21_7 Depth=1
	v_cmp_gt_i32_e32 vcc, s52, v39
	s_and_saveexec_b64 s[8:9], vcc
	s_cbranch_execz .LBB21_33
; %bb.27:                               ;   in Loop: Header=BB21_7 Depth=1
	s_mul_i32 s30, s30, s15
	s_ashr_i32 s31, s30, 31
	s_waitcnt lgkmcnt(0)
	s_add_u32 s30, s22, s30
	s_addc_u32 s31, s23, s31
	s_ashr_i32 s34, s54, 31
	s_add_u32 s30, s30, s54
	s_addc_u32 s31, s31, s34
	v_lshl_add_u64 v[0:1], s[30:31], 0, v[22:23]
	v_lshl_add_u64 v[24:25], v[0:1], 0, v[20:21]
	s_mov_b64 s[30:31], 0
	s_branch .LBB21_29
.LBB21_28:                              ;   in Loop: Header=BB21_29 Depth=2
	s_or_b64 exec, exec, s[34:35]
	v_lshl_add_u32 v40, v26, 12, v35
	;;#ASMSTART
	s_waitcnt vmcnt(3)
	;;#ASMEND
	ds_write2_b32 v40, v12, v13 offset1:32
	ds_write2_b32 v40, v14, v15 offset0:64 offset1:96
	v_add_u32_e32 v12, 0x400, v40
	;;#ASMSTART
	s_waitcnt vmcnt(2)
	;;#ASMEND
	ds_write2_b32 v12, v8, v9 offset1:32
	ds_write2_b32 v12, v10, v11 offset0:64 offset1:96
	v_add_u32_e32 v8, 0x800, v40
	;; [unrolled: 6-line block ×3, first 2 shown]
	v_add_u32_e32 v39, s18, v39
	;;#ASMSTART
	s_waitcnt vmcnt(0)
	;;#ASMEND
	ds_write2_b32 v4, v0, v1 offset1:32
	ds_write2_b32 v4, v2, v3 offset0:64 offset1:96
	v_add_u32_e32 v0, 1, v28
	v_add_u32_e32 v6, s18, v26
	v_cmp_le_i32_e32 vcc, s52, v39
	ds_write_b32 v27, v0 offset:16
	v_add_u32_e32 v0, 2, v28
	s_or_b64 s[30:31], vcc, s[30:31]
	v_cmp_lt_i32_e32 vcc, 3, v6
	s_nop 1
	v_cndmask_b32_e32 v28, v28, v0, vcc
	s_andn2_b64 exec, exec, s[30:31]
	s_cbranch_execz .LBB21_32
.LBB21_29:                              ;   Parent Loop BB21_7 Depth=1
                                        ; =>  This Loop Header: Depth=2
                                        ;       Child Loop BB21_31 Depth 3
	v_cmp_gt_i32_e32 vcc, 4, v6
	s_nop 1
	v_cndmask_b32_e64 v0, -4, 0, vcc
	v_add_u32_e32 v26, v0, v6
	v_lshlrev_b32_e32 v0, 8, v39
	v_ashrrev_i32_e32 v1, 31, v0
	v_lshl_add_u64 v[0:1], v[24:25], 0, v[0:1]
	v_lshlrev_b32_e32 v27, 2, v26
	;;#ASMSTART
	global_load_dwordx4 v[12:15], v[0:1], off offset:0    sc0 sc1 nt  
	global_load_dwordx4 v[8:11], v[0:1], off offset:64   sc0 sc1 nt  
	global_load_dwordx4 v[4:7], v[0:1], off offset:128  sc0 sc1 nt  
	global_load_dwordx4 v[0:3], v[0:1], off offset:192  sc0 sc1 nt  
	
	;;#ASMEND
	ds_read_b32 v40, v27 offset:32784
	v_add_u32_e32 v27, 0x8000, v27
	s_waitcnt lgkmcnt(0)
	v_cmp_ne_u32_e32 vcc, v40, v28
	s_and_saveexec_b64 s[34:35], vcc
	s_cbranch_execz .LBB21_28
; %bb.30:                               ;   in Loop: Header=BB21_29 Depth=2
	s_mov_b64 s[36:37], 0
.LBB21_31:                              ;   Parent Loop BB21_7 Depth=1
                                        ;     Parent Loop BB21_29 Depth=2
                                        ; =>    This Inner Loop Header: Depth=3
	;;#ASMSTART
	s_sleep 0
	;;#ASMEND
	ds_read_b32 v40, v27 offset:16
	s_waitcnt lgkmcnt(0)
	v_cmp_eq_u32_e32 vcc, v40, v28
	s_or_b64 s[36:37], vcc, s[36:37]
	s_andn2_b64 exec, exec, s[36:37]
	s_cbranch_execnz .LBB21_31
	s_branch .LBB21_28
.LBB21_32:                              ;   in Loop: Header=BB21_7 Depth=1
	s_or_b64 exec, exec, s[30:31]
.LBB21_33:                              ;   in Loop: Header=BB21_7 Depth=1
	s_or_b64 exec, exec, s[8:9]
	v_subrev_u32_e32 v39, s52, v39
.LBB21_34:                              ;   in Loop: Header=BB21_7 Depth=1
	s_or_b64 exec, exec, s[6:7]
.LBB21_35:                              ;   in Loop: Header=BB21_7 Depth=1
	s_andn2_saveexec_b64 s[6:7], s[28:29]
	s_cbranch_execz .LBB21_6
; %bb.36:                               ;   in Loop: Header=BB21_7 Depth=1
	v_cmp_gt_i32_e32 vcc, s52, v39
	s_and_saveexec_b64 s[8:9], vcc
	s_cbranch_execz .LBB21_5
; %bb.37:                               ;   in Loop: Header=BB21_7 Depth=1
	s_mul_i32 s53, s53, s14
	s_ashr_i32 s28, s53, 31
	s_waitcnt lgkmcnt(0)
	s_add_u32 s29, s20, s53
	s_addc_u32 s30, s21, s28
	s_ashr_i32 s31, s54, 31
	v_cmp_le_i32_e32 vcc, s55, v36
	s_add_u32 s28, s29, s54
	s_addc_u32 s29, s30, s31
	v_cndmask_b32_e32 v0, 0, v37, vcc
	v_ashrrev_i32_e32 v1, 31, v0
	v_lshl_add_u64 v[0:1], s[28:29], 0, v[0:1]
	v_lshl_add_u64 v[24:25], v[0:1], 0, v[20:21]
	s_mov_b64 s[28:29], 0
	s_branch .LBB21_39
.LBB21_38:                              ;   in Loop: Header=BB21_39 Depth=2
	s_or_b64 exec, exec, s[30:31]
	v_lshl_or_b32 v40, v26, 12, v34
	;;#ASMSTART
	s_waitcnt vmcnt(3)
	;;#ASMEND
	ds_write2_b32 v40, v12, v13 offset1:32
	ds_write2_b32 v40, v14, v15 offset0:64 offset1:96
	v_add_u32_e32 v12, 0x400, v40
	;;#ASMSTART
	s_waitcnt vmcnt(2)
	;;#ASMEND
	ds_write2_b32 v12, v8, v9 offset1:32
	ds_write2_b32 v12, v10, v11 offset0:64 offset1:96
	v_add_u32_e32 v8, 0x800, v40
	;; [unrolled: 6-line block ×3, first 2 shown]
	v_add_u32_e32 v39, s17, v39
	;;#ASMSTART
	s_waitcnt vmcnt(0)
	;;#ASMEND
	ds_write2_b32 v4, v0, v1 offset1:32
	ds_write2_b32 v4, v2, v3 offset0:64 offset1:96
	v_add_u32_e32 v0, 1, v28
	v_add_u32_e32 v6, s17, v26
	v_cmp_le_i32_e32 vcc, s52, v39
	ds_write_b32 v27, v0
	v_add_u32_e32 v0, 2, v28
	s_or_b64 s[28:29], vcc, s[28:29]
	v_cmp_lt_i32_e32 vcc, 3, v6
	s_nop 1
	v_cndmask_b32_e32 v28, v28, v0, vcc
	s_andn2_b64 exec, exec, s[28:29]
	s_cbranch_execz .LBB21_4
.LBB21_39:                              ;   Parent Loop BB21_7 Depth=1
                                        ; =>  This Loop Header: Depth=2
                                        ;       Child Loop BB21_41 Depth 3
	v_cmp_gt_i32_e32 vcc, 4, v6
	s_nop 1
	v_cndmask_b32_e64 v0, -4, 0, vcc
	v_add_u32_e32 v26, v0, v6
	v_lshlrev_b32_e32 v0, 8, v39
	v_ashrrev_i32_e32 v1, 31, v0
	v_lshl_add_u64 v[0:1], v[24:25], 0, v[0:1]
	v_lshlrev_b32_e32 v27, 2, v26
	;;#ASMSTART
	global_load_dwordx4 v[12:15], v[0:1], off offset:0    
	global_load_dwordx4 v[8:11], v[0:1], off offset:64   
	;; [unrolled: 1-line block ×4, first 2 shown]
	
	;;#ASMEND
	ds_read_b32 v40, v27 offset:32768
	v_add_u32_e32 v27, 0x8000, v27
	s_waitcnt lgkmcnt(0)
	v_cmp_ne_u32_e32 vcc, v40, v28
	s_and_saveexec_b64 s[30:31], vcc
	s_cbranch_execz .LBB21_38
; %bb.40:                               ;   in Loop: Header=BB21_39 Depth=2
	s_mov_b64 s[34:35], 0
.LBB21_41:                              ;   Parent Loop BB21_7 Depth=1
                                        ;     Parent Loop BB21_39 Depth=2
                                        ; =>    This Inner Loop Header: Depth=3
	;;#ASMSTART
	s_sleep 0
	;;#ASMEND
	ds_read_b32 v40, v27
	s_waitcnt lgkmcnt(0)
	v_cmp_eq_u32_e32 vcc, v40, v28
	s_or_b64 s[34:35], vcc, s[34:35]
	s_andn2_b64 exec, exec, s[34:35]
	s_cbranch_execnz .LBB21_41
	s_branch .LBB21_38
.LBB21_42:
	s_endpgm
	.section	.rodata,"a",@progbits
	.p2align	6, 0x0
	.amdhsa_kernel _Z19_skinny_gemm_kernelILi1ELi1ELi4ELi16ELi8EEvPKhS1_P6__halfPKfiiiiiiii
		.amdhsa_group_segment_fixed_size 32800
		.amdhsa_private_segment_fixed_size 0
		.amdhsa_kernarg_size 64
		.amdhsa_user_sgpr_count 2
		.amdhsa_user_sgpr_dispatch_ptr 0
		.amdhsa_user_sgpr_queue_ptr 0
		.amdhsa_user_sgpr_kernarg_segment_ptr 1
		.amdhsa_user_sgpr_dispatch_id 0
		.amdhsa_user_sgpr_kernarg_preload_length 0
		.amdhsa_user_sgpr_kernarg_preload_offset 0
		.amdhsa_user_sgpr_private_segment_size 0
		.amdhsa_uses_dynamic_stack 0
		.amdhsa_enable_private_segment 0
		.amdhsa_system_sgpr_workgroup_id_x 1
		.amdhsa_system_sgpr_workgroup_id_y 0
		.amdhsa_system_sgpr_workgroup_id_z 0
		.amdhsa_system_sgpr_workgroup_info 0
		.amdhsa_system_vgpr_workitem_id 0
		.amdhsa_next_free_vgpr 50
		.amdhsa_next_free_sgpr 56
		.amdhsa_accum_offset 52
		.amdhsa_reserve_vcc 1
		.amdhsa_float_round_mode_32 0
		.amdhsa_float_round_mode_16_64 0
		.amdhsa_float_denorm_mode_32 3
		.amdhsa_float_denorm_mode_16_64 3
		.amdhsa_dx10_clamp 1
		.amdhsa_ieee_mode 1
		.amdhsa_fp16_overflow 0
		.amdhsa_tg_split 0
		.amdhsa_exception_fp_ieee_invalid_op 0
		.amdhsa_exception_fp_denorm_src 0
		.amdhsa_exception_fp_ieee_div_zero 0
		.amdhsa_exception_fp_ieee_overflow 0
		.amdhsa_exception_fp_ieee_underflow 0
		.amdhsa_exception_fp_ieee_inexact 0
		.amdhsa_exception_int_div_zero 0
	.end_amdhsa_kernel
	.section	.text._Z19_skinny_gemm_kernelILi1ELi1ELi4ELi16ELi8EEvPKhS1_P6__halfPKfiiiiiiii,"axG",@progbits,_Z19_skinny_gemm_kernelILi1ELi1ELi4ELi16ELi8EEvPKhS1_P6__halfPKfiiiiiiii,comdat
.Lfunc_end21:
	.size	_Z19_skinny_gemm_kernelILi1ELi1ELi4ELi16ELi8EEvPKhS1_P6__halfPKfiiiiiiii, .Lfunc_end21-_Z19_skinny_gemm_kernelILi1ELi1ELi4ELi16ELi8EEvPKhS1_P6__halfPKfiiiiiiii
                                        ; -- End function
	.set _Z19_skinny_gemm_kernelILi1ELi1ELi4ELi16ELi8EEvPKhS1_P6__halfPKfiiiiiiii.num_vgpr, 50
	.set _Z19_skinny_gemm_kernelILi1ELi1ELi4ELi16ELi8EEvPKhS1_P6__halfPKfiiiiiiii.num_agpr, 0
	.set _Z19_skinny_gemm_kernelILi1ELi1ELi4ELi16ELi8EEvPKhS1_P6__halfPKfiiiiiiii.numbered_sgpr, 56
	.set _Z19_skinny_gemm_kernelILi1ELi1ELi4ELi16ELi8EEvPKhS1_P6__halfPKfiiiiiiii.num_named_barrier, 0
	.set _Z19_skinny_gemm_kernelILi1ELi1ELi4ELi16ELi8EEvPKhS1_P6__halfPKfiiiiiiii.private_seg_size, 0
	.set _Z19_skinny_gemm_kernelILi1ELi1ELi4ELi16ELi8EEvPKhS1_P6__halfPKfiiiiiiii.uses_vcc, 1
	.set _Z19_skinny_gemm_kernelILi1ELi1ELi4ELi16ELi8EEvPKhS1_P6__halfPKfiiiiiiii.uses_flat_scratch, 0
	.set _Z19_skinny_gemm_kernelILi1ELi1ELi4ELi16ELi8EEvPKhS1_P6__halfPKfiiiiiiii.has_dyn_sized_stack, 0
	.set _Z19_skinny_gemm_kernelILi1ELi1ELi4ELi16ELi8EEvPKhS1_P6__halfPKfiiiiiiii.has_recursion, 0
	.set _Z19_skinny_gemm_kernelILi1ELi1ELi4ELi16ELi8EEvPKhS1_P6__halfPKfiiiiiiii.has_indirect_call, 0
	.section	.AMDGPU.csdata,"",@progbits
; Kernel info:
; codeLenInByte = 2968
; TotalNumSgprs: 62
; NumVgprs: 50
; NumAgprs: 0
; TotalNumVgprs: 50
; ScratchSize: 0
; MemoryBound: 0
; FloatMode: 240
; IeeeMode: 1
; LDSByteSize: 32800 bytes/workgroup (compile time only)
; SGPRBlocks: 7
; VGPRBlocks: 6
; NumSGPRsForWavesPerEU: 62
; NumVGPRsForWavesPerEU: 50
; AccumOffset: 52
; Occupancy: 8
; WaveLimiterHint : 0
; COMPUTE_PGM_RSRC2:SCRATCH_EN: 0
; COMPUTE_PGM_RSRC2:USER_SGPR: 2
; COMPUTE_PGM_RSRC2:TRAP_HANDLER: 0
; COMPUTE_PGM_RSRC2:TGID_X_EN: 1
; COMPUTE_PGM_RSRC2:TGID_Y_EN: 0
; COMPUTE_PGM_RSRC2:TGID_Z_EN: 0
; COMPUTE_PGM_RSRC2:TIDIG_COMP_CNT: 0
; COMPUTE_PGM_RSRC3_GFX90A:ACCUM_OFFSET: 12
; COMPUTE_PGM_RSRC3_GFX90A:TG_SPLIT: 0
	.section	.text._Z19_skinny_gemm_kernelILi1ELi1ELi4ELi32ELi4EEvPKhS1_P6__halfPKfiiiiiiii,"axG",@progbits,_Z19_skinny_gemm_kernelILi1ELi1ELi4ELi32ELi4EEvPKhS1_P6__halfPKfiiiiiiii,comdat
	.protected	_Z19_skinny_gemm_kernelILi1ELi1ELi4ELi32ELi4EEvPKhS1_P6__halfPKfiiiiiiii ; -- Begin function _Z19_skinny_gemm_kernelILi1ELi1ELi4ELi32ELi4EEvPKhS1_P6__halfPKfiiiiiiii
	.globl	_Z19_skinny_gemm_kernelILi1ELi1ELi4ELi32ELi4EEvPKhS1_P6__halfPKfiiiiiiii
	.p2align	8
	.type	_Z19_skinny_gemm_kernelILi1ELi1ELi4ELi32ELi4EEvPKhS1_P6__halfPKfiiiiiiii,@function
_Z19_skinny_gemm_kernelILi1ELi1ELi4ELi32ELi4EEvPKhS1_P6__halfPKfiiiiiiii: ; @_Z19_skinny_gemm_kernelILi1ELi1ELi4ELi32ELi4EEvPKhS1_P6__halfPKfiiiiiiii
; %bb.0:
	v_cmp_gt_u32_e32 vcc, 8, v0
	s_and_saveexec_b64 s[4:5], vcc
; %bb.1:
	v_lshlrev_b32_e32 v1, 2, v0
	v_mov_b32_e32 v2, 0
	ds_write_b32 v1, v2 offset:16384
; %bb.2:
	s_or_b64 exec, exec, s[4:5]
	s_load_dwordx8 s[36:43], s[0:1], 0x20
	s_waitcnt lgkmcnt(0)
	s_barrier
	s_add_i32 s3, s36, 31
	s_ashr_i32 s5, s3, 31
	s_add_i32 s4, s37, 31
	s_lshr_b32 s5, s5, 27
	s_ashr_i32 s6, s4, 31
	s_add_i32 s3, s3, s5
	s_ashr_i32 s33, s3, 5
	s_lshr_b32 s3, s6, 27
	s_add_i32 s4, s4, s3
	s_ashr_i32 s62, s4, 5
	s_mul_i32 s3, s62, s33
	s_mul_i32 s3, s3, s40
	s_add_i32 s4, s3, 0x12f
	s_mul_hi_i32 s4, s4, 0x6bca1af3
	s_lshr_b32 s5, s4, 31
	s_ashr_i32 s4, s4, 7
	s_add_i32 s4, s4, s5
	s_add_i32 s5, s2, 1
	s_mul_i32 s5, s4, s5
	v_cvt_f64_i32_e32 v[2:3], s3
	v_cvt_f64_u32_e32 v[4:5], s5
	v_min_f64 v[2:3], v[2:3], v[4:5]
	v_cvt_i32_f64_e32 v46, v[2:3]
	s_mul_i32 s63, s4, s2
	v_cmp_ge_i32_e32 vcc, s63, v46
	s_cbranch_vccnz .LBB22_48
; %bb.3:
	v_lshrrev_b32_e32 v1, 6, v0
	s_add_i32 s4, s42, s41
	s_load_dwordx8 s[44:51], s[0:1], 0x0
	v_cmp_le_i32_e64 s[0:1], s4, v1
	v_mov_b32_e32 v2, s41
	v_cmp_le_i32_e64 s[2:3], s41, v1
	v_mov_b32_e32 v3, s42
	v_cndmask_b32_e64 v3, 0, v3, s[0:1]
	v_cndmask_b32_e64 v2, 0, v2, s[2:3]
	s_abs_i32 s5, s40
	v_add_u32_e32 v2, v2, v3
	v_cvt_f32_u32_e32 v3, s5
	v_sub_u32_e32 v40, v1, v2
	s_ashr_i32 s6, s38, 31
	s_lshr_b32 s6, s6, 26
	v_rcp_iflag_f32_e32 v2, v3
	s_sub_i32 s9, 0, s5
	s_add_i32 s6, s38, s6
	s_ashr_i32 s6, s6, 6
	v_mul_f32_e32 v2, 0x4f7ffffe, v2
	v_cvt_u32_f32_e32 v2, v2
	s_abs_i32 s8, s6
	s_xor_b32 s7, s6, s40
	s_ashr_i32 s7, s7, 31
	v_readfirstlane_b32 s10, v2
	s_mul_i32 s9, s9, s10
	s_mul_hi_u32 s9, s10, s9
	s_add_i32 s10, s10, s9
	s_mul_hi_u32 s9, s8, s10
	s_mul_i32 s10, s9, s5
	s_sub_i32 s8, s8, s10
	s_add_i32 s10, s9, 1
	s_sub_i32 s11, s8, s5
	s_cmp_ge_u32 s8, s5
	s_cselect_b32 s9, s10, s9
	s_cselect_b32 s8, s11, s8
	s_add_i32 s10, s9, 1
	s_cmp_ge_u32 s8, s5
	s_cselect_b32 s5, s10, s9
	s_xor_b32 s5, s5, s7
	s_sub_i32 s64, s5, s7
	s_add_i32 s40, s40, -1
	s_mul_i32 s5, s64, s40
	s_add_i32 s4, s4, s43
	v_and_b32_e32 v48, 31, v0
	v_lshrrev_b32_e32 v2, 3, v0
	s_sub_i32 s65, s6, s5
	v_cmp_gt_i32_e64 s[4:5], s4, v1
	v_lshlrev_b32_e32 v1, 2, v48
	v_and_b32_e32 v3, 4, v2
	v_and_b32_e32 v5, 1, v0
	v_lshlrev_b32_e32 v2, 6, v3
	v_or_b32_e32 v4, 0x2000, v1
	v_or_b32_e32 v3, v3, v5
	;; [unrolled: 1-line block ×4, first 2 shown]
	v_lshlrev_b32_e32 v2, 1, v5
	v_or_b32_e32 v5, 2, v3
	v_sub_u32_e32 v60, 32, v5
	v_or_b32_e32 v5, 8, v3
	v_sub_u32_e32 v61, 32, v5
	;; [unrolled: 2-line block ×5, first 2 shown]
	v_mul_lo_u32 v18, s37, v3
	v_sub_u32_e32 v64, 32, v5
	v_or_b32_e32 v5, 24, v3
	v_or_b32_e32 v3, 26, v3
	v_sub_u32_e32 v66, 32, v3
	v_lshrrev_b32_e32 v3, 1, v0
	s_abs_i32 s66, s33
	v_and_b32_e32 v34, 16, v3
	v_cvt_f32_u32_e32 v3, s66
	v_sub_u32_e32 v65, 32, v5
	v_lshlrev_b32_e32 v5, 4, v0
	v_and_b32_e32 v5, 0x200, v5
	v_rcp_iflag_f32_e32 v3, v3
	s_abs_i32 s67, s62
	v_or_b32_e32 v70, v1, v5
	v_cvt_f32_u32_e32 v1, s67
	v_sub_u32_e32 v2, v0, v2
	v_add_u32_e32 v2, 1, v2
	s_lshl_b32 s6, s37, 1
	v_and_b32_e32 v6, 63, v2
	v_bitop3_b32 v51, v0, 1, v0 bitop3:0xc
	v_bitop3_b32 v52, v0, 3, 1 bitop3:0x6c
	;; [unrolled: 1-line block ×8, first 2 shown]
	v_and_b32_e32 v2, 30, v0
	v_add_u32_e32 v20, s6, v18
	s_mul_i32 s7, s37, 6
	v_bitop3_b32 v68, v0, 31, v0 bitop3:0xc
	v_mul_f32_e32 v0, 0x4f7ffffe, v3
	v_add_u32_e32 v22, s7, v20
	v_cvt_u32_f32_e32 v0, v0
	v_rcp_iflag_f32_e32 v1, v1
	v_add_u32_e32 v24, s6, v22
	v_add_u32_e32 v26, s7, v24
	;; [unrolled: 1-line block ×4, first 2 shown]
	v_readfirstlane_b32 s7, v0
	v_mul_f32_e32 v0, 0x4f7ffffe, v1
	v_cvt_u32_f32_e32 v0, v0
	v_add_u32_e32 v32, s6, v30
	s_sub_i32 s6, 0, s66
	s_mul_i32 s6, s6, s7
	s_mul_hi_u32 s6, s7, s6
	s_add_i32 s69, s7, s6
	s_sub_i32 s6, 0, s67
	v_readfirstlane_b32 s7, v0
	v_mbcnt_lo_u32_b32 v0, -1, 0
	s_mul_i32 s6, s6, s7
	v_mbcnt_hi_u32_b32 v0, -1, v0
	v_mov_b32_e32 v17, 0
	v_mul_lo_u32 v36, s39, v48
	s_mul_hi_u32 s6, s7, s6
	v_and_or_b32 v0, v0, 64, v6
	v_cndmask_b32_e64 v47, 0, 1, s[0:1]
	v_ashrrev_i32_e32 v19, 31, v18
	v_ashrrev_i32_e32 v21, 31, v20
	;; [unrolled: 1-line block ×9, first 2 shown]
	v_mov_b32_e32 v35, v17
	v_or_b32_e32 v67, v4, v5
	v_mul_lo_u32 v69, s38, v48
	s_ashr_i32 s68, s33, 31
	s_ashr_i32 s70, s62, 31
	s_add_i32 s71, s7, s6
	v_lshlrev_b32_e32 v16, 1, v2
	v_lshlrev_b32_e32 v71, 2, v0
	v_mov_b32_e32 v72, v40
	s_branch .LBB22_7
.LBB22_4:                               ;   in Loop: Header=BB22_7 Depth=1
	s_or_b64 exec, exec, s[10:11]
.LBB22_5:                               ;   in Loop: Header=BB22_7 Depth=1
	s_or_b64 exec, exec, s[8:9]
	v_subrev_u32_e32 v72, s72, v72
.LBB22_6:                               ;   in Loop: Header=BB22_7 Depth=1
	s_or_b64 exec, exec, s[6:7]
	s_add_i32 s63, s63, 1
	v_cmp_ge_i32_e32 vcc, s63, v46
	s_cbranch_vccnz .LBB22_48
.LBB22_7:                               ; =>This Loop Header: Depth=1
                                        ;     Child Loop BB22_13 Depth 2
                                        ;       Child Loop BB22_15 Depth 3
                                        ;       Child Loop BB22_18 Depth 3
                                        ;     Child Loop BB22_35 Depth 2
                                        ;       Child Loop BB22_37 Depth 3
                                        ;     Child Loop BB22_45 Depth 2
                                        ;       Child Loop BB22_47 Depth 3
	s_abs_i32 s7, s63
	s_mul_hi_u32 s8, s7, s69
	s_mul_i32 s9, s8, s66
	s_ashr_i32 s6, s63, 31
	s_sub_i32 s7, s7, s9
	s_xor_b32 s6, s6, s68
	s_add_i32 s9, s8, 1
	s_sub_i32 s10, s7, s66
	s_cmp_ge_u32 s7, s66
	s_cselect_b32 s8, s9, s8
	s_cselect_b32 s7, s10, s7
	s_add_i32 s9, s8, 1
	s_cmp_ge_u32 s7, s66
	s_cselect_b32 s7, s9, s8
	s_xor_b32 s7, s7, s6
	s_sub_i32 s6, s7, s6
	s_abs_i32 s8, s6
	s_mul_i32 s7, s6, s33
	s_mul_hi_u32 s9, s8, s71
	s_sub_i32 s7, s63, s7
	s_mul_i32 s10, s9, s67
	s_lshl_b32 s73, s7, 5
	s_ashr_i32 s7, s6, 31
	s_sub_i32 s8, s8, s10
	s_xor_b32 s7, s7, s70
	s_add_i32 s10, s9, 1
	s_sub_i32 s11, s8, s67
	s_cmp_ge_u32 s8, s67
	s_cselect_b32 s9, s10, s9
	s_cselect_b32 s8, s11, s8
	s_add_i32 s10, s9, 1
	s_cmp_ge_u32 s8, s67
	s_cselect_b32 s8, s10, s9
	s_xor_b32 s8, s8, s7
	s_sub_i32 s7, s8, s7
	s_mul_i32 s8, s7, s64
	s_lshl_b32 s74, s8, 6
	s_cmp_eq_u32 s7, s40
	s_cselect_b32 s72, s65, s64
	s_sub_i32 s75, s73, s36
	s_add_i32 s75, s75, 32
	s_and_saveexec_b64 s[8:9], s[2:3]
	s_xor_b64 s[52:53], exec, s[8:9]
	s_cbranch_execz .LBB22_41
; %bb.8:                                ;   in Loop: Header=BB22_7 Depth=1
	s_mul_i32 s7, s7, s62
	s_sub_i32 s6, s6, s7
	s_lshl_b32 s6, s6, 5
	s_sub_i32 s14, s6, s37
	s_add_i32 s14, s14, 32
	s_max_i32 s7, s14, 0
	s_sub_i32 s54, s6, s7
	s_and_saveexec_b64 s[6:7], s[0:1]
	s_xor_b64 s[56:57], exec, s[6:7]
	s_cbranch_execz .LBB22_31
; %bb.9:                                ;   in Loop: Header=BB22_7 Depth=1
	s_and_saveexec_b64 s[58:59], s[4:5]
	s_cbranch_execz .LBB22_30
; %bb.10:                               ;   in Loop: Header=BB22_7 Depth=1
	s_waitcnt lgkmcnt(0)
	global_load_dword v73, v17, s[50:51]
	v_mov_b32_e32 v15, 0
	v_cmp_gt_i32_e32 vcc, s72, v72
	v_mov_b32_e32 v14, v15
	v_mov_b32_e32 v13, v15
	;; [unrolled: 1-line block ×15, first 2 shown]
	s_and_saveexec_b64 s[6:7], vcc
	s_cbranch_execz .LBB22_20
; %bb.11:                               ;   in Loop: Header=BB22_7 Depth=1
	v_mov_b32_e32 v0, 0
	s_mov_b64 s[8:9], 0
	v_mov_b32_e32 v1, v0
	v_mov_b32_e32 v2, v0
	;; [unrolled: 1-line block ×15, first 2 shown]
	s_branch .LBB22_13
.LBB22_12:                              ;   in Loop: Header=BB22_13 Depth=2
	s_or_b64 exec, exec, s[10:11]
	v_add_u32_e32 v77, v50, v77
	ds_read2_b32 v[78:79], v77 offset1:32
	v_add_u32_e32 v72, s43, v72
	s_waitcnt lgkmcnt(0)
	v_mfma_f32_32x32x16_fp8_fp8 v[0:15], v[44:45], v[78:79], v[0:15]
	ds_read2_b32 v[44:45], v77 offset0:128 offset1:160
	s_waitcnt lgkmcnt(0)
	v_mfma_f32_32x32x16_fp8_fp8 v[0:15], v[42:43], v[44:45], v[0:15]
	v_add_u32_e32 v44, 0x400, v77
	ds_read2_b32 v[42:43], v44 offset1:32
	ds_read2_b32 v[44:45], v44 offset0:128 offset1:160
	ds_write_b32 v75, v76 offset:16388
	s_waitcnt lgkmcnt(2)
	v_mfma_f32_32x32x16_fp8_fp8 v[0:15], v[40:41], v[42:43], v[0:15]
	v_add_u32_e32 v40, s43, v74
	v_add_u32_e32 v41, 2, v47
	v_cmp_lt_i32_e32 vcc, 3, v40
	s_nop 1
	v_cndmask_b32_e32 v47, v47, v41, vcc
	v_cmp_le_i32_e32 vcc, s72, v72
	s_waitcnt lgkmcnt(1)
	v_mfma_f32_32x32x16_fp8_fp8 v[0:15], v[38:39], v[44:45], v[0:15]
	s_or_b64 s[8:9], vcc, s[8:9]
	s_andn2_b64 exec, exec, s[8:9]
	s_cbranch_execz .LBB22_19
.LBB22_13:                              ;   Parent Loop BB22_7 Depth=1
                                        ; =>  This Loop Header: Depth=2
                                        ;       Child Loop BB22_15 Depth 3
                                        ;       Child Loop BB22_18 Depth 3
	v_cmp_gt_i32_e32 vcc, 4, v40
	s_nop 1
	v_cndmask_b32_e64 v38, -4, 0, vcc
	v_add_u32_e32 v74, v38, v40
	v_lshlrev_b32_e32 v75, 3, v74
	ds_read_b32 v38, v75 offset:16384
	s_waitcnt lgkmcnt(0)
	v_cmp_ne_u32_e32 vcc, v38, v47
	s_and_saveexec_b64 s[10:11], vcc
	s_cbranch_execz .LBB22_16
; %bb.14:                               ;   in Loop: Header=BB22_13 Depth=2
	s_mov_b64 s[12:13], 0
.LBB22_15:                              ;   Parent Loop BB22_7 Depth=1
                                        ;     Parent Loop BB22_13 Depth=2
                                        ; =>    This Inner Loop Header: Depth=3
	;;#ASMSTART
	s_sleep 0
	;;#ASMEND
	ds_read_b32 v38, v75 offset:16384
	s_waitcnt lgkmcnt(0)
	v_cmp_eq_u32_e32 vcc, v38, v47
	s_or_b64 s[12:13], vcc, s[12:13]
	s_andn2_b64 exec, exec, s[12:13]
	s_cbranch_execnz .LBB22_15
.LBB22_16:                              ;   in Loop: Header=BB22_13 Depth=2
	s_or_b64 exec, exec, s[10:11]
	v_lshlrev_b32_e32 v77, 11, v74
	v_or_b32_e32 v38, v49, v77
	ds_read2_b32 v[44:45], v38 offset1:32
	ds_read2_b32 v[42:43], v38 offset0:128 offset1:160
	v_add_u32_e32 v38, 0x400, v38
	ds_read2_b32 v[40:41], v38 offset1:32
	ds_read_b32 v78, v75 offset:16388
	ds_read2_b32 v[38:39], v38 offset0:128 offset1:160
	v_add_u32_e32 v76, 1, v47
	ds_write_b32 v75, v76 offset:16384
	s_waitcnt lgkmcnt(2)
	v_cmp_ne_u32_e32 vcc, v78, v47
	s_and_saveexec_b64 s[10:11], vcc
	s_cbranch_execz .LBB22_12
; %bb.17:                               ;   in Loop: Header=BB22_13 Depth=2
	s_mov_b64 s[12:13], 0
.LBB22_18:                              ;   Parent Loop BB22_7 Depth=1
                                        ;     Parent Loop BB22_13 Depth=2
                                        ; =>    This Inner Loop Header: Depth=3
	;;#ASMSTART
	s_sleep 0
	;;#ASMEND
	ds_read_b32 v78, v75 offset:16388
	s_waitcnt lgkmcnt(0)
	v_cmp_eq_u32_e32 vcc, v78, v47
	s_or_b64 s[12:13], vcc, s[12:13]
	s_andn2_b64 exec, exec, s[12:13]
	s_cbranch_execnz .LBB22_18
	s_branch .LBB22_12
.LBB22_19:                              ;   in Loop: Header=BB22_7 Depth=1
	s_or_b64 exec, exec, s[8:9]
.LBB22_20:                              ;   in Loop: Header=BB22_7 Depth=1
	s_or_b64 exec, exec, s[6:7]
	v_cmp_le_i32_e32 vcc, s14, v48
	v_cmp_eq_u32_e64 s[6:7], 3, v51
	v_cmp_eq_u32_e64 s[8:9], 4, v51
	s_waitcnt vmcnt(0)
	v_cndmask_b32_e32 v38, 0, v73, vcc
	s_nop 1
	v_pk_mul_f32 v[0:1], v[38:39], v[0:1] op_sel_hi:[0,1]
	v_cmp_eq_u32_e32 vcc, 1, v51
	v_pk_mul_f32 v[14:15], v[38:39], v[14:15] op_sel_hi:[0,1]
	v_pk_mul_f32 v[12:13], v[38:39], v[12:13] op_sel_hi:[0,1]
	;; [unrolled: 1-line block ×7, first 2 shown]
	v_cndmask_b32_e32 v38, v0, v1, vcc
	v_cmp_eq_u32_e32 vcc, 2, v51
	v_cmp_eq_u32_e64 s[10:11], 5, v51
	v_cmp_eq_u32_e64 s[12:13], 6, v51
	v_cndmask_b32_e32 v38, v38, v2, vcc
	v_cndmask_b32_e64 v38, v38, v3, s[6:7]
	v_cndmask_b32_e64 v38, v38, v4, s[8:9]
	v_cndmask_b32_e64 v38, v38, v5, s[10:11]
	v_cndmask_b32_e64 v38, v38, v6, s[12:13]
	v_cmp_eq_u32_e64 s[14:15], 7, v51
	v_cmp_eq_u32_e64 s[16:17], 8, v51
	v_cmp_eq_u32_e64 s[18:19], 9, v51
	v_cndmask_b32_e64 v38, v38, v7, s[14:15]
	v_cndmask_b32_e64 v38, v38, v8, s[16:17]
	v_cndmask_b32_e64 v38, v38, v9, s[18:19]
	v_cmp_eq_u32_e64 s[20:21], 10, v51
	v_cmp_eq_u32_e64 s[22:23], 11, v51
	v_cmp_eq_u32_e64 s[24:25], 12, v51
	v_cndmask_b32_e64 v38, v38, v10, s[20:21]
	v_cndmask_b32_e64 v38, v38, v11, s[22:23]
	v_cndmask_b32_e64 v38, v38, v12, s[24:25]
	;; [unrolled: 6-line block ×3, first 2 shown]
	ds_bpermute_b32 v38, v71, v38
	v_cmp_eq_u32_e64 s[34:35], 15, v52
	s_waitcnt lgkmcnt(0)
	v_cndmask_b32_e32 v2, v2, v38, vcc
	v_cmp_ne_u32_e32 vcc, 0, v51
	v_cndmask_b32_e64 v15, v15, v38, s[30:31]
	v_cndmask_b32_e64 v14, v14, v38, s[28:29]
	v_cndmask_b32_e32 v1, v1, v38, vcc
	v_cmp_eq_u32_e32 vcc, 0, v51
	v_cndmask_b32_e64 v13, v13, v38, s[26:27]
	v_cndmask_b32_e64 v12, v12, v38, s[24:25]
	v_cndmask_b32_e32 v0, v0, v38, vcc
	v_cmp_eq_u32_e32 vcc, 1, v52
	v_cndmask_b32_e64 v11, v11, v38, s[22:23]
	v_cndmask_b32_e64 v10, v10, v38, s[20:21]
	v_cndmask_b32_e64 v9, v9, v38, s[18:19]
	v_cndmask_b32_e64 v8, v8, v38, s[16:17]
	v_cndmask_b32_e64 v7, v7, v38, s[14:15]
	v_cndmask_b32_e64 v6, v6, v38, s[12:13]
	v_cndmask_b32_e64 v5, v5, v38, s[10:11]
	v_cndmask_b32_e64 v4, v4, v38, s[8:9]
	v_cndmask_b32_e64 v3, v3, v38, s[6:7]
	v_cndmask_b32_e32 v38, v0, v1, vcc
	v_cmp_eq_u32_e64 s[6:7], 2, v52
	v_cmp_eq_u32_e64 s[8:9], 3, v52
	v_cmp_eq_u32_e64 s[10:11], 4, v52
	v_cndmask_b32_e64 v38, v38, v2, s[6:7]
	v_cndmask_b32_e64 v38, v38, v3, s[8:9]
	v_cndmask_b32_e64 v38, v38, v4, s[10:11]
	v_cmp_eq_u32_e64 s[12:13], 5, v52
	v_cmp_eq_u32_e64 s[14:15], 6, v52
	v_cmp_eq_u32_e64 s[16:17], 7, v52
	v_cndmask_b32_e64 v38, v38, v5, s[12:13]
	v_cndmask_b32_e64 v38, v38, v6, s[14:15]
	v_cndmask_b32_e64 v38, v38, v7, s[16:17]
	;; [unrolled: 6-line block ×4, first 2 shown]
	v_cmp_eq_u32_e64 s[30:31], 14, v52
	s_nop 1
	v_cndmask_b32_e64 v38, v38, v14, s[30:31]
	v_cndmask_b32_e64 v38, v38, v15, s[34:35]
	ds_bpermute_b32 v38, v71, v38
	s_waitcnt lgkmcnt(0)
	v_cndmask_b32_e32 v1, v1, v38, vcc
	v_cmp_eq_u32_e32 vcc, 0, v52
	v_cndmask_b32_e64 v15, v15, v38, s[34:35]
	v_cndmask_b32_e64 v14, v14, v38, s[30:31]
	v_cndmask_b32_e32 v0, v0, v38, vcc
	v_cmp_eq_u32_e32 vcc, 1, v53
	v_cndmask_b32_e64 v13, v13, v38, s[28:29]
	v_cndmask_b32_e64 v12, v12, v38, s[26:27]
	v_cndmask_b32_e64 v11, v11, v38, s[24:25]
	v_cndmask_b32_e64 v10, v10, v38, s[22:23]
	v_cndmask_b32_e64 v9, v9, v38, s[20:21]
	v_cndmask_b32_e64 v8, v8, v38, s[18:19]
	v_cndmask_b32_e64 v7, v7, v38, s[16:17]
	v_cndmask_b32_e64 v6, v6, v38, s[14:15]
	v_cndmask_b32_e64 v5, v5, v38, s[12:13]
	v_cndmask_b32_e64 v4, v4, v38, s[10:11]
	v_cndmask_b32_e64 v3, v3, v38, s[8:9]
	v_cndmask_b32_e64 v2, v2, v38, s[6:7]
	v_cndmask_b32_e32 v38, v0, v1, vcc
	v_cmp_eq_u32_e64 s[6:7], 2, v53
	v_cmp_eq_u32_e64 s[8:9], 3, v53
	v_cmp_eq_u32_e64 s[10:11], 4, v53
	v_cndmask_b32_e64 v38, v38, v2, s[6:7]
	v_cndmask_b32_e64 v38, v38, v3, s[8:9]
	v_cndmask_b32_e64 v38, v38, v4, s[10:11]
	v_cmp_eq_u32_e64 s[12:13], 5, v53
	v_cmp_eq_u32_e64 s[14:15], 6, v53
	v_cmp_eq_u32_e64 s[16:17], 7, v53
	v_cndmask_b32_e64 v38, v38, v5, s[12:13]
	v_cndmask_b32_e64 v38, v38, v6, s[14:15]
	v_cndmask_b32_e64 v38, v38, v7, s[16:17]
	v_cmp_eq_u32_e64 s[18:19], 8, v53
	v_cmp_eq_u32_e64 s[20:21], 9, v53
	v_cmp_eq_u32_e64 s[22:23], 10, v53
	v_cndmask_b32_e64 v38, v38, v8, s[18:19]
	v_cndmask_b32_e64 v38, v38, v9, s[20:21]
	v_cndmask_b32_e64 v38, v38, v10, s[22:23]
	v_cmp_eq_u32_e64 s[24:25], 11, v53
	v_cmp_eq_u32_e64 s[26:27], 12, v53
	v_cmp_eq_u32_e64 s[28:29], 13, v53
	v_cndmask_b32_e64 v38, v38, v11, s[24:25]
	v_cndmask_b32_e64 v38, v38, v12, s[26:27]
	v_cndmask_b32_e64 v38, v38, v13, s[28:29]
	v_cmp_eq_u32_e64 s[30:31], 14, v53
	v_cmp_eq_u32_e64 s[34:35], 15, v53
	s_nop 0
	v_cndmask_b32_e64 v38, v38, v14, s[30:31]
	v_cndmask_b32_e64 v38, v38, v15, s[34:35]
	ds_bpermute_b32 v38, v71, v38
	s_waitcnt lgkmcnt(0)
	v_cndmask_b32_e32 v1, v1, v38, vcc
	v_cmp_eq_u32_e32 vcc, 0, v53
	v_cndmask_b32_e64 v15, v15, v38, s[34:35]
	v_cndmask_b32_e64 v14, v14, v38, s[30:31]
	v_cndmask_b32_e32 v0, v0, v38, vcc
	v_cmp_eq_u32_e32 vcc, 1, v54
	v_cndmask_b32_e64 v13, v13, v38, s[28:29]
	v_cndmask_b32_e64 v12, v12, v38, s[26:27]
	v_cndmask_b32_e64 v11, v11, v38, s[24:25]
	v_cndmask_b32_e64 v10, v10, v38, s[22:23]
	v_cndmask_b32_e64 v9, v9, v38, s[20:21]
	v_cndmask_b32_e64 v8, v8, v38, s[18:19]
	v_cndmask_b32_e64 v7, v7, v38, s[16:17]
	v_cndmask_b32_e64 v6, v6, v38, s[14:15]
	v_cndmask_b32_e64 v5, v5, v38, s[12:13]
	v_cndmask_b32_e64 v4, v4, v38, s[10:11]
	v_cndmask_b32_e64 v3, v3, v38, s[8:9]
	v_cndmask_b32_e64 v2, v2, v38, s[6:7]
	v_cndmask_b32_e32 v38, v0, v1, vcc
	v_cmp_eq_u32_e64 s[6:7], 2, v54
	v_cmp_eq_u32_e64 s[8:9], 3, v54
	v_cmp_eq_u32_e64 s[10:11], 4, v54
	v_cndmask_b32_e64 v38, v38, v2, s[6:7]
	v_cndmask_b32_e64 v38, v38, v3, s[8:9]
	v_cndmask_b32_e64 v38, v38, v4, s[10:11]
	v_cmp_eq_u32_e64 s[12:13], 5, v54
	v_cmp_eq_u32_e64 s[14:15], 6, v54
	v_cmp_eq_u32_e64 s[16:17], 7, v54
	v_cndmask_b32_e64 v38, v38, v5, s[12:13]
	v_cndmask_b32_e64 v38, v38, v6, s[14:15]
	v_cndmask_b32_e64 v38, v38, v7, s[16:17]
	v_cmp_eq_u32_e64 s[18:19], 8, v54
	v_cmp_eq_u32_e64 s[20:21], 9, v54
	v_cmp_eq_u32_e64 s[22:23], 10, v54
	v_cndmask_b32_e64 v38, v38, v8, s[18:19]
	v_cndmask_b32_e64 v38, v38, v9, s[20:21]
	v_cndmask_b32_e64 v38, v38, v10, s[22:23]
	v_cmp_eq_u32_e64 s[24:25], 11, v54
	v_cmp_eq_u32_e64 s[26:27], 12, v54
	v_cmp_eq_u32_e64 s[28:29], 13, v54
	v_cndmask_b32_e64 v38, v38, v11, s[24:25]
	v_cndmask_b32_e64 v38, v38, v12, s[26:27]
	v_cndmask_b32_e64 v38, v38, v13, s[28:29]
	v_cmp_eq_u32_e64 s[30:31], 14, v54
	;; [unrolled: 50-line block ×4, first 2 shown]
	v_cmp_eq_u32_e64 s[34:35], 15, v56
	s_nop 0
	v_cndmask_b32_e64 v38, v38, v14, s[30:31]
	v_cndmask_b32_e64 v38, v38, v15, s[34:35]
	ds_bpermute_b32 v38, v71, v38
	s_waitcnt lgkmcnt(0)
	v_cndmask_b32_e32 v1, v1, v38, vcc
	v_cmp_eq_u32_e32 vcc, 0, v56
	v_cndmask_b32_e64 v15, v15, v38, s[34:35]
	v_cndmask_b32_e64 v14, v14, v38, s[30:31]
	;; [unrolled: 1-line block ×14, first 2 shown]
	v_cndmask_b32_e32 v38, v0, v38, vcc
	v_cmp_eq_u32_e32 vcc, 1, v57
	v_cmp_eq_u32_e64 s[6:7], 2, v57
	v_cmp_eq_u32_e64 s[8:9], 3, v57
	v_cndmask_b32_e32 v0, v38, v1, vcc
	v_cndmask_b32_e64 v0, v0, v74, s[6:7]
	v_cndmask_b32_e64 v0, v0, v73, s[8:9]
	v_cmp_eq_u32_e64 s[10:11], 4, v57
	v_cmp_eq_u32_e64 s[12:13], 5, v57
	v_cmp_eq_u32_e64 s[14:15], 6, v57
	v_cndmask_b32_e64 v0, v0, v45, s[10:11]
	v_cndmask_b32_e64 v0, v0, v44, s[12:13]
	v_cndmask_b32_e64 v0, v0, v43, s[14:15]
	v_cmp_eq_u32_e64 s[16:17], 7, v57
	v_cmp_eq_u32_e64 s[18:19], 8, v57
	v_cmp_eq_u32_e64 s[20:21], 9, v57
	v_cndmask_b32_e64 v0, v0, v42, s[16:17]
	;; [unrolled: 6-line block ×4, first 2 shown]
	v_cndmask_b32_e64 v0, v0, v14, s[30:31]
	v_cndmask_b32_e64 v0, v0, v15, s[34:35]
	ds_bpermute_b32 v75, v71, v0
	s_waitcnt lgkmcnt(0)
	v_cndmask_b32_e32 v0, v1, v75, vcc
	v_cmp_eq_u32_e32 vcc, 0, v57
	v_cndmask_b32_e64 v4, v15, v75, s[34:35]
	v_cndmask_b32_e64 v15, v74, v75, s[6:7]
	v_cndmask_b32_e32 v1, v38, v75, vcc
	v_cmp_eq_u32_e32 vcc, 1, v58
	v_cndmask_b32_e64 v5, v14, v75, s[30:31]
	v_cndmask_b32_e64 v14, v73, v75, s[8:9]
	;; [unrolled: 4-line block ×7, first 2 shown]
	v_cndmask_b32_e32 v38, v38, v13, vcc
	v_cmp_eq_u32_e32 vcc, 7, v58
	s_nop 1
	v_cndmask_b32_e32 v38, v38, v12, vcc
	v_cmp_eq_u32_e32 vcc, 8, v58
	s_nop 1
	;; [unrolled: 3-line block ×9, first 2 shown]
	v_cndmask_b32_e32 v38, v38, v4, vcc
	ds_bpermute_b32 v38, v71, v38
	v_cmp_lt_i32_e32 vcc, s75, v59
	s_and_saveexec_b64 s[60:61], vcc
	s_cbranch_execz .LBB22_29
; %bb.21:                               ;   in Loop: Header=BB22_7 Depth=1
	s_mul_i32 s6, s73, s37
	s_ashr_i32 s7, s6, 31
	s_lshl_b64 s[6:7], s[6:7], 1
	v_cmp_eq_u32_e64 s[30:31], 1, v58
	s_add_u32 s8, s48, s6
	s_addc_u32 s9, s49, s7
	s_waitcnt lgkmcnt(0)
	v_cndmask_b32_e64 v0, v0, v38, s[30:31]
	v_cmp_eq_u32_e64 s[30:31], 0, v58
	s_ashr_i32 s55, s54, 31
	s_lshl_b64 s[6:7], s[54:55], 1
	v_cndmask_b32_e64 v1, v1, v38, s[30:31]
	v_cvt_f16_f32_e32 v39, v1
	v_cvt_f16_f32_sdwa v41, v0 dst_sel:WORD_1 dst_unused:UNUSED_PAD src0_sel:DWORD
	s_add_u32 s34, s8, s6
	s_addc_u32 s35, s9, s7
	v_cmp_eq_u32_e64 s[8:9], 15, v58
	v_cmp_eq_u32_e64 s[10:11], 14, v58
	;; [unrolled: 1-line block ×10, first 2 shown]
	v_cmp_eq_u32_e32 vcc, 5, v58
	v_cmp_eq_u32_e64 s[6:7], 4, v58
	v_cmp_eq_u32_e64 s[28:29], 3, v58
	;; [unrolled: 1-line block ×3, first 2 shown]
	v_lshl_add_u64 v[0:1], s[34:35], 0, v[16:17]
	v_cmp_lt_i32_e64 s[34:35], s75, v60
	v_lshl_add_u64 v[42:43], v[18:19], 1, v[0:1]
	v_or_b32_e32 v39, v41, v39
	;;#ASMSTART
	global_atomic_pk_add_f16 v[42:43], v39, off
	
	;;#ASMEND
	s_and_b64 exec, exec, s[34:35]
	s_cbranch_execz .LBB22_29
; %bb.22:                               ;   in Loop: Header=BB22_7 Depth=1
	v_cndmask_b32_e64 v14, v14, v38, s[28:29]
	v_cndmask_b32_e64 v15, v15, v38, s[30:31]
	v_cvt_f16_f32_e32 v39, v15
	v_cvt_f16_f32_sdwa v41, v14 dst_sel:WORD_1 dst_unused:UNUSED_PAD src0_sel:DWORD
	v_cndmask_b32_e64 v4, v4, v38, s[8:9]
	v_cndmask_b32_e64 v5, v5, v38, s[10:11]
	v_cndmask_b32_e64 v6, v6, v38, s[12:13]
	v_cndmask_b32_e64 v7, v7, v38, s[14:15]
	v_cndmask_b32_e64 v8, v8, v38, s[16:17]
	v_cndmask_b32_e64 v9, v9, v38, s[18:19]
	v_cndmask_b32_e64 v10, v10, v38, s[20:21]
	v_cndmask_b32_e64 v11, v11, v38, s[22:23]
	v_cndmask_b32_e64 v12, v12, v38, s[24:25]
	v_cndmask_b32_e64 v13, v13, v38, s[26:27]
	v_cndmask_b32_e32 v2, v2, v38, vcc
	v_cndmask_b32_e64 v3, v3, v38, s[6:7]
	v_cmp_lt_i32_e32 vcc, s75, v61
	v_lshl_add_u64 v[14:15], v[20:21], 1, v[0:1]
	v_or_b32_e32 v38, v41, v39
	;;#ASMSTART
	global_atomic_pk_add_f16 v[14:15], v38, off
	
	;;#ASMEND
	s_and_b64 exec, exec, vcc
	s_cbranch_execz .LBB22_29
; %bb.23:                               ;   in Loop: Header=BB22_7 Depth=1
	v_cvt_f16_f32_e32 v14, v3
	v_cvt_f16_f32_sdwa v15, v2 dst_sel:WORD_1 dst_unused:UNUSED_PAD src0_sel:DWORD
	v_cmp_lt_i32_e32 vcc, s75, v62
	v_lshl_add_u64 v[2:3], v[22:23], 1, v[0:1]
	v_or_b32_e32 v14, v15, v14
	;;#ASMSTART
	global_atomic_pk_add_f16 v[2:3], v14, off
	
	;;#ASMEND
	s_and_b64 exec, exec, vcc
	s_cbranch_execz .LBB22_29
; %bb.24:                               ;   in Loop: Header=BB22_7 Depth=1
	v_cvt_f16_f32_e32 v13, v13
	v_cvt_f16_f32_sdwa v12, v12 dst_sel:WORD_1 dst_unused:UNUSED_PAD src0_sel:DWORD
	;; [unrolled: 12-line block ×6, first 2 shown]
	v_lshl_add_u64 v[0:1], v[32:33], 1, v[0:1]
	v_or_b32_e32 v2, v3, v2
	;;#ASMSTART
	global_atomic_pk_add_f16 v[0:1], v2, off
	
	;;#ASMEND
.LBB22_29:                              ;   in Loop: Header=BB22_7 Depth=1
	s_or_b64 exec, exec, s[60:61]
	v_subrev_u32_e32 v72, s72, v72
.LBB22_30:                              ;   in Loop: Header=BB22_7 Depth=1
	s_or_b64 exec, exec, s[58:59]
.LBB22_31:                              ;   in Loop: Header=BB22_7 Depth=1
	s_andn2_saveexec_b64 s[6:7], s[56:57]
	s_cbranch_execz .LBB22_40
; %bb.32:                               ;   in Loop: Header=BB22_7 Depth=1
	v_cmp_gt_i32_e32 vcc, s72, v72
	s_and_saveexec_b64 s[8:9], vcc
	s_cbranch_execz .LBB22_39
; %bb.33:                               ;   in Loop: Header=BB22_7 Depth=1
	s_mul_i32 s10, s54, s39
	s_ashr_i32 s11, s10, 31
	s_waitcnt lgkmcnt(0)
	s_add_u32 s10, s46, s10
	s_addc_u32 s11, s47, s11
	s_ashr_i32 s12, s74, 31
	s_add_u32 s10, s10, s74
	s_addc_u32 s11, s11, s12
	v_lshl_add_u64 v[0:1], s[10:11], 0, v[36:37]
	v_lshl_add_u64 v[8:9], v[0:1], 0, v[34:35]
	s_mov_b64 s[10:11], 0
	s_branch .LBB22_35
.LBB22_34:                              ;   in Loop: Header=BB22_35 Depth=2
	s_or_b64 exec, exec, s[12:13]
	v_lshl_add_u32 v12, v10, 11, v67
	;;#ASMSTART
	s_waitcnt vmcnt(1)
	;;#ASMEND
	ds_write2_b32 v12, v4, v5 offset1:32
	ds_write2_b32 v12, v6, v7 offset0:64 offset1:96
	v_add_u32_e32 v4, 0x400, v12
	v_add_u32_e32 v72, s42, v72
	;;#ASMSTART
	s_waitcnt vmcnt(0)
	;;#ASMEND
	ds_write2_b32 v4, v0, v1 offset1:32
	ds_write2_b32 v4, v2, v3 offset0:64 offset1:96
	v_add_u32_e32 v0, 1, v47
	v_add_u32_e32 v40, s42, v10
	v_cmp_le_i32_e32 vcc, s72, v72
	ds_write_b32 v11, v0 offset:16
	v_add_u32_e32 v0, 2, v47
	s_or_b64 s[10:11], vcc, s[10:11]
	v_cmp_lt_i32_e32 vcc, 3, v40
	s_nop 1
	v_cndmask_b32_e32 v47, v47, v0, vcc
	s_andn2_b64 exec, exec, s[10:11]
	s_cbranch_execz .LBB22_38
.LBB22_35:                              ;   Parent Loop BB22_7 Depth=1
                                        ; =>  This Loop Header: Depth=2
                                        ;       Child Loop BB22_37 Depth 3
	v_cmp_gt_i32_e32 vcc, 4, v40
	s_nop 1
	v_cndmask_b32_e64 v0, -4, 0, vcc
	v_add_u32_e32 v10, v0, v40
	v_lshlrev_b32_e32 v0, 6, v72
	v_ashrrev_i32_e32 v1, 31, v0
	v_lshl_add_u64 v[0:1], v[8:9], 0, v[0:1]
	v_lshlrev_b32_e32 v11, 2, v10
	;;#ASMSTART
	global_load_dwordx4 v[4:7], v[0:1], off offset:0   sc0 sc1 nt  
	global_load_dwordx4 v[0:3], v[0:1], off offset:32  sc0 sc1 nt  
	
	;;#ASMEND
	ds_read_b32 v12, v11 offset:16400
	v_add_u32_e32 v11, 0x4000, v11
	s_waitcnt lgkmcnt(0)
	v_cmp_ne_u32_e32 vcc, v12, v47
	s_and_saveexec_b64 s[12:13], vcc
	s_cbranch_execz .LBB22_34
; %bb.36:                               ;   in Loop: Header=BB22_35 Depth=2
	s_mov_b64 s[14:15], 0
.LBB22_37:                              ;   Parent Loop BB22_7 Depth=1
                                        ;     Parent Loop BB22_35 Depth=2
                                        ; =>    This Inner Loop Header: Depth=3
	;;#ASMSTART
	s_sleep 0
	;;#ASMEND
	ds_read_b32 v12, v11 offset:16
	s_waitcnt lgkmcnt(0)
	v_cmp_eq_u32_e32 vcc, v12, v47
	s_or_b64 s[14:15], vcc, s[14:15]
	s_andn2_b64 exec, exec, s[14:15]
	s_cbranch_execnz .LBB22_37
	s_branch .LBB22_34
.LBB22_38:                              ;   in Loop: Header=BB22_7 Depth=1
	s_or_b64 exec, exec, s[10:11]
.LBB22_39:                              ;   in Loop: Header=BB22_7 Depth=1
	s_or_b64 exec, exec, s[8:9]
	v_subrev_u32_e32 v72, s72, v72
.LBB22_40:                              ;   in Loop: Header=BB22_7 Depth=1
	s_or_b64 exec, exec, s[6:7]
.LBB22_41:                              ;   in Loop: Header=BB22_7 Depth=1
	s_andn2_saveexec_b64 s[6:7], s[52:53]
	s_cbranch_execz .LBB22_6
; %bb.42:                               ;   in Loop: Header=BB22_7 Depth=1
	v_cmp_gt_i32_e32 vcc, s72, v72
	s_and_saveexec_b64 s[8:9], vcc
	s_cbranch_execz .LBB22_5
; %bb.43:                               ;   in Loop: Header=BB22_7 Depth=1
	s_mul_i32 s73, s73, s38
	s_ashr_i32 s10, s73, 31
	s_waitcnt lgkmcnt(0)
	s_add_u32 s11, s44, s73
	s_addc_u32 s12, s45, s10
	s_ashr_i32 s13, s74, 31
	v_cmp_le_i32_e32 vcc, s75, v68
	s_add_u32 s10, s11, s74
	s_addc_u32 s11, s12, s13
	v_cndmask_b32_e32 v0, 0, v69, vcc
	v_ashrrev_i32_e32 v1, 31, v0
	v_lshl_add_u64 v[0:1], s[10:11], 0, v[0:1]
	v_lshl_add_u64 v[8:9], v[0:1], 0, v[34:35]
	s_mov_b64 s[10:11], 0
	s_branch .LBB22_45
.LBB22_44:                              ;   in Loop: Header=BB22_45 Depth=2
	s_or_b64 exec, exec, s[12:13]
	v_lshl_or_b32 v12, v10, 11, v70
	;;#ASMSTART
	s_waitcnt vmcnt(1)
	;;#ASMEND
	ds_write2_b32 v12, v4, v5 offset1:32
	ds_write2_b32 v12, v6, v7 offset0:64 offset1:96
	v_add_u32_e32 v4, 0x400, v12
	v_add_u32_e32 v72, s41, v72
	;;#ASMSTART
	s_waitcnt vmcnt(0)
	;;#ASMEND
	ds_write2_b32 v4, v0, v1 offset1:32
	ds_write2_b32 v4, v2, v3 offset0:64 offset1:96
	v_add_u32_e32 v0, 1, v47
	v_add_u32_e32 v40, s41, v10
	v_cmp_le_i32_e32 vcc, s72, v72
	ds_write_b32 v11, v0
	v_add_u32_e32 v0, 2, v47
	s_or_b64 s[10:11], vcc, s[10:11]
	v_cmp_lt_i32_e32 vcc, 3, v40
	s_nop 1
	v_cndmask_b32_e32 v47, v47, v0, vcc
	s_andn2_b64 exec, exec, s[10:11]
	s_cbranch_execz .LBB22_4
.LBB22_45:                              ;   Parent Loop BB22_7 Depth=1
                                        ; =>  This Loop Header: Depth=2
                                        ;       Child Loop BB22_47 Depth 3
	v_cmp_gt_i32_e32 vcc, 4, v40
	s_nop 1
	v_cndmask_b32_e64 v0, -4, 0, vcc
	v_add_u32_e32 v10, v0, v40
	v_lshlrev_b32_e32 v0, 6, v72
	v_ashrrev_i32_e32 v1, 31, v0
	v_lshl_add_u64 v[0:1], v[8:9], 0, v[0:1]
	v_lshlrev_b32_e32 v11, 2, v10
	;;#ASMSTART
	global_load_dwordx4 v[4:7], v[0:1], off offset:0   
	global_load_dwordx4 v[0:3], v[0:1], off offset:32  
	
	;;#ASMEND
	ds_read_b32 v12, v11 offset:16384
	v_add_u32_e32 v11, 0x4000, v11
	s_waitcnt lgkmcnt(0)
	v_cmp_ne_u32_e32 vcc, v12, v47
	s_and_saveexec_b64 s[12:13], vcc
	s_cbranch_execz .LBB22_44
; %bb.46:                               ;   in Loop: Header=BB22_45 Depth=2
	s_mov_b64 s[14:15], 0
.LBB22_47:                              ;   Parent Loop BB22_7 Depth=1
                                        ;     Parent Loop BB22_45 Depth=2
                                        ; =>    This Inner Loop Header: Depth=3
	;;#ASMSTART
	s_sleep 0
	;;#ASMEND
	ds_read_b32 v12, v11
	s_waitcnt lgkmcnt(0)
	v_cmp_eq_u32_e32 vcc, v12, v47
	s_or_b64 s[14:15], vcc, s[14:15]
	s_andn2_b64 exec, exec, s[14:15]
	s_cbranch_execnz .LBB22_47
	s_branch .LBB22_44
.LBB22_48:
	s_endpgm
	.section	.rodata,"a",@progbits
	.p2align	6, 0x0
	.amdhsa_kernel _Z19_skinny_gemm_kernelILi1ELi1ELi4ELi32ELi4EEvPKhS1_P6__halfPKfiiiiiiii
		.amdhsa_group_segment_fixed_size 16416
		.amdhsa_private_segment_fixed_size 0
		.amdhsa_kernarg_size 64
		.amdhsa_user_sgpr_count 2
		.amdhsa_user_sgpr_dispatch_ptr 0
		.amdhsa_user_sgpr_queue_ptr 0
		.amdhsa_user_sgpr_kernarg_segment_ptr 1
		.amdhsa_user_sgpr_dispatch_id 0
		.amdhsa_user_sgpr_kernarg_preload_length 0
		.amdhsa_user_sgpr_kernarg_preload_offset 0
		.amdhsa_user_sgpr_private_segment_size 0
		.amdhsa_uses_dynamic_stack 0
		.amdhsa_enable_private_segment 0
		.amdhsa_system_sgpr_workgroup_id_x 1
		.amdhsa_system_sgpr_workgroup_id_y 0
		.amdhsa_system_sgpr_workgroup_id_z 0
		.amdhsa_system_sgpr_workgroup_info 0
		.amdhsa_system_vgpr_workitem_id 0
		.amdhsa_next_free_vgpr 80
		.amdhsa_next_free_sgpr 76
		.amdhsa_accum_offset 80
		.amdhsa_reserve_vcc 1
		.amdhsa_float_round_mode_32 0
		.amdhsa_float_round_mode_16_64 0
		.amdhsa_float_denorm_mode_32 3
		.amdhsa_float_denorm_mode_16_64 3
		.amdhsa_dx10_clamp 1
		.amdhsa_ieee_mode 1
		.amdhsa_fp16_overflow 0
		.amdhsa_tg_split 0
		.amdhsa_exception_fp_ieee_invalid_op 0
		.amdhsa_exception_fp_denorm_src 0
		.amdhsa_exception_fp_ieee_div_zero 0
		.amdhsa_exception_fp_ieee_overflow 0
		.amdhsa_exception_fp_ieee_underflow 0
		.amdhsa_exception_fp_ieee_inexact 0
		.amdhsa_exception_int_div_zero 0
	.end_amdhsa_kernel
	.section	.text._Z19_skinny_gemm_kernelILi1ELi1ELi4ELi32ELi4EEvPKhS1_P6__halfPKfiiiiiiii,"axG",@progbits,_Z19_skinny_gemm_kernelILi1ELi1ELi4ELi32ELi4EEvPKhS1_P6__halfPKfiiiiiiii,comdat
.Lfunc_end22:
	.size	_Z19_skinny_gemm_kernelILi1ELi1ELi4ELi32ELi4EEvPKhS1_P6__halfPKfiiiiiiii, .Lfunc_end22-_Z19_skinny_gemm_kernelILi1ELi1ELi4ELi32ELi4EEvPKhS1_P6__halfPKfiiiiiiii
                                        ; -- End function
	.set _Z19_skinny_gemm_kernelILi1ELi1ELi4ELi32ELi4EEvPKhS1_P6__halfPKfiiiiiiii.num_vgpr, 80
	.set _Z19_skinny_gemm_kernelILi1ELi1ELi4ELi32ELi4EEvPKhS1_P6__halfPKfiiiiiiii.num_agpr, 0
	.set _Z19_skinny_gemm_kernelILi1ELi1ELi4ELi32ELi4EEvPKhS1_P6__halfPKfiiiiiiii.numbered_sgpr, 76
	.set _Z19_skinny_gemm_kernelILi1ELi1ELi4ELi32ELi4EEvPKhS1_P6__halfPKfiiiiiiii.num_named_barrier, 0
	.set _Z19_skinny_gemm_kernelILi1ELi1ELi4ELi32ELi4EEvPKhS1_P6__halfPKfiiiiiiii.private_seg_size, 0
	.set _Z19_skinny_gemm_kernelILi1ELi1ELi4ELi32ELi4EEvPKhS1_P6__halfPKfiiiiiiii.uses_vcc, 1
	.set _Z19_skinny_gemm_kernelILi1ELi1ELi4ELi32ELi4EEvPKhS1_P6__halfPKfiiiiiiii.uses_flat_scratch, 0
	.set _Z19_skinny_gemm_kernelILi1ELi1ELi4ELi32ELi4EEvPKhS1_P6__halfPKfiiiiiiii.has_dyn_sized_stack, 0
	.set _Z19_skinny_gemm_kernelILi1ELi1ELi4ELi32ELi4EEvPKhS1_P6__halfPKfiiiiiiii.has_recursion, 0
	.set _Z19_skinny_gemm_kernelILi1ELi1ELi4ELi32ELi4EEvPKhS1_P6__halfPKfiiiiiiii.has_indirect_call, 0
	.section	.AMDGPU.csdata,"",@progbits
; Kernel info:
; codeLenInByte = 5972
; TotalNumSgprs: 82
; NumVgprs: 80
; NumAgprs: 0
; TotalNumVgprs: 80
; ScratchSize: 0
; MemoryBound: 0
; FloatMode: 240
; IeeeMode: 1
; LDSByteSize: 16416 bytes/workgroup (compile time only)
; SGPRBlocks: 10
; VGPRBlocks: 9
; NumSGPRsForWavesPerEU: 82
; NumVGPRsForWavesPerEU: 80
; AccumOffset: 80
; Occupancy: 6
; WaveLimiterHint : 0
; COMPUTE_PGM_RSRC2:SCRATCH_EN: 0
; COMPUTE_PGM_RSRC2:USER_SGPR: 2
; COMPUTE_PGM_RSRC2:TRAP_HANDLER: 0
; COMPUTE_PGM_RSRC2:TGID_X_EN: 1
; COMPUTE_PGM_RSRC2:TGID_Y_EN: 0
; COMPUTE_PGM_RSRC2:TGID_Z_EN: 0
; COMPUTE_PGM_RSRC2:TIDIG_COMP_CNT: 0
; COMPUTE_PGM_RSRC3_GFX90A:ACCUM_OFFSET: 19
; COMPUTE_PGM_RSRC3_GFX90A:TG_SPLIT: 0
	.section	.text._Z19_skinny_gemm_kernelILi1ELi1ELi4ELi32ELi8EEvPKhS1_P6__halfPKfiiiiiiii,"axG",@progbits,_Z19_skinny_gemm_kernelILi1ELi1ELi4ELi32ELi8EEvPKhS1_P6__halfPKfiiiiiiii,comdat
	.protected	_Z19_skinny_gemm_kernelILi1ELi1ELi4ELi32ELi8EEvPKhS1_P6__halfPKfiiiiiiii ; -- Begin function _Z19_skinny_gemm_kernelILi1ELi1ELi4ELi32ELi8EEvPKhS1_P6__halfPKfiiiiiiii
	.globl	_Z19_skinny_gemm_kernelILi1ELi1ELi4ELi32ELi8EEvPKhS1_P6__halfPKfiiiiiiii
	.p2align	8
	.type	_Z19_skinny_gemm_kernelILi1ELi1ELi4ELi32ELi8EEvPKhS1_P6__halfPKfiiiiiiii,@function
_Z19_skinny_gemm_kernelILi1ELi1ELi4ELi32ELi8EEvPKhS1_P6__halfPKfiiiiiiii: ; @_Z19_skinny_gemm_kernelILi1ELi1ELi4ELi32ELi8EEvPKhS1_P6__halfPKfiiiiiiii
; %bb.0:
	v_cmp_gt_u32_e32 vcc, 8, v0
	s_and_saveexec_b64 s[4:5], vcc
; %bb.1:
	v_lshlrev_b32_e32 v1, 2, v0
	v_mov_b32_e32 v2, 0
	ds_write_b32 v1, v2 offset:32768
; %bb.2:
	s_or_b64 exec, exec, s[4:5]
	s_load_dwordx8 s[36:43], s[0:1], 0x20
	s_waitcnt lgkmcnt(0)
	s_barrier
	s_add_i32 s3, s36, 31
	s_ashr_i32 s5, s3, 31
	s_add_i32 s4, s37, 31
	s_lshr_b32 s5, s5, 27
	s_ashr_i32 s6, s4, 31
	s_add_i32 s3, s3, s5
	s_ashr_i32 s33, s3, 5
	s_lshr_b32 s3, s6, 27
	s_add_i32 s4, s4, s3
	s_ashr_i32 s62, s4, 5
	s_mul_i32 s3, s62, s33
	s_mul_i32 s3, s3, s40
	s_add_i32 s4, s3, 0x12f
	s_mul_hi_i32 s4, s4, 0x6bca1af3
	s_lshr_b32 s5, s4, 31
	s_ashr_i32 s4, s4, 7
	s_add_i32 s4, s4, s5
	s_add_i32 s5, s2, 1
	s_mul_i32 s5, s4, s5
	v_cvt_f64_i32_e32 v[2:3], s3
	v_cvt_f64_u32_e32 v[4:5], s5
	v_min_f64 v[2:3], v[2:3], v[4:5]
	v_cvt_i32_f64_e32 v54, v[2:3]
	s_mul_i32 s63, s4, s2
	v_cmp_ge_i32_e32 vcc, s63, v54
	s_cbranch_vccnz .LBB23_48
; %bb.3:
	v_lshrrev_b32_e32 v1, 6, v0
	s_add_i32 s4, s42, s41
	s_load_dwordx8 s[44:51], s[0:1], 0x0
	v_cmp_le_i32_e64 s[0:1], s4, v1
	v_mov_b32_e32 v2, s41
	v_cmp_le_i32_e64 s[2:3], s41, v1
	v_mov_b32_e32 v3, s42
	v_cndmask_b32_e64 v3, 0, v3, s[0:1]
	v_cndmask_b32_e64 v2, 0, v2, s[2:3]
	s_abs_i32 s5, s40
	v_add_u32_e32 v2, v2, v3
	v_cvt_f32_u32_e32 v3, s5
	v_sub_u32_e32 v40, v1, v2
	s_ashr_i32 s6, s38, 31
	s_lshr_b32 s6, s6, 25
	v_rcp_iflag_f32_e32 v2, v3
	s_sub_i32 s9, 0, s5
	s_add_i32 s6, s38, s6
	s_ashr_i32 s6, s6, 7
	v_mul_f32_e32 v2, 0x4f7ffffe, v2
	v_cvt_u32_f32_e32 v2, v2
	s_abs_i32 s8, s6
	s_xor_b32 s7, s6, s40
	s_ashr_i32 s7, s7, 31
	v_readfirstlane_b32 s10, v2
	s_mul_i32 s9, s9, s10
	s_mul_hi_u32 s9, s10, s9
	s_add_i32 s10, s10, s9
	s_mul_hi_u32 s9, s8, s10
	s_mul_i32 s10, s9, s5
	s_sub_i32 s8, s8, s10
	s_add_i32 s10, s9, 1
	s_sub_i32 s11, s8, s5
	s_cmp_ge_u32 s8, s5
	s_cselect_b32 s9, s10, s9
	s_cselect_b32 s8, s11, s8
	s_add_i32 s10, s9, 1
	s_cmp_ge_u32 s8, s5
	s_cselect_b32 s5, s10, s9
	s_xor_b32 s5, s5, s7
	s_sub_i32 s64, s5, s7
	s_add_i32 s40, s40, -1
	s_mul_i32 s5, s64, s40
	s_add_i32 s4, s4, s43
	v_and_b32_e32 v56, 31, v0
	v_lshrrev_b32_e32 v2, 3, v0
	s_sub_i32 s65, s6, s5
	v_cmp_gt_i32_e64 s[4:5], s4, v1
	v_lshlrev_b32_e32 v1, 2, v56
	v_and_b32_e32 v3, 4, v2
	v_and_b32_e32 v5, 1, v0
	v_lshlrev_b32_e32 v2, 6, v3
	v_or_b32_e32 v4, 0x4000, v1
	v_or_b32_e32 v3, v3, v5
	;; [unrolled: 1-line block ×4, first 2 shown]
	v_lshlrev_b32_e32 v2, 1, v5
	v_or_b32_e32 v5, 2, v3
	v_sub_u32_e32 v68, 32, v5
	v_or_b32_e32 v5, 8, v3
	v_sub_u32_e32 v69, 32, v5
	;; [unrolled: 2-line block ×5, first 2 shown]
	v_mul_lo_u32 v18, s37, v3
	v_sub_u32_e32 v72, 32, v5
	v_or_b32_e32 v5, 24, v3
	v_or_b32_e32 v3, 26, v3
	v_sub_u32_e32 v74, 32, v3
	v_lshrrev_b32_e32 v3, 1, v0
	s_abs_i32 s66, s33
	v_and_b32_e32 v34, 16, v3
	v_cvt_f32_u32_e32 v3, s66
	v_sub_u32_e32 v73, 32, v5
	v_lshlrev_b32_e32 v5, 4, v0
	v_and_b32_e32 v5, 0x200, v5
	v_rcp_iflag_f32_e32 v3, v3
	s_abs_i32 s67, s62
	v_or_b32_e32 v78, v1, v5
	v_cvt_f32_u32_e32 v1, s67
	v_sub_u32_e32 v2, v0, v2
	v_add_u32_e32 v2, 1, v2
	s_lshl_b32 s6, s37, 1
	v_and_b32_e32 v6, 63, v2
	v_bitop3_b32 v59, v0, 1, v0 bitop3:0xc
	v_bitop3_b32 v60, v0, 3, 1 bitop3:0x6c
	;; [unrolled: 1-line block ×8, first 2 shown]
	v_and_b32_e32 v2, 30, v0
	v_add_u32_e32 v20, s6, v18
	s_mul_i32 s7, s37, 6
	v_bitop3_b32 v76, v0, 31, v0 bitop3:0xc
	v_mul_f32_e32 v0, 0x4f7ffffe, v3
	v_add_u32_e32 v22, s7, v20
	v_cvt_u32_f32_e32 v0, v0
	v_rcp_iflag_f32_e32 v1, v1
	v_add_u32_e32 v24, s6, v22
	v_add_u32_e32 v26, s7, v24
	;; [unrolled: 1-line block ×4, first 2 shown]
	v_readfirstlane_b32 s7, v0
	v_mul_f32_e32 v0, 0x4f7ffffe, v1
	v_cvt_u32_f32_e32 v0, v0
	v_add_u32_e32 v32, s6, v30
	s_sub_i32 s6, 0, s66
	s_mul_i32 s6, s6, s7
	s_mul_hi_u32 s6, s7, s6
	s_add_i32 s69, s7, s6
	s_sub_i32 s6, 0, s67
	v_readfirstlane_b32 s7, v0
	v_mbcnt_lo_u32_b32 v0, -1, 0
	s_mul_i32 s6, s6, s7
	v_mbcnt_hi_u32_b32 v0, -1, v0
	v_mov_b32_e32 v17, 0
	v_mul_lo_u32 v36, s39, v56
	s_mul_hi_u32 s6, s7, s6
	v_and_or_b32 v0, v0, 64, v6
	v_cndmask_b32_e64 v55, 0, 1, s[0:1]
	v_ashrrev_i32_e32 v19, 31, v18
	v_ashrrev_i32_e32 v21, 31, v20
	;; [unrolled: 1-line block ×9, first 2 shown]
	v_mov_b32_e32 v35, v17
	v_or_b32_e32 v75, v4, v5
	v_mul_lo_u32 v77, s38, v56
	s_ashr_i32 s68, s33, 31
	s_ashr_i32 s70, s62, 31
	s_add_i32 s71, s7, s6
	v_lshlrev_b32_e32 v16, 1, v2
	v_lshlrev_b32_e32 v79, 2, v0
	v_mov_b32_e32 v80, v40
	s_branch .LBB23_7
.LBB23_4:                               ;   in Loop: Header=BB23_7 Depth=1
	s_or_b64 exec, exec, s[10:11]
.LBB23_5:                               ;   in Loop: Header=BB23_7 Depth=1
	s_or_b64 exec, exec, s[8:9]
	v_subrev_u32_e32 v80, s72, v80
.LBB23_6:                               ;   in Loop: Header=BB23_7 Depth=1
	s_or_b64 exec, exec, s[6:7]
	s_add_i32 s63, s63, 1
	v_cmp_ge_i32_e32 vcc, s63, v54
	s_cbranch_vccnz .LBB23_48
.LBB23_7:                               ; =>This Loop Header: Depth=1
                                        ;     Child Loop BB23_13 Depth 2
                                        ;       Child Loop BB23_15 Depth 3
                                        ;       Child Loop BB23_18 Depth 3
                                        ;     Child Loop BB23_35 Depth 2
                                        ;       Child Loop BB23_37 Depth 3
                                        ;     Child Loop BB23_45 Depth 2
                                        ;       Child Loop BB23_47 Depth 3
	s_abs_i32 s7, s63
	s_mul_hi_u32 s8, s7, s69
	s_mul_i32 s9, s8, s66
	s_ashr_i32 s6, s63, 31
	s_sub_i32 s7, s7, s9
	s_xor_b32 s6, s6, s68
	s_add_i32 s9, s8, 1
	s_sub_i32 s10, s7, s66
	s_cmp_ge_u32 s7, s66
	s_cselect_b32 s8, s9, s8
	s_cselect_b32 s7, s10, s7
	s_add_i32 s9, s8, 1
	s_cmp_ge_u32 s7, s66
	s_cselect_b32 s7, s9, s8
	s_xor_b32 s7, s7, s6
	s_sub_i32 s6, s7, s6
	s_abs_i32 s8, s6
	s_mul_i32 s7, s6, s33
	s_mul_hi_u32 s9, s8, s71
	s_sub_i32 s7, s63, s7
	s_mul_i32 s10, s9, s67
	s_lshl_b32 s73, s7, 5
	s_ashr_i32 s7, s6, 31
	s_sub_i32 s8, s8, s10
	s_xor_b32 s7, s7, s70
	s_add_i32 s10, s9, 1
	s_sub_i32 s11, s8, s67
	s_cmp_ge_u32 s8, s67
	s_cselect_b32 s9, s10, s9
	s_cselect_b32 s8, s11, s8
	s_add_i32 s10, s9, 1
	s_cmp_ge_u32 s8, s67
	s_cselect_b32 s8, s10, s9
	s_xor_b32 s8, s8, s7
	s_sub_i32 s7, s8, s7
	s_mul_i32 s8, s7, s64
	s_lshl_b32 s74, s8, 7
	s_cmp_eq_u32 s7, s40
	s_cselect_b32 s72, s65, s64
	s_sub_i32 s75, s73, s36
	s_add_i32 s75, s75, 32
	s_and_saveexec_b64 s[8:9], s[2:3]
	s_xor_b64 s[52:53], exec, s[8:9]
	s_cbranch_execz .LBB23_41
; %bb.8:                                ;   in Loop: Header=BB23_7 Depth=1
	s_mul_i32 s7, s7, s62
	s_sub_i32 s6, s6, s7
	s_lshl_b32 s6, s6, 5
	s_sub_i32 s14, s6, s37
	s_add_i32 s14, s14, 32
	s_max_i32 s7, s14, 0
	s_sub_i32 s54, s6, s7
	s_and_saveexec_b64 s[6:7], s[0:1]
	s_xor_b64 s[56:57], exec, s[6:7]
	s_cbranch_execz .LBB23_31
; %bb.9:                                ;   in Loop: Header=BB23_7 Depth=1
	s_and_saveexec_b64 s[58:59], s[4:5]
	s_cbranch_execz .LBB23_30
; %bb.10:                               ;   in Loop: Header=BB23_7 Depth=1
	s_waitcnt lgkmcnt(0)
	global_load_dword v81, v17, s[50:51]
	v_mov_b32_e32 v15, 0
	v_cmp_gt_i32_e32 vcc, s72, v80
	v_mov_b32_e32 v14, v15
	v_mov_b32_e32 v13, v15
	;; [unrolled: 1-line block ×15, first 2 shown]
	s_and_saveexec_b64 s[6:7], vcc
	s_cbranch_execz .LBB23_20
; %bb.11:                               ;   in Loop: Header=BB23_7 Depth=1
	v_mov_b32_e32 v0, 0
	s_mov_b64 s[8:9], 0
	v_mov_b32_e32 v1, v0
	v_mov_b32_e32 v2, v0
	;; [unrolled: 1-line block ×15, first 2 shown]
	s_branch .LBB23_13
.LBB23_12:                              ;   in Loop: Header=BB23_13 Depth=2
	s_or_b64 exec, exec, s[10:11]
	v_add_u32_e32 v85, v58, v85
	ds_read2_b32 v[86:87], v85 offset1:32
	v_add_u32_e32 v80, s43, v80
	s_waitcnt lgkmcnt(0)
	v_mfma_f32_32x32x16_fp8_fp8 v[0:15], v[52:53], v[86:87], v[0:15]
	ds_read2_b32 v[52:53], v85 offset0:128 offset1:160
	s_waitcnt lgkmcnt(0)
	v_mfma_f32_32x32x16_fp8_fp8 v[0:15], v[50:51], v[52:53], v[0:15]
	v_add_u32_e32 v52, 0x400, v85
	ds_read2_b32 v[50:51], v52 offset1:32
	s_waitcnt lgkmcnt(0)
	v_mfma_f32_32x32x16_fp8_fp8 v[0:15], v[48:49], v[50:51], v[0:15]
	ds_read2_b32 v[48:49], v52 offset0:128 offset1:160
	s_waitcnt lgkmcnt(0)
	v_mfma_f32_32x32x16_fp8_fp8 v[0:15], v[46:47], v[48:49], v[0:15]
	v_add_u32_e32 v48, 0x800, v85
	ds_read2_b32 v[46:47], v48 offset1:32
	;; [unrolled: 7-line block ×3, first 2 shown]
	ds_read2_b32 v[44:45], v44 offset0:128 offset1:160
	ds_write_b32 v83, v84 offset:32772
	s_waitcnt lgkmcnt(2)
	v_mfma_f32_32x32x16_fp8_fp8 v[0:15], v[40:41], v[42:43], v[0:15]
	v_add_u32_e32 v40, s43, v82
	v_add_u32_e32 v41, 2, v55
	v_cmp_lt_i32_e32 vcc, 3, v40
	s_nop 1
	v_cndmask_b32_e32 v55, v55, v41, vcc
	v_cmp_le_i32_e32 vcc, s72, v80
	s_waitcnt lgkmcnt(1)
	v_mfma_f32_32x32x16_fp8_fp8 v[0:15], v[38:39], v[44:45], v[0:15]
	s_or_b64 s[8:9], vcc, s[8:9]
	s_andn2_b64 exec, exec, s[8:9]
	s_cbranch_execz .LBB23_19
.LBB23_13:                              ;   Parent Loop BB23_7 Depth=1
                                        ; =>  This Loop Header: Depth=2
                                        ;       Child Loop BB23_15 Depth 3
                                        ;       Child Loop BB23_18 Depth 3
	v_cmp_gt_i32_e32 vcc, 4, v40
	s_nop 1
	v_cndmask_b32_e64 v38, -4, 0, vcc
	v_add_u32_e32 v82, v38, v40
	v_lshlrev_b32_e32 v83, 3, v82
	ds_read_b32 v38, v83 offset:32768
	s_waitcnt lgkmcnt(0)
	v_cmp_ne_u32_e32 vcc, v38, v55
	s_and_saveexec_b64 s[10:11], vcc
	s_cbranch_execz .LBB23_16
; %bb.14:                               ;   in Loop: Header=BB23_13 Depth=2
	s_mov_b64 s[12:13], 0
.LBB23_15:                              ;   Parent Loop BB23_7 Depth=1
                                        ;     Parent Loop BB23_13 Depth=2
                                        ; =>    This Inner Loop Header: Depth=3
	;;#ASMSTART
	s_sleep 0
	;;#ASMEND
	ds_read_b32 v38, v83 offset:32768
	s_waitcnt lgkmcnt(0)
	v_cmp_eq_u32_e32 vcc, v38, v55
	s_or_b64 s[12:13], vcc, s[12:13]
	s_andn2_b64 exec, exec, s[12:13]
	s_cbranch_execnz .LBB23_15
.LBB23_16:                              ;   in Loop: Header=BB23_13 Depth=2
	s_or_b64 exec, exec, s[10:11]
	v_lshlrev_b32_e32 v85, 12, v82
	v_or_b32_e32 v38, v57, v85
	v_add_u32_e32 v39, 0x400, v38
	ds_read2_b32 v[52:53], v38 offset1:32
	ds_read2_b32 v[50:51], v38 offset0:128 offset1:160
	ds_read2_b32 v[48:49], v39 offset1:32
	ds_read2_b32 v[46:47], v39 offset0:128 offset1:160
	v_add_u32_e32 v39, 0x800, v38
	v_add_u32_e32 v38, 0xc00, v38
	ds_read2_b32 v[44:45], v39 offset1:32
	ds_read2_b32 v[42:43], v39 offset0:128 offset1:160
	ds_read2_b32 v[40:41], v38 offset1:32
	ds_read_b32 v86, v83 offset:32772
	ds_read2_b32 v[38:39], v38 offset0:128 offset1:160
	v_add_u32_e32 v84, 1, v55
	ds_write_b32 v83, v84 offset:32768
	s_waitcnt lgkmcnt(2)
	v_cmp_ne_u32_e32 vcc, v86, v55
	s_and_saveexec_b64 s[10:11], vcc
	s_cbranch_execz .LBB23_12
; %bb.17:                               ;   in Loop: Header=BB23_13 Depth=2
	s_mov_b64 s[12:13], 0
.LBB23_18:                              ;   Parent Loop BB23_7 Depth=1
                                        ;     Parent Loop BB23_13 Depth=2
                                        ; =>    This Inner Loop Header: Depth=3
	;;#ASMSTART
	s_sleep 0
	;;#ASMEND
	ds_read_b32 v86, v83 offset:32772
	s_waitcnt lgkmcnt(0)
	v_cmp_eq_u32_e32 vcc, v86, v55
	s_or_b64 s[12:13], vcc, s[12:13]
	s_andn2_b64 exec, exec, s[12:13]
	s_cbranch_execnz .LBB23_18
	s_branch .LBB23_12
.LBB23_19:                              ;   in Loop: Header=BB23_7 Depth=1
	s_or_b64 exec, exec, s[8:9]
.LBB23_20:                              ;   in Loop: Header=BB23_7 Depth=1
	s_or_b64 exec, exec, s[6:7]
	v_cmp_le_i32_e32 vcc, s14, v56
	v_cmp_eq_u32_e64 s[6:7], 3, v59
	v_cmp_eq_u32_e64 s[8:9], 4, v59
	s_waitcnt vmcnt(0)
	v_cndmask_b32_e32 v38, 0, v81, vcc
	s_nop 1
	v_pk_mul_f32 v[0:1], v[38:39], v[0:1] op_sel_hi:[0,1]
	v_cmp_eq_u32_e32 vcc, 1, v59
	v_pk_mul_f32 v[14:15], v[38:39], v[14:15] op_sel_hi:[0,1]
	v_pk_mul_f32 v[12:13], v[38:39], v[12:13] op_sel_hi:[0,1]
	;; [unrolled: 1-line block ×7, first 2 shown]
	v_cndmask_b32_e32 v38, v0, v1, vcc
	v_cmp_eq_u32_e32 vcc, 2, v59
	v_cmp_eq_u32_e64 s[10:11], 5, v59
	v_cmp_eq_u32_e64 s[12:13], 6, v59
	v_cndmask_b32_e32 v38, v38, v2, vcc
	v_cndmask_b32_e64 v38, v38, v3, s[6:7]
	v_cndmask_b32_e64 v38, v38, v4, s[8:9]
	;; [unrolled: 1-line block ×4, first 2 shown]
	v_cmp_eq_u32_e64 s[14:15], 7, v59
	v_cmp_eq_u32_e64 s[16:17], 8, v59
	v_cmp_eq_u32_e64 s[18:19], 9, v59
	v_cndmask_b32_e64 v38, v38, v7, s[14:15]
	v_cndmask_b32_e64 v38, v38, v8, s[16:17]
	v_cndmask_b32_e64 v38, v38, v9, s[18:19]
	v_cmp_eq_u32_e64 s[20:21], 10, v59
	v_cmp_eq_u32_e64 s[22:23], 11, v59
	v_cmp_eq_u32_e64 s[24:25], 12, v59
	v_cndmask_b32_e64 v38, v38, v10, s[20:21]
	v_cndmask_b32_e64 v38, v38, v11, s[22:23]
	v_cndmask_b32_e64 v38, v38, v12, s[24:25]
	;; [unrolled: 6-line block ×3, first 2 shown]
	ds_bpermute_b32 v38, v79, v38
	v_cmp_eq_u32_e64 s[34:35], 15, v60
	s_waitcnt lgkmcnt(0)
	v_cndmask_b32_e32 v2, v2, v38, vcc
	v_cmp_ne_u32_e32 vcc, 0, v59
	v_cndmask_b32_e64 v15, v15, v38, s[30:31]
	v_cndmask_b32_e64 v14, v14, v38, s[28:29]
	v_cndmask_b32_e32 v1, v1, v38, vcc
	v_cmp_eq_u32_e32 vcc, 0, v59
	v_cndmask_b32_e64 v13, v13, v38, s[26:27]
	v_cndmask_b32_e64 v12, v12, v38, s[24:25]
	v_cndmask_b32_e32 v0, v0, v38, vcc
	v_cmp_eq_u32_e32 vcc, 1, v60
	v_cndmask_b32_e64 v11, v11, v38, s[22:23]
	v_cndmask_b32_e64 v10, v10, v38, s[20:21]
	v_cndmask_b32_e64 v9, v9, v38, s[18:19]
	v_cndmask_b32_e64 v8, v8, v38, s[16:17]
	v_cndmask_b32_e64 v7, v7, v38, s[14:15]
	v_cndmask_b32_e64 v6, v6, v38, s[12:13]
	v_cndmask_b32_e64 v5, v5, v38, s[10:11]
	v_cndmask_b32_e64 v4, v4, v38, s[8:9]
	v_cndmask_b32_e64 v3, v3, v38, s[6:7]
	v_cndmask_b32_e32 v38, v0, v1, vcc
	v_cmp_eq_u32_e64 s[6:7], 2, v60
	v_cmp_eq_u32_e64 s[8:9], 3, v60
	v_cmp_eq_u32_e64 s[10:11], 4, v60
	v_cndmask_b32_e64 v38, v38, v2, s[6:7]
	v_cndmask_b32_e64 v38, v38, v3, s[8:9]
	v_cndmask_b32_e64 v38, v38, v4, s[10:11]
	v_cmp_eq_u32_e64 s[12:13], 5, v60
	v_cmp_eq_u32_e64 s[14:15], 6, v60
	v_cmp_eq_u32_e64 s[16:17], 7, v60
	v_cndmask_b32_e64 v38, v38, v5, s[12:13]
	v_cndmask_b32_e64 v38, v38, v6, s[14:15]
	v_cndmask_b32_e64 v38, v38, v7, s[16:17]
	;; [unrolled: 6-line block ×4, first 2 shown]
	v_cmp_eq_u32_e64 s[30:31], 14, v60
	s_nop 1
	v_cndmask_b32_e64 v38, v38, v14, s[30:31]
	v_cndmask_b32_e64 v38, v38, v15, s[34:35]
	ds_bpermute_b32 v38, v79, v38
	s_waitcnt lgkmcnt(0)
	v_cndmask_b32_e32 v1, v1, v38, vcc
	v_cmp_eq_u32_e32 vcc, 0, v60
	v_cndmask_b32_e64 v15, v15, v38, s[34:35]
	v_cndmask_b32_e64 v14, v14, v38, s[30:31]
	v_cndmask_b32_e32 v0, v0, v38, vcc
	v_cmp_eq_u32_e32 vcc, 1, v61
	v_cndmask_b32_e64 v13, v13, v38, s[28:29]
	v_cndmask_b32_e64 v12, v12, v38, s[26:27]
	v_cndmask_b32_e64 v11, v11, v38, s[24:25]
	v_cndmask_b32_e64 v10, v10, v38, s[22:23]
	v_cndmask_b32_e64 v9, v9, v38, s[20:21]
	v_cndmask_b32_e64 v8, v8, v38, s[18:19]
	v_cndmask_b32_e64 v7, v7, v38, s[16:17]
	v_cndmask_b32_e64 v6, v6, v38, s[14:15]
	v_cndmask_b32_e64 v5, v5, v38, s[12:13]
	v_cndmask_b32_e64 v4, v4, v38, s[10:11]
	v_cndmask_b32_e64 v3, v3, v38, s[8:9]
	v_cndmask_b32_e64 v2, v2, v38, s[6:7]
	v_cndmask_b32_e32 v38, v0, v1, vcc
	v_cmp_eq_u32_e64 s[6:7], 2, v61
	v_cmp_eq_u32_e64 s[8:9], 3, v61
	v_cmp_eq_u32_e64 s[10:11], 4, v61
	v_cndmask_b32_e64 v38, v38, v2, s[6:7]
	v_cndmask_b32_e64 v38, v38, v3, s[8:9]
	v_cndmask_b32_e64 v38, v38, v4, s[10:11]
	v_cmp_eq_u32_e64 s[12:13], 5, v61
	v_cmp_eq_u32_e64 s[14:15], 6, v61
	v_cmp_eq_u32_e64 s[16:17], 7, v61
	v_cndmask_b32_e64 v38, v38, v5, s[12:13]
	v_cndmask_b32_e64 v38, v38, v6, s[14:15]
	v_cndmask_b32_e64 v38, v38, v7, s[16:17]
	v_cmp_eq_u32_e64 s[18:19], 8, v61
	v_cmp_eq_u32_e64 s[20:21], 9, v61
	v_cmp_eq_u32_e64 s[22:23], 10, v61
	v_cndmask_b32_e64 v38, v38, v8, s[18:19]
	v_cndmask_b32_e64 v38, v38, v9, s[20:21]
	v_cndmask_b32_e64 v38, v38, v10, s[22:23]
	v_cmp_eq_u32_e64 s[24:25], 11, v61
	v_cmp_eq_u32_e64 s[26:27], 12, v61
	v_cmp_eq_u32_e64 s[28:29], 13, v61
	v_cndmask_b32_e64 v38, v38, v11, s[24:25]
	v_cndmask_b32_e64 v38, v38, v12, s[26:27]
	v_cndmask_b32_e64 v38, v38, v13, s[28:29]
	v_cmp_eq_u32_e64 s[30:31], 14, v61
	v_cmp_eq_u32_e64 s[34:35], 15, v61
	s_nop 0
	v_cndmask_b32_e64 v38, v38, v14, s[30:31]
	v_cndmask_b32_e64 v38, v38, v15, s[34:35]
	ds_bpermute_b32 v38, v79, v38
	s_waitcnt lgkmcnt(0)
	v_cndmask_b32_e32 v1, v1, v38, vcc
	v_cmp_eq_u32_e32 vcc, 0, v61
	v_cndmask_b32_e64 v15, v15, v38, s[34:35]
	v_cndmask_b32_e64 v14, v14, v38, s[30:31]
	v_cndmask_b32_e32 v0, v0, v38, vcc
	v_cmp_eq_u32_e32 vcc, 1, v62
	v_cndmask_b32_e64 v13, v13, v38, s[28:29]
	v_cndmask_b32_e64 v12, v12, v38, s[26:27]
	v_cndmask_b32_e64 v11, v11, v38, s[24:25]
	v_cndmask_b32_e64 v10, v10, v38, s[22:23]
	v_cndmask_b32_e64 v9, v9, v38, s[20:21]
	v_cndmask_b32_e64 v8, v8, v38, s[18:19]
	v_cndmask_b32_e64 v7, v7, v38, s[16:17]
	v_cndmask_b32_e64 v6, v6, v38, s[14:15]
	v_cndmask_b32_e64 v5, v5, v38, s[12:13]
	v_cndmask_b32_e64 v4, v4, v38, s[10:11]
	v_cndmask_b32_e64 v3, v3, v38, s[8:9]
	v_cndmask_b32_e64 v2, v2, v38, s[6:7]
	v_cndmask_b32_e32 v38, v0, v1, vcc
	v_cmp_eq_u32_e64 s[6:7], 2, v62
	v_cmp_eq_u32_e64 s[8:9], 3, v62
	v_cmp_eq_u32_e64 s[10:11], 4, v62
	v_cndmask_b32_e64 v38, v38, v2, s[6:7]
	v_cndmask_b32_e64 v38, v38, v3, s[8:9]
	v_cndmask_b32_e64 v38, v38, v4, s[10:11]
	v_cmp_eq_u32_e64 s[12:13], 5, v62
	v_cmp_eq_u32_e64 s[14:15], 6, v62
	v_cmp_eq_u32_e64 s[16:17], 7, v62
	v_cndmask_b32_e64 v38, v38, v5, s[12:13]
	v_cndmask_b32_e64 v38, v38, v6, s[14:15]
	v_cndmask_b32_e64 v38, v38, v7, s[16:17]
	v_cmp_eq_u32_e64 s[18:19], 8, v62
	v_cmp_eq_u32_e64 s[20:21], 9, v62
	v_cmp_eq_u32_e64 s[22:23], 10, v62
	v_cndmask_b32_e64 v38, v38, v8, s[18:19]
	v_cndmask_b32_e64 v38, v38, v9, s[20:21]
	v_cndmask_b32_e64 v38, v38, v10, s[22:23]
	v_cmp_eq_u32_e64 s[24:25], 11, v62
	v_cmp_eq_u32_e64 s[26:27], 12, v62
	v_cmp_eq_u32_e64 s[28:29], 13, v62
	v_cndmask_b32_e64 v38, v38, v11, s[24:25]
	v_cndmask_b32_e64 v38, v38, v12, s[26:27]
	v_cndmask_b32_e64 v38, v38, v13, s[28:29]
	v_cmp_eq_u32_e64 s[30:31], 14, v62
	;; [unrolled: 50-line block ×4, first 2 shown]
	v_cmp_eq_u32_e64 s[34:35], 15, v64
	s_nop 0
	v_cndmask_b32_e64 v38, v38, v14, s[30:31]
	v_cndmask_b32_e64 v38, v38, v15, s[34:35]
	ds_bpermute_b32 v38, v79, v38
	s_waitcnt lgkmcnt(0)
	v_cndmask_b32_e32 v1, v1, v38, vcc
	v_cmp_eq_u32_e32 vcc, 0, v64
	v_cndmask_b32_e64 v15, v15, v38, s[34:35]
	v_cndmask_b32_e64 v14, v14, v38, s[30:31]
	;; [unrolled: 1-line block ×14, first 2 shown]
	v_cndmask_b32_e32 v38, v0, v38, vcc
	v_cmp_eq_u32_e32 vcc, 1, v65
	v_cmp_eq_u32_e64 s[6:7], 2, v65
	v_cmp_eq_u32_e64 s[8:9], 3, v65
	v_cndmask_b32_e32 v0, v38, v1, vcc
	v_cndmask_b32_e64 v0, v0, v47, s[6:7]
	v_cndmask_b32_e64 v0, v0, v46, s[8:9]
	v_cmp_eq_u32_e64 s[10:11], 4, v65
	v_cmp_eq_u32_e64 s[12:13], 5, v65
	v_cmp_eq_u32_e64 s[14:15], 6, v65
	v_cndmask_b32_e64 v0, v0, v45, s[10:11]
	v_cndmask_b32_e64 v0, v0, v44, s[12:13]
	v_cndmask_b32_e64 v0, v0, v43, s[14:15]
	v_cmp_eq_u32_e64 s[16:17], 7, v65
	v_cmp_eq_u32_e64 s[18:19], 8, v65
	v_cmp_eq_u32_e64 s[20:21], 9, v65
	v_cndmask_b32_e64 v0, v0, v42, s[16:17]
	;; [unrolled: 6-line block ×4, first 2 shown]
	v_cndmask_b32_e64 v0, v0, v14, s[30:31]
	v_cndmask_b32_e64 v0, v0, v15, s[34:35]
	ds_bpermute_b32 v48, v79, v0
	s_waitcnt lgkmcnt(0)
	v_cndmask_b32_e32 v0, v1, v48, vcc
	v_cmp_eq_u32_e32 vcc, 0, v65
	v_cndmask_b32_e64 v4, v15, v48, s[34:35]
	v_cndmask_b32_e64 v15, v47, v48, s[6:7]
	v_cndmask_b32_e32 v1, v38, v48, vcc
	v_cmp_eq_u32_e32 vcc, 1, v66
	v_cndmask_b32_e64 v5, v14, v48, s[30:31]
	v_cndmask_b32_e64 v14, v46, v48, s[8:9]
	;; [unrolled: 4-line block ×7, first 2 shown]
	v_cndmask_b32_e32 v38, v38, v13, vcc
	v_cmp_eq_u32_e32 vcc, 7, v66
	s_nop 1
	v_cndmask_b32_e32 v38, v38, v12, vcc
	v_cmp_eq_u32_e32 vcc, 8, v66
	s_nop 1
	;; [unrolled: 3-line block ×9, first 2 shown]
	v_cndmask_b32_e32 v38, v38, v4, vcc
	ds_bpermute_b32 v38, v79, v38
	v_cmp_lt_i32_e32 vcc, s75, v67
	s_and_saveexec_b64 s[60:61], vcc
	s_cbranch_execz .LBB23_29
; %bb.21:                               ;   in Loop: Header=BB23_7 Depth=1
	s_mul_i32 s6, s73, s37
	s_ashr_i32 s7, s6, 31
	s_lshl_b64 s[6:7], s[6:7], 1
	v_cmp_eq_u32_e64 s[30:31], 1, v66
	s_add_u32 s8, s48, s6
	s_addc_u32 s9, s49, s7
	s_waitcnt lgkmcnt(0)
	v_cndmask_b32_e64 v0, v0, v38, s[30:31]
	v_cmp_eq_u32_e64 s[30:31], 0, v66
	s_ashr_i32 s55, s54, 31
	s_lshl_b64 s[6:7], s[54:55], 1
	v_cndmask_b32_e64 v1, v1, v38, s[30:31]
	v_cvt_f16_f32_e32 v39, v1
	v_cvt_f16_f32_sdwa v41, v0 dst_sel:WORD_1 dst_unused:UNUSED_PAD src0_sel:DWORD
	s_add_u32 s34, s8, s6
	s_addc_u32 s35, s9, s7
	v_cmp_eq_u32_e64 s[8:9], 15, v66
	v_cmp_eq_u32_e64 s[10:11], 14, v66
	;; [unrolled: 1-line block ×10, first 2 shown]
	v_cmp_eq_u32_e32 vcc, 5, v66
	v_cmp_eq_u32_e64 s[6:7], 4, v66
	v_cmp_eq_u32_e64 s[28:29], 3, v66
	;; [unrolled: 1-line block ×3, first 2 shown]
	v_lshl_add_u64 v[0:1], s[34:35], 0, v[16:17]
	v_cmp_lt_i32_e64 s[34:35], s75, v68
	v_lshl_add_u64 v[42:43], v[18:19], 1, v[0:1]
	v_or_b32_e32 v39, v41, v39
	;;#ASMSTART
	global_atomic_pk_add_f16 v[42:43], v39, off
	
	;;#ASMEND
	s_and_b64 exec, exec, s[34:35]
	s_cbranch_execz .LBB23_29
; %bb.22:                               ;   in Loop: Header=BB23_7 Depth=1
	v_cndmask_b32_e64 v14, v14, v38, s[28:29]
	v_cndmask_b32_e64 v15, v15, v38, s[30:31]
	v_cvt_f16_f32_e32 v39, v15
	v_cvt_f16_f32_sdwa v41, v14 dst_sel:WORD_1 dst_unused:UNUSED_PAD src0_sel:DWORD
	v_cndmask_b32_e64 v4, v4, v38, s[8:9]
	v_cndmask_b32_e64 v5, v5, v38, s[10:11]
	v_cndmask_b32_e64 v6, v6, v38, s[12:13]
	v_cndmask_b32_e64 v7, v7, v38, s[14:15]
	v_cndmask_b32_e64 v8, v8, v38, s[16:17]
	v_cndmask_b32_e64 v9, v9, v38, s[18:19]
	v_cndmask_b32_e64 v10, v10, v38, s[20:21]
	v_cndmask_b32_e64 v11, v11, v38, s[22:23]
	v_cndmask_b32_e64 v12, v12, v38, s[24:25]
	v_cndmask_b32_e64 v13, v13, v38, s[26:27]
	v_cndmask_b32_e32 v2, v2, v38, vcc
	v_cndmask_b32_e64 v3, v3, v38, s[6:7]
	v_cmp_lt_i32_e32 vcc, s75, v69
	v_lshl_add_u64 v[14:15], v[20:21], 1, v[0:1]
	v_or_b32_e32 v38, v41, v39
	;;#ASMSTART
	global_atomic_pk_add_f16 v[14:15], v38, off
	
	;;#ASMEND
	s_and_b64 exec, exec, vcc
	s_cbranch_execz .LBB23_29
; %bb.23:                               ;   in Loop: Header=BB23_7 Depth=1
	v_cvt_f16_f32_e32 v14, v3
	v_cvt_f16_f32_sdwa v15, v2 dst_sel:WORD_1 dst_unused:UNUSED_PAD src0_sel:DWORD
	v_cmp_lt_i32_e32 vcc, s75, v70
	v_lshl_add_u64 v[2:3], v[22:23], 1, v[0:1]
	v_or_b32_e32 v14, v15, v14
	;;#ASMSTART
	global_atomic_pk_add_f16 v[2:3], v14, off
	
	;;#ASMEND
	s_and_b64 exec, exec, vcc
	s_cbranch_execz .LBB23_29
; %bb.24:                               ;   in Loop: Header=BB23_7 Depth=1
	v_cvt_f16_f32_e32 v13, v13
	v_cvt_f16_f32_sdwa v12, v12 dst_sel:WORD_1 dst_unused:UNUSED_PAD src0_sel:DWORD
	;; [unrolled: 12-line block ×6, first 2 shown]
	v_lshl_add_u64 v[0:1], v[32:33], 1, v[0:1]
	v_or_b32_e32 v2, v3, v2
	;;#ASMSTART
	global_atomic_pk_add_f16 v[0:1], v2, off
	
	;;#ASMEND
.LBB23_29:                              ;   in Loop: Header=BB23_7 Depth=1
	s_or_b64 exec, exec, s[60:61]
	v_subrev_u32_e32 v80, s72, v80
.LBB23_30:                              ;   in Loop: Header=BB23_7 Depth=1
	s_or_b64 exec, exec, s[58:59]
.LBB23_31:                              ;   in Loop: Header=BB23_7 Depth=1
	s_andn2_saveexec_b64 s[6:7], s[56:57]
	s_cbranch_execz .LBB23_40
; %bb.32:                               ;   in Loop: Header=BB23_7 Depth=1
	v_cmp_gt_i32_e32 vcc, s72, v80
	s_and_saveexec_b64 s[8:9], vcc
	s_cbranch_execz .LBB23_39
; %bb.33:                               ;   in Loop: Header=BB23_7 Depth=1
	s_mul_i32 s10, s54, s39
	s_ashr_i32 s11, s10, 31
	s_waitcnt lgkmcnt(0)
	s_add_u32 s10, s46, s10
	s_addc_u32 s11, s47, s11
	s_ashr_i32 s12, s74, 31
	s_add_u32 s10, s10, s74
	s_addc_u32 s11, s11, s12
	v_lshl_add_u64 v[0:1], s[10:11], 0, v[36:37]
	v_lshl_add_u64 v[38:39], v[0:1], 0, v[34:35]
	s_mov_b64 s[10:11], 0
	s_branch .LBB23_35
.LBB23_34:                              ;   in Loop: Header=BB23_35 Depth=2
	s_or_b64 exec, exec, s[12:13]
	v_lshl_add_u32 v42, v40, 12, v75
	;;#ASMSTART
	s_waitcnt vmcnt(3)
	;;#ASMEND
	ds_write2_b32 v42, v12, v13 offset1:32
	ds_write2_b32 v42, v14, v15 offset0:64 offset1:96
	v_add_u32_e32 v12, 0x400, v42
	;;#ASMSTART
	s_waitcnt vmcnt(2)
	;;#ASMEND
	ds_write2_b32 v12, v8, v9 offset1:32
	ds_write2_b32 v12, v10, v11 offset0:64 offset1:96
	v_add_u32_e32 v8, 0x800, v42
	;;#ASMSTART
	s_waitcnt vmcnt(1)
	;;#ASMEND
	ds_write2_b32 v8, v4, v5 offset1:32
	ds_write2_b32 v8, v6, v7 offset0:64 offset1:96
	v_add_u32_e32 v4, 0xc00, v42
	v_add_u32_e32 v80, s42, v80
	;;#ASMSTART
	s_waitcnt vmcnt(0)
	;;#ASMEND
	ds_write2_b32 v4, v0, v1 offset1:32
	ds_write2_b32 v4, v2, v3 offset0:64 offset1:96
	v_add_u32_e32 v0, 1, v55
	v_add_u32_e32 v40, s42, v40
	v_cmp_le_i32_e32 vcc, s72, v80
	ds_write_b32 v41, v0 offset:16
	v_add_u32_e32 v0, 2, v55
	s_or_b64 s[10:11], vcc, s[10:11]
	v_cmp_lt_i32_e32 vcc, 3, v40
	s_nop 1
	v_cndmask_b32_e32 v55, v55, v0, vcc
	s_andn2_b64 exec, exec, s[10:11]
	s_cbranch_execz .LBB23_38
.LBB23_35:                              ;   Parent Loop BB23_7 Depth=1
                                        ; =>  This Loop Header: Depth=2
                                        ;       Child Loop BB23_37 Depth 3
	v_cmp_gt_i32_e32 vcc, 4, v40
	s_nop 1
	v_cndmask_b32_e64 v0, -4, 0, vcc
	v_add_u32_e32 v40, v0, v40
	v_lshlrev_b32_e32 v0, 7, v80
	v_ashrrev_i32_e32 v1, 31, v0
	v_lshl_add_u64 v[0:1], v[38:39], 0, v[0:1]
	v_lshlrev_b32_e32 v41, 2, v40
	;;#ASMSTART
	global_load_dwordx4 v[12:15], v[0:1], off offset:0   sc0 sc1 nt  
	global_load_dwordx4 v[8:11], v[0:1], off offset:32  sc0 sc1 nt  
	global_load_dwordx4 v[4:7], v[0:1], off offset:64  sc0 sc1 nt  
	;; [unrolled: 1-line block ×3, first 2 shown]
	
	;;#ASMEND
	ds_read_b32 v42, v41 offset:32784
	v_add_u32_e32 v41, 0x8000, v41
	s_waitcnt lgkmcnt(0)
	v_cmp_ne_u32_e32 vcc, v42, v55
	s_and_saveexec_b64 s[12:13], vcc
	s_cbranch_execz .LBB23_34
; %bb.36:                               ;   in Loop: Header=BB23_35 Depth=2
	s_mov_b64 s[14:15], 0
.LBB23_37:                              ;   Parent Loop BB23_7 Depth=1
                                        ;     Parent Loop BB23_35 Depth=2
                                        ; =>    This Inner Loop Header: Depth=3
	;;#ASMSTART
	s_sleep 0
	;;#ASMEND
	ds_read_b32 v42, v41 offset:16
	s_waitcnt lgkmcnt(0)
	v_cmp_eq_u32_e32 vcc, v42, v55
	s_or_b64 s[14:15], vcc, s[14:15]
	s_andn2_b64 exec, exec, s[14:15]
	s_cbranch_execnz .LBB23_37
	s_branch .LBB23_34
.LBB23_38:                              ;   in Loop: Header=BB23_7 Depth=1
	s_or_b64 exec, exec, s[10:11]
.LBB23_39:                              ;   in Loop: Header=BB23_7 Depth=1
	s_or_b64 exec, exec, s[8:9]
	v_subrev_u32_e32 v80, s72, v80
.LBB23_40:                              ;   in Loop: Header=BB23_7 Depth=1
	s_or_b64 exec, exec, s[6:7]
.LBB23_41:                              ;   in Loop: Header=BB23_7 Depth=1
	s_andn2_saveexec_b64 s[6:7], s[52:53]
	s_cbranch_execz .LBB23_6
; %bb.42:                               ;   in Loop: Header=BB23_7 Depth=1
	v_cmp_gt_i32_e32 vcc, s72, v80
	s_and_saveexec_b64 s[8:9], vcc
	s_cbranch_execz .LBB23_5
; %bb.43:                               ;   in Loop: Header=BB23_7 Depth=1
	s_mul_i32 s73, s73, s38
	s_ashr_i32 s10, s73, 31
	s_waitcnt lgkmcnt(0)
	s_add_u32 s11, s44, s73
	s_addc_u32 s12, s45, s10
	s_ashr_i32 s13, s74, 31
	v_cmp_le_i32_e32 vcc, s75, v76
	s_add_u32 s10, s11, s74
	s_addc_u32 s11, s12, s13
	v_cndmask_b32_e32 v0, 0, v77, vcc
	v_ashrrev_i32_e32 v1, 31, v0
	v_lshl_add_u64 v[0:1], s[10:11], 0, v[0:1]
	v_lshl_add_u64 v[38:39], v[0:1], 0, v[34:35]
	s_mov_b64 s[10:11], 0
	s_branch .LBB23_45
.LBB23_44:                              ;   in Loop: Header=BB23_45 Depth=2
	s_or_b64 exec, exec, s[12:13]
	v_lshl_or_b32 v42, v40, 12, v78
	;;#ASMSTART
	s_waitcnt vmcnt(3)
	;;#ASMEND
	ds_write2_b32 v42, v12, v13 offset1:32
	ds_write2_b32 v42, v14, v15 offset0:64 offset1:96
	v_add_u32_e32 v12, 0x400, v42
	;;#ASMSTART
	s_waitcnt vmcnt(2)
	;;#ASMEND
	ds_write2_b32 v12, v8, v9 offset1:32
	ds_write2_b32 v12, v10, v11 offset0:64 offset1:96
	v_add_u32_e32 v8, 0x800, v42
	;; [unrolled: 6-line block ×3, first 2 shown]
	v_add_u32_e32 v80, s41, v80
	;;#ASMSTART
	s_waitcnt vmcnt(0)
	;;#ASMEND
	ds_write2_b32 v4, v0, v1 offset1:32
	ds_write2_b32 v4, v2, v3 offset0:64 offset1:96
	v_add_u32_e32 v0, 1, v55
	v_add_u32_e32 v40, s41, v40
	v_cmp_le_i32_e32 vcc, s72, v80
	ds_write_b32 v41, v0
	v_add_u32_e32 v0, 2, v55
	s_or_b64 s[10:11], vcc, s[10:11]
	v_cmp_lt_i32_e32 vcc, 3, v40
	s_nop 1
	v_cndmask_b32_e32 v55, v55, v0, vcc
	s_andn2_b64 exec, exec, s[10:11]
	s_cbranch_execz .LBB23_4
.LBB23_45:                              ;   Parent Loop BB23_7 Depth=1
                                        ; =>  This Loop Header: Depth=2
                                        ;       Child Loop BB23_47 Depth 3
	v_cmp_gt_i32_e32 vcc, 4, v40
	s_nop 1
	v_cndmask_b32_e64 v0, -4, 0, vcc
	v_add_u32_e32 v40, v0, v40
	v_lshlrev_b32_e32 v0, 7, v80
	v_ashrrev_i32_e32 v1, 31, v0
	v_lshl_add_u64 v[0:1], v[38:39], 0, v[0:1]
	v_lshlrev_b32_e32 v41, 2, v40
	;;#ASMSTART
	global_load_dwordx4 v[12:15], v[0:1], off offset:0   
	global_load_dwordx4 v[8:11], v[0:1], off offset:32  
	;; [unrolled: 1-line block ×4, first 2 shown]
	
	;;#ASMEND
	ds_read_b32 v42, v41 offset:32768
	v_add_u32_e32 v41, 0x8000, v41
	s_waitcnt lgkmcnt(0)
	v_cmp_ne_u32_e32 vcc, v42, v55
	s_and_saveexec_b64 s[12:13], vcc
	s_cbranch_execz .LBB23_44
; %bb.46:                               ;   in Loop: Header=BB23_45 Depth=2
	s_mov_b64 s[14:15], 0
.LBB23_47:                              ;   Parent Loop BB23_7 Depth=1
                                        ;     Parent Loop BB23_45 Depth=2
                                        ; =>    This Inner Loop Header: Depth=3
	;;#ASMSTART
	s_sleep 0
	;;#ASMEND
	ds_read_b32 v42, v41
	s_waitcnt lgkmcnt(0)
	v_cmp_eq_u32_e32 vcc, v42, v55
	s_or_b64 s[14:15], vcc, s[14:15]
	s_andn2_b64 exec, exec, s[14:15]
	s_cbranch_execnz .LBB23_47
	s_branch .LBB23_44
.LBB23_48:
	s_endpgm
	.section	.rodata,"a",@progbits
	.p2align	6, 0x0
	.amdhsa_kernel _Z19_skinny_gemm_kernelILi1ELi1ELi4ELi32ELi8EEvPKhS1_P6__halfPKfiiiiiiii
		.amdhsa_group_segment_fixed_size 32800
		.amdhsa_private_segment_fixed_size 0
		.amdhsa_kernarg_size 64
		.amdhsa_user_sgpr_count 2
		.amdhsa_user_sgpr_dispatch_ptr 0
		.amdhsa_user_sgpr_queue_ptr 0
		.amdhsa_user_sgpr_kernarg_segment_ptr 1
		.amdhsa_user_sgpr_dispatch_id 0
		.amdhsa_user_sgpr_kernarg_preload_length 0
		.amdhsa_user_sgpr_kernarg_preload_offset 0
		.amdhsa_user_sgpr_private_segment_size 0
		.amdhsa_uses_dynamic_stack 0
		.amdhsa_enable_private_segment 0
		.amdhsa_system_sgpr_workgroup_id_x 1
		.amdhsa_system_sgpr_workgroup_id_y 0
		.amdhsa_system_sgpr_workgroup_id_z 0
		.amdhsa_system_sgpr_workgroup_info 0
		.amdhsa_system_vgpr_workitem_id 0
		.amdhsa_next_free_vgpr 88
		.amdhsa_next_free_sgpr 76
		.amdhsa_accum_offset 88
		.amdhsa_reserve_vcc 1
		.amdhsa_float_round_mode_32 0
		.amdhsa_float_round_mode_16_64 0
		.amdhsa_float_denorm_mode_32 3
		.amdhsa_float_denorm_mode_16_64 3
		.amdhsa_dx10_clamp 1
		.amdhsa_ieee_mode 1
		.amdhsa_fp16_overflow 0
		.amdhsa_tg_split 0
		.amdhsa_exception_fp_ieee_invalid_op 0
		.amdhsa_exception_fp_denorm_src 0
		.amdhsa_exception_fp_ieee_div_zero 0
		.amdhsa_exception_fp_ieee_overflow 0
		.amdhsa_exception_fp_ieee_underflow 0
		.amdhsa_exception_fp_ieee_inexact 0
		.amdhsa_exception_int_div_zero 0
	.end_amdhsa_kernel
	.section	.text._Z19_skinny_gemm_kernelILi1ELi1ELi4ELi32ELi8EEvPKhS1_P6__halfPKfiiiiiiii,"axG",@progbits,_Z19_skinny_gemm_kernelILi1ELi1ELi4ELi32ELi8EEvPKhS1_P6__halfPKfiiiiiiii,comdat
.Lfunc_end23:
	.size	_Z19_skinny_gemm_kernelILi1ELi1ELi4ELi32ELi8EEvPKhS1_P6__halfPKfiiiiiiii, .Lfunc_end23-_Z19_skinny_gemm_kernelILi1ELi1ELi4ELi32ELi8EEvPKhS1_P6__halfPKfiiiiiiii
                                        ; -- End function
	.set _Z19_skinny_gemm_kernelILi1ELi1ELi4ELi32ELi8EEvPKhS1_P6__halfPKfiiiiiiii.num_vgpr, 88
	.set _Z19_skinny_gemm_kernelILi1ELi1ELi4ELi32ELi8EEvPKhS1_P6__halfPKfiiiiiiii.num_agpr, 0
	.set _Z19_skinny_gemm_kernelILi1ELi1ELi4ELi32ELi8EEvPKhS1_P6__halfPKfiiiiiiii.numbered_sgpr, 76
	.set _Z19_skinny_gemm_kernelILi1ELi1ELi4ELi32ELi8EEvPKhS1_P6__halfPKfiiiiiiii.num_named_barrier, 0
	.set _Z19_skinny_gemm_kernelILi1ELi1ELi4ELi32ELi8EEvPKhS1_P6__halfPKfiiiiiiii.private_seg_size, 0
	.set _Z19_skinny_gemm_kernelILi1ELi1ELi4ELi32ELi8EEvPKhS1_P6__halfPKfiiiiiiii.uses_vcc, 1
	.set _Z19_skinny_gemm_kernelILi1ELi1ELi4ELi32ELi8EEvPKhS1_P6__halfPKfiiiiiiii.uses_flat_scratch, 0
	.set _Z19_skinny_gemm_kernelILi1ELi1ELi4ELi32ELi8EEvPKhS1_P6__halfPKfiiiiiiii.has_dyn_sized_stack, 0
	.set _Z19_skinny_gemm_kernelILi1ELi1ELi4ELi32ELi8EEvPKhS1_P6__halfPKfiiiiiiii.has_recursion, 0
	.set _Z19_skinny_gemm_kernelILi1ELi1ELi4ELi32ELi8EEvPKhS1_P6__halfPKfiiiiiiii.has_indirect_call, 0
	.section	.AMDGPU.csdata,"",@progbits
; Kernel info:
; codeLenInByte = 6340
; TotalNumSgprs: 82
; NumVgprs: 88
; NumAgprs: 0
; TotalNumVgprs: 88
; ScratchSize: 0
; MemoryBound: 0
; FloatMode: 240
; IeeeMode: 1
; LDSByteSize: 32800 bytes/workgroup (compile time only)
; SGPRBlocks: 10
; VGPRBlocks: 10
; NumSGPRsForWavesPerEU: 82
; NumVGPRsForWavesPerEU: 88
; AccumOffset: 88
; Occupancy: 5
; WaveLimiterHint : 0
; COMPUTE_PGM_RSRC2:SCRATCH_EN: 0
; COMPUTE_PGM_RSRC2:USER_SGPR: 2
; COMPUTE_PGM_RSRC2:TRAP_HANDLER: 0
; COMPUTE_PGM_RSRC2:TGID_X_EN: 1
; COMPUTE_PGM_RSRC2:TGID_Y_EN: 0
; COMPUTE_PGM_RSRC2:TGID_Z_EN: 0
; COMPUTE_PGM_RSRC2:TIDIG_COMP_CNT: 0
; COMPUTE_PGM_RSRC3_GFX90A:ACCUM_OFFSET: 21
; COMPUTE_PGM_RSRC3_GFX90A:TG_SPLIT: 0
	.section	.text._Z19_skinny_gemm_kernelILi1ELi1ELi5ELi8ELi4EEvPKhS1_P6__halfPKfiiiiiiii,"axG",@progbits,_Z19_skinny_gemm_kernelILi1ELi1ELi5ELi8ELi4EEvPKhS1_P6__halfPKfiiiiiiii,comdat
	.protected	_Z19_skinny_gemm_kernelILi1ELi1ELi5ELi8ELi4EEvPKhS1_P6__halfPKfiiiiiiii ; -- Begin function _Z19_skinny_gemm_kernelILi1ELi1ELi5ELi8ELi4EEvPKhS1_P6__halfPKfiiiiiiii
	.globl	_Z19_skinny_gemm_kernelILi1ELi1ELi5ELi8ELi4EEvPKhS1_P6__halfPKfiiiiiiii
	.p2align	8
	.type	_Z19_skinny_gemm_kernelILi1ELi1ELi5ELi8ELi4EEvPKhS1_P6__halfPKfiiiiiiii,@function
_Z19_skinny_gemm_kernelILi1ELi1ELi5ELi8ELi4EEvPKhS1_P6__halfPKfiiiiiiii: ; @_Z19_skinny_gemm_kernelILi1ELi1ELi5ELi8ELi4EEvPKhS1_P6__halfPKfiiiiiiii
; %bb.0:
	v_cmp_gt_u32_e32 vcc, 10, v0
	v_lshlrev_b32_e32 v1, 2, v0
	s_and_saveexec_b64 s[4:5], vcc
; %bb.1:
	v_mov_b32_e32 v2, 0
	ds_write_b32 v1, v2 offset:30720
; %bb.2:
	s_or_b64 exec, exec, s[4:5]
	s_load_dwordx8 s[8:15], s[0:1], 0x20
	s_waitcnt lgkmcnt(0)
	s_barrier
	s_add_i32 s3, s8, 7
	s_ashr_i32 s5, s3, 31
	s_add_i32 s4, s9, 15
	s_lshr_b32 s5, s5, 29
	s_ashr_i32 s6, s4, 31
	s_add_i32 s3, s3, s5
	s_ashr_i32 s33, s3, 3
	s_lshr_b32 s3, s6, 28
	s_add_i32 s4, s4, s3
	s_ashr_i32 s42, s4, 4
	s_mul_i32 s3, s42, s33
	s_mul_i32 s3, s3, s12
	s_add_i32 s4, s3, 0x12f
	s_mul_hi_i32 s4, s4, 0x6bca1af3
	s_lshr_b32 s5, s4, 31
	s_ashr_i32 s4, s4, 7
	s_add_i32 s4, s4, s5
	s_add_i32 s5, s2, 1
	s_mul_i32 s5, s4, s5
	v_cvt_f64_i32_e32 v[2:3], s3
	v_cvt_f64_u32_e32 v[4:5], s5
	v_min_f64 v[2:3], v[2:3], v[4:5]
	v_cvt_i32_f64_e32 v17, v[2:3]
	s_mul_i32 s43, s4, s2
	v_cmp_ge_i32_e32 vcc, s43, v17
	s_cbranch_vccnz .LBB24_41
; %bb.3:
	v_lshrrev_b32_e32 v2, 6, v0
	s_add_i32 s4, s14, s13
	s_load_dwordx8 s[16:23], s[0:1], 0x0
	v_cmp_le_i32_e64 s[0:1], s4, v2
	v_mov_b32_e32 v3, s13
	v_cmp_le_i32_e64 s[2:3], s13, v2
	v_mov_b32_e32 v4, s14
	v_cndmask_b32_e64 v4, 0, v4, s[0:1]
	v_cndmask_b32_e64 v3, 0, v3, s[2:3]
	s_abs_i32 s5, s12
	v_add_u32_e32 v3, v3, v4
	v_cvt_f32_u32_e32 v4, s5
	v_sub_u32_e32 v6, v2, v3
	s_ashr_i32 s6, s10, 31
	s_lshr_b32 s6, s6, 24
	v_rcp_iflag_f32_e32 v3, v4
	s_sub_i32 s26, 0, s5
	s_add_i32 s6, s10, s6
	s_ashr_i32 s6, s6, 8
	v_mul_f32_e32 v3, 0x4f7ffffe, v3
	v_cvt_u32_f32_e32 v3, v3
	s_abs_i32 s25, s6
	s_xor_b32 s24, s6, s12
	s_ashr_i32 s24, s24, 31
	v_readfirstlane_b32 s27, v3
	s_mul_i32 s26, s26, s27
	s_mul_hi_u32 s26, s27, s26
	s_add_i32 s27, s27, s26
	s_mul_hi_u32 s26, s25, s27
	s_mul_i32 s27, s26, s5
	s_sub_i32 s25, s25, s27
	s_add_i32 s27, s26, 1
	s_sub_i32 s28, s25, s5
	s_cmp_ge_u32 s25, s5
	s_cselect_b32 s26, s27, s26
	s_cselect_b32 s25, s28, s25
	s_add_i32 s27, s26, 1
	s_cmp_ge_u32 s25, s5
	s_cselect_b32 s5, s27, s26
	s_xor_b32 s5, s5, s24
	s_sub_i32 s44, s5, s24
	s_add_i32 s12, s12, -1
	s_mul_i32 s5, s44, s12
	s_add_i32 s4, s4, s15
	s_sub_i32 s45, s6, s5
	v_cmp_gt_i32_e64 s[4:5], s4, v2
	v_and_b32_e32 v2, 1, v0
	v_lshlrev_b32_e32 v3, 1, v0
	v_and_b32_e32 v3, 0x7c, v3
	v_lshlrev_b32_e32 v4, 8, v2
	v_lshlrev_b32_e32 v5, 4, v0
	s_movk_i32 s24, 0x5000
	s_movk_i32 s6, 0x7c
	v_and_b32_e32 v7, 0x200, v5
	v_or3_b32 v32, v3, v4, s24
	v_lshrrev_b32_e32 v3, 3, v0
	v_cmp_eq_u32_e32 vcc, 0, v2
	v_and_or_b32 v33, v1, s6, v7
	v_lshlrev_b32_e32 v1, 1, v2
	v_and_or_b32 v2, v3, 6, v2
	v_sub_u32_e32 v35, 8, v2
	v_mul_lo_u32 v18, s9, v2
	v_bfe_u32 v2, v0, 2, 4
	v_lshlrev_b32_e32 v4, 8, v0
	v_lshlrev_b32_e32 v7, 6, v0
	v_mul_lo_u32 v24, s11, v2
	v_and_b32_e32 v2, 60, v0
	v_and_b32_e32 v4, 0x200, v4
	v_and_b32_e32 v7, 64, v7
	s_abs_i32 s46, s33
	v_or3_b32 v36, v2, v4, v7
	v_cvt_f32_u32_e32 v7, s46
	v_lshlrev_b32_e32 v4, 7, v0
	v_and_b32_e32 v16, 14, v0
	v_bitop3_b32 v34, v0, 1, v0 bitop3:0xc
	v_sub_u32_e32 v1, v0, v1
	v_bfe_u32 v2, v0, 3, 3
	v_and_b32_e32 v4, 0x200, v4
	v_lshlrev_b32_e32 v0, 5, v0
	v_lshl_or_b32 v4, v2, 2, v4
	v_and_b32_e32 v0, 0x60, v0
	v_or3_b32 v37, v4, v0, s24
	v_rcp_iflag_f32_e32 v0, v7
	s_abs_i32 s47, s42
	v_mul_lo_u32 v39, s10, v2
	v_cvt_f32_u32_e32 v2, s47
	v_mul_f32_e32 v0, 0x4f7ffffe, v0
	v_cvt_u32_f32_e32 v0, v0
	s_sub_i32 s24, 0, s46
	v_rcp_iflag_f32_e32 v2, v2
	v_add_u32_e32 v1, 1, v1
	v_readfirstlane_b32 s25, v0
	s_mul_i32 s24, s24, s25
	v_mul_f32_e32 v0, 0x4f7ffffe, v2
	v_cvt_u32_f32_e32 v0, v0
	s_mul_hi_u32 s24, s25, s24
	s_add_i32 s49, s25, s24
	s_sub_i32 s24, 0, s47
	v_readfirstlane_b32 s25, v0
	v_mbcnt_lo_u32_b32 v0, -1, 0
	v_and_b32_e32 v1, 63, v1
	s_mul_i32 s24, s24, s25
	v_mbcnt_hi_u32_b32 v0, -1, v0
	v_mov_b32_e32 v8, 0xeeee
	v_mov_b32_e32 v9, 0x4444
	;; [unrolled: 1-line block ×3, first 2 shown]
	s_mul_hi_u32 s24, s25, s24
	v_and_or_b32 v0, v0, 64, v1
	v_cndmask_b32_e64 v30, 0, 1, s[0:1]
	s_mov_b32 s7, 0
	v_cndmask_b32_e32 v31, v8, v9, vcc
	v_ashrrev_i32_e32 v19, 31, v18
	v_and_b32_e32 v22, 48, v5
	v_ashrrev_i32_e32 v25, 31, v24
	v_mov_b32_e32 v23, v21
	v_bitop3_b32 v38, v3, 7, v3 bitop3:0xc
	v_and_b32_e32 v26, 0x70, v5
	v_mov_b32_e32 v27, v21
	s_lshl_b32 s6, s13, 8
	s_ashr_i32 s48, s33, 31
	s_ashr_i32 s50, s42, 31
	s_add_i32 s51, s25, s24
	v_lshlrev_b32_e32 v40, 2, v0
	v_lshlrev_b32_e32 v20, 1, v16
	v_mov_b32_e32 v41, v6
	s_branch .LBB24_7
.LBB24_4:                               ;   in Loop: Header=BB24_7 Depth=1
	s_or_b64 exec, exec, s[28:29]
.LBB24_5:                               ;   in Loop: Header=BB24_7 Depth=1
	s_or_b64 exec, exec, s[26:27]
	v_subrev_u32_e32 v41, s52, v41
.LBB24_6:                               ;   in Loop: Header=BB24_7 Depth=1
	s_or_b64 exec, exec, s[24:25]
	s_add_i32 s43, s43, 1
	v_cmp_ge_i32_e32 vcc, s43, v17
	s_cbranch_vccnz .LBB24_41
.LBB24_7:                               ; =>This Loop Header: Depth=1
                                        ;     Child Loop BB24_13 Depth 2
                                        ;       Child Loop BB24_15 Depth 3
                                        ;       Child Loop BB24_18 Depth 3
                                        ;     Child Loop BB24_28 Depth 2
                                        ;       Child Loop BB24_30 Depth 3
                                        ;     Child Loop BB24_38 Depth 2
                                        ;       Child Loop BB24_40 Depth 3
	s_abs_i32 s25, s43
	s_mul_hi_u32 s26, s25, s49
	s_mul_i32 s27, s26, s46
	s_ashr_i32 s24, s43, 31
	s_sub_i32 s25, s25, s27
	s_xor_b32 s24, s24, s48
	s_add_i32 s27, s26, 1
	s_sub_i32 s28, s25, s46
	s_cmp_ge_u32 s25, s46
	s_cselect_b32 s26, s27, s26
	s_cselect_b32 s25, s28, s25
	s_add_i32 s27, s26, 1
	s_cmp_ge_u32 s25, s46
	s_cselect_b32 s25, s27, s26
	s_xor_b32 s25, s25, s24
	s_sub_i32 s26, s25, s24
	s_abs_i32 s25, s26
	s_mul_i32 s24, s26, s33
	s_mul_hi_u32 s27, s25, s51
	s_sub_i32 s24, s43, s24
	s_mul_i32 s28, s27, s47
	s_lshl_b32 s53, s24, 3
	s_ashr_i32 s24, s26, 31
	s_sub_i32 s25, s25, s28
	s_xor_b32 s24, s24, s50
	s_add_i32 s28, s27, 1
	s_sub_i32 s29, s25, s47
	s_cmp_ge_u32 s25, s47
	s_cselect_b32 s27, s28, s27
	s_cselect_b32 s25, s29, s25
	s_add_i32 s28, s27, 1
	s_cmp_ge_u32 s25, s47
	s_cselect_b32 s25, s28, s27
	s_xor_b32 s25, s25, s24
	s_sub_i32 s27, s25, s24
	s_mul_i32 s24, s27, s44
	s_lshl_b32 s54, s24, 8
	s_cmp_eq_u32 s27, s12
	s_cselect_b32 s52, s45, s44
	s_sub_i32 s55, s53, s8
	s_add_i32 s55, s55, 8
	s_and_saveexec_b64 s[24:25], s[2:3]
	s_xor_b64 s[24:25], exec, s[24:25]
	s_cbranch_execz .LBB24_34
; %bb.8:                                ;   in Loop: Header=BB24_7 Depth=1
	s_mul_i32 s27, s27, s42
	s_sub_i32 s26, s26, s27
	s_lshl_b32 s26, s26, 4
	s_sub_i32 s27, s26, s9
	s_add_i32 s27, s27, 16
	s_max_i32 s28, s27, 0
	s_sub_i32 s26, s26, s28
	s_and_saveexec_b64 s[28:29], s[0:1]
	s_xor_b64 s[28:29], exec, s[28:29]
	s_cbranch_execz .LBB24_24
; %bb.9:                                ;   in Loop: Header=BB24_7 Depth=1
	s_and_saveexec_b64 s[30:31], s[4:5]
	s_cbranch_execz .LBB24_23
; %bb.10:                               ;   in Loop: Header=BB24_7 Depth=1
	s_waitcnt lgkmcnt(0)
	global_load_dword v12, v21, s[22:23]
	v_mov_b32_e32 v3, 0
	v_cmp_gt_i32_e32 vcc, s52, v41
	v_mov_b32_e32 v2, v3
	v_mov_b32_e32 v1, v3
	;; [unrolled: 1-line block ×3, first 2 shown]
	s_and_saveexec_b64 s[34:35], vcc
	s_cbranch_execz .LBB24_20
; %bb.11:                               ;   in Loop: Header=BB24_7 Depth=1
	v_mov_b32_e32 v0, 0
	s_mov_b64 s[36:37], 0
	v_mov_b32_e32 v1, v0
	v_mov_b32_e32 v2, v0
	;; [unrolled: 1-line block ×3, first 2 shown]
	s_branch .LBB24_13
.LBB24_12:                              ;   in Loop: Header=BB24_13 Depth=2
	s_or_b64 exec, exec, s[38:39]
	v_lshl_or_b32 v28, v13, 12, v33
	ds_read2_b32 v[42:43], v28 offset1:32
	ds_read2_b32 v[44:45], v28 offset0:64 offset1:96
	v_add_u32_e32 v29, 0x400, v28
	ds_read2_b32 v[46:47], v29 offset1:32
	ds_read2_b32 v[48:49], v29 offset0:64 offset1:96
	v_add_u32_e32 v41, s15, v41
	v_cmp_le_i32_e32 vcc, s52, v41
	s_waitcnt lgkmcnt(2)
	v_smfmac_f32_16x16x64_fp8_fp8 v[0:3], v[10:11], v[42:45], v31 cbsz:7 abid:1
	v_add_u32_e32 v10, 0x800, v28
	ds_read2_b32 v[42:43], v10 offset1:32
	ds_read2_b32 v[44:45], v10 offset0:64 offset1:96
	v_add_u32_e32 v10, 0xc00, v28
	s_waitcnt lgkmcnt(2)
	v_smfmac_f32_16x16x64_fp8_fp8 v[0:3], v[8:9], v[46:49], v31 cbsz:7 abid:1
	ds_read2_b32 v[8:9], v10 offset1:32
	ds_read2_b32 v[10:11], v10 offset0:64 offset1:96
	s_or_b64 s[36:37], vcc, s[36:37]
	ds_write_b32 v14, v15 offset:20
	s_waitcnt lgkmcnt(3)
	v_smfmac_f32_16x16x64_fp8_fp8 v[0:3], v[6:7], v[42:45], v31 cbsz:7 abid:1
	v_add_u32_e32 v6, s15, v13
	v_add_u32_e32 v7, 2, v30
	v_cmp_lt_i32_e32 vcc, 4, v6
	s_waitcnt lgkmcnt(1)
	v_smfmac_f32_16x16x64_fp8_fp8 v[0:3], v[4:5], v[8:11], v31 cbsz:7 abid:1
	v_cndmask_b32_e32 v30, v30, v7, vcc
	s_andn2_b64 exec, exec, s[36:37]
	s_cbranch_execz .LBB24_19
.LBB24_13:                              ;   Parent Loop BB24_7 Depth=1
                                        ; =>  This Loop Header: Depth=2
                                        ;       Child Loop BB24_15 Depth 3
                                        ;       Child Loop BB24_18 Depth 3
	v_cmp_gt_i32_e32 vcc, 5, v6
	s_nop 1
	v_cndmask_b32_e64 v4, -5, 0, vcc
	v_add_u32_e32 v13, v4, v6
	v_lshlrev_b32_e32 v4, 2, v13
	ds_read_b32 v5, v4 offset:30720
	v_add_u32_e32 v14, 0x7800, v4
	s_waitcnt lgkmcnt(0)
	v_cmp_ne_u32_e32 vcc, v5, v30
	s_and_saveexec_b64 s[38:39], vcc
	s_cbranch_execz .LBB24_16
; %bb.14:                               ;   in Loop: Header=BB24_13 Depth=2
	s_mov_b64 s[40:41], 0
.LBB24_15:                              ;   Parent Loop BB24_7 Depth=1
                                        ;     Parent Loop BB24_13 Depth=2
                                        ; =>    This Inner Loop Header: Depth=3
	;;#ASMSTART
	s_sleep 0
	;;#ASMEND
	ds_read_b32 v4, v14
	s_waitcnt lgkmcnt(0)
	v_cmp_eq_u32_e32 vcc, v4, v30
	s_or_b64 s[40:41], vcc, s[40:41]
	s_andn2_b64 exec, exec, s[40:41]
	s_cbranch_execnz .LBB24_15
.LBB24_16:                              ;   in Loop: Header=BB24_13 Depth=2
	s_or_b64 exec, exec, s[38:39]
	v_lshl_add_u32 v4, v13, 11, v32
	ds_read2_b32 v[10:11], v4 offset1:32
	ds_read2_b32 v[8:9], v4 offset0:128 offset1:160
	v_add_u32_e32 v4, 0x400, v4
	ds_read2_b32 v[6:7], v4 offset1:32
	ds_read2_b32 v[4:5], v4 offset0:128 offset1:160
	;;#ASMSTART
	s_waitcnt lgkmcnt(0)
	;;#ASMEND
	ds_read_b32 v28, v14 offset:20
	v_add_u32_e32 v15, 1, v30
	ds_write_b32 v14, v15
	s_waitcnt lgkmcnt(1)
	v_cmp_ne_u32_e32 vcc, v28, v30
	s_and_saveexec_b64 s[38:39], vcc
	s_cbranch_execz .LBB24_12
; %bb.17:                               ;   in Loop: Header=BB24_13 Depth=2
	s_mov_b64 s[40:41], 0
.LBB24_18:                              ;   Parent Loop BB24_7 Depth=1
                                        ;     Parent Loop BB24_13 Depth=2
                                        ; =>    This Inner Loop Header: Depth=3
	;;#ASMSTART
	s_sleep 0
	;;#ASMEND
	ds_read_b32 v28, v14 offset:20
	s_waitcnt lgkmcnt(0)
	v_cmp_eq_u32_e32 vcc, v28, v30
	s_or_b64 s[40:41], vcc, s[40:41]
	s_andn2_b64 exec, exec, s[40:41]
	s_cbranch_execnz .LBB24_18
	s_branch .LBB24_12
.LBB24_19:                              ;   in Loop: Header=BB24_7 Depth=1
	s_or_b64 exec, exec, s[36:37]
.LBB24_20:                              ;   in Loop: Header=BB24_7 Depth=1
	s_or_b64 exec, exec, s[34:35]
	v_cmp_le_i32_e32 vcc, s27, v16
	s_nop 1
	v_mov_b32_e32 v8, v1
	v_mov_b32_e32 v9, v2
	;; [unrolled: 1-line block ×3, first 2 shown]
	s_waitcnt vmcnt(0)
	v_cndmask_b32_e32 v4, 0, v12, vcc
	v_pk_add_f32 v[0:1], v[8:9], v[0:1]
	v_cmp_ne_u32_e32 vcc, 0, v34
	v_pk_mul_f32 v[0:1], v[4:5], v[0:1] op_sel_hi:[0,1]
	s_nop 0
	v_cndmask_b32_e32 v4, v0, v1, vcc
	v_cmp_eq_u32_e32 vcc, 2, v34
	s_nop 1
	v_cndmask_b32_e32 v2, v4, v2, vcc
	v_cmp_eq_u32_e32 vcc, 3, v34
	s_nop 1
	v_cndmask_b32_e32 v2, v2, v3, vcc
	ds_bpermute_b32 v2, v40, v2
	v_cmp_lt_i32_e32 vcc, s55, v35
	s_and_saveexec_b64 s[34:35], vcc
	s_cbranch_execz .LBB24_22
; %bb.21:                               ;   in Loop: Header=BB24_7 Depth=1
	s_mul_i32 s36, s53, s9
	s_ashr_i32 s37, s36, 31
	s_lshl_b64 s[36:37], s[36:37], 1
	v_cmp_ne_u32_e32 vcc, 0, v34
	s_add_u32 s38, s20, s36
	s_addc_u32 s39, s21, s37
	s_waitcnt lgkmcnt(0)
	v_cndmask_b32_e32 v1, v1, v2, vcc
	v_cmp_eq_u32_e32 vcc, 0, v34
	s_ashr_i32 s27, s26, 31
	s_lshl_b64 s[36:37], s[26:27], 1
	v_cndmask_b32_e32 v0, v0, v2, vcc
	v_cvt_f16_f32_e32 v2, v0
	v_cvt_f16_f32_sdwa v3, v1 dst_sel:WORD_1 dst_unused:UNUSED_PAD src0_sel:DWORD
	s_add_u32 s36, s38, s36
	s_addc_u32 s37, s39, s37
	v_lshl_add_u64 v[0:1], v[18:19], 1, s[36:37]
	v_lshl_add_u64 v[0:1], v[0:1], 0, v[20:21]
	v_or_b32_e32 v2, v3, v2
	;;#ASMSTART
	global_atomic_pk_add_f16 v[0:1], v2, off
	
	;;#ASMEND
.LBB24_22:                              ;   in Loop: Header=BB24_7 Depth=1
	s_or_b64 exec, exec, s[34:35]
	v_subrev_u32_e32 v41, s52, v41
.LBB24_23:                              ;   in Loop: Header=BB24_7 Depth=1
	s_or_b64 exec, exec, s[30:31]
.LBB24_24:                              ;   in Loop: Header=BB24_7 Depth=1
	s_andn2_saveexec_b64 s[28:29], s[28:29]
	s_cbranch_execz .LBB24_33
; %bb.25:                               ;   in Loop: Header=BB24_7 Depth=1
	v_cmp_gt_i32_e32 vcc, s52, v41
	s_and_saveexec_b64 s[30:31], vcc
	s_cbranch_execz .LBB24_32
; %bb.26:                               ;   in Loop: Header=BB24_7 Depth=1
	s_mul_i32 s26, s26, s11
	s_ashr_i32 s27, s26, 31
	s_waitcnt lgkmcnt(0)
	s_add_u32 s26, s18, s26
	s_addc_u32 s27, s19, s27
	s_ashr_i32 s34, s54, 31
	s_add_u32 s26, s26, s54
	s_addc_u32 s27, s27, s34
	v_lshl_add_u64 v[0:1], s[26:27], 0, v[24:25]
	v_lshl_add_u64 v[28:29], v[0:1], 0, v[22:23]
	s_mov_b64 s[26:27], 0
	s_branch .LBB24_28
.LBB24_27:                              ;   in Loop: Header=BB24_28 Depth=2
	s_or_b64 exec, exec, s[34:35]
	v_lshl_or_b32 v44, v42, 12, v36
	;;#ASMSTART
	s_waitcnt vmcnt(3)
	;;#ASMEND
	ds_write2_b32 v44, v12, v13 offset1:32
	ds_write2_b32 v44, v14, v15 offset0:64 offset1:96
	v_add_u32_e32 v12, 0x400, v44
	;;#ASMSTART
	s_waitcnt vmcnt(2)
	;;#ASMEND
	ds_write2_b32 v12, v8, v9 offset1:32
	ds_write2_b32 v12, v10, v11 offset0:64 offset1:96
	v_add_u32_e32 v8, 0x800, v44
	;; [unrolled: 6-line block ×3, first 2 shown]
	v_add_u32_e32 v41, s14, v41
	;;#ASMSTART
	s_waitcnt vmcnt(0)
	;;#ASMEND
	ds_write2_b32 v4, v0, v1 offset1:32
	ds_write2_b32 v4, v2, v3 offset0:64 offset1:96
	v_add_u32_e32 v0, 1, v30
	v_add_u32_e32 v6, s14, v42
	v_cmp_le_i32_e32 vcc, s52, v41
	ds_write_b32 v43, v0 offset:20
	v_add_u32_e32 v0, 2, v30
	s_or_b64 s[26:27], vcc, s[26:27]
	v_cmp_lt_i32_e32 vcc, 4, v6
	s_nop 1
	v_cndmask_b32_e32 v30, v30, v0, vcc
	s_andn2_b64 exec, exec, s[26:27]
	s_cbranch_execz .LBB24_31
.LBB24_28:                              ;   Parent Loop BB24_7 Depth=1
                                        ; =>  This Loop Header: Depth=2
                                        ;       Child Loop BB24_30 Depth 3
	v_cmp_gt_i32_e32 vcc, 5, v6
	s_nop 1
	v_cndmask_b32_e64 v0, -5, 0, vcc
	v_add_u32_e32 v42, v0, v6
	v_lshlrev_b32_e32 v0, 8, v41
	v_ashrrev_i32_e32 v1, 31, v0
	v_lshl_add_u64 v[0:1], v[28:29], 0, v[0:1]
	v_lshlrev_b32_e32 v43, 2, v42
	;;#ASMSTART
	global_load_dwordx4 v[12:15], v[0:1], off offset:0    sc0 sc1 nt  
	global_load_dwordx4 v[8:11], v[0:1], off offset:64   sc0 sc1 nt  
	global_load_dwordx4 v[4:7], v[0:1], off offset:128  sc0 sc1 nt  
	global_load_dwordx4 v[0:3], v[0:1], off offset:192  sc0 sc1 nt  
	
	;;#ASMEND
	ds_read_b32 v44, v43 offset:30740
	v_add_u32_e32 v43, 0x7800, v43
	s_waitcnt lgkmcnt(0)
	v_cmp_ne_u32_e32 vcc, v44, v30
	s_and_saveexec_b64 s[34:35], vcc
	s_cbranch_execz .LBB24_27
; %bb.29:                               ;   in Loop: Header=BB24_28 Depth=2
	s_mov_b64 s[36:37], 0
.LBB24_30:                              ;   Parent Loop BB24_7 Depth=1
                                        ;     Parent Loop BB24_28 Depth=2
                                        ; =>    This Inner Loop Header: Depth=3
	;;#ASMSTART
	s_sleep 0
	;;#ASMEND
	ds_read_b32 v44, v43 offset:20
	s_waitcnt lgkmcnt(0)
	v_cmp_eq_u32_e32 vcc, v44, v30
	s_or_b64 s[36:37], vcc, s[36:37]
	s_andn2_b64 exec, exec, s[36:37]
	s_cbranch_execnz .LBB24_30
	s_branch .LBB24_27
.LBB24_31:                              ;   in Loop: Header=BB24_7 Depth=1
	s_or_b64 exec, exec, s[26:27]
.LBB24_32:                              ;   in Loop: Header=BB24_7 Depth=1
	s_or_b64 exec, exec, s[30:31]
	v_subrev_u32_e32 v41, s52, v41
.LBB24_33:                              ;   in Loop: Header=BB24_7 Depth=1
	s_or_b64 exec, exec, s[28:29]
.LBB24_34:                              ;   in Loop: Header=BB24_7 Depth=1
	s_andn2_saveexec_b64 s[24:25], s[24:25]
	s_cbranch_execz .LBB24_6
; %bb.35:                               ;   in Loop: Header=BB24_7 Depth=1
	v_cmp_gt_i32_e32 vcc, s52, v41
	s_and_saveexec_b64 s[26:27], vcc
	s_cbranch_execz .LBB24_5
; %bb.36:                               ;   in Loop: Header=BB24_7 Depth=1
	s_mul_i32 s53, s53, s10
	s_ashr_i32 s28, s53, 31
	s_waitcnt lgkmcnt(0)
	s_add_u32 s29, s16, s53
	s_addc_u32 s30, s17, s28
	s_ashr_i32 s31, s54, 31
	v_cmp_le_i32_e32 vcc, s55, v38
	s_add_u32 s28, s29, s54
	s_addc_u32 s29, s30, s31
	v_cndmask_b32_e32 v0, 0, v39, vcc
	v_ashrrev_i32_e32 v1, 31, v0
	v_lshl_add_u64 v[0:1], s[28:29], 0, v[0:1]
	v_lshlrev_b32_e32 v2, 8, v41
	v_lshl_add_u64 v[0:1], v[0:1], 0, v[26:27]
	v_ashrrev_i32_e32 v3, 31, v2
	v_lshl_add_u64 v[8:9], v[0:1], 0, v[2:3]
	s_mov_b64 s[28:29], 0
	s_branch .LBB24_38
.LBB24_37:                              ;   in Loop: Header=BB24_38 Depth=2
	s_or_b64 exec, exec, s[30:31]
	;;#ASMSTART
	s_waitcnt vmcnt(1)
	v_pack_b32_f16 v12, v4, v5, op_sel:[0,0]
	v_pack_b32_f16 v13, v4, v5, op_sel:[1,1]
	;; [unrolled: 1-line block ×4, first 2 shown]
	v_swap_b32 v12, v4
	v_swap_b32 v13, v6
	;; [unrolled: 1-line block ×4, first 2 shown]
	;;#ASMEND
	v_add_u32_e32 v41, s13, v41
	v_lshl_add_u32 v12, v10, 11, v37
	ds_write2_b32 v12, v4, v5 offset1:32
	ds_write2_b32 v12, v6, v7 offset0:64 offset1:96
	;;#ASMSTART
	s_waitcnt vmcnt(0)
	v_pack_b32_f16 v4, v0, v1, op_sel:[0,0]
	v_pack_b32_f16 v5, v0, v1, op_sel:[1,1]
	v_pack_b32_f16 v6, v2, v3, op_sel:[0,0]
	v_pack_b32_f16 v7, v2, v3, op_sel:[1,1]
	v_swap_b32 v4, v0
	v_swap_b32 v5, v2
	;; [unrolled: 1-line block ×4, first 2 shown]
	;;#ASMEND
	v_cmp_le_i32_e32 vcc, s52, v41
	v_add_u32_e32 v4, 0x400, v12
	ds_write2_b32 v4, v0, v1 offset1:32
	ds_write2_b32 v4, v2, v3 offset0:64 offset1:96
	v_add_u32_e32 v0, 1, v30
	v_add_u32_e32 v6, s13, v10
	ds_write_b32 v11, v0
	v_add_u32_e32 v0, 2, v30
	s_or_b64 s[28:29], vcc, s[28:29]
	v_cmp_lt_i32_e32 vcc, 4, v6
	v_lshl_add_u64 v[8:9], v[8:9], 0, s[6:7]
	s_nop 0
	v_cndmask_b32_e32 v30, v30, v0, vcc
	s_andn2_b64 exec, exec, s[28:29]
	s_cbranch_execz .LBB24_4
.LBB24_38:                              ;   Parent Loop BB24_7 Depth=1
                                        ; =>  This Loop Header: Depth=2
                                        ;       Child Loop BB24_40 Depth 3
	v_cmp_gt_i32_e32 vcc, 5, v6
	s_nop 1
	v_cndmask_b32_e64 v0, -5, 0, vcc
	v_add_u32_e32 v10, v0, v6
	v_lshlrev_b32_e32 v11, 2, v10
	;;#ASMSTART
	global_load_dwordx4 v[4:7], v[8:9], off offset:0  
	global_load_dwordx4 v[0:3], v[8:9], off offset:128
	
	;;#ASMEND
	ds_read_b32 v12, v11 offset:30720
	v_add_u32_e32 v11, 0x7800, v11
	s_waitcnt lgkmcnt(0)
	v_cmp_ne_u32_e32 vcc, v12, v30
	s_and_saveexec_b64 s[30:31], vcc
	s_cbranch_execz .LBB24_37
; %bb.39:                               ;   in Loop: Header=BB24_38 Depth=2
	s_mov_b64 s[34:35], 0
.LBB24_40:                              ;   Parent Loop BB24_7 Depth=1
                                        ;     Parent Loop BB24_38 Depth=2
                                        ; =>    This Inner Loop Header: Depth=3
	;;#ASMSTART
	s_sleep 0
	;;#ASMEND
	ds_read_b32 v12, v11
	s_waitcnt lgkmcnt(0)
	v_cmp_eq_u32_e32 vcc, v12, v30
	s_or_b64 s[34:35], vcc, s[34:35]
	s_andn2_b64 exec, exec, s[34:35]
	s_cbranch_execnz .LBB24_40
	s_branch .LBB24_37
.LBB24_41:
	s_endpgm
	.section	.rodata,"a",@progbits
	.p2align	6, 0x0
	.amdhsa_kernel _Z19_skinny_gemm_kernelILi1ELi1ELi5ELi8ELi4EEvPKhS1_P6__halfPKfiiiiiiii
		.amdhsa_group_segment_fixed_size 30760
		.amdhsa_private_segment_fixed_size 0
		.amdhsa_kernarg_size 64
		.amdhsa_user_sgpr_count 2
		.amdhsa_user_sgpr_dispatch_ptr 0
		.amdhsa_user_sgpr_queue_ptr 0
		.amdhsa_user_sgpr_kernarg_segment_ptr 1
		.amdhsa_user_sgpr_dispatch_id 0
		.amdhsa_user_sgpr_kernarg_preload_length 0
		.amdhsa_user_sgpr_kernarg_preload_offset 0
		.amdhsa_user_sgpr_private_segment_size 0
		.amdhsa_uses_dynamic_stack 0
		.amdhsa_enable_private_segment 0
		.amdhsa_system_sgpr_workgroup_id_x 1
		.amdhsa_system_sgpr_workgroup_id_y 0
		.amdhsa_system_sgpr_workgroup_id_z 0
		.amdhsa_system_sgpr_workgroup_info 0
		.amdhsa_system_vgpr_workitem_id 0
		.amdhsa_next_free_vgpr 50
		.amdhsa_next_free_sgpr 56
		.amdhsa_accum_offset 52
		.amdhsa_reserve_vcc 1
		.amdhsa_float_round_mode_32 0
		.amdhsa_float_round_mode_16_64 0
		.amdhsa_float_denorm_mode_32 3
		.amdhsa_float_denorm_mode_16_64 3
		.amdhsa_dx10_clamp 1
		.amdhsa_ieee_mode 1
		.amdhsa_fp16_overflow 0
		.amdhsa_tg_split 0
		.amdhsa_exception_fp_ieee_invalid_op 0
		.amdhsa_exception_fp_denorm_src 0
		.amdhsa_exception_fp_ieee_div_zero 0
		.amdhsa_exception_fp_ieee_overflow 0
		.amdhsa_exception_fp_ieee_underflow 0
		.amdhsa_exception_fp_ieee_inexact 0
		.amdhsa_exception_int_div_zero 0
	.end_amdhsa_kernel
	.section	.text._Z19_skinny_gemm_kernelILi1ELi1ELi5ELi8ELi4EEvPKhS1_P6__halfPKfiiiiiiii,"axG",@progbits,_Z19_skinny_gemm_kernelILi1ELi1ELi5ELi8ELi4EEvPKhS1_P6__halfPKfiiiiiiii,comdat
.Lfunc_end24:
	.size	_Z19_skinny_gemm_kernelILi1ELi1ELi5ELi8ELi4EEvPKhS1_P6__halfPKfiiiiiiii, .Lfunc_end24-_Z19_skinny_gemm_kernelILi1ELi1ELi5ELi8ELi4EEvPKhS1_P6__halfPKfiiiiiiii
                                        ; -- End function
	.set _Z19_skinny_gemm_kernelILi1ELi1ELi5ELi8ELi4EEvPKhS1_P6__halfPKfiiiiiiii.num_vgpr, 50
	.set _Z19_skinny_gemm_kernelILi1ELi1ELi5ELi8ELi4EEvPKhS1_P6__halfPKfiiiiiiii.num_agpr, 0
	.set _Z19_skinny_gemm_kernelILi1ELi1ELi5ELi8ELi4EEvPKhS1_P6__halfPKfiiiiiiii.numbered_sgpr, 56
	.set _Z19_skinny_gemm_kernelILi1ELi1ELi5ELi8ELi4EEvPKhS1_P6__halfPKfiiiiiiii.num_named_barrier, 0
	.set _Z19_skinny_gemm_kernelILi1ELi1ELi5ELi8ELi4EEvPKhS1_P6__halfPKfiiiiiiii.private_seg_size, 0
	.set _Z19_skinny_gemm_kernelILi1ELi1ELi5ELi8ELi4EEvPKhS1_P6__halfPKfiiiiiiii.uses_vcc, 1
	.set _Z19_skinny_gemm_kernelILi1ELi1ELi5ELi8ELi4EEvPKhS1_P6__halfPKfiiiiiiii.uses_flat_scratch, 0
	.set _Z19_skinny_gemm_kernelILi1ELi1ELi5ELi8ELi4EEvPKhS1_P6__halfPKfiiiiiiii.has_dyn_sized_stack, 0
	.set _Z19_skinny_gemm_kernelILi1ELi1ELi5ELi8ELi4EEvPKhS1_P6__halfPKfiiiiiiii.has_recursion, 0
	.set _Z19_skinny_gemm_kernelILi1ELi1ELi5ELi8ELi4EEvPKhS1_P6__halfPKfiiiiiiii.has_indirect_call, 0
	.section	.AMDGPU.csdata,"",@progbits
; Kernel info:
; codeLenInByte = 2936
; TotalNumSgprs: 62
; NumVgprs: 50
; NumAgprs: 0
; TotalNumVgprs: 50
; ScratchSize: 0
; MemoryBound: 0
; FloatMode: 240
; IeeeMode: 1
; LDSByteSize: 30760 bytes/workgroup (compile time only)
; SGPRBlocks: 7
; VGPRBlocks: 6
; NumSGPRsForWavesPerEU: 62
; NumVGPRsForWavesPerEU: 50
; AccumOffset: 52
; Occupancy: 8
; WaveLimiterHint : 0
; COMPUTE_PGM_RSRC2:SCRATCH_EN: 0
; COMPUTE_PGM_RSRC2:USER_SGPR: 2
; COMPUTE_PGM_RSRC2:TRAP_HANDLER: 0
; COMPUTE_PGM_RSRC2:TGID_X_EN: 1
; COMPUTE_PGM_RSRC2:TGID_Y_EN: 0
; COMPUTE_PGM_RSRC2:TGID_Z_EN: 0
; COMPUTE_PGM_RSRC2:TIDIG_COMP_CNT: 0
; COMPUTE_PGM_RSRC3_GFX90A:ACCUM_OFFSET: 12
; COMPUTE_PGM_RSRC3_GFX90A:TG_SPLIT: 0
	.section	.text._Z19_skinny_gemm_kernelILi1ELi1ELi5ELi8ELi8EEvPKhS1_P6__halfPKfiiiiiiii,"axG",@progbits,_Z19_skinny_gemm_kernelILi1ELi1ELi5ELi8ELi8EEvPKhS1_P6__halfPKfiiiiiiii,comdat
	.protected	_Z19_skinny_gemm_kernelILi1ELi1ELi5ELi8ELi8EEvPKhS1_P6__halfPKfiiiiiiii ; -- Begin function _Z19_skinny_gemm_kernelILi1ELi1ELi5ELi8ELi8EEvPKhS1_P6__halfPKfiiiiiiii
	.globl	_Z19_skinny_gemm_kernelILi1ELi1ELi5ELi8ELi8EEvPKhS1_P6__halfPKfiiiiiiii
	.p2align	8
	.type	_Z19_skinny_gemm_kernelILi1ELi1ELi5ELi8ELi8EEvPKhS1_P6__halfPKfiiiiiiii,@function
_Z19_skinny_gemm_kernelILi1ELi1ELi5ELi8ELi8EEvPKhS1_P6__halfPKfiiiiiiii: ; @_Z19_skinny_gemm_kernelILi1ELi1ELi5ELi8ELi8EEvPKhS1_P6__halfPKfiiiiiiii
; %bb.0:
	v_cmp_gt_u32_e32 vcc, 10, v0
	v_lshlrev_b32_e32 v1, 2, v0
	s_and_saveexec_b64 s[4:5], vcc
; %bb.1:
	v_mov_b32_e32 v2, 0
	ds_write_b32 v1, v2 offset:61440
; %bb.2:
	s_or_b64 exec, exec, s[4:5]
	s_load_dwordx8 s[8:15], s[0:1], 0x20
	s_waitcnt lgkmcnt(0)
	s_barrier
	s_add_i32 s3, s8, 7
	s_ashr_i32 s5, s3, 31
	s_add_i32 s4, s9, 15
	s_lshr_b32 s5, s5, 29
	s_ashr_i32 s6, s4, 31
	s_add_i32 s3, s3, s5
	s_ashr_i32 s11, s3, 3
	s_lshr_b32 s3, s6, 28
	s_add_i32 s4, s4, s3
	s_ashr_i32 s33, s4, 4
	s_mul_i32 s3, s33, s11
	s_mul_i32 s3, s3, s12
	s_add_i32 s4, s3, 0x12f
	s_mul_hi_i32 s4, s4, 0x6bca1af3
	s_lshr_b32 s5, s4, 31
	s_ashr_i32 s4, s4, 7
	s_add_i32 s4, s4, s5
	s_add_i32 s5, s2, 1
	s_mul_i32 s5, s4, s5
	v_cvt_f64_i32_e32 v[2:3], s3
	v_cvt_f64_u32_e32 v[4:5], s5
	v_min_f64 v[2:3], v[2:3], v[4:5]
	v_cvt_i32_f64_e32 v9, v[2:3]
	s_mul_i32 s38, s4, s2
	v_cmp_ge_i32_e32 vcc, s38, v9
	s_cbranch_vccnz .LBB25_41
; %bb.3:
	v_lshrrev_b32_e32 v2, 6, v0
	s_add_i32 s4, s14, s13
	s_load_dwordx2 s[6:7], s[0:1], 0x0
	s_load_dwordx4 s[16:19], s[0:1], 0x10
	v_cmp_le_i32_e64 s[0:1], s4, v2
	v_mov_b32_e32 v3, s13
	v_cmp_le_i32_e64 s[2:3], s13, v2
	v_mov_b32_e32 v4, s14
	v_cndmask_b32_e64 v4, 0, v4, s[0:1]
	v_cndmask_b32_e64 v3, 0, v3, s[2:3]
	s_abs_i32 s5, s12
	v_add_u32_e32 v3, v3, v4
	v_cvt_f32_u32_e32 v4, s5
	v_sub_u32_e32 v6, v2, v3
	s_ashr_i32 s20, s10, 31
	s_lshr_b32 s20, s20, 23
	v_rcp_iflag_f32_e32 v3, v4
	s_sub_i32 s24, 0, s5
	s_add_i32 s20, s10, s20
	s_ashr_i32 s20, s20, 9
	v_mul_f32_e32 v3, 0x4f7ffffe, v3
	v_cvt_u32_f32_e32 v3, v3
	s_abs_i32 s23, s20
	s_xor_b32 s22, s20, s12
	s_ashr_i32 s22, s22, 31
	v_readfirstlane_b32 s25, v3
	s_mul_i32 s24, s24, s25
	s_mul_hi_u32 s24, s25, s24
	s_add_i32 s25, s25, s24
	s_mul_hi_u32 s24, s23, s25
	s_mul_i32 s25, s24, s5
	s_sub_i32 s23, s23, s25
	s_add_i32 s25, s24, 1
	s_sub_i32 s26, s23, s5
	s_cmp_ge_u32 s23, s5
	s_cselect_b32 s24, s25, s24
	s_cselect_b32 s23, s26, s23
	s_add_i32 s25, s24, 1
	s_cmp_ge_u32 s23, s5
	s_cselect_b32 s5, s25, s24
	s_xor_b32 s5, s5, s22
	s_sub_i32 s39, s5, s22
	s_add_i32 s12, s12, -1
	s_mul_i32 s5, s39, s12
	s_add_i32 s4, s4, s15
	s_sub_i32 s40, s20, s5
	v_cmp_gt_i32_e64 s[4:5], s4, v2
	v_and_b32_e32 v2, 1, v0
	v_lshlrev_b32_e32 v3, 1, v0
	v_and_b32_e32 v3, 0x7c, v3
	v_lshlrev_b32_e32 v4, 8, v2
	v_lshlrev_b32_e32 v5, 4, v0
	s_mov_b32 s22, 0xa000
	s_movk_i32 s20, 0x7c
	v_and_b32_e32 v7, 0x200, v5
	v_or3_b32 v30, v3, v4, s22
	v_lshrrev_b32_e32 v3, 3, v0
	v_mov_b32_e32 v8, 0xeeee
	v_mov_b32_e32 v10, 0x4444
	v_cmp_eq_u32_e32 vcc, 0, v2
	v_and_or_b32 v31, v1, s20, v7
	v_lshlrev_b32_e32 v1, 1, v2
	v_and_or_b32 v2, v3, 6, v2
	v_lshlrev_b32_e32 v4, 7, v0
	v_cndmask_b32_e32 v29, v8, v10, vcc
	v_and_b32_e32 v8, 14, v0
	v_bitop3_b32 v32, v0, 1, v0 bitop3:0xc
	v_sub_u32_e32 v1, v0, v1
	v_sub_u32_e32 v33, 8, v2
	v_mul_lo_u32 v10, s9, v2
	v_bfe_u32 v2, v0, 3, 3
	v_and_b32_e32 v4, 0x200, v4
	v_lshlrev_b32_e32 v0, 5, v0
	v_lshl_or_b32 v4, v2, 2, v4
	v_and_b32_e32 v0, 0x60, v0
	s_abs_i32 s41, s11
	v_or3_b32 v34, v4, v0, s22
	v_cvt_f32_u32_e32 v0, s41
	s_abs_i32 s43, s33
	v_mul_lo_u32 v36, s10, v2
	v_cvt_f32_u32_e32 v2, s43
	v_rcp_iflag_f32_e32 v0, v0
	s_sub_i32 s22, 0, s41
	v_add_u32_e32 v1, 1, v1
	v_rcp_iflag_f32_e32 v2, v2
	v_mul_f32_e32 v0, 0x4f7ffffe, v0
	v_cvt_u32_f32_e32 v0, v0
	v_and_b32_e32 v1, 63, v1
	v_mov_b32_e32 v13, 0
	v_cndmask_b32_e64 v28, 0, 1, s[0:1]
	v_readfirstlane_b32 s23, v0
	v_mul_f32_e32 v0, 0x4f7ffffe, v2
	v_cvt_u32_f32_e32 v0, v0
	s_mul_i32 s22, s22, s23
	s_mul_hi_u32 s22, s23, s22
	s_add_i32 s45, s23, s22
	s_sub_i32 s22, 0, s43
	v_readfirstlane_b32 s23, v0
	v_mbcnt_lo_u32_b32 v0, -1, 0
	s_mul_i32 s22, s22, s23
	v_mbcnt_hi_u32_b32 v0, -1, v0
	s_mul_hi_u32 s22, s23, s22
	v_and_or_b32 v0, v0, 64, v1
	s_mov_b32 s21, 0
	v_ashrrev_i32_e32 v11, 31, v10
	s_lshl_b32 s42, s39, 9
	v_bitop3_b32 v35, v3, 7, v3 bitop3:0xc
	v_and_b32_e32 v14, 0x70, v5
	v_mov_b32_e32 v15, v13
	s_lshl_b32 s20, s13, 9
	s_ashr_i32 s44, s11, 31
	s_ashr_i32 s46, s33, 31
	s_add_i32 s47, s23, s22
	v_lshlrev_b32_e32 v37, 2, v0
	v_lshlrev_b32_e32 v12, 1, v8
	v_mov_b32_e32 v38, v6
	s_branch .LBB25_7
.LBB25_4:                               ;   in Loop: Header=BB25_7 Depth=1
	s_or_b64 exec, exec, s[26:27]
.LBB25_5:                               ;   in Loop: Header=BB25_7 Depth=1
	s_or_b64 exec, exec, s[24:25]
	v_subrev_u32_e32 v38, s48, v38
.LBB25_6:                               ;   in Loop: Header=BB25_7 Depth=1
	s_or_b64 exec, exec, s[22:23]
	s_add_i32 s38, s38, 1
	v_cmp_ge_i32_e32 vcc, s38, v9
	s_cbranch_vccnz .LBB25_41
.LBB25_7:                               ; =>This Loop Header: Depth=1
                                        ;     Child Loop BB25_13 Depth 2
                                        ;       Child Loop BB25_15 Depth 3
                                        ;       Child Loop BB25_18 Depth 3
                                        ;     Child Loop BB25_28 Depth 2
                                        ;       Child Loop BB25_30 Depth 3
                                        ;     Child Loop BB25_38 Depth 2
                                        ;       Child Loop BB25_40 Depth 3
	s_abs_i32 s23, s38
	s_mul_hi_u32 s24, s23, s45
	s_mul_i32 s25, s24, s41
	s_ashr_i32 s22, s38, 31
	s_sub_i32 s23, s23, s25
	s_xor_b32 s22, s22, s44
	s_add_i32 s25, s24, 1
	s_sub_i32 s26, s23, s41
	s_cmp_ge_u32 s23, s41
	s_cselect_b32 s24, s25, s24
	s_cselect_b32 s23, s26, s23
	s_add_i32 s25, s24, 1
	s_cmp_ge_u32 s23, s41
	s_cselect_b32 s23, s25, s24
	s_xor_b32 s23, s23, s22
	s_sub_i32 s52, s23, s22
	s_abs_i32 s23, s52
	s_mul_i32 s22, s52, s11
	s_mul_hi_u32 s24, s23, s47
	s_sub_i32 s22, s38, s22
	s_mul_i32 s25, s24, s43
	s_lshl_b32 s49, s22, 3
	s_ashr_i32 s22, s52, 31
	s_sub_i32 s23, s23, s25
	s_xor_b32 s22, s22, s46
	s_add_i32 s25, s24, 1
	s_sub_i32 s26, s23, s43
	s_cmp_ge_u32 s23, s43
	s_cselect_b32 s24, s25, s24
	s_cselect_b32 s23, s26, s23
	s_add_i32 s25, s24, 1
	s_cmp_ge_u32 s23, s43
	s_cselect_b32 s23, s25, s24
	s_xor_b32 s23, s23, s22
	s_sub_i32 s51, s23, s22
	s_cmp_eq_u32 s51, s12
	s_cselect_b32 s48, s40, s39
	s_sub_i32 s50, s49, s8
	s_add_i32 s50, s50, 8
	s_and_saveexec_b64 s[22:23], s[2:3]
	s_xor_b64 s[22:23], exec, s[22:23]
	s_cbranch_execz .LBB25_34
; %bb.8:                                ;   in Loop: Header=BB25_7 Depth=1
	s_and_saveexec_b64 s[24:25], s[0:1]
	s_xor_b64 s[24:25], exec, s[24:25]
	s_cbranch_execz .LBB25_24
; %bb.9:                                ;   in Loop: Header=BB25_7 Depth=1
	s_and_saveexec_b64 s[26:27], s[4:5]
	s_cbranch_execz .LBB25_23
; %bb.10:                               ;   in Loop: Header=BB25_7 Depth=1
	s_waitcnt lgkmcnt(0)
	global_load_dword v39, v13, s[18:19]
	v_mov_b32_e32 v3, 0
	v_cmp_gt_i32_e32 vcc, s48, v38
	v_mov_b32_e32 v2, v3
	v_mov_b32_e32 v1, v3
	;; [unrolled: 1-line block ×3, first 2 shown]
	s_and_saveexec_b64 s[28:29], vcc
	s_cbranch_execz .LBB25_20
; %bb.11:                               ;   in Loop: Header=BB25_7 Depth=1
	v_mov_b32_e32 v0, 0
	s_mov_b64 s[30:31], 0
	v_mov_b32_e32 v1, v0
	v_mov_b32_e32 v2, v0
	;; [unrolled: 1-line block ×3, first 2 shown]
	s_branch .LBB25_13
.LBB25_12:                              ;   in Loop: Header=BB25_13 Depth=2
	s_or_b64 exec, exec, s[34:35]
	v_lshl_or_b32 v43, v40, 13, v31
	ds_read2_b32 v[44:45], v43 offset1:32
	ds_read2_b32 v[46:47], v43 offset0:64 offset1:96
	v_add_u32_e32 v50, 0x400, v43
	ds_read2_b32 v[48:49], v50 offset1:32
	ds_read2_b32 v[50:51], v50 offset0:64 offset1:96
	v_add_u32_e32 v38, s15, v38
	v_cmp_le_i32_e32 vcc, s48, v38
	s_waitcnt lgkmcnt(2)
	v_smfmac_f32_16x16x64_fp8_fp8 v[0:3], v[26:27], v[44:47], v29 cbsz:7 abid:1
	v_add_u32_e32 v26, 0x800, v43
	ds_read2_b32 v[44:45], v26 offset1:32
	ds_read2_b32 v[46:47], v26 offset0:64 offset1:96
	v_add_u32_e32 v26, 0xc00, v43
	s_waitcnt lgkmcnt(2)
	v_smfmac_f32_16x16x64_fp8_fp8 v[0:3], v[24:25], v[48:51], v29 cbsz:7 abid:1
	ds_read2_b32 v[24:25], v26 offset1:32
	ds_read2_b32 v[26:27], v26 offset0:64 offset1:96
	s_or_b64 s[30:31], vcc, s[30:31]
	s_waitcnt lgkmcnt(2)
	v_smfmac_f32_16x16x64_fp8_fp8 v[0:3], v[22:23], v[44:47], v29 cbsz:7 abid:1
	v_add_u32_e32 v22, 0x1000, v43
	ds_read2_b32 v[44:45], v22 offset1:32
	ds_read2_b32 v[46:47], v22 offset0:64 offset1:96
	v_add_u32_e32 v22, 0x1400, v43
	s_waitcnt lgkmcnt(2)
	v_smfmac_f32_16x16x64_fp8_fp8 v[0:3], v[20:21], v[24:27], v29 cbsz:7 abid:1
	ds_read2_b32 v[20:21], v22 offset1:32
	ds_read2_b32 v[22:23], v22 offset0:64 offset1:96
	s_waitcnt lgkmcnt(2)
	v_smfmac_f32_16x16x64_fp8_fp8 v[0:3], v[18:19], v[44:47], v29 cbsz:7 abid:1
	v_add_u32_e32 v18, 0x1800, v43
	ds_read2_b32 v[24:25], v18 offset1:32
	ds_read2_b32 v[26:27], v18 offset0:64 offset1:96
	v_add_u32_e32 v18, 0x1c00, v43
	s_waitcnt lgkmcnt(2)
	v_smfmac_f32_16x16x64_fp8_fp8 v[0:3], v[16:17], v[20:23], v29 cbsz:7 abid:1
	ds_read2_b32 v[16:17], v18 offset1:32
	ds_read2_b32 v[18:19], v18 offset0:64 offset1:96
	ds_write_b32 v41, v42 offset:20
	s_waitcnt lgkmcnt(3)
	v_smfmac_f32_16x16x64_fp8_fp8 v[0:3], v[6:7], v[24:27], v29 cbsz:7 abid:1
	v_add_u32_e32 v6, s15, v40
	v_add_u32_e32 v7, 2, v28
	v_cmp_lt_i32_e32 vcc, 4, v6
	s_waitcnt lgkmcnt(1)
	v_smfmac_f32_16x16x64_fp8_fp8 v[0:3], v[4:5], v[16:19], v29 cbsz:7 abid:1
	v_cndmask_b32_e32 v28, v28, v7, vcc
	s_andn2_b64 exec, exec, s[30:31]
	s_cbranch_execz .LBB25_19
.LBB25_13:                              ;   Parent Loop BB25_7 Depth=1
                                        ; =>  This Loop Header: Depth=2
                                        ;       Child Loop BB25_15 Depth 3
                                        ;       Child Loop BB25_18 Depth 3
	v_cmp_gt_i32_e32 vcc, 5, v6
	s_nop 1
	v_cndmask_b32_e64 v4, -5, 0, vcc
	v_add_u32_e32 v40, v4, v6
	v_lshlrev_b32_e32 v4, 2, v40
	ds_read_b32 v5, v4 offset:61440
	v_add_u32_e32 v41, 0xf000, v4
	s_waitcnt lgkmcnt(0)
	v_cmp_ne_u32_e32 vcc, v5, v28
	s_and_saveexec_b64 s[34:35], vcc
	s_cbranch_execz .LBB25_16
; %bb.14:                               ;   in Loop: Header=BB25_13 Depth=2
	s_mov_b64 s[36:37], 0
.LBB25_15:                              ;   Parent Loop BB25_7 Depth=1
                                        ;     Parent Loop BB25_13 Depth=2
                                        ; =>    This Inner Loop Header: Depth=3
	;;#ASMSTART
	s_sleep 0
	;;#ASMEND
	ds_read_b32 v4, v41
	s_waitcnt lgkmcnt(0)
	v_cmp_eq_u32_e32 vcc, v4, v28
	s_or_b64 s[36:37], vcc, s[36:37]
	s_andn2_b64 exec, exec, s[36:37]
	s_cbranch_execnz .LBB25_15
.LBB25_16:                              ;   in Loop: Header=BB25_13 Depth=2
	s_or_b64 exec, exec, s[34:35]
	v_lshl_add_u32 v4, v40, 12, v30
	v_add_u32_e32 v5, 0x400, v4
	ds_read2_b32 v[26:27], v4 offset1:32
	ds_read2_b32 v[24:25], v4 offset0:128 offset1:160
	ds_read2_b32 v[22:23], v5 offset1:32
	ds_read2_b32 v[20:21], v5 offset0:128 offset1:160
	v_add_u32_e32 v5, 0x800, v4
	v_add_u32_e32 v4, 0xc00, v4
	ds_read2_b32 v[18:19], v5 offset1:32
	ds_read2_b32 v[16:17], v5 offset0:128 offset1:160
	ds_read2_b32 v[6:7], v4 offset1:32
	ds_read2_b32 v[4:5], v4 offset0:128 offset1:160
	;;#ASMSTART
	s_waitcnt lgkmcnt(0)
	;;#ASMEND
	ds_read_b32 v43, v41 offset:20
	v_add_u32_e32 v42, 1, v28
	ds_write_b32 v41, v42
	s_waitcnt lgkmcnt(1)
	v_cmp_ne_u32_e32 vcc, v43, v28
	s_and_saveexec_b64 s[34:35], vcc
	s_cbranch_execz .LBB25_12
; %bb.17:                               ;   in Loop: Header=BB25_13 Depth=2
	s_mov_b64 s[36:37], 0
.LBB25_18:                              ;   Parent Loop BB25_7 Depth=1
                                        ;     Parent Loop BB25_13 Depth=2
                                        ; =>    This Inner Loop Header: Depth=3
	;;#ASMSTART
	s_sleep 0
	;;#ASMEND
	ds_read_b32 v43, v41 offset:20
	s_waitcnt lgkmcnt(0)
	v_cmp_eq_u32_e32 vcc, v43, v28
	s_or_b64 s[36:37], vcc, s[36:37]
	s_andn2_b64 exec, exec, s[36:37]
	s_cbranch_execnz .LBB25_18
	s_branch .LBB25_12
.LBB25_19:                              ;   in Loop: Header=BB25_7 Depth=1
	s_or_b64 exec, exec, s[30:31]
.LBB25_20:                              ;   in Loop: Header=BB25_7 Depth=1
	s_or_b64 exec, exec, s[28:29]
	s_mul_i32 s28, s51, s33
	s_sub_i32 s28, s52, s28
	s_lshl_b32 s30, s28, 4
	s_sub_i32 s31, s30, s9
	s_add_i32 s31, s31, 16
	v_cmp_le_i32_e32 vcc, s31, v8
	v_mov_b32_e32 v16, v1
	v_mov_b32_e32 v17, v2
	;; [unrolled: 1-line block ×3, first 2 shown]
	s_waitcnt vmcnt(0)
	v_cndmask_b32_e32 v4, 0, v39, vcc
	v_pk_add_f32 v[0:1], v[16:17], v[0:1]
	v_cmp_ne_u32_e32 vcc, 0, v32
	v_pk_mul_f32 v[0:1], v[4:5], v[0:1] op_sel_hi:[0,1]
	s_nop 0
	v_cndmask_b32_e32 v4, v0, v1, vcc
	v_cmp_eq_u32_e32 vcc, 2, v32
	s_nop 1
	v_cndmask_b32_e32 v2, v4, v2, vcc
	v_cmp_eq_u32_e32 vcc, 3, v32
	s_nop 1
	v_cndmask_b32_e32 v2, v2, v3, vcc
	ds_bpermute_b32 v2, v37, v2
	v_cmp_lt_i32_e32 vcc, s50, v33
	s_and_saveexec_b64 s[28:29], vcc
	s_cbranch_execz .LBB25_22
; %bb.21:                               ;   in Loop: Header=BB25_7 Depth=1
	s_mul_i32 s34, s49, s9
	s_max_i32 s31, s31, 0
	s_ashr_i32 s35, s34, 31
	s_sub_i32 s30, s30, s31
	s_lshl_b64 s[34:35], s[34:35], 1
	v_cmp_ne_u32_e32 vcc, 0, v32
	s_add_u32 s34, s16, s34
	s_addc_u32 s35, s17, s35
	s_waitcnt lgkmcnt(0)
	v_cndmask_b32_e32 v1, v1, v2, vcc
	v_cmp_eq_u32_e32 vcc, 0, v32
	s_ashr_i32 s31, s30, 31
	s_lshl_b64 s[30:31], s[30:31], 1
	v_cndmask_b32_e32 v0, v0, v2, vcc
	v_cvt_f16_f32_e32 v2, v0
	v_cvt_f16_f32_sdwa v3, v1 dst_sel:WORD_1 dst_unused:UNUSED_PAD src0_sel:DWORD
	s_add_u32 s30, s34, s30
	s_addc_u32 s31, s35, s31
	v_lshl_add_u64 v[0:1], v[10:11], 1, s[30:31]
	v_lshl_add_u64 v[0:1], v[0:1], 0, v[12:13]
	v_or_b32_e32 v2, v3, v2
	;;#ASMSTART
	global_atomic_pk_add_f16 v[0:1], v2, off
	
	;;#ASMEND
.LBB25_22:                              ;   in Loop: Header=BB25_7 Depth=1
	s_or_b64 exec, exec, s[28:29]
	v_subrev_u32_e32 v38, s48, v38
.LBB25_23:                              ;   in Loop: Header=BB25_7 Depth=1
	s_or_b64 exec, exec, s[26:27]
.LBB25_24:                              ;   in Loop: Header=BB25_7 Depth=1
	s_andn2_saveexec_b64 s[24:25], s[24:25]
	s_cbranch_execz .LBB25_33
; %bb.25:                               ;   in Loop: Header=BB25_7 Depth=1
	v_cmp_gt_i32_e32 vcc, s48, v38
	s_and_saveexec_b64 s[26:27], vcc
	s_cbranch_execz .LBB25_32
; %bb.26:                               ;   in Loop: Header=BB25_7 Depth=1
	s_mov_b64 s[28:29], 0
	s_branch .LBB25_28
.LBB25_27:                              ;   in Loop: Header=BB25_28 Depth=2
	s_or_b64 exec, exec, s[30:31]
	v_add_u32_e32 v38, s14, v38
	v_add_u32_e32 v6, s14, v0
	v_cmp_le_i32_e32 vcc, s48, v38
	v_add_u32_e32 v0, 2, v28
	s_or_b64 s[28:29], vcc, s[28:29]
	v_cmp_lt_i32_e32 vcc, 4, v6
	v_add_u32_e32 v2, 1, v28
	;;#ASMSTART
	s_waitcnt vmcnt(3)
	;;#ASMEND
	;;#ASMSTART
	s_waitcnt vmcnt(2)
	;;#ASMEND
	;; [unrolled: 3-line block ×4, first 2 shown]
	s_nop 0
	v_cndmask_b32_e32 v28, v28, v0, vcc
	ds_write_b32 v1, v2 offset:20
	s_andn2_b64 exec, exec, s[28:29]
	s_cbranch_execz .LBB25_31
.LBB25_28:                              ;   Parent Loop BB25_7 Depth=1
                                        ; =>  This Loop Header: Depth=2
                                        ;       Child Loop BB25_30 Depth 3
	v_cmp_gt_i32_e32 vcc, 5, v6
	s_nop 1
	v_cndmask_b32_e64 v0, -5, 0, vcc
	v_add_u32_e32 v0, v0, v6
	v_lshlrev_b32_e32 v1, 2, v0
	s_waitcnt lgkmcnt(0)
	ds_read_b32 v2, v1 offset:61460
	v_add_u32_e32 v1, 0xf000, v1
	s_waitcnt lgkmcnt(0)
	v_cmp_ne_u32_e32 vcc, v2, v28
	s_and_saveexec_b64 s[30:31], vcc
	s_cbranch_execz .LBB25_27
; %bb.29:                               ;   in Loop: Header=BB25_28 Depth=2
	s_mov_b64 s[34:35], 0
.LBB25_30:                              ;   Parent Loop BB25_7 Depth=1
                                        ;     Parent Loop BB25_28 Depth=2
                                        ; =>    This Inner Loop Header: Depth=3
	;;#ASMSTART
	s_sleep 0
	;;#ASMEND
	ds_read_b32 v2, v1 offset:20
	s_waitcnt lgkmcnt(0)
	v_cmp_eq_u32_e32 vcc, v2, v28
	s_or_b64 s[34:35], vcc, s[34:35]
	s_andn2_b64 exec, exec, s[34:35]
	s_cbranch_execnz .LBB25_30
	s_branch .LBB25_27
.LBB25_31:                              ;   in Loop: Header=BB25_7 Depth=1
	s_or_b64 exec, exec, s[28:29]
.LBB25_32:                              ;   in Loop: Header=BB25_7 Depth=1
	s_or_b64 exec, exec, s[26:27]
	v_subrev_u32_e32 v38, s48, v38
.LBB25_33:                              ;   in Loop: Header=BB25_7 Depth=1
	s_or_b64 exec, exec, s[24:25]
.LBB25_34:                              ;   in Loop: Header=BB25_7 Depth=1
	s_andn2_saveexec_b64 s[22:23], s[22:23]
	s_cbranch_execz .LBB25_6
; %bb.35:                               ;   in Loop: Header=BB25_7 Depth=1
	v_cmp_gt_i32_e32 vcc, s48, v38
	s_and_saveexec_b64 s[24:25], vcc
	s_cbranch_execz .LBB25_5
; %bb.36:                               ;   in Loop: Header=BB25_7 Depth=1
	s_mul_i32 s49, s49, s10
	s_ashr_i32 s26, s49, 31
	s_waitcnt lgkmcnt(0)
	s_add_u32 s27, s6, s49
	s_mul_i32 s51, s51, s42
	s_addc_u32 s28, s7, s26
	s_ashr_i32 s29, s51, 31
	v_cmp_le_i32_e32 vcc, s50, v35
	s_add_u32 s26, s27, s51
	s_addc_u32 s27, s28, s29
	v_cndmask_b32_e32 v0, 0, v36, vcc
	v_ashrrev_i32_e32 v1, 31, v0
	v_lshl_add_u64 v[0:1], s[26:27], 0, v[0:1]
	v_lshlrev_b32_e32 v2, 9, v38
	v_lshl_add_u64 v[0:1], v[0:1], 0, v[14:15]
	v_ashrrev_i32_e32 v3, 31, v2
	v_lshl_add_u64 v[16:17], v[0:1], 0, v[2:3]
	s_mov_b64 s[26:27], 0
	s_branch .LBB25_38
.LBB25_37:                              ;   in Loop: Header=BB25_38 Depth=2
	s_or_b64 exec, exec, s[28:29]
	;;#ASMSTART
	s_waitcnt vmcnt(1)
	v_pack_b32_f16 v20, v4, v5, op_sel:[0,0]
	v_pack_b32_f16 v21, v4, v5, op_sel:[1,1]
	v_pack_b32_f16 v22, v6, v7, op_sel:[0,0]
	v_pack_b32_f16 v23, v6, v7, op_sel:[1,1]
	v_swap_b32 v20, v4
	v_swap_b32 v21, v6
	;; [unrolled: 1-line block ×4, first 2 shown]
	;;#ASMEND
	v_add_u32_e32 v38, s13, v38
	v_lshl_add_u32 v20, v18, 12, v34
	ds_write2_b32 v20, v4, v5 offset1:32
	ds_write2_b32 v20, v6, v7 offset0:64 offset1:96
	;;#ASMSTART
	s_waitcnt vmcnt(0)
	v_pack_b32_f16 v4, v0, v1, op_sel:[0,0]
	v_pack_b32_f16 v5, v0, v1, op_sel:[1,1]
	v_pack_b32_f16 v6, v2, v3, op_sel:[0,0]
	v_pack_b32_f16 v7, v2, v3, op_sel:[1,1]
	v_swap_b32 v4, v0
	v_swap_b32 v5, v2
	;; [unrolled: 1-line block ×4, first 2 shown]
	;;#ASMEND
	v_cmp_le_i32_e32 vcc, s48, v38
	v_add_u32_e32 v4, 0x400, v20
	ds_write2_b32 v4, v0, v1 offset1:32
	ds_write2_b32 v4, v2, v3 offset0:64 offset1:96
	v_add_u32_e32 v0, 1, v28
	v_add_u32_e32 v6, s13, v18
	ds_write_b32 v19, v0
	v_add_u32_e32 v0, 2, v28
	s_or_b64 s[26:27], vcc, s[26:27]
	v_cmp_lt_i32_e32 vcc, 4, v6
	v_lshl_add_u64 v[16:17], v[16:17], 0, s[20:21]
	s_nop 0
	v_cndmask_b32_e32 v28, v28, v0, vcc
	s_andn2_b64 exec, exec, s[26:27]
	s_cbranch_execz .LBB25_4
.LBB25_38:                              ;   Parent Loop BB25_7 Depth=1
                                        ; =>  This Loop Header: Depth=2
                                        ;       Child Loop BB25_40 Depth 3
	v_cmp_gt_i32_e32 vcc, 5, v6
	s_nop 1
	v_cndmask_b32_e64 v0, -5, 0, vcc
	v_add_u32_e32 v18, v0, v6
	v_lshlrev_b32_e32 v19, 2, v18
	;;#ASMSTART
	global_load_dwordx4 v[4:7], v[16:17], off offset:0  
	global_load_dwordx4 v[0:3], v[16:17], off offset:128
	
	;;#ASMEND
	ds_read_b32 v20, v19 offset:61440
	v_add_u32_e32 v19, 0xf000, v19
	s_waitcnt lgkmcnt(0)
	v_cmp_ne_u32_e32 vcc, v20, v28
	s_and_saveexec_b64 s[28:29], vcc
	s_cbranch_execz .LBB25_37
; %bb.39:                               ;   in Loop: Header=BB25_38 Depth=2
	s_mov_b64 s[30:31], 0
.LBB25_40:                              ;   Parent Loop BB25_7 Depth=1
                                        ;     Parent Loop BB25_38 Depth=2
                                        ; =>    This Inner Loop Header: Depth=3
	;;#ASMSTART
	s_sleep 0
	;;#ASMEND
	ds_read_b32 v20, v19
	s_waitcnt lgkmcnt(0)
	v_cmp_eq_u32_e32 vcc, v20, v28
	s_or_b64 s[30:31], vcc, s[30:31]
	s_andn2_b64 exec, exec, s[30:31]
	s_cbranch_execnz .LBB25_40
	s_branch .LBB25_37
.LBB25_41:
	s_endpgm
	.section	.rodata,"a",@progbits
	.p2align	6, 0x0
	.amdhsa_kernel _Z19_skinny_gemm_kernelILi1ELi1ELi5ELi8ELi8EEvPKhS1_P6__halfPKfiiiiiiii
		.amdhsa_group_segment_fixed_size 61480
		.amdhsa_private_segment_fixed_size 0
		.amdhsa_kernarg_size 64
		.amdhsa_user_sgpr_count 2
		.amdhsa_user_sgpr_dispatch_ptr 0
		.amdhsa_user_sgpr_queue_ptr 0
		.amdhsa_user_sgpr_kernarg_segment_ptr 1
		.amdhsa_user_sgpr_dispatch_id 0
		.amdhsa_user_sgpr_kernarg_preload_length 0
		.amdhsa_user_sgpr_kernarg_preload_offset 0
		.amdhsa_user_sgpr_private_segment_size 0
		.amdhsa_uses_dynamic_stack 0
		.amdhsa_enable_private_segment 0
		.amdhsa_system_sgpr_workgroup_id_x 1
		.amdhsa_system_sgpr_workgroup_id_y 0
		.amdhsa_system_sgpr_workgroup_id_z 0
		.amdhsa_system_sgpr_workgroup_info 0
		.amdhsa_system_vgpr_workitem_id 0
		.amdhsa_next_free_vgpr 52
		.amdhsa_next_free_sgpr 53
		.amdhsa_accum_offset 52
		.amdhsa_reserve_vcc 1
		.amdhsa_float_round_mode_32 0
		.amdhsa_float_round_mode_16_64 0
		.amdhsa_float_denorm_mode_32 3
		.amdhsa_float_denorm_mode_16_64 3
		.amdhsa_dx10_clamp 1
		.amdhsa_ieee_mode 1
		.amdhsa_fp16_overflow 0
		.amdhsa_tg_split 0
		.amdhsa_exception_fp_ieee_invalid_op 0
		.amdhsa_exception_fp_denorm_src 0
		.amdhsa_exception_fp_ieee_div_zero 0
		.amdhsa_exception_fp_ieee_overflow 0
		.amdhsa_exception_fp_ieee_underflow 0
		.amdhsa_exception_fp_ieee_inexact 0
		.amdhsa_exception_int_div_zero 0
	.end_amdhsa_kernel
	.section	.text._Z19_skinny_gemm_kernelILi1ELi1ELi5ELi8ELi8EEvPKhS1_P6__halfPKfiiiiiiii,"axG",@progbits,_Z19_skinny_gemm_kernelILi1ELi1ELi5ELi8ELi8EEvPKhS1_P6__halfPKfiiiiiiii,comdat
.Lfunc_end25:
	.size	_Z19_skinny_gemm_kernelILi1ELi1ELi5ELi8ELi8EEvPKhS1_P6__halfPKfiiiiiiii, .Lfunc_end25-_Z19_skinny_gemm_kernelILi1ELi1ELi5ELi8ELi8EEvPKhS1_P6__halfPKfiiiiiiii
                                        ; -- End function
	.set _Z19_skinny_gemm_kernelILi1ELi1ELi5ELi8ELi8EEvPKhS1_P6__halfPKfiiiiiiii.num_vgpr, 52
	.set _Z19_skinny_gemm_kernelILi1ELi1ELi5ELi8ELi8EEvPKhS1_P6__halfPKfiiiiiiii.num_agpr, 0
	.set _Z19_skinny_gemm_kernelILi1ELi1ELi5ELi8ELi8EEvPKhS1_P6__halfPKfiiiiiiii.numbered_sgpr, 53
	.set _Z19_skinny_gemm_kernelILi1ELi1ELi5ELi8ELi8EEvPKhS1_P6__halfPKfiiiiiiii.num_named_barrier, 0
	.set _Z19_skinny_gemm_kernelILi1ELi1ELi5ELi8ELi8EEvPKhS1_P6__halfPKfiiiiiiii.private_seg_size, 0
	.set _Z19_skinny_gemm_kernelILi1ELi1ELi5ELi8ELi8EEvPKhS1_P6__halfPKfiiiiiiii.uses_vcc, 1
	.set _Z19_skinny_gemm_kernelILi1ELi1ELi5ELi8ELi8EEvPKhS1_P6__halfPKfiiiiiiii.uses_flat_scratch, 0
	.set _Z19_skinny_gemm_kernelILi1ELi1ELi5ELi8ELi8EEvPKhS1_P6__halfPKfiiiiiiii.has_dyn_sized_stack, 0
	.set _Z19_skinny_gemm_kernelILi1ELi1ELi5ELi8ELi8EEvPKhS1_P6__halfPKfiiiiiiii.has_recursion, 0
	.set _Z19_skinny_gemm_kernelILi1ELi1ELi5ELi8ELi8EEvPKhS1_P6__halfPKfiiiiiiii.has_indirect_call, 0
	.section	.AMDGPU.csdata,"",@progbits
; Kernel info:
; codeLenInByte = 2856
; TotalNumSgprs: 59
; NumVgprs: 52
; NumAgprs: 0
; TotalNumVgprs: 52
; ScratchSize: 0
; MemoryBound: 0
; FloatMode: 240
; IeeeMode: 1
; LDSByteSize: 61480 bytes/workgroup (compile time only)
; SGPRBlocks: 7
; VGPRBlocks: 6
; NumSGPRsForWavesPerEU: 59
; NumVGPRsForWavesPerEU: 52
; AccumOffset: 52
; Occupancy: 8
; WaveLimiterHint : 0
; COMPUTE_PGM_RSRC2:SCRATCH_EN: 0
; COMPUTE_PGM_RSRC2:USER_SGPR: 2
; COMPUTE_PGM_RSRC2:TRAP_HANDLER: 0
; COMPUTE_PGM_RSRC2:TGID_X_EN: 1
; COMPUTE_PGM_RSRC2:TGID_Y_EN: 0
; COMPUTE_PGM_RSRC2:TGID_Z_EN: 0
; COMPUTE_PGM_RSRC2:TIDIG_COMP_CNT: 0
; COMPUTE_PGM_RSRC3_GFX90A:ACCUM_OFFSET: 12
; COMPUTE_PGM_RSRC3_GFX90A:TG_SPLIT: 0
	.section	.text._Z19_skinny_gemm_kernelILi1ELi1ELi5ELi16ELi4EEvPKhS1_P6__halfPKfiiiiiiii,"axG",@progbits,_Z19_skinny_gemm_kernelILi1ELi1ELi5ELi16ELi4EEvPKhS1_P6__halfPKfiiiiiiii,comdat
	.protected	_Z19_skinny_gemm_kernelILi1ELi1ELi5ELi16ELi4EEvPKhS1_P6__halfPKfiiiiiiii ; -- Begin function _Z19_skinny_gemm_kernelILi1ELi1ELi5ELi16ELi4EEvPKhS1_P6__halfPKfiiiiiiii
	.globl	_Z19_skinny_gemm_kernelILi1ELi1ELi5ELi16ELi4EEvPKhS1_P6__halfPKfiiiiiiii
	.p2align	8
	.type	_Z19_skinny_gemm_kernelILi1ELi1ELi5ELi16ELi4EEvPKhS1_P6__halfPKfiiiiiiii,@function
_Z19_skinny_gemm_kernelILi1ELi1ELi5ELi16ELi4EEvPKhS1_P6__halfPKfiiiiiiii: ; @_Z19_skinny_gemm_kernelILi1ELi1ELi5ELi16ELi4EEvPKhS1_P6__halfPKfiiiiiiii
; %bb.0:
	v_cmp_gt_u32_e32 vcc, 10, v0
	v_lshlrev_b32_e32 v1, 2, v0
	s_and_saveexec_b64 s[4:5], vcc
; %bb.1:
	v_mov_b32_e32 v2, 0
	ds_write_b32 v1, v2 offset:20480
; %bb.2:
	s_or_b64 exec, exec, s[4:5]
	s_load_dwordx8 s[12:19], s[0:1], 0x20
	s_waitcnt lgkmcnt(0)
	s_barrier
	s_add_i32 s3, s12, 15
	s_ashr_i32 s5, s3, 31
	s_add_i32 s4, s13, 15
	s_lshr_b32 s5, s5, 28
	s_ashr_i32 s6, s4, 31
	s_add_i32 s3, s3, s5
	s_ashr_i32 s33, s3, 4
	s_lshr_b32 s3, s6, 28
	s_add_i32 s4, s4, s3
	s_ashr_i32 s42, s4, 4
	s_mul_i32 s3, s42, s33
	s_mul_i32 s3, s3, s16
	s_add_i32 s4, s3, 0x12f
	s_mul_hi_i32 s4, s4, 0x6bca1af3
	s_lshr_b32 s5, s4, 31
	s_ashr_i32 s4, s4, 7
	s_add_i32 s4, s4, s5
	s_add_i32 s5, s2, 1
	s_mul_i32 s5, s4, s5
	v_cvt_f64_i32_e32 v[2:3], s3
	v_cvt_f64_u32_e32 v[4:5], s5
	v_min_f64 v[2:3], v[2:3], v[4:5]
	v_cvt_i32_f64_e32 v9, v[2:3]
	s_mul_i32 s43, s4, s2
	v_cmp_ge_i32_e32 vcc, s43, v9
	s_cbranch_vccnz .LBB26_42
; %bb.3:
	v_lshrrev_b32_e32 v2, 6, v0
	s_add_i32 s4, s18, s17
	s_load_dwordx8 s[20:27], s[0:1], 0x0
	v_cmp_le_i32_e64 s[0:1], s4, v2
	v_mov_b32_e32 v3, s17
	v_cmp_le_i32_e64 s[2:3], s17, v2
	v_mov_b32_e32 v4, s18
	v_cndmask_b32_e64 v4, 0, v4, s[0:1]
	v_cndmask_b32_e64 v3, 0, v3, s[2:3]
	s_abs_i32 s5, s16
	v_add_u32_e32 v3, v3, v4
	v_cvt_f32_u32_e32 v4, s5
	v_sub_u32_e32 v18, v2, v3
	s_ashr_i32 s6, s14, 31
	s_lshr_b32 s6, s6, 25
	v_rcp_iflag_f32_e32 v3, v4
	s_sub_i32 s9, 0, s5
	s_add_i32 s6, s14, s6
	s_ashr_i32 s6, s6, 7
	v_mul_f32_e32 v3, 0x4f7ffffe, v3
	v_cvt_u32_f32_e32 v3, v3
	s_abs_i32 s8, s6
	s_xor_b32 s7, s6, s16
	s_ashr_i32 s7, s7, 31
	v_readfirstlane_b32 s10, v3
	s_mul_i32 s9, s9, s10
	s_mul_hi_u32 s9, s10, s9
	s_add_i32 s10, s10, s9
	s_mul_hi_u32 s9, s8, s10
	s_mul_i32 s10, s9, s5
	s_sub_i32 s8, s8, s10
	s_add_i32 s10, s9, 1
	s_sub_i32 s11, s8, s5
	s_cmp_ge_u32 s8, s5
	s_cselect_b32 s9, s10, s9
	s_cselect_b32 s8, s11, s8
	s_add_i32 s10, s9, 1
	s_cmp_ge_u32 s8, s5
	s_cselect_b32 s5, s10, s9
	s_xor_b32 s5, s5, s7
	s_sub_i32 s44, s5, s7
	s_add_i32 s16, s16, -1
	s_mul_i32 s5, s44, s16
	s_add_i32 s4, s4, s19
	s_sub_i32 s45, s6, s5
	v_cmp_gt_i32_e64 s[4:5], s4, v2
	v_lshlrev_b32_e32 v2, 1, v0
	v_lshlrev_b32_e32 v3, 4, v0
	v_and_b32_e32 v1, 60, v1
	v_and_b32_e32 v2, 64, v2
	;; [unrolled: 1-line block ×3, first 2 shown]
	s_abs_i32 s46, s33
	v_or3_b32 v21, v1, v2, v4
	v_and_b32_e32 v1, 1, v0
	v_cvt_f32_u32_e32 v6, s46
	v_lshlrev_b32_e32 v2, 1, v1
	v_lshrrev_b32_e32 v4, 2, v0
	v_and_b32_e32 v8, 14, v0
	v_sub_u32_e32 v2, v0, v2
	v_and_or_b32 v23, v4, 12, v1
	v_bitop3_b32 v24, v0, 1, v0 bitop3:0xc
	v_bitop3_b32 v25, v0, 3, 1 bitop3:0x6c
	v_and_b32_e32 v12, 48, v3
	v_bfe_u32 v1, v0, 2, 4
	v_and_b32_e32 v3, 60, v0
	v_lshlrev_b32_e32 v5, 8, v0
	v_lshlrev_b32_e32 v0, 6, v0
	v_and_b32_e32 v5, 0x200, v5
	v_and_b32_e32 v0, 64, v0
	v_or3_b32 v26, v3, v5, v0
	v_rcp_iflag_f32_e32 v0, v6
	s_abs_i32 s47, s42
	v_mul_lo_u32 v14, s15, v1
	v_mul_lo_u32 v29, s14, v1
	v_cvt_f32_u32_e32 v1, s47
	v_mul_f32_e32 v0, 0x4f7ffffe, v0
	v_cvt_u32_f32_e32 v0, v0
	v_mad_u64_u32 v[10:11], s[6:7], s13, v23, v[8:9]
	v_rcp_iflag_f32_e32 v1, v1
	v_readfirstlane_b32 s7, v0
	s_sub_i32 s6, 0, s46
	s_mul_i32 s6, s6, s7
	v_mul_f32_e32 v0, 0x4f7ffffe, v1
	v_cvt_u32_f32_e32 v0, v0
	s_mul_hi_u32 s6, s7, s6
	v_add_u32_e32 v2, 1, v2
	s_add_i32 s49, s7, s6
	s_sub_i32 s6, 0, s47
	v_readfirstlane_b32 s7, v0
	v_mbcnt_lo_u32_b32 v0, -1, 0
	v_and_b32_e32 v2, 63, v2
	s_mul_i32 s6, s6, s7
	v_mbcnt_hi_u32_b32 v0, -1, v0
	s_mul_hi_u32 s6, s7, s6
	v_and_or_b32 v0, v0, 64, v2
	v_cndmask_b32_e64 v20, 0, 1, s[0:1]
	v_or_b32_e32 v22, 0x2800, v21
	v_ashrrev_i32_e32 v11, 31, v10
	s_ashr_i32 s11, s13, 31
	s_mov_b32 s10, s13
	v_ashrrev_i32_e32 v15, 31, v14
	v_mov_b32_e32 v13, 0
	v_or_b32_e32 v27, 0x2800, v26
	v_bitop3_b32 v28, v4, 15, v4 bitop3:0xc
	s_ashr_i32 s48, s33, 31
	s_ashr_i32 s50, s42, 31
	s_add_i32 s51, s7, s6
	v_lshlrev_b32_e32 v30, 2, v0
	v_mov_b32_e32 v31, v18
	s_branch .LBB26_7
.LBB26_4:                               ;   in Loop: Header=BB26_7 Depth=1
	s_or_b64 exec, exec, s[28:29]
.LBB26_5:                               ;   in Loop: Header=BB26_7 Depth=1
	s_or_b64 exec, exec, s[8:9]
	v_subrev_u32_e32 v31, s52, v31
.LBB26_6:                               ;   in Loop: Header=BB26_7 Depth=1
	s_or_b64 exec, exec, s[6:7]
	s_add_i32 s43, s43, 1
	v_cmp_ge_i32_e32 vcc, s43, v9
	s_cbranch_vccnz .LBB26_42
.LBB26_7:                               ; =>This Loop Header: Depth=1
                                        ;     Child Loop BB26_13 Depth 2
                                        ;       Child Loop BB26_15 Depth 3
                                        ;       Child Loop BB26_18 Depth 3
                                        ;     Child Loop BB26_29 Depth 2
                                        ;       Child Loop BB26_31 Depth 3
                                        ;     Child Loop BB26_39 Depth 2
                                        ;       Child Loop BB26_41 Depth 3
	s_abs_i32 s7, s43
	s_mul_hi_u32 s8, s7, s49
	s_mul_i32 s9, s8, s46
	s_ashr_i32 s6, s43, 31
	s_sub_i32 s7, s7, s9
	s_xor_b32 s6, s6, s48
	s_add_i32 s9, s8, 1
	s_sub_i32 s28, s7, s46
	s_cmp_ge_u32 s7, s46
	s_cselect_b32 s8, s9, s8
	s_cselect_b32 s7, s28, s7
	s_add_i32 s9, s8, 1
	s_cmp_ge_u32 s7, s46
	s_cselect_b32 s7, s9, s8
	s_xor_b32 s7, s7, s6
	s_sub_i32 s6, s7, s6
	s_abs_i32 s8, s6
	s_mul_i32 s7, s6, s33
	s_mul_hi_u32 s9, s8, s51
	s_sub_i32 s7, s43, s7
	s_mul_i32 s28, s9, s47
	s_lshl_b32 s53, s7, 4
	s_ashr_i32 s7, s6, 31
	s_sub_i32 s8, s8, s28
	s_xor_b32 s7, s7, s50
	s_add_i32 s28, s9, 1
	s_sub_i32 s29, s8, s47
	s_cmp_ge_u32 s8, s47
	s_cselect_b32 s9, s28, s9
	s_cselect_b32 s8, s29, s8
	s_add_i32 s28, s9, 1
	s_cmp_ge_u32 s8, s47
	s_cselect_b32 s8, s28, s9
	s_xor_b32 s8, s8, s7
	s_sub_i32 s7, s8, s7
	s_mul_i32 s8, s7, s44
	s_lshl_b32 s54, s8, 7
	s_cmp_eq_u32 s7, s16
	s_cselect_b32 s52, s45, s44
	s_sub_i32 s55, s53, s12
	s_add_i32 s55, s55, 16
	s_and_saveexec_b64 s[8:9], s[2:3]
	s_xor_b64 s[28:29], exec, s[8:9]
	s_cbranch_execz .LBB26_35
; %bb.8:                                ;   in Loop: Header=BB26_7 Depth=1
	s_mul_i32 s7, s7, s42
	s_sub_i32 s6, s6, s7
	s_lshl_b32 s6, s6, 4
	s_sub_i32 s31, s6, s13
	s_add_i32 s31, s31, 16
	s_max_i32 s7, s31, 0
	s_sub_i32 s30, s6, s7
	s_and_saveexec_b64 s[6:7], s[0:1]
	s_xor_b64 s[34:35], exec, s[6:7]
	s_cbranch_execz .LBB26_25
; %bb.9:                                ;   in Loop: Header=BB26_7 Depth=1
	s_and_saveexec_b64 s[36:37], s[4:5]
	s_cbranch_execz .LBB26_24
; %bb.10:                               ;   in Loop: Header=BB26_7 Depth=1
	s_waitcnt lgkmcnt(0)
	global_load_dword v32, v13, s[26:27]
	v_mov_b32_e32 v3, 0
	v_cmp_gt_i32_e32 vcc, s52, v31
	v_mov_b32_e32 v2, v3
	v_mov_b32_e32 v1, v3
	;; [unrolled: 1-line block ×3, first 2 shown]
	s_and_saveexec_b64 s[6:7], vcc
	s_cbranch_execz .LBB26_20
; %bb.11:                               ;   in Loop: Header=BB26_7 Depth=1
	v_mov_b32_e32 v0, 0
	s_mov_b64 s[8:9], 0
	v_mov_b32_e32 v1, v0
	v_mov_b32_e32 v2, v0
	;; [unrolled: 1-line block ×3, first 2 shown]
	s_branch .LBB26_13
.LBB26_12:                              ;   in Loop: Header=BB26_13 Depth=2
	s_or_b64 exec, exec, s[38:39]
	v_add_u32_e32 v40, v21, v36
	ds_read2_b32 v[36:37], v40 offset1:32
	ds_read2_b32 v[38:39], v40 offset0:128 offset1:160
	v_add_u32_e32 v40, 0x400, v40
	v_add_u32_e32 v31, s19, v31
	v_cmp_le_i32_e32 vcc, s52, v31
	s_waitcnt lgkmcnt(1)
	v_mfma_f32_16x16x32_fp8_fp8 v[0:3], v[36:37], v[16:17], v[0:3]
	ds_read2_b32 v[16:17], v40 offset1:32
	ds_read2_b32 v[36:37], v40 offset0:128 offset1:160
	s_or_b64 s[8:9], vcc, s[8:9]
	s_waitcnt lgkmcnt(2)
	v_mfma_f32_16x16x32_fp8_fp8 v[0:3], v[38:39], v[18:19], v[0:3]
	v_add_u32_e32 v18, s19, v34
	v_add_u32_e32 v19, 2, v20
	v_cmp_lt_i32_e32 vcc, 4, v18
	;;#ASMSTART
	s_waitcnt lgkmcnt(0)
	;;#ASMEND
	s_waitcnt lgkmcnt(1)
	v_mfma_f32_16x16x32_fp8_fp8 v[0:3], v[16:17], v[6:7], v[0:3]
	v_cndmask_b32_e32 v20, v20, v19, vcc
	ds_write_b32 v33, v35
	s_waitcnt lgkmcnt(1)
	v_mfma_f32_16x16x32_fp8_fp8 v[0:3], v[36:37], v[4:5], v[0:3]
	s_andn2_b64 exec, exec, s[8:9]
	s_cbranch_execz .LBB26_19
.LBB26_13:                              ;   Parent Loop BB26_7 Depth=1
                                        ; =>  This Loop Header: Depth=2
                                        ;       Child Loop BB26_15 Depth 3
                                        ;       Child Loop BB26_18 Depth 3
	v_cmp_gt_i32_e32 vcc, 5, v18
	s_nop 1
	v_cndmask_b32_e64 v4, -5, 0, vcc
	v_add_u32_e32 v34, v4, v18
	v_lshlrev_b32_e32 v4, 2, v34
	ds_read_b32 v5, v4 offset:20500
	v_add_u32_e32 v33, 0x5000, v4
	s_waitcnt lgkmcnt(0)
	v_cmp_ne_u32_e32 vcc, v5, v20
	s_and_saveexec_b64 s[38:39], vcc
	s_cbranch_execz .LBB26_16
; %bb.14:                               ;   in Loop: Header=BB26_13 Depth=2
	s_mov_b64 s[40:41], 0
.LBB26_15:                              ;   Parent Loop BB26_7 Depth=1
                                        ;     Parent Loop BB26_13 Depth=2
                                        ; =>    This Inner Loop Header: Depth=3
	;;#ASMSTART
	s_sleep 0
	;;#ASMEND
	ds_read_b32 v4, v33 offset:20
	s_waitcnt lgkmcnt(0)
	v_cmp_eq_u32_e32 vcc, v4, v20
	s_or_b64 s[40:41], vcc, s[40:41]
	s_andn2_b64 exec, exec, s[40:41]
	s_cbranch_execnz .LBB26_15
.LBB26_16:                              ;   in Loop: Header=BB26_13 Depth=2
	s_or_b64 exec, exec, s[38:39]
	v_lshlrev_b32_e32 v36, 11, v34
	v_add_u32_e32 v4, v22, v36
	ds_read2_b32 v[16:17], v4 offset1:32
	ds_read2_b32 v[18:19], v4 offset0:128 offset1:160
	v_add_u32_e32 v4, 0x400, v4
	ds_read2_b32 v[6:7], v4 offset1:32
	ds_read2_b32 v[4:5], v4 offset0:128 offset1:160
	;;#ASMSTART
	s_waitcnt lgkmcnt(0)
	;;#ASMEND
	ds_read_b32 v37, v33
	v_add_u32_e32 v35, 1, v20
	ds_write_b32 v33, v35 offset:20
	s_waitcnt lgkmcnt(1)
	v_cmp_ne_u32_e32 vcc, v37, v20
	s_and_saveexec_b64 s[38:39], vcc
	s_cbranch_execz .LBB26_12
; %bb.17:                               ;   in Loop: Header=BB26_13 Depth=2
	s_mov_b64 s[40:41], 0
.LBB26_18:                              ;   Parent Loop BB26_7 Depth=1
                                        ;     Parent Loop BB26_13 Depth=2
                                        ; =>    This Inner Loop Header: Depth=3
	;;#ASMSTART
	s_sleep 0
	;;#ASMEND
	ds_read_b32 v37, v33
	s_waitcnt lgkmcnt(0)
	v_cmp_eq_u32_e32 vcc, v37, v20
	s_or_b64 s[40:41], vcc, s[40:41]
	s_andn2_b64 exec, exec, s[40:41]
	s_cbranch_execnz .LBB26_18
	s_branch .LBB26_12
.LBB26_19:                              ;   in Loop: Header=BB26_7 Depth=1
	s_or_b64 exec, exec, s[8:9]
.LBB26_20:                              ;   in Loop: Header=BB26_7 Depth=1
	s_or_b64 exec, exec, s[6:7]
	v_cmp_le_i32_e32 vcc, s31, v8
	v_cmp_eq_u32_e64 s[6:7], 3, v24
	s_waitcnt vmcnt(0)
	v_cndmask_b32_e32 v4, 0, v32, vcc
	v_pk_mul_f32 v[6:7], v[4:5], v[2:3] op_sel_hi:[0,1]
	v_pk_mul_f32 v[4:5], v[4:5], v[0:1] op_sel_hi:[0,1]
	v_cmp_eq_u32_e32 vcc, 1, v24
	s_nop 1
	v_cndmask_b32_e32 v0, v4, v5, vcc
	v_cmp_eq_u32_e32 vcc, 2, v24
	s_nop 1
	v_cndmask_b32_e32 v0, v0, v6, vcc
	v_cndmask_b32_e64 v0, v0, v7, s[6:7]
	ds_bpermute_b32 v1, v30, v0
	s_waitcnt lgkmcnt(0)
	v_cndmask_b32_e32 v3, v6, v1, vcc
	v_cmp_ne_u32_e32 vcc, 0, v24
	v_cndmask_b32_e64 v2, v7, v1, s[6:7]
	s_max_i32 s6, s55, 0
	v_cndmask_b32_e32 v0, v5, v1, vcc
	v_cmp_eq_u32_e32 vcc, 0, v24
	v_add_u32_e32 v5, s6, v23
	s_nop 0
	v_cndmask_b32_e32 v1, v4, v1, vcc
	v_cmp_eq_u32_e32 vcc, 1, v25
	s_nop 1
	v_cndmask_b32_e32 v4, v1, v0, vcc
	v_cmp_eq_u32_e32 vcc, 2, v25
	;; [unrolled: 3-line block ×3, first 2 shown]
	s_nop 1
	v_cndmask_b32_e32 v4, v4, v2, vcc
	ds_bpermute_b32 v4, v30, v4
	v_cmp_gt_u32_e32 vcc, 16, v5
	s_and_saveexec_b64 s[38:39], vcc
	s_cbranch_execz .LBB26_23
; %bb.21:                               ;   in Loop: Header=BB26_7 Depth=1
	v_cmp_eq_u32_e64 s[8:9], 1, v25
	v_cmp_eq_u32_e32 vcc, 3, v25
	v_cmp_eq_u32_e64 s[6:7], 2, v25
	s_waitcnt lgkmcnt(0)
	v_cndmask_b32_e64 v0, v0, v4, s[8:9]
	v_cmp_eq_u32_e64 s[8:9], 0, v25
	v_cvt_f16_f32_sdwa v7, v0 dst_sel:WORD_1 dst_unused:UNUSED_PAD src0_sel:DWORD
	s_nop 0
	v_cndmask_b32_e64 v1, v1, v4, s[8:9]
	s_mul_i32 s8, s53, s13
	s_ashr_i32 s9, s8, 31
	s_lshl_b64 s[8:9], s[8:9], 1
	s_add_u32 s40, s24, s8
	s_addc_u32 s41, s25, s9
	s_ashr_i32 s31, s30, 31
	s_lshl_b64 s[8:9], s[30:31], 1
	v_cvt_f16_f32_e32 v6, v1
	s_add_u32 s8, s40, s8
	s_addc_u32 s9, s41, s9
	v_lshl_add_u64 v[0:1], v[10:11], 1, s[8:9]
	v_cmp_gt_u32_e64 s[8:9], 14, v5
	v_or_b32_e32 v6, v7, v6
	;;#ASMSTART
	global_atomic_pk_add_f16 v[0:1], v6, off
	
	;;#ASMEND
	s_and_b64 exec, exec, s[8:9]
	s_cbranch_execz .LBB26_23
; %bb.22:                               ;   in Loop: Header=BB26_7 Depth=1
	v_cndmask_b32_e32 v2, v2, v4, vcc
	v_cndmask_b32_e64 v3, v3, v4, s[6:7]
	v_cvt_f16_f32_e32 v3, v3
	v_cvt_f16_f32_sdwa v2, v2 dst_sel:WORD_1 dst_unused:UNUSED_PAD src0_sel:DWORD
	v_lshl_add_u64 v[0:1], s[10:11], 2, v[0:1]
	v_or_b32_e32 v2, v2, v3
	;;#ASMSTART
	global_atomic_pk_add_f16 v[0:1], v2, off
	
	;;#ASMEND
.LBB26_23:                              ;   in Loop: Header=BB26_7 Depth=1
	s_or_b64 exec, exec, s[38:39]
	v_subrev_u32_e32 v31, s52, v31
.LBB26_24:                              ;   in Loop: Header=BB26_7 Depth=1
	s_or_b64 exec, exec, s[36:37]
.LBB26_25:                              ;   in Loop: Header=BB26_7 Depth=1
	s_andn2_saveexec_b64 s[6:7], s[34:35]
	s_cbranch_execz .LBB26_34
; %bb.26:                               ;   in Loop: Header=BB26_7 Depth=1
	v_cmp_gt_i32_e32 vcc, s52, v31
	s_and_saveexec_b64 s[8:9], vcc
	s_cbranch_execz .LBB26_33
; %bb.27:                               ;   in Loop: Header=BB26_7 Depth=1
	s_mul_i32 s30, s30, s15
	s_ashr_i32 s31, s30, 31
	s_waitcnt lgkmcnt(0)
	s_add_u32 s30, s22, s30
	s_addc_u32 s31, s23, s31
	s_ashr_i32 s34, s54, 31
	s_add_u32 s30, s30, s54
	s_addc_u32 s31, s31, s34
	v_lshl_add_u64 v[0:1], s[30:31], 0, v[14:15]
	v_lshl_add_u64 v[16:17], v[0:1], 0, v[12:13]
	s_mov_b64 s[30:31], 0
	s_branch .LBB26_29
.LBB26_28:                              ;   in Loop: Header=BB26_29 Depth=2
	s_or_b64 exec, exec, s[34:35]
	v_lshl_add_u32 v32, v18, 11, v27
	;;#ASMSTART
	s_waitcnt vmcnt(1)
	;;#ASMEND
	ds_write2_b32 v32, v4, v5 offset1:32
	ds_write2_b32 v32, v6, v7 offset0:64 offset1:96
	v_add_u32_e32 v4, 0x400, v32
	v_add_u32_e32 v31, s18, v31
	;;#ASMSTART
	s_waitcnt vmcnt(0)
	;;#ASMEND
	ds_write2_b32 v4, v0, v1 offset1:32
	ds_write2_b32 v4, v2, v3 offset0:64 offset1:96
	v_add_u32_e32 v0, 1, v20
	v_add_u32_e32 v18, s18, v18
	v_cmp_le_i32_e32 vcc, s52, v31
	ds_write_b32 v19, v0 offset:20
	v_add_u32_e32 v0, 2, v20
	s_or_b64 s[30:31], vcc, s[30:31]
	v_cmp_lt_i32_e32 vcc, 4, v18
	s_nop 1
	v_cndmask_b32_e32 v20, v20, v0, vcc
	s_andn2_b64 exec, exec, s[30:31]
	s_cbranch_execz .LBB26_32
.LBB26_29:                              ;   Parent Loop BB26_7 Depth=1
                                        ; =>  This Loop Header: Depth=2
                                        ;       Child Loop BB26_31 Depth 3
	v_cmp_gt_i32_e32 vcc, 5, v18
	s_nop 1
	v_cndmask_b32_e64 v0, -5, 0, vcc
	v_add_u32_e32 v18, v0, v18
	v_lshlrev_b32_e32 v0, 7, v31
	v_ashrrev_i32_e32 v1, 31, v0
	v_lshl_add_u64 v[0:1], v[16:17], 0, v[0:1]
	v_lshlrev_b32_e32 v19, 2, v18
	;;#ASMSTART
	global_load_dwordx4 v[4:7], v[0:1], off offset:0   sc0 sc1 nt  
	global_load_dwordx4 v[0:3], v[0:1], off offset:64  sc0 sc1 nt  
	
	;;#ASMEND
	ds_read_b32 v32, v19 offset:20500
	v_add_u32_e32 v19, 0x5000, v19
	s_waitcnt lgkmcnt(0)
	v_cmp_ne_u32_e32 vcc, v32, v20
	s_and_saveexec_b64 s[34:35], vcc
	s_cbranch_execz .LBB26_28
; %bb.30:                               ;   in Loop: Header=BB26_29 Depth=2
	s_mov_b64 s[36:37], 0
.LBB26_31:                              ;   Parent Loop BB26_7 Depth=1
                                        ;     Parent Loop BB26_29 Depth=2
                                        ; =>    This Inner Loop Header: Depth=3
	;;#ASMSTART
	s_sleep 0
	;;#ASMEND
	ds_read_b32 v32, v19 offset:20
	s_waitcnt lgkmcnt(0)
	v_cmp_eq_u32_e32 vcc, v32, v20
	s_or_b64 s[36:37], vcc, s[36:37]
	s_andn2_b64 exec, exec, s[36:37]
	s_cbranch_execnz .LBB26_31
	s_branch .LBB26_28
.LBB26_32:                              ;   in Loop: Header=BB26_7 Depth=1
	s_or_b64 exec, exec, s[30:31]
.LBB26_33:                              ;   in Loop: Header=BB26_7 Depth=1
	s_or_b64 exec, exec, s[8:9]
	v_subrev_u32_e32 v31, s52, v31
.LBB26_34:                              ;   in Loop: Header=BB26_7 Depth=1
	s_or_b64 exec, exec, s[6:7]
.LBB26_35:                              ;   in Loop: Header=BB26_7 Depth=1
	s_andn2_saveexec_b64 s[6:7], s[28:29]
	s_cbranch_execz .LBB26_6
; %bb.36:                               ;   in Loop: Header=BB26_7 Depth=1
	v_cmp_gt_i32_e32 vcc, s52, v31
	s_and_saveexec_b64 s[8:9], vcc
	s_cbranch_execz .LBB26_5
; %bb.37:                               ;   in Loop: Header=BB26_7 Depth=1
	s_mul_i32 s53, s53, s14
	s_ashr_i32 s28, s53, 31
	s_waitcnt lgkmcnt(0)
	s_add_u32 s29, s20, s53
	s_addc_u32 s30, s21, s28
	s_ashr_i32 s31, s54, 31
	v_cmp_le_i32_e32 vcc, s55, v28
	s_add_u32 s28, s29, s54
	s_addc_u32 s29, s30, s31
	v_cndmask_b32_e32 v0, 0, v29, vcc
	v_ashrrev_i32_e32 v1, 31, v0
	v_lshl_add_u64 v[0:1], s[28:29], 0, v[0:1]
	v_lshl_add_u64 v[16:17], v[0:1], 0, v[12:13]
	s_mov_b64 s[28:29], 0
	s_branch .LBB26_39
.LBB26_38:                              ;   in Loop: Header=BB26_39 Depth=2
	s_or_b64 exec, exec, s[30:31]
	v_lshl_or_b32 v32, v18, 11, v26
	;;#ASMSTART
	s_waitcnt vmcnt(1)
	;;#ASMEND
	ds_write2_b32 v32, v4, v5 offset1:32
	ds_write2_b32 v32, v6, v7 offset0:64 offset1:96
	v_add_u32_e32 v4, 0x400, v32
	v_add_u32_e32 v31, s17, v31
	;;#ASMSTART
	s_waitcnt vmcnt(0)
	;;#ASMEND
	ds_write2_b32 v4, v0, v1 offset1:32
	ds_write2_b32 v4, v2, v3 offset0:64 offset1:96
	v_add_u32_e32 v0, 1, v20
	v_add_u32_e32 v18, s17, v18
	v_cmp_le_i32_e32 vcc, s52, v31
	ds_write_b32 v19, v0
	v_add_u32_e32 v0, 2, v20
	s_or_b64 s[28:29], vcc, s[28:29]
	v_cmp_lt_i32_e32 vcc, 4, v18
	s_nop 1
	v_cndmask_b32_e32 v20, v20, v0, vcc
	s_andn2_b64 exec, exec, s[28:29]
	s_cbranch_execz .LBB26_4
.LBB26_39:                              ;   Parent Loop BB26_7 Depth=1
                                        ; =>  This Loop Header: Depth=2
                                        ;       Child Loop BB26_41 Depth 3
	v_cmp_gt_i32_e32 vcc, 5, v18
	s_nop 1
	v_cndmask_b32_e64 v0, -5, 0, vcc
	v_add_u32_e32 v18, v0, v18
	v_lshlrev_b32_e32 v0, 7, v31
	v_ashrrev_i32_e32 v1, 31, v0
	v_lshl_add_u64 v[0:1], v[16:17], 0, v[0:1]
	v_lshlrev_b32_e32 v19, 2, v18
	;;#ASMSTART
	global_load_dwordx4 v[4:7], v[0:1], off offset:0   
	global_load_dwordx4 v[0:3], v[0:1], off offset:64  
	
	;;#ASMEND
	ds_read_b32 v32, v19 offset:20480
	v_add_u32_e32 v19, 0x5000, v19
	s_waitcnt lgkmcnt(0)
	v_cmp_ne_u32_e32 vcc, v32, v20
	s_and_saveexec_b64 s[30:31], vcc
	s_cbranch_execz .LBB26_38
; %bb.40:                               ;   in Loop: Header=BB26_39 Depth=2
	s_mov_b64 s[34:35], 0
.LBB26_41:                              ;   Parent Loop BB26_7 Depth=1
                                        ;     Parent Loop BB26_39 Depth=2
                                        ; =>    This Inner Loop Header: Depth=3
	;;#ASMSTART
	s_sleep 0
	;;#ASMEND
	ds_read_b32 v32, v19
	s_waitcnt lgkmcnt(0)
	v_cmp_eq_u32_e32 vcc, v32, v20
	s_or_b64 s[34:35], vcc, s[34:35]
	s_andn2_b64 exec, exec, s[34:35]
	s_cbranch_execnz .LBB26_41
	s_branch .LBB26_38
.LBB26_42:
	s_endpgm
	.section	.rodata,"a",@progbits
	.p2align	6, 0x0
	.amdhsa_kernel _Z19_skinny_gemm_kernelILi1ELi1ELi5ELi16ELi4EEvPKhS1_P6__halfPKfiiiiiiii
		.amdhsa_group_segment_fixed_size 20520
		.amdhsa_private_segment_fixed_size 0
		.amdhsa_kernarg_size 64
		.amdhsa_user_sgpr_count 2
		.amdhsa_user_sgpr_dispatch_ptr 0
		.amdhsa_user_sgpr_queue_ptr 0
		.amdhsa_user_sgpr_kernarg_segment_ptr 1
		.amdhsa_user_sgpr_dispatch_id 0
		.amdhsa_user_sgpr_kernarg_preload_length 0
		.amdhsa_user_sgpr_kernarg_preload_offset 0
		.amdhsa_user_sgpr_private_segment_size 0
		.amdhsa_uses_dynamic_stack 0
		.amdhsa_enable_private_segment 0
		.amdhsa_system_sgpr_workgroup_id_x 1
		.amdhsa_system_sgpr_workgroup_id_y 0
		.amdhsa_system_sgpr_workgroup_id_z 0
		.amdhsa_system_sgpr_workgroup_info 0
		.amdhsa_system_vgpr_workitem_id 0
		.amdhsa_next_free_vgpr 41
		.amdhsa_next_free_sgpr 56
		.amdhsa_accum_offset 44
		.amdhsa_reserve_vcc 1
		.amdhsa_float_round_mode_32 0
		.amdhsa_float_round_mode_16_64 0
		.amdhsa_float_denorm_mode_32 3
		.amdhsa_float_denorm_mode_16_64 3
		.amdhsa_dx10_clamp 1
		.amdhsa_ieee_mode 1
		.amdhsa_fp16_overflow 0
		.amdhsa_tg_split 0
		.amdhsa_exception_fp_ieee_invalid_op 0
		.amdhsa_exception_fp_denorm_src 0
		.amdhsa_exception_fp_ieee_div_zero 0
		.amdhsa_exception_fp_ieee_overflow 0
		.amdhsa_exception_fp_ieee_underflow 0
		.amdhsa_exception_fp_ieee_inexact 0
		.amdhsa_exception_int_div_zero 0
	.end_amdhsa_kernel
	.section	.text._Z19_skinny_gemm_kernelILi1ELi1ELi5ELi16ELi4EEvPKhS1_P6__halfPKfiiiiiiii,"axG",@progbits,_Z19_skinny_gemm_kernelILi1ELi1ELi5ELi16ELi4EEvPKhS1_P6__halfPKfiiiiiiii,comdat
.Lfunc_end26:
	.size	_Z19_skinny_gemm_kernelILi1ELi1ELi5ELi16ELi4EEvPKhS1_P6__halfPKfiiiiiiii, .Lfunc_end26-_Z19_skinny_gemm_kernelILi1ELi1ELi5ELi16ELi4EEvPKhS1_P6__halfPKfiiiiiiii
                                        ; -- End function
	.set _Z19_skinny_gemm_kernelILi1ELi1ELi5ELi16ELi4EEvPKhS1_P6__halfPKfiiiiiiii.num_vgpr, 41
	.set _Z19_skinny_gemm_kernelILi1ELi1ELi5ELi16ELi4EEvPKhS1_P6__halfPKfiiiiiiii.num_agpr, 0
	.set _Z19_skinny_gemm_kernelILi1ELi1ELi5ELi16ELi4EEvPKhS1_P6__halfPKfiiiiiiii.numbered_sgpr, 56
	.set _Z19_skinny_gemm_kernelILi1ELi1ELi5ELi16ELi4EEvPKhS1_P6__halfPKfiiiiiiii.num_named_barrier, 0
	.set _Z19_skinny_gemm_kernelILi1ELi1ELi5ELi16ELi4EEvPKhS1_P6__halfPKfiiiiiiii.private_seg_size, 0
	.set _Z19_skinny_gemm_kernelILi1ELi1ELi5ELi16ELi4EEvPKhS1_P6__halfPKfiiiiiiii.uses_vcc, 1
	.set _Z19_skinny_gemm_kernelILi1ELi1ELi5ELi16ELi4EEvPKhS1_P6__halfPKfiiiiiiii.uses_flat_scratch, 0
	.set _Z19_skinny_gemm_kernelILi1ELi1ELi5ELi16ELi4EEvPKhS1_P6__halfPKfiiiiiiii.has_dyn_sized_stack, 0
	.set _Z19_skinny_gemm_kernelILi1ELi1ELi5ELi16ELi4EEvPKhS1_P6__halfPKfiiiiiiii.has_recursion, 0
	.set _Z19_skinny_gemm_kernelILi1ELi1ELi5ELi16ELi4EEvPKhS1_P6__halfPKfiiiiiiii.has_indirect_call, 0
	.section	.AMDGPU.csdata,"",@progbits
; Kernel info:
; codeLenInByte = 2600
; TotalNumSgprs: 62
; NumVgprs: 41
; NumAgprs: 0
; TotalNumVgprs: 41
; ScratchSize: 0
; MemoryBound: 0
; FloatMode: 240
; IeeeMode: 1
; LDSByteSize: 20520 bytes/workgroup (compile time only)
; SGPRBlocks: 7
; VGPRBlocks: 5
; NumSGPRsForWavesPerEU: 62
; NumVGPRsForWavesPerEU: 41
; AccumOffset: 44
; Occupancy: 8
; WaveLimiterHint : 0
; COMPUTE_PGM_RSRC2:SCRATCH_EN: 0
; COMPUTE_PGM_RSRC2:USER_SGPR: 2
; COMPUTE_PGM_RSRC2:TRAP_HANDLER: 0
; COMPUTE_PGM_RSRC2:TGID_X_EN: 1
; COMPUTE_PGM_RSRC2:TGID_Y_EN: 0
; COMPUTE_PGM_RSRC2:TGID_Z_EN: 0
; COMPUTE_PGM_RSRC2:TIDIG_COMP_CNT: 0
; COMPUTE_PGM_RSRC3_GFX90A:ACCUM_OFFSET: 10
; COMPUTE_PGM_RSRC3_GFX90A:TG_SPLIT: 0
	.section	.text._Z19_skinny_gemm_kernelILi1ELi1ELi5ELi16ELi8EEvPKhS1_P6__halfPKfiiiiiiii,"axG",@progbits,_Z19_skinny_gemm_kernelILi1ELi1ELi5ELi16ELi8EEvPKhS1_P6__halfPKfiiiiiiii,comdat
	.protected	_Z19_skinny_gemm_kernelILi1ELi1ELi5ELi16ELi8EEvPKhS1_P6__halfPKfiiiiiiii ; -- Begin function _Z19_skinny_gemm_kernelILi1ELi1ELi5ELi16ELi8EEvPKhS1_P6__halfPKfiiiiiiii
	.globl	_Z19_skinny_gemm_kernelILi1ELi1ELi5ELi16ELi8EEvPKhS1_P6__halfPKfiiiiiiii
	.p2align	8
	.type	_Z19_skinny_gemm_kernelILi1ELi1ELi5ELi16ELi8EEvPKhS1_P6__halfPKfiiiiiiii,@function
_Z19_skinny_gemm_kernelILi1ELi1ELi5ELi16ELi8EEvPKhS1_P6__halfPKfiiiiiiii: ; @_Z19_skinny_gemm_kernelILi1ELi1ELi5ELi16ELi8EEvPKhS1_P6__halfPKfiiiiiiii
; %bb.0:
	v_cmp_gt_u32_e32 vcc, 10, v0
	v_lshlrev_b32_e32 v1, 2, v0
	s_and_saveexec_b64 s[4:5], vcc
; %bb.1:
	v_mov_b32_e32 v2, 0
	ds_write_b32 v1, v2 offset:40960
; %bb.2:
	s_or_b64 exec, exec, s[4:5]
	s_load_dwordx8 s[12:19], s[0:1], 0x20
	s_waitcnt lgkmcnt(0)
	s_barrier
	s_add_i32 s3, s12, 15
	s_ashr_i32 s5, s3, 31
	s_add_i32 s4, s13, 15
	s_lshr_b32 s5, s5, 28
	s_ashr_i32 s6, s4, 31
	s_add_i32 s3, s3, s5
	s_ashr_i32 s33, s3, 4
	s_lshr_b32 s3, s6, 28
	s_add_i32 s4, s4, s3
	s_ashr_i32 s42, s4, 4
	s_mul_i32 s3, s42, s33
	s_mul_i32 s3, s3, s16
	s_add_i32 s4, s3, 0x12f
	s_mul_hi_i32 s4, s4, 0x6bca1af3
	s_lshr_b32 s5, s4, 31
	s_ashr_i32 s4, s4, 7
	s_add_i32 s4, s4, s5
	s_add_i32 s5, s2, 1
	s_mul_i32 s5, s4, s5
	v_cvt_f64_i32_e32 v[2:3], s3
	v_cvt_f64_u32_e32 v[4:5], s5
	v_min_f64 v[2:3], v[2:3], v[4:5]
	v_cvt_i32_f64_e32 v17, v[2:3]
	s_mul_i32 s43, s4, s2
	v_cmp_ge_i32_e32 vcc, s43, v17
	s_cbranch_vccnz .LBB27_42
; %bb.3:
	v_lshrrev_b32_e32 v2, 6, v0
	s_add_i32 s4, s18, s17
	s_load_dwordx8 s[20:27], s[0:1], 0x0
	v_cmp_le_i32_e64 s[0:1], s4, v2
	v_mov_b32_e32 v3, s17
	v_cmp_le_i32_e64 s[2:3], s17, v2
	v_mov_b32_e32 v4, s18
	v_cndmask_b32_e64 v4, 0, v4, s[0:1]
	v_cndmask_b32_e64 v3, 0, v3, s[2:3]
	s_abs_i32 s5, s16
	v_add_u32_e32 v3, v3, v4
	v_cvt_f32_u32_e32 v4, s5
	v_sub_u32_e32 v6, v2, v3
	s_ashr_i32 s6, s14, 31
	s_lshr_b32 s6, s6, 24
	v_rcp_iflag_f32_e32 v3, v4
	s_sub_i32 s9, 0, s5
	s_add_i32 s6, s14, s6
	s_ashr_i32 s6, s6, 8
	v_mul_f32_e32 v3, 0x4f7ffffe, v3
	v_cvt_u32_f32_e32 v3, v3
	s_abs_i32 s8, s6
	s_xor_b32 s7, s6, s16
	s_ashr_i32 s7, s7, 31
	v_readfirstlane_b32 s10, v3
	s_mul_i32 s9, s9, s10
	s_mul_hi_u32 s9, s10, s9
	s_add_i32 s10, s10, s9
	s_mul_hi_u32 s9, s8, s10
	s_mul_i32 s10, s9, s5
	s_sub_i32 s8, s8, s10
	s_add_i32 s10, s9, 1
	s_sub_i32 s11, s8, s5
	s_cmp_ge_u32 s8, s5
	s_cselect_b32 s9, s10, s9
	s_cselect_b32 s8, s11, s8
	s_add_i32 s10, s9, 1
	s_cmp_ge_u32 s8, s5
	s_cselect_b32 s5, s10, s9
	s_xor_b32 s5, s5, s7
	s_sub_i32 s44, s5, s7
	s_add_i32 s16, s16, -1
	s_mul_i32 s5, s44, s16
	s_add_i32 s4, s4, s19
	s_sub_i32 s45, s6, s5
	v_cmp_gt_i32_e64 s[4:5], s4, v2
	v_lshlrev_b32_e32 v2, 1, v0
	v_lshlrev_b32_e32 v3, 4, v0
	v_and_b32_e32 v1, 60, v1
	v_and_b32_e32 v2, 64, v2
	;; [unrolled: 1-line block ×3, first 2 shown]
	s_abs_i32 s46, s33
	v_or3_b32 v29, v1, v2, v4
	v_and_b32_e32 v1, 1, v0
	v_cvt_f32_u32_e32 v7, s46
	v_lshlrev_b32_e32 v2, 1, v1
	v_lshrrev_b32_e32 v4, 2, v0
	v_and_b32_e32 v16, 14, v0
	v_sub_u32_e32 v2, v0, v2
	v_and_or_b32 v31, v4, 12, v1
	v_bitop3_b32 v32, v0, 1, v0 bitop3:0xc
	v_bitop3_b32 v33, v0, 3, 1 bitop3:0x6c
	v_and_b32_e32 v20, 48, v3
	v_bfe_u32 v1, v0, 2, 4
	v_and_b32_e32 v3, 60, v0
	v_lshlrev_b32_e32 v5, 8, v0
	v_lshlrev_b32_e32 v0, 6, v0
	v_and_b32_e32 v5, 0x200, v5
	v_and_b32_e32 v0, 64, v0
	v_or3_b32 v34, v3, v5, v0
	v_rcp_iflag_f32_e32 v0, v7
	s_abs_i32 s47, s42
	v_mul_lo_u32 v22, s15, v1
	v_mul_lo_u32 v37, s14, v1
	v_cvt_f32_u32_e32 v1, s47
	v_mul_f32_e32 v0, 0x4f7ffffe, v0
	v_cvt_u32_f32_e32 v0, v0
	v_mad_u64_u32 v[18:19], s[6:7], s13, v31, v[16:17]
	v_rcp_iflag_f32_e32 v1, v1
	v_readfirstlane_b32 s7, v0
	s_sub_i32 s6, 0, s46
	s_mul_i32 s6, s6, s7
	v_mul_f32_e32 v0, 0x4f7ffffe, v1
	v_cvt_u32_f32_e32 v0, v0
	s_mul_hi_u32 s6, s7, s6
	v_add_u32_e32 v2, 1, v2
	s_add_i32 s49, s7, s6
	s_sub_i32 s6, 0, s47
	v_readfirstlane_b32 s7, v0
	v_mbcnt_lo_u32_b32 v0, -1, 0
	v_and_b32_e32 v2, 63, v2
	s_mul_i32 s6, s6, s7
	v_mbcnt_hi_u32_b32 v0, -1, v0
	s_mul_hi_u32 s6, s7, s6
	v_and_or_b32 v0, v0, 64, v2
	v_cndmask_b32_e64 v28, 0, 1, s[0:1]
	v_or_b32_e32 v30, 0x5000, v29
	v_ashrrev_i32_e32 v19, 31, v18
	s_ashr_i32 s11, s13, 31
	s_mov_b32 s10, s13
	v_ashrrev_i32_e32 v23, 31, v22
	v_mov_b32_e32 v21, 0
	v_or_b32_e32 v35, 0x5000, v34
	v_bitop3_b32 v36, v4, 15, v4 bitop3:0xc
	s_ashr_i32 s48, s33, 31
	s_ashr_i32 s50, s42, 31
	s_add_i32 s51, s7, s6
	v_lshlrev_b32_e32 v38, 2, v0
	v_mov_b32_e32 v39, v6
	s_branch .LBB27_7
.LBB27_4:                               ;   in Loop: Header=BB27_7 Depth=1
	s_or_b64 exec, exec, s[28:29]
.LBB27_5:                               ;   in Loop: Header=BB27_7 Depth=1
	s_or_b64 exec, exec, s[8:9]
	v_subrev_u32_e32 v39, s52, v39
.LBB27_6:                               ;   in Loop: Header=BB27_7 Depth=1
	s_or_b64 exec, exec, s[6:7]
	s_add_i32 s43, s43, 1
	v_cmp_ge_i32_e32 vcc, s43, v17
	s_cbranch_vccnz .LBB27_42
.LBB27_7:                               ; =>This Loop Header: Depth=1
                                        ;     Child Loop BB27_13 Depth 2
                                        ;       Child Loop BB27_15 Depth 3
                                        ;       Child Loop BB27_18 Depth 3
                                        ;     Child Loop BB27_29 Depth 2
                                        ;       Child Loop BB27_31 Depth 3
                                        ;     Child Loop BB27_39 Depth 2
                                        ;       Child Loop BB27_41 Depth 3
	s_abs_i32 s7, s43
	s_mul_hi_u32 s8, s7, s49
	s_mul_i32 s9, s8, s46
	s_ashr_i32 s6, s43, 31
	s_sub_i32 s7, s7, s9
	s_xor_b32 s6, s6, s48
	s_add_i32 s9, s8, 1
	s_sub_i32 s28, s7, s46
	s_cmp_ge_u32 s7, s46
	s_cselect_b32 s8, s9, s8
	s_cselect_b32 s7, s28, s7
	s_add_i32 s9, s8, 1
	s_cmp_ge_u32 s7, s46
	s_cselect_b32 s7, s9, s8
	s_xor_b32 s7, s7, s6
	s_sub_i32 s6, s7, s6
	s_abs_i32 s8, s6
	s_mul_i32 s7, s6, s33
	s_mul_hi_u32 s9, s8, s51
	s_sub_i32 s7, s43, s7
	s_mul_i32 s28, s9, s47
	s_lshl_b32 s53, s7, 4
	s_ashr_i32 s7, s6, 31
	s_sub_i32 s8, s8, s28
	s_xor_b32 s7, s7, s50
	s_add_i32 s28, s9, 1
	s_sub_i32 s29, s8, s47
	s_cmp_ge_u32 s8, s47
	s_cselect_b32 s9, s28, s9
	s_cselect_b32 s8, s29, s8
	s_add_i32 s28, s9, 1
	s_cmp_ge_u32 s8, s47
	s_cselect_b32 s8, s28, s9
	s_xor_b32 s8, s8, s7
	s_sub_i32 s7, s8, s7
	s_mul_i32 s8, s7, s44
	s_lshl_b32 s54, s8, 8
	s_cmp_eq_u32 s7, s16
	s_cselect_b32 s52, s45, s44
	s_sub_i32 s55, s53, s12
	s_add_i32 s55, s55, 16
	s_and_saveexec_b64 s[8:9], s[2:3]
	s_xor_b64 s[28:29], exec, s[8:9]
	s_cbranch_execz .LBB27_35
; %bb.8:                                ;   in Loop: Header=BB27_7 Depth=1
	s_mul_i32 s7, s7, s42
	s_sub_i32 s6, s6, s7
	s_lshl_b32 s6, s6, 4
	s_sub_i32 s31, s6, s13
	s_add_i32 s31, s31, 16
	s_max_i32 s7, s31, 0
	s_sub_i32 s30, s6, s7
	s_and_saveexec_b64 s[6:7], s[0:1]
	s_xor_b64 s[34:35], exec, s[6:7]
	s_cbranch_execz .LBB27_25
; %bb.9:                                ;   in Loop: Header=BB27_7 Depth=1
	s_and_saveexec_b64 s[36:37], s[4:5]
	s_cbranch_execz .LBB27_24
; %bb.10:                               ;   in Loop: Header=BB27_7 Depth=1
	s_waitcnt lgkmcnt(0)
	global_load_dword v40, v21, s[26:27]
	v_mov_b32_e32 v3, 0
	v_cmp_gt_i32_e32 vcc, s52, v39
	v_mov_b32_e32 v2, v3
	v_mov_b32_e32 v1, v3
	;; [unrolled: 1-line block ×3, first 2 shown]
	s_and_saveexec_b64 s[6:7], vcc
	s_cbranch_execz .LBB27_20
; %bb.11:                               ;   in Loop: Header=BB27_7 Depth=1
	v_mov_b32_e32 v0, 0
	s_mov_b64 s[8:9], 0
	v_mov_b32_e32 v1, v0
	v_mov_b32_e32 v2, v0
	;; [unrolled: 1-line block ×3, first 2 shown]
	s_branch .LBB27_13
.LBB27_12:                              ;   in Loop: Header=BB27_13 Depth=2
	s_or_b64 exec, exec, s[38:39]
	v_add_u32_e32 v48, v29, v44
	ds_read2_b32 v[44:45], v48 offset1:32
	ds_read2_b32 v[46:47], v48 offset0:128 offset1:160
	v_add_u32_e32 v49, 0x400, v48
	v_add_u32_e32 v39, s19, v39
	v_cmp_le_i32_e32 vcc, s52, v39
	s_waitcnt lgkmcnt(1)
	v_mfma_f32_16x16x32_fp8_fp8 v[0:3], v[44:45], v[6:7], v[0:3]
	ds_read2_b32 v[6:7], v49 offset1:32
	v_add_u32_e32 v44, 0x800, v48
	s_or_b64 s[8:9], vcc, s[8:9]
	s_waitcnt lgkmcnt(1)
	v_mfma_f32_16x16x32_fp8_fp8 v[0:3], v[46:47], v[8:9], v[0:3]
	ds_read2_b32 v[8:9], v49 offset0:128 offset1:160
	s_waitcnt lgkmcnt(1)
	v_mfma_f32_16x16x32_fp8_fp8 v[0:3], v[6:7], v[12:13], v[0:3]
	ds_read2_b32 v[6:7], v44 offset1:32
	s_waitcnt lgkmcnt(1)
	v_mfma_f32_16x16x32_fp8_fp8 v[0:3], v[8:9], v[14:15], v[0:3]
	ds_read2_b32 v[8:9], v44 offset0:128 offset1:160
	v_add_u32_e32 v14, 0xc00, v48
	ds_read2_b32 v[12:13], v14 offset1:32
	s_waitcnt lgkmcnt(2)
	v_mfma_f32_16x16x32_fp8_fp8 v[0:3], v[6:7], v[24:25], v[0:3]
	v_add_u32_e32 v6, s19, v42
	v_add_u32_e32 v7, 2, v28
	v_cmp_lt_i32_e32 vcc, 4, v6
	s_waitcnt lgkmcnt(1)
	v_mfma_f32_16x16x32_fp8_fp8 v[0:3], v[8:9], v[26:27], v[0:3]
	ds_read2_b32 v[8:9], v14 offset0:128 offset1:160
	v_cndmask_b32_e32 v28, v28, v7, vcc
	;;#ASMSTART
	s_waitcnt lgkmcnt(0)
	;;#ASMEND
	s_waitcnt lgkmcnt(1)
	v_mfma_f32_16x16x32_fp8_fp8 v[0:3], v[12:13], v[10:11], v[0:3]
	ds_write_b32 v41, v43
	s_waitcnt lgkmcnt(1)
	v_mfma_f32_16x16x32_fp8_fp8 v[0:3], v[8:9], v[4:5], v[0:3]
	s_andn2_b64 exec, exec, s[8:9]
	s_cbranch_execz .LBB27_19
.LBB27_13:                              ;   Parent Loop BB27_7 Depth=1
                                        ; =>  This Loop Header: Depth=2
                                        ;       Child Loop BB27_15 Depth 3
                                        ;       Child Loop BB27_18 Depth 3
	v_cmp_gt_i32_e32 vcc, 5, v6
	s_nop 1
	v_cndmask_b32_e64 v4, -5, 0, vcc
	v_add_u32_e32 v42, v4, v6
	v_lshlrev_b32_e32 v4, 2, v42
	ds_read_b32 v5, v4 offset:40980
	v_add_u32_e32 v41, 0xa000, v4
	s_waitcnt lgkmcnt(0)
	v_cmp_ne_u32_e32 vcc, v5, v28
	s_and_saveexec_b64 s[38:39], vcc
	s_cbranch_execz .LBB27_16
; %bb.14:                               ;   in Loop: Header=BB27_13 Depth=2
	s_mov_b64 s[40:41], 0
.LBB27_15:                              ;   Parent Loop BB27_7 Depth=1
                                        ;     Parent Loop BB27_13 Depth=2
                                        ; =>    This Inner Loop Header: Depth=3
	;;#ASMSTART
	s_sleep 0
	;;#ASMEND
	ds_read_b32 v4, v41 offset:20
	s_waitcnt lgkmcnt(0)
	v_cmp_eq_u32_e32 vcc, v4, v28
	s_or_b64 s[40:41], vcc, s[40:41]
	s_andn2_b64 exec, exec, s[40:41]
	s_cbranch_execnz .LBB27_15
.LBB27_16:                              ;   in Loop: Header=BB27_13 Depth=2
	s_or_b64 exec, exec, s[38:39]
	v_lshlrev_b32_e32 v44, 12, v42
	v_add_u32_e32 v4, v30, v44
	v_add_u32_e32 v5, 0x400, v4
	ds_read2_b32 v[6:7], v4 offset1:32
	ds_read2_b32 v[8:9], v4 offset0:128 offset1:160
	ds_read2_b32 v[12:13], v5 offset1:32
	ds_read2_b32 v[14:15], v5 offset0:128 offset1:160
	v_add_u32_e32 v5, 0x800, v4
	v_add_u32_e32 v4, 0xc00, v4
	ds_read2_b32 v[24:25], v5 offset1:32
	ds_read2_b32 v[26:27], v5 offset0:128 offset1:160
	ds_read2_b32 v[10:11], v4 offset1:32
	ds_read2_b32 v[4:5], v4 offset0:128 offset1:160
	;;#ASMSTART
	s_waitcnt lgkmcnt(0)
	;;#ASMEND
	ds_read_b32 v45, v41
	v_add_u32_e32 v43, 1, v28
	ds_write_b32 v41, v43 offset:20
	s_waitcnt lgkmcnt(1)
	v_cmp_ne_u32_e32 vcc, v45, v28
	s_and_saveexec_b64 s[38:39], vcc
	s_cbranch_execz .LBB27_12
; %bb.17:                               ;   in Loop: Header=BB27_13 Depth=2
	s_mov_b64 s[40:41], 0
.LBB27_18:                              ;   Parent Loop BB27_7 Depth=1
                                        ;     Parent Loop BB27_13 Depth=2
                                        ; =>    This Inner Loop Header: Depth=3
	;;#ASMSTART
	s_sleep 0
	;;#ASMEND
	ds_read_b32 v45, v41
	s_waitcnt lgkmcnt(0)
	v_cmp_eq_u32_e32 vcc, v45, v28
	s_or_b64 s[40:41], vcc, s[40:41]
	s_andn2_b64 exec, exec, s[40:41]
	s_cbranch_execnz .LBB27_18
	s_branch .LBB27_12
.LBB27_19:                              ;   in Loop: Header=BB27_7 Depth=1
	s_or_b64 exec, exec, s[8:9]
.LBB27_20:                              ;   in Loop: Header=BB27_7 Depth=1
	s_or_b64 exec, exec, s[6:7]
	v_cmp_le_i32_e32 vcc, s31, v16
	v_cmp_eq_u32_e64 s[6:7], 3, v32
	s_waitcnt vmcnt(0)
	v_cndmask_b32_e32 v4, 0, v40, vcc
	v_pk_mul_f32 v[8:9], v[4:5], v[2:3] op_sel_hi:[0,1]
	v_pk_mul_f32 v[4:5], v[4:5], v[0:1] op_sel_hi:[0,1]
	v_cmp_eq_u32_e32 vcc, 1, v32
	s_nop 1
	v_cndmask_b32_e32 v0, v4, v5, vcc
	v_cmp_eq_u32_e32 vcc, 2, v32
	s_nop 1
	v_cndmask_b32_e32 v0, v0, v8, vcc
	v_cndmask_b32_e64 v0, v0, v9, s[6:7]
	ds_bpermute_b32 v1, v38, v0
	s_waitcnt lgkmcnt(0)
	v_cndmask_b32_e32 v3, v8, v1, vcc
	v_cmp_ne_u32_e32 vcc, 0, v32
	v_cndmask_b32_e64 v2, v9, v1, s[6:7]
	s_max_i32 s6, s55, 0
	v_cndmask_b32_e32 v0, v5, v1, vcc
	v_cmp_eq_u32_e32 vcc, 0, v32
	v_add_u32_e32 v5, s6, v31
	s_nop 0
	v_cndmask_b32_e32 v1, v4, v1, vcc
	v_cmp_eq_u32_e32 vcc, 1, v33
	s_nop 1
	v_cndmask_b32_e32 v4, v1, v0, vcc
	v_cmp_eq_u32_e32 vcc, 2, v33
	;; [unrolled: 3-line block ×3, first 2 shown]
	s_nop 1
	v_cndmask_b32_e32 v4, v4, v2, vcc
	ds_bpermute_b32 v4, v38, v4
	v_cmp_gt_u32_e32 vcc, 16, v5
	s_and_saveexec_b64 s[38:39], vcc
	s_cbranch_execz .LBB27_23
; %bb.21:                               ;   in Loop: Header=BB27_7 Depth=1
	v_cmp_eq_u32_e64 s[8:9], 1, v33
	v_cmp_eq_u32_e32 vcc, 3, v33
	v_cmp_eq_u32_e64 s[6:7], 2, v33
	s_waitcnt lgkmcnt(0)
	v_cndmask_b32_e64 v0, v0, v4, s[8:9]
	v_cmp_eq_u32_e64 s[8:9], 0, v33
	v_cvt_f16_f32_sdwa v8, v0 dst_sel:WORD_1 dst_unused:UNUSED_PAD src0_sel:DWORD
	s_nop 0
	v_cndmask_b32_e64 v1, v1, v4, s[8:9]
	s_mul_i32 s8, s53, s13
	s_ashr_i32 s9, s8, 31
	s_lshl_b64 s[8:9], s[8:9], 1
	s_add_u32 s40, s24, s8
	s_addc_u32 s41, s25, s9
	s_ashr_i32 s31, s30, 31
	s_lshl_b64 s[8:9], s[30:31], 1
	v_cvt_f16_f32_e32 v7, v1
	s_add_u32 s8, s40, s8
	s_addc_u32 s9, s41, s9
	v_lshl_add_u64 v[0:1], v[18:19], 1, s[8:9]
	v_cmp_gt_u32_e64 s[8:9], 14, v5
	v_or_b32_e32 v7, v8, v7
	;;#ASMSTART
	global_atomic_pk_add_f16 v[0:1], v7, off
	
	;;#ASMEND
	s_and_b64 exec, exec, s[8:9]
	s_cbranch_execz .LBB27_23
; %bb.22:                               ;   in Loop: Header=BB27_7 Depth=1
	v_cndmask_b32_e32 v2, v2, v4, vcc
	v_cndmask_b32_e64 v3, v3, v4, s[6:7]
	v_cvt_f16_f32_e32 v3, v3
	v_cvt_f16_f32_sdwa v2, v2 dst_sel:WORD_1 dst_unused:UNUSED_PAD src0_sel:DWORD
	v_lshl_add_u64 v[0:1], s[10:11], 2, v[0:1]
	v_or_b32_e32 v2, v2, v3
	;;#ASMSTART
	global_atomic_pk_add_f16 v[0:1], v2, off
	
	;;#ASMEND
.LBB27_23:                              ;   in Loop: Header=BB27_7 Depth=1
	s_or_b64 exec, exec, s[38:39]
	v_subrev_u32_e32 v39, s52, v39
.LBB27_24:                              ;   in Loop: Header=BB27_7 Depth=1
	s_or_b64 exec, exec, s[36:37]
.LBB27_25:                              ;   in Loop: Header=BB27_7 Depth=1
	s_andn2_saveexec_b64 s[6:7], s[34:35]
	s_cbranch_execz .LBB27_34
; %bb.26:                               ;   in Loop: Header=BB27_7 Depth=1
	v_cmp_gt_i32_e32 vcc, s52, v39
	s_and_saveexec_b64 s[8:9], vcc
	s_cbranch_execz .LBB27_33
; %bb.27:                               ;   in Loop: Header=BB27_7 Depth=1
	s_mul_i32 s30, s30, s15
	s_ashr_i32 s31, s30, 31
	s_waitcnt lgkmcnt(0)
	s_add_u32 s30, s22, s30
	s_addc_u32 s31, s23, s31
	s_ashr_i32 s34, s54, 31
	s_add_u32 s30, s30, s54
	s_addc_u32 s31, s31, s34
	v_lshl_add_u64 v[0:1], s[30:31], 0, v[22:23]
	v_lshl_add_u64 v[24:25], v[0:1], 0, v[20:21]
	s_mov_b64 s[30:31], 0
	s_branch .LBB27_29
.LBB27_28:                              ;   in Loop: Header=BB27_29 Depth=2
	s_or_b64 exec, exec, s[34:35]
	v_lshl_add_u32 v40, v26, 12, v35
	;;#ASMSTART
	s_waitcnt vmcnt(3)
	;;#ASMEND
	ds_write2_b32 v40, v12, v13 offset1:32
	ds_write2_b32 v40, v14, v15 offset0:64 offset1:96
	v_add_u32_e32 v12, 0x400, v40
	;;#ASMSTART
	s_waitcnt vmcnt(2)
	;;#ASMEND
	ds_write2_b32 v12, v8, v9 offset1:32
	ds_write2_b32 v12, v10, v11 offset0:64 offset1:96
	v_add_u32_e32 v8, 0x800, v40
	;; [unrolled: 6-line block ×3, first 2 shown]
	v_add_u32_e32 v39, s18, v39
	;;#ASMSTART
	s_waitcnt vmcnt(0)
	;;#ASMEND
	ds_write2_b32 v4, v0, v1 offset1:32
	ds_write2_b32 v4, v2, v3 offset0:64 offset1:96
	v_add_u32_e32 v0, 1, v28
	v_add_u32_e32 v6, s18, v26
	v_cmp_le_i32_e32 vcc, s52, v39
	ds_write_b32 v27, v0 offset:20
	v_add_u32_e32 v0, 2, v28
	s_or_b64 s[30:31], vcc, s[30:31]
	v_cmp_lt_i32_e32 vcc, 4, v6
	s_nop 1
	v_cndmask_b32_e32 v28, v28, v0, vcc
	s_andn2_b64 exec, exec, s[30:31]
	s_cbranch_execz .LBB27_32
.LBB27_29:                              ;   Parent Loop BB27_7 Depth=1
                                        ; =>  This Loop Header: Depth=2
                                        ;       Child Loop BB27_31 Depth 3
	v_cmp_gt_i32_e32 vcc, 5, v6
	s_nop 1
	v_cndmask_b32_e64 v0, -5, 0, vcc
	v_add_u32_e32 v26, v0, v6
	v_lshlrev_b32_e32 v0, 8, v39
	v_ashrrev_i32_e32 v1, 31, v0
	v_lshl_add_u64 v[0:1], v[24:25], 0, v[0:1]
	v_lshlrev_b32_e32 v27, 2, v26
	;;#ASMSTART
	global_load_dwordx4 v[12:15], v[0:1], off offset:0    sc0 sc1 nt  
	global_load_dwordx4 v[8:11], v[0:1], off offset:64   sc0 sc1 nt  
	global_load_dwordx4 v[4:7], v[0:1], off offset:128  sc0 sc1 nt  
	global_load_dwordx4 v[0:3], v[0:1], off offset:192  sc0 sc1 nt  
	
	;;#ASMEND
	ds_read_b32 v40, v27 offset:40980
	v_add_u32_e32 v27, 0xa000, v27
	s_waitcnt lgkmcnt(0)
	v_cmp_ne_u32_e32 vcc, v40, v28
	s_and_saveexec_b64 s[34:35], vcc
	s_cbranch_execz .LBB27_28
; %bb.30:                               ;   in Loop: Header=BB27_29 Depth=2
	s_mov_b64 s[36:37], 0
.LBB27_31:                              ;   Parent Loop BB27_7 Depth=1
                                        ;     Parent Loop BB27_29 Depth=2
                                        ; =>    This Inner Loop Header: Depth=3
	;;#ASMSTART
	s_sleep 0
	;;#ASMEND
	ds_read_b32 v40, v27 offset:20
	s_waitcnt lgkmcnt(0)
	v_cmp_eq_u32_e32 vcc, v40, v28
	s_or_b64 s[36:37], vcc, s[36:37]
	s_andn2_b64 exec, exec, s[36:37]
	s_cbranch_execnz .LBB27_31
	s_branch .LBB27_28
.LBB27_32:                              ;   in Loop: Header=BB27_7 Depth=1
	s_or_b64 exec, exec, s[30:31]
.LBB27_33:                              ;   in Loop: Header=BB27_7 Depth=1
	s_or_b64 exec, exec, s[8:9]
	v_subrev_u32_e32 v39, s52, v39
.LBB27_34:                              ;   in Loop: Header=BB27_7 Depth=1
	s_or_b64 exec, exec, s[6:7]
.LBB27_35:                              ;   in Loop: Header=BB27_7 Depth=1
	s_andn2_saveexec_b64 s[6:7], s[28:29]
	s_cbranch_execz .LBB27_6
; %bb.36:                               ;   in Loop: Header=BB27_7 Depth=1
	v_cmp_gt_i32_e32 vcc, s52, v39
	s_and_saveexec_b64 s[8:9], vcc
	s_cbranch_execz .LBB27_5
; %bb.37:                               ;   in Loop: Header=BB27_7 Depth=1
	s_mul_i32 s53, s53, s14
	s_ashr_i32 s28, s53, 31
	s_waitcnt lgkmcnt(0)
	s_add_u32 s29, s20, s53
	s_addc_u32 s30, s21, s28
	s_ashr_i32 s31, s54, 31
	v_cmp_le_i32_e32 vcc, s55, v36
	s_add_u32 s28, s29, s54
	s_addc_u32 s29, s30, s31
	v_cndmask_b32_e32 v0, 0, v37, vcc
	v_ashrrev_i32_e32 v1, 31, v0
	v_lshl_add_u64 v[0:1], s[28:29], 0, v[0:1]
	v_lshl_add_u64 v[24:25], v[0:1], 0, v[20:21]
	s_mov_b64 s[28:29], 0
	s_branch .LBB27_39
.LBB27_38:                              ;   in Loop: Header=BB27_39 Depth=2
	s_or_b64 exec, exec, s[30:31]
	v_lshl_or_b32 v40, v26, 12, v34
	;;#ASMSTART
	s_waitcnt vmcnt(3)
	;;#ASMEND
	ds_write2_b32 v40, v12, v13 offset1:32
	ds_write2_b32 v40, v14, v15 offset0:64 offset1:96
	v_add_u32_e32 v12, 0x400, v40
	;;#ASMSTART
	s_waitcnt vmcnt(2)
	;;#ASMEND
	ds_write2_b32 v12, v8, v9 offset1:32
	ds_write2_b32 v12, v10, v11 offset0:64 offset1:96
	v_add_u32_e32 v8, 0x800, v40
	;; [unrolled: 6-line block ×3, first 2 shown]
	v_add_u32_e32 v39, s17, v39
	;;#ASMSTART
	s_waitcnt vmcnt(0)
	;;#ASMEND
	ds_write2_b32 v4, v0, v1 offset1:32
	ds_write2_b32 v4, v2, v3 offset0:64 offset1:96
	v_add_u32_e32 v0, 1, v28
	v_add_u32_e32 v6, s17, v26
	v_cmp_le_i32_e32 vcc, s52, v39
	ds_write_b32 v27, v0
	v_add_u32_e32 v0, 2, v28
	s_or_b64 s[28:29], vcc, s[28:29]
	v_cmp_lt_i32_e32 vcc, 4, v6
	s_nop 1
	v_cndmask_b32_e32 v28, v28, v0, vcc
	s_andn2_b64 exec, exec, s[28:29]
	s_cbranch_execz .LBB27_4
.LBB27_39:                              ;   Parent Loop BB27_7 Depth=1
                                        ; =>  This Loop Header: Depth=2
                                        ;       Child Loop BB27_41 Depth 3
	v_cmp_gt_i32_e32 vcc, 5, v6
	s_nop 1
	v_cndmask_b32_e64 v0, -5, 0, vcc
	v_add_u32_e32 v26, v0, v6
	v_lshlrev_b32_e32 v0, 8, v39
	v_ashrrev_i32_e32 v1, 31, v0
	v_lshl_add_u64 v[0:1], v[24:25], 0, v[0:1]
	v_lshlrev_b32_e32 v27, 2, v26
	;;#ASMSTART
	global_load_dwordx4 v[12:15], v[0:1], off offset:0    
	global_load_dwordx4 v[8:11], v[0:1], off offset:64   
	;; [unrolled: 1-line block ×4, first 2 shown]
	
	;;#ASMEND
	ds_read_b32 v40, v27 offset:40960
	v_add_u32_e32 v27, 0xa000, v27
	s_waitcnt lgkmcnt(0)
	v_cmp_ne_u32_e32 vcc, v40, v28
	s_and_saveexec_b64 s[30:31], vcc
	s_cbranch_execz .LBB27_38
; %bb.40:                               ;   in Loop: Header=BB27_39 Depth=2
	s_mov_b64 s[34:35], 0
.LBB27_41:                              ;   Parent Loop BB27_7 Depth=1
                                        ;     Parent Loop BB27_39 Depth=2
                                        ; =>    This Inner Loop Header: Depth=3
	;;#ASMSTART
	s_sleep 0
	;;#ASMEND
	ds_read_b32 v40, v27
	s_waitcnt lgkmcnt(0)
	v_cmp_eq_u32_e32 vcc, v40, v28
	s_or_b64 s[34:35], vcc, s[34:35]
	s_andn2_b64 exec, exec, s[34:35]
	s_cbranch_execnz .LBB27_41
	s_branch .LBB27_38
.LBB27_42:
	s_endpgm
	.section	.rodata,"a",@progbits
	.p2align	6, 0x0
	.amdhsa_kernel _Z19_skinny_gemm_kernelILi1ELi1ELi5ELi16ELi8EEvPKhS1_P6__halfPKfiiiiiiii
		.amdhsa_group_segment_fixed_size 41000
		.amdhsa_private_segment_fixed_size 0
		.amdhsa_kernarg_size 64
		.amdhsa_user_sgpr_count 2
		.amdhsa_user_sgpr_dispatch_ptr 0
		.amdhsa_user_sgpr_queue_ptr 0
		.amdhsa_user_sgpr_kernarg_segment_ptr 1
		.amdhsa_user_sgpr_dispatch_id 0
		.amdhsa_user_sgpr_kernarg_preload_length 0
		.amdhsa_user_sgpr_kernarg_preload_offset 0
		.amdhsa_user_sgpr_private_segment_size 0
		.amdhsa_uses_dynamic_stack 0
		.amdhsa_enable_private_segment 0
		.amdhsa_system_sgpr_workgroup_id_x 1
		.amdhsa_system_sgpr_workgroup_id_y 0
		.amdhsa_system_sgpr_workgroup_id_z 0
		.amdhsa_system_sgpr_workgroup_info 0
		.amdhsa_system_vgpr_workitem_id 0
		.amdhsa_next_free_vgpr 50
		.amdhsa_next_free_sgpr 56
		.amdhsa_accum_offset 52
		.amdhsa_reserve_vcc 1
		.amdhsa_float_round_mode_32 0
		.amdhsa_float_round_mode_16_64 0
		.amdhsa_float_denorm_mode_32 3
		.amdhsa_float_denorm_mode_16_64 3
		.amdhsa_dx10_clamp 1
		.amdhsa_ieee_mode 1
		.amdhsa_fp16_overflow 0
		.amdhsa_tg_split 0
		.amdhsa_exception_fp_ieee_invalid_op 0
		.amdhsa_exception_fp_denorm_src 0
		.amdhsa_exception_fp_ieee_div_zero 0
		.amdhsa_exception_fp_ieee_overflow 0
		.amdhsa_exception_fp_ieee_underflow 0
		.amdhsa_exception_fp_ieee_inexact 0
		.amdhsa_exception_int_div_zero 0
	.end_amdhsa_kernel
	.section	.text._Z19_skinny_gemm_kernelILi1ELi1ELi5ELi16ELi8EEvPKhS1_P6__halfPKfiiiiiiii,"axG",@progbits,_Z19_skinny_gemm_kernelILi1ELi1ELi5ELi16ELi8EEvPKhS1_P6__halfPKfiiiiiiii,comdat
.Lfunc_end27:
	.size	_Z19_skinny_gemm_kernelILi1ELi1ELi5ELi16ELi8EEvPKhS1_P6__halfPKfiiiiiiii, .Lfunc_end27-_Z19_skinny_gemm_kernelILi1ELi1ELi5ELi16ELi8EEvPKhS1_P6__halfPKfiiiiiiii
                                        ; -- End function
	.set _Z19_skinny_gemm_kernelILi1ELi1ELi5ELi16ELi8EEvPKhS1_P6__halfPKfiiiiiiii.num_vgpr, 50
	.set _Z19_skinny_gemm_kernelILi1ELi1ELi5ELi16ELi8EEvPKhS1_P6__halfPKfiiiiiiii.num_agpr, 0
	.set _Z19_skinny_gemm_kernelILi1ELi1ELi5ELi16ELi8EEvPKhS1_P6__halfPKfiiiiiiii.numbered_sgpr, 56
	.set _Z19_skinny_gemm_kernelILi1ELi1ELi5ELi16ELi8EEvPKhS1_P6__halfPKfiiiiiiii.num_named_barrier, 0
	.set _Z19_skinny_gemm_kernelILi1ELi1ELi5ELi16ELi8EEvPKhS1_P6__halfPKfiiiiiiii.private_seg_size, 0
	.set _Z19_skinny_gemm_kernelILi1ELi1ELi5ELi16ELi8EEvPKhS1_P6__halfPKfiiiiiiii.uses_vcc, 1
	.set _Z19_skinny_gemm_kernelILi1ELi1ELi5ELi16ELi8EEvPKhS1_P6__halfPKfiiiiiiii.uses_flat_scratch, 0
	.set _Z19_skinny_gemm_kernelILi1ELi1ELi5ELi16ELi8EEvPKhS1_P6__halfPKfiiiiiiii.has_dyn_sized_stack, 0
	.set _Z19_skinny_gemm_kernelILi1ELi1ELi5ELi16ELi8EEvPKhS1_P6__halfPKfiiiiiiii.has_recursion, 0
	.set _Z19_skinny_gemm_kernelILi1ELi1ELi5ELi16ELi8EEvPKhS1_P6__halfPKfiiiiiiii.has_indirect_call, 0
	.section	.AMDGPU.csdata,"",@progbits
; Kernel info:
; codeLenInByte = 2968
; TotalNumSgprs: 62
; NumVgprs: 50
; NumAgprs: 0
; TotalNumVgprs: 50
; ScratchSize: 0
; MemoryBound: 0
; FloatMode: 240
; IeeeMode: 1
; LDSByteSize: 41000 bytes/workgroup (compile time only)
; SGPRBlocks: 7
; VGPRBlocks: 6
; NumSGPRsForWavesPerEU: 62
; NumVGPRsForWavesPerEU: 50
; AccumOffset: 52
; Occupancy: 8
; WaveLimiterHint : 0
; COMPUTE_PGM_RSRC2:SCRATCH_EN: 0
; COMPUTE_PGM_RSRC2:USER_SGPR: 2
; COMPUTE_PGM_RSRC2:TRAP_HANDLER: 0
; COMPUTE_PGM_RSRC2:TGID_X_EN: 1
; COMPUTE_PGM_RSRC2:TGID_Y_EN: 0
; COMPUTE_PGM_RSRC2:TGID_Z_EN: 0
; COMPUTE_PGM_RSRC2:TIDIG_COMP_CNT: 0
; COMPUTE_PGM_RSRC3_GFX90A:ACCUM_OFFSET: 12
; COMPUTE_PGM_RSRC3_GFX90A:TG_SPLIT: 0
	.section	.text._Z19_skinny_gemm_kernelILi1ELi1ELi5ELi32ELi4EEvPKhS1_P6__halfPKfiiiiiiii,"axG",@progbits,_Z19_skinny_gemm_kernelILi1ELi1ELi5ELi32ELi4EEvPKhS1_P6__halfPKfiiiiiiii,comdat
	.protected	_Z19_skinny_gemm_kernelILi1ELi1ELi5ELi32ELi4EEvPKhS1_P6__halfPKfiiiiiiii ; -- Begin function _Z19_skinny_gemm_kernelILi1ELi1ELi5ELi32ELi4EEvPKhS1_P6__halfPKfiiiiiiii
	.globl	_Z19_skinny_gemm_kernelILi1ELi1ELi5ELi32ELi4EEvPKhS1_P6__halfPKfiiiiiiii
	.p2align	8
	.type	_Z19_skinny_gemm_kernelILi1ELi1ELi5ELi32ELi4EEvPKhS1_P6__halfPKfiiiiiiii,@function
_Z19_skinny_gemm_kernelILi1ELi1ELi5ELi32ELi4EEvPKhS1_P6__halfPKfiiiiiiii: ; @_Z19_skinny_gemm_kernelILi1ELi1ELi5ELi32ELi4EEvPKhS1_P6__halfPKfiiiiiiii
; %bb.0:
	v_cmp_gt_u32_e32 vcc, 10, v0
	s_and_saveexec_b64 s[4:5], vcc
; %bb.1:
	v_lshlrev_b32_e32 v1, 2, v0
	v_mov_b32_e32 v2, 0
	ds_write_b32 v1, v2 offset:20480
; %bb.2:
	s_or_b64 exec, exec, s[4:5]
	s_load_dwordx8 s[36:43], s[0:1], 0x20
	s_waitcnt lgkmcnt(0)
	s_barrier
	s_add_i32 s3, s36, 31
	s_ashr_i32 s5, s3, 31
	s_add_i32 s4, s37, 31
	s_lshr_b32 s5, s5, 27
	s_ashr_i32 s6, s4, 31
	s_add_i32 s3, s3, s5
	s_ashr_i32 s33, s3, 5
	s_lshr_b32 s3, s6, 27
	s_add_i32 s4, s4, s3
	s_ashr_i32 s62, s4, 5
	s_mul_i32 s3, s62, s33
	s_mul_i32 s3, s3, s40
	s_add_i32 s4, s3, 0x12f
	s_mul_hi_i32 s4, s4, 0x6bca1af3
	s_lshr_b32 s5, s4, 31
	s_ashr_i32 s4, s4, 7
	s_add_i32 s4, s4, s5
	s_add_i32 s5, s2, 1
	s_mul_i32 s5, s4, s5
	v_cvt_f64_i32_e32 v[2:3], s3
	v_cvt_f64_u32_e32 v[4:5], s5
	v_min_f64 v[2:3], v[2:3], v[4:5]
	v_cvt_i32_f64_e32 v46, v[2:3]
	s_mul_i32 s63, s4, s2
	v_cmp_ge_i32_e32 vcc, s63, v46
	s_cbranch_vccnz .LBB28_48
; %bb.3:
	v_lshrrev_b32_e32 v1, 6, v0
	s_add_i32 s4, s42, s41
	s_load_dwordx8 s[44:51], s[0:1], 0x0
	v_cmp_le_i32_e64 s[0:1], s4, v1
	v_mov_b32_e32 v2, s41
	v_cmp_le_i32_e64 s[2:3], s41, v1
	v_mov_b32_e32 v3, s42
	v_cndmask_b32_e64 v3, 0, v3, s[0:1]
	v_cndmask_b32_e64 v2, 0, v2, s[2:3]
	s_abs_i32 s5, s40
	v_add_u32_e32 v2, v2, v3
	v_cvt_f32_u32_e32 v3, s5
	v_sub_u32_e32 v40, v1, v2
	s_ashr_i32 s6, s38, 31
	s_lshr_b32 s6, s6, 26
	v_rcp_iflag_f32_e32 v2, v3
	s_sub_i32 s9, 0, s5
	s_add_i32 s6, s38, s6
	s_ashr_i32 s6, s6, 6
	v_mul_f32_e32 v2, 0x4f7ffffe, v2
	v_cvt_u32_f32_e32 v2, v2
	s_abs_i32 s8, s6
	s_xor_b32 s7, s6, s40
	s_ashr_i32 s7, s7, 31
	v_readfirstlane_b32 s10, v2
	s_mul_i32 s9, s9, s10
	s_mul_hi_u32 s9, s10, s9
	s_add_i32 s10, s10, s9
	s_mul_hi_u32 s9, s8, s10
	s_mul_i32 s10, s9, s5
	s_sub_i32 s8, s8, s10
	s_add_i32 s10, s9, 1
	s_sub_i32 s11, s8, s5
	s_cmp_ge_u32 s8, s5
	s_cselect_b32 s9, s10, s9
	s_cselect_b32 s8, s11, s8
	s_add_i32 s10, s9, 1
	s_cmp_ge_u32 s8, s5
	s_cselect_b32 s5, s10, s9
	s_xor_b32 s5, s5, s7
	s_sub_i32 s64, s5, s7
	s_add_i32 s40, s40, -1
	s_mul_i32 s5, s64, s40
	s_add_i32 s4, s4, s43
	v_and_b32_e32 v48, 31, v0
	v_lshrrev_b32_e32 v2, 3, v0
	s_sub_i32 s65, s6, s5
	v_cmp_gt_i32_e64 s[4:5], s4, v1
	v_lshlrev_b32_e32 v1, 2, v48
	v_and_b32_e32 v3, 4, v2
	v_and_b32_e32 v5, 1, v0
	v_lshlrev_b32_e32 v2, 6, v3
	v_or_b32_e32 v4, 0x2800, v1
	v_or_b32_e32 v3, v3, v5
	;; [unrolled: 1-line block ×4, first 2 shown]
	v_lshlrev_b32_e32 v2, 1, v5
	v_or_b32_e32 v5, 2, v3
	v_sub_u32_e32 v60, 32, v5
	v_or_b32_e32 v5, 8, v3
	v_sub_u32_e32 v61, 32, v5
	;; [unrolled: 2-line block ×5, first 2 shown]
	v_mul_lo_u32 v18, s37, v3
	v_sub_u32_e32 v64, 32, v5
	v_or_b32_e32 v5, 24, v3
	v_or_b32_e32 v3, 26, v3
	v_sub_u32_e32 v66, 32, v3
	v_lshrrev_b32_e32 v3, 1, v0
	s_abs_i32 s66, s33
	v_and_b32_e32 v34, 16, v3
	v_cvt_f32_u32_e32 v3, s66
	v_sub_u32_e32 v65, 32, v5
	v_lshlrev_b32_e32 v5, 4, v0
	v_and_b32_e32 v5, 0x200, v5
	v_rcp_iflag_f32_e32 v3, v3
	s_abs_i32 s67, s62
	v_or_b32_e32 v70, v1, v5
	v_cvt_f32_u32_e32 v1, s67
	v_sub_u32_e32 v2, v0, v2
	v_add_u32_e32 v2, 1, v2
	s_lshl_b32 s6, s37, 1
	v_and_b32_e32 v6, 63, v2
	v_bitop3_b32 v51, v0, 1, v0 bitop3:0xc
	v_bitop3_b32 v52, v0, 3, 1 bitop3:0x6c
	;; [unrolled: 1-line block ×8, first 2 shown]
	v_and_b32_e32 v2, 30, v0
	v_add_u32_e32 v20, s6, v18
	s_mul_i32 s7, s37, 6
	v_bitop3_b32 v68, v0, 31, v0 bitop3:0xc
	v_mul_f32_e32 v0, 0x4f7ffffe, v3
	v_add_u32_e32 v22, s7, v20
	v_cvt_u32_f32_e32 v0, v0
	v_rcp_iflag_f32_e32 v1, v1
	v_add_u32_e32 v24, s6, v22
	v_add_u32_e32 v26, s7, v24
	;; [unrolled: 1-line block ×4, first 2 shown]
	v_readfirstlane_b32 s7, v0
	v_mul_f32_e32 v0, 0x4f7ffffe, v1
	v_cvt_u32_f32_e32 v0, v0
	v_add_u32_e32 v32, s6, v30
	s_sub_i32 s6, 0, s66
	s_mul_i32 s6, s6, s7
	s_mul_hi_u32 s6, s7, s6
	s_add_i32 s69, s7, s6
	s_sub_i32 s6, 0, s67
	v_readfirstlane_b32 s7, v0
	v_mbcnt_lo_u32_b32 v0, -1, 0
	s_mul_i32 s6, s6, s7
	v_mbcnt_hi_u32_b32 v0, -1, v0
	v_mov_b32_e32 v17, 0
	v_mul_lo_u32 v36, s39, v48
	s_mul_hi_u32 s6, s7, s6
	v_and_or_b32 v0, v0, 64, v6
	v_cndmask_b32_e64 v47, 0, 1, s[0:1]
	v_ashrrev_i32_e32 v19, 31, v18
	v_ashrrev_i32_e32 v21, 31, v20
	;; [unrolled: 1-line block ×9, first 2 shown]
	v_mov_b32_e32 v35, v17
	v_or_b32_e32 v67, v4, v5
	v_mul_lo_u32 v69, s38, v48
	s_ashr_i32 s68, s33, 31
	s_ashr_i32 s70, s62, 31
	s_add_i32 s71, s7, s6
	v_lshlrev_b32_e32 v16, 1, v2
	v_lshlrev_b32_e32 v71, 2, v0
	v_mov_b32_e32 v72, v40
	s_branch .LBB28_7
.LBB28_4:                               ;   in Loop: Header=BB28_7 Depth=1
	s_or_b64 exec, exec, s[10:11]
.LBB28_5:                               ;   in Loop: Header=BB28_7 Depth=1
	s_or_b64 exec, exec, s[8:9]
	v_subrev_u32_e32 v72, s72, v72
.LBB28_6:                               ;   in Loop: Header=BB28_7 Depth=1
	s_or_b64 exec, exec, s[6:7]
	s_add_i32 s63, s63, 1
	v_cmp_ge_i32_e32 vcc, s63, v46
	s_cbranch_vccnz .LBB28_48
.LBB28_7:                               ; =>This Loop Header: Depth=1
                                        ;     Child Loop BB28_13 Depth 2
                                        ;       Child Loop BB28_15 Depth 3
                                        ;       Child Loop BB28_18 Depth 3
                                        ;     Child Loop BB28_35 Depth 2
                                        ;       Child Loop BB28_37 Depth 3
                                        ;     Child Loop BB28_45 Depth 2
                                        ;       Child Loop BB28_47 Depth 3
	s_abs_i32 s7, s63
	s_mul_hi_u32 s8, s7, s69
	s_mul_i32 s9, s8, s66
	s_ashr_i32 s6, s63, 31
	s_sub_i32 s7, s7, s9
	s_xor_b32 s6, s6, s68
	s_add_i32 s9, s8, 1
	s_sub_i32 s10, s7, s66
	s_cmp_ge_u32 s7, s66
	s_cselect_b32 s8, s9, s8
	s_cselect_b32 s7, s10, s7
	s_add_i32 s9, s8, 1
	s_cmp_ge_u32 s7, s66
	s_cselect_b32 s7, s9, s8
	s_xor_b32 s7, s7, s6
	s_sub_i32 s6, s7, s6
	s_abs_i32 s8, s6
	s_mul_i32 s7, s6, s33
	s_mul_hi_u32 s9, s8, s71
	s_sub_i32 s7, s63, s7
	s_mul_i32 s10, s9, s67
	s_lshl_b32 s73, s7, 5
	s_ashr_i32 s7, s6, 31
	s_sub_i32 s8, s8, s10
	s_xor_b32 s7, s7, s70
	s_add_i32 s10, s9, 1
	s_sub_i32 s11, s8, s67
	s_cmp_ge_u32 s8, s67
	s_cselect_b32 s9, s10, s9
	s_cselect_b32 s8, s11, s8
	s_add_i32 s10, s9, 1
	s_cmp_ge_u32 s8, s67
	s_cselect_b32 s8, s10, s9
	s_xor_b32 s8, s8, s7
	s_sub_i32 s7, s8, s7
	s_mul_i32 s8, s7, s64
	s_lshl_b32 s74, s8, 6
	s_cmp_eq_u32 s7, s40
	s_cselect_b32 s72, s65, s64
	s_sub_i32 s75, s73, s36
	s_add_i32 s75, s75, 32
	s_and_saveexec_b64 s[8:9], s[2:3]
	s_xor_b64 s[52:53], exec, s[8:9]
	s_cbranch_execz .LBB28_41
; %bb.8:                                ;   in Loop: Header=BB28_7 Depth=1
	s_mul_i32 s7, s7, s62
	s_sub_i32 s6, s6, s7
	s_lshl_b32 s6, s6, 5
	s_sub_i32 s14, s6, s37
	s_add_i32 s14, s14, 32
	s_max_i32 s7, s14, 0
	s_sub_i32 s54, s6, s7
	s_and_saveexec_b64 s[6:7], s[0:1]
	s_xor_b64 s[56:57], exec, s[6:7]
	s_cbranch_execz .LBB28_31
; %bb.9:                                ;   in Loop: Header=BB28_7 Depth=1
	s_and_saveexec_b64 s[58:59], s[4:5]
	s_cbranch_execz .LBB28_30
; %bb.10:                               ;   in Loop: Header=BB28_7 Depth=1
	s_waitcnt lgkmcnt(0)
	global_load_dword v73, v17, s[50:51]
	v_mov_b32_e32 v15, 0
	v_cmp_gt_i32_e32 vcc, s72, v72
	v_mov_b32_e32 v14, v15
	v_mov_b32_e32 v13, v15
	;; [unrolled: 1-line block ×15, first 2 shown]
	s_and_saveexec_b64 s[6:7], vcc
	s_cbranch_execz .LBB28_20
; %bb.11:                               ;   in Loop: Header=BB28_7 Depth=1
	v_mov_b32_e32 v0, 0
	s_mov_b64 s[8:9], 0
	v_mov_b32_e32 v1, v0
	v_mov_b32_e32 v2, v0
	;; [unrolled: 1-line block ×15, first 2 shown]
	s_branch .LBB28_13
.LBB28_12:                              ;   in Loop: Header=BB28_13 Depth=2
	s_or_b64 exec, exec, s[10:11]
	v_add_u32_e32 v77, v50, v77
	ds_read2_b32 v[78:79], v77 offset1:32
	v_add_u32_e32 v72, s43, v72
	s_waitcnt lgkmcnt(0)
	v_mfma_f32_32x32x16_fp8_fp8 v[0:15], v[44:45], v[78:79], v[0:15]
	ds_read2_b32 v[44:45], v77 offset0:128 offset1:160
	s_waitcnt lgkmcnt(0)
	v_mfma_f32_32x32x16_fp8_fp8 v[0:15], v[42:43], v[44:45], v[0:15]
	v_add_u32_e32 v44, 0x400, v77
	ds_read2_b32 v[42:43], v44 offset1:32
	ds_read2_b32 v[44:45], v44 offset0:128 offset1:160
	ds_write_b32 v75, v76 offset:20484
	s_waitcnt lgkmcnt(2)
	v_mfma_f32_32x32x16_fp8_fp8 v[0:15], v[40:41], v[42:43], v[0:15]
	v_add_u32_e32 v40, s43, v74
	v_add_u32_e32 v41, 2, v47
	v_cmp_lt_i32_e32 vcc, 4, v40
	s_nop 1
	v_cndmask_b32_e32 v47, v47, v41, vcc
	v_cmp_le_i32_e32 vcc, s72, v72
	s_waitcnt lgkmcnt(1)
	v_mfma_f32_32x32x16_fp8_fp8 v[0:15], v[38:39], v[44:45], v[0:15]
	s_or_b64 s[8:9], vcc, s[8:9]
	s_andn2_b64 exec, exec, s[8:9]
	s_cbranch_execz .LBB28_19
.LBB28_13:                              ;   Parent Loop BB28_7 Depth=1
                                        ; =>  This Loop Header: Depth=2
                                        ;       Child Loop BB28_15 Depth 3
                                        ;       Child Loop BB28_18 Depth 3
	v_cmp_gt_i32_e32 vcc, 5, v40
	s_nop 1
	v_cndmask_b32_e64 v38, -5, 0, vcc
	v_add_u32_e32 v74, v38, v40
	v_lshlrev_b32_e32 v75, 3, v74
	ds_read_b32 v38, v75 offset:20480
	s_waitcnt lgkmcnt(0)
	v_cmp_ne_u32_e32 vcc, v38, v47
	s_and_saveexec_b64 s[10:11], vcc
	s_cbranch_execz .LBB28_16
; %bb.14:                               ;   in Loop: Header=BB28_13 Depth=2
	s_mov_b64 s[12:13], 0
.LBB28_15:                              ;   Parent Loop BB28_7 Depth=1
                                        ;     Parent Loop BB28_13 Depth=2
                                        ; =>    This Inner Loop Header: Depth=3
	;;#ASMSTART
	s_sleep 0
	;;#ASMEND
	ds_read_b32 v38, v75 offset:20480
	s_waitcnt lgkmcnt(0)
	v_cmp_eq_u32_e32 vcc, v38, v47
	s_or_b64 s[12:13], vcc, s[12:13]
	s_andn2_b64 exec, exec, s[12:13]
	s_cbranch_execnz .LBB28_15
.LBB28_16:                              ;   in Loop: Header=BB28_13 Depth=2
	s_or_b64 exec, exec, s[10:11]
	v_lshlrev_b32_e32 v77, 11, v74
	v_or_b32_e32 v38, v49, v77
	ds_read2_b32 v[44:45], v38 offset1:32
	ds_read2_b32 v[42:43], v38 offset0:128 offset1:160
	v_add_u32_e32 v38, 0x400, v38
	ds_read2_b32 v[40:41], v38 offset1:32
	ds_read_b32 v78, v75 offset:20484
	ds_read2_b32 v[38:39], v38 offset0:128 offset1:160
	v_add_u32_e32 v76, 1, v47
	ds_write_b32 v75, v76 offset:20480
	s_waitcnt lgkmcnt(2)
	v_cmp_ne_u32_e32 vcc, v78, v47
	s_and_saveexec_b64 s[10:11], vcc
	s_cbranch_execz .LBB28_12
; %bb.17:                               ;   in Loop: Header=BB28_13 Depth=2
	s_mov_b64 s[12:13], 0
.LBB28_18:                              ;   Parent Loop BB28_7 Depth=1
                                        ;     Parent Loop BB28_13 Depth=2
                                        ; =>    This Inner Loop Header: Depth=3
	;;#ASMSTART
	s_sleep 0
	;;#ASMEND
	ds_read_b32 v78, v75 offset:20484
	s_waitcnt lgkmcnt(0)
	v_cmp_eq_u32_e32 vcc, v78, v47
	s_or_b64 s[12:13], vcc, s[12:13]
	s_andn2_b64 exec, exec, s[12:13]
	s_cbranch_execnz .LBB28_18
	s_branch .LBB28_12
.LBB28_19:                              ;   in Loop: Header=BB28_7 Depth=1
	s_or_b64 exec, exec, s[8:9]
.LBB28_20:                              ;   in Loop: Header=BB28_7 Depth=1
	s_or_b64 exec, exec, s[6:7]
	v_cmp_le_i32_e32 vcc, s14, v48
	v_cmp_eq_u32_e64 s[6:7], 3, v51
	v_cmp_eq_u32_e64 s[8:9], 4, v51
	s_waitcnt vmcnt(0)
	v_cndmask_b32_e32 v38, 0, v73, vcc
	s_nop 1
	v_pk_mul_f32 v[0:1], v[38:39], v[0:1] op_sel_hi:[0,1]
	v_cmp_eq_u32_e32 vcc, 1, v51
	v_pk_mul_f32 v[14:15], v[38:39], v[14:15] op_sel_hi:[0,1]
	v_pk_mul_f32 v[12:13], v[38:39], v[12:13] op_sel_hi:[0,1]
	;; [unrolled: 1-line block ×7, first 2 shown]
	v_cndmask_b32_e32 v38, v0, v1, vcc
	v_cmp_eq_u32_e32 vcc, 2, v51
	v_cmp_eq_u32_e64 s[10:11], 5, v51
	v_cmp_eq_u32_e64 s[12:13], 6, v51
	v_cndmask_b32_e32 v38, v38, v2, vcc
	v_cndmask_b32_e64 v38, v38, v3, s[6:7]
	v_cndmask_b32_e64 v38, v38, v4, s[8:9]
	;; [unrolled: 1-line block ×4, first 2 shown]
	v_cmp_eq_u32_e64 s[14:15], 7, v51
	v_cmp_eq_u32_e64 s[16:17], 8, v51
	v_cmp_eq_u32_e64 s[18:19], 9, v51
	v_cndmask_b32_e64 v38, v38, v7, s[14:15]
	v_cndmask_b32_e64 v38, v38, v8, s[16:17]
	v_cndmask_b32_e64 v38, v38, v9, s[18:19]
	v_cmp_eq_u32_e64 s[20:21], 10, v51
	v_cmp_eq_u32_e64 s[22:23], 11, v51
	v_cmp_eq_u32_e64 s[24:25], 12, v51
	v_cndmask_b32_e64 v38, v38, v10, s[20:21]
	v_cndmask_b32_e64 v38, v38, v11, s[22:23]
	v_cndmask_b32_e64 v38, v38, v12, s[24:25]
	v_cmp_eq_u32_e64 s[26:27], 13, v51
	v_cmp_eq_u32_e64 s[28:29], 14, v51
	v_cmp_eq_u32_e64 s[30:31], 15, v51
	v_cndmask_b32_e64 v38, v38, v13, s[26:27]
	v_cndmask_b32_e64 v38, v38, v14, s[28:29]
	v_cndmask_b32_e64 v38, v38, v15, s[30:31]
	ds_bpermute_b32 v38, v71, v38
	v_cmp_eq_u32_e64 s[34:35], 15, v52
	s_waitcnt lgkmcnt(0)
	v_cndmask_b32_e32 v2, v2, v38, vcc
	v_cmp_ne_u32_e32 vcc, 0, v51
	v_cndmask_b32_e64 v15, v15, v38, s[30:31]
	v_cndmask_b32_e64 v14, v14, v38, s[28:29]
	v_cndmask_b32_e32 v1, v1, v38, vcc
	v_cmp_eq_u32_e32 vcc, 0, v51
	v_cndmask_b32_e64 v13, v13, v38, s[26:27]
	v_cndmask_b32_e64 v12, v12, v38, s[24:25]
	v_cndmask_b32_e32 v0, v0, v38, vcc
	v_cmp_eq_u32_e32 vcc, 1, v52
	v_cndmask_b32_e64 v11, v11, v38, s[22:23]
	v_cndmask_b32_e64 v10, v10, v38, s[20:21]
	;; [unrolled: 1-line block ×9, first 2 shown]
	v_cndmask_b32_e32 v38, v0, v1, vcc
	v_cmp_eq_u32_e64 s[6:7], 2, v52
	v_cmp_eq_u32_e64 s[8:9], 3, v52
	v_cmp_eq_u32_e64 s[10:11], 4, v52
	v_cndmask_b32_e64 v38, v38, v2, s[6:7]
	v_cndmask_b32_e64 v38, v38, v3, s[8:9]
	v_cndmask_b32_e64 v38, v38, v4, s[10:11]
	v_cmp_eq_u32_e64 s[12:13], 5, v52
	v_cmp_eq_u32_e64 s[14:15], 6, v52
	v_cmp_eq_u32_e64 s[16:17], 7, v52
	v_cndmask_b32_e64 v38, v38, v5, s[12:13]
	v_cndmask_b32_e64 v38, v38, v6, s[14:15]
	v_cndmask_b32_e64 v38, v38, v7, s[16:17]
	;; [unrolled: 6-line block ×4, first 2 shown]
	v_cmp_eq_u32_e64 s[30:31], 14, v52
	s_nop 1
	v_cndmask_b32_e64 v38, v38, v14, s[30:31]
	v_cndmask_b32_e64 v38, v38, v15, s[34:35]
	ds_bpermute_b32 v38, v71, v38
	s_waitcnt lgkmcnt(0)
	v_cndmask_b32_e32 v1, v1, v38, vcc
	v_cmp_eq_u32_e32 vcc, 0, v52
	v_cndmask_b32_e64 v15, v15, v38, s[34:35]
	v_cndmask_b32_e64 v14, v14, v38, s[30:31]
	v_cndmask_b32_e32 v0, v0, v38, vcc
	v_cmp_eq_u32_e32 vcc, 1, v53
	v_cndmask_b32_e64 v13, v13, v38, s[28:29]
	v_cndmask_b32_e64 v12, v12, v38, s[26:27]
	v_cndmask_b32_e64 v11, v11, v38, s[24:25]
	v_cndmask_b32_e64 v10, v10, v38, s[22:23]
	v_cndmask_b32_e64 v9, v9, v38, s[20:21]
	v_cndmask_b32_e64 v8, v8, v38, s[18:19]
	v_cndmask_b32_e64 v7, v7, v38, s[16:17]
	v_cndmask_b32_e64 v6, v6, v38, s[14:15]
	v_cndmask_b32_e64 v5, v5, v38, s[12:13]
	v_cndmask_b32_e64 v4, v4, v38, s[10:11]
	v_cndmask_b32_e64 v3, v3, v38, s[8:9]
	v_cndmask_b32_e64 v2, v2, v38, s[6:7]
	v_cndmask_b32_e32 v38, v0, v1, vcc
	v_cmp_eq_u32_e64 s[6:7], 2, v53
	v_cmp_eq_u32_e64 s[8:9], 3, v53
	v_cmp_eq_u32_e64 s[10:11], 4, v53
	v_cndmask_b32_e64 v38, v38, v2, s[6:7]
	v_cndmask_b32_e64 v38, v38, v3, s[8:9]
	v_cndmask_b32_e64 v38, v38, v4, s[10:11]
	v_cmp_eq_u32_e64 s[12:13], 5, v53
	v_cmp_eq_u32_e64 s[14:15], 6, v53
	v_cmp_eq_u32_e64 s[16:17], 7, v53
	v_cndmask_b32_e64 v38, v38, v5, s[12:13]
	v_cndmask_b32_e64 v38, v38, v6, s[14:15]
	v_cndmask_b32_e64 v38, v38, v7, s[16:17]
	v_cmp_eq_u32_e64 s[18:19], 8, v53
	v_cmp_eq_u32_e64 s[20:21], 9, v53
	v_cmp_eq_u32_e64 s[22:23], 10, v53
	v_cndmask_b32_e64 v38, v38, v8, s[18:19]
	v_cndmask_b32_e64 v38, v38, v9, s[20:21]
	v_cndmask_b32_e64 v38, v38, v10, s[22:23]
	v_cmp_eq_u32_e64 s[24:25], 11, v53
	v_cmp_eq_u32_e64 s[26:27], 12, v53
	v_cmp_eq_u32_e64 s[28:29], 13, v53
	v_cndmask_b32_e64 v38, v38, v11, s[24:25]
	v_cndmask_b32_e64 v38, v38, v12, s[26:27]
	v_cndmask_b32_e64 v38, v38, v13, s[28:29]
	v_cmp_eq_u32_e64 s[30:31], 14, v53
	v_cmp_eq_u32_e64 s[34:35], 15, v53
	s_nop 0
	v_cndmask_b32_e64 v38, v38, v14, s[30:31]
	v_cndmask_b32_e64 v38, v38, v15, s[34:35]
	ds_bpermute_b32 v38, v71, v38
	s_waitcnt lgkmcnt(0)
	v_cndmask_b32_e32 v1, v1, v38, vcc
	v_cmp_eq_u32_e32 vcc, 0, v53
	v_cndmask_b32_e64 v15, v15, v38, s[34:35]
	v_cndmask_b32_e64 v14, v14, v38, s[30:31]
	v_cndmask_b32_e32 v0, v0, v38, vcc
	v_cmp_eq_u32_e32 vcc, 1, v54
	v_cndmask_b32_e64 v13, v13, v38, s[28:29]
	v_cndmask_b32_e64 v12, v12, v38, s[26:27]
	v_cndmask_b32_e64 v11, v11, v38, s[24:25]
	v_cndmask_b32_e64 v10, v10, v38, s[22:23]
	v_cndmask_b32_e64 v9, v9, v38, s[20:21]
	v_cndmask_b32_e64 v8, v8, v38, s[18:19]
	v_cndmask_b32_e64 v7, v7, v38, s[16:17]
	v_cndmask_b32_e64 v6, v6, v38, s[14:15]
	v_cndmask_b32_e64 v5, v5, v38, s[12:13]
	v_cndmask_b32_e64 v4, v4, v38, s[10:11]
	v_cndmask_b32_e64 v3, v3, v38, s[8:9]
	v_cndmask_b32_e64 v2, v2, v38, s[6:7]
	v_cndmask_b32_e32 v38, v0, v1, vcc
	v_cmp_eq_u32_e64 s[6:7], 2, v54
	v_cmp_eq_u32_e64 s[8:9], 3, v54
	v_cmp_eq_u32_e64 s[10:11], 4, v54
	v_cndmask_b32_e64 v38, v38, v2, s[6:7]
	v_cndmask_b32_e64 v38, v38, v3, s[8:9]
	v_cndmask_b32_e64 v38, v38, v4, s[10:11]
	v_cmp_eq_u32_e64 s[12:13], 5, v54
	v_cmp_eq_u32_e64 s[14:15], 6, v54
	v_cmp_eq_u32_e64 s[16:17], 7, v54
	v_cndmask_b32_e64 v38, v38, v5, s[12:13]
	v_cndmask_b32_e64 v38, v38, v6, s[14:15]
	v_cndmask_b32_e64 v38, v38, v7, s[16:17]
	v_cmp_eq_u32_e64 s[18:19], 8, v54
	v_cmp_eq_u32_e64 s[20:21], 9, v54
	v_cmp_eq_u32_e64 s[22:23], 10, v54
	v_cndmask_b32_e64 v38, v38, v8, s[18:19]
	v_cndmask_b32_e64 v38, v38, v9, s[20:21]
	v_cndmask_b32_e64 v38, v38, v10, s[22:23]
	v_cmp_eq_u32_e64 s[24:25], 11, v54
	v_cmp_eq_u32_e64 s[26:27], 12, v54
	v_cmp_eq_u32_e64 s[28:29], 13, v54
	v_cndmask_b32_e64 v38, v38, v11, s[24:25]
	v_cndmask_b32_e64 v38, v38, v12, s[26:27]
	v_cndmask_b32_e64 v38, v38, v13, s[28:29]
	v_cmp_eq_u32_e64 s[30:31], 14, v54
	;; [unrolled: 50-line block ×4, first 2 shown]
	v_cmp_eq_u32_e64 s[34:35], 15, v56
	s_nop 0
	v_cndmask_b32_e64 v38, v38, v14, s[30:31]
	v_cndmask_b32_e64 v38, v38, v15, s[34:35]
	ds_bpermute_b32 v38, v71, v38
	s_waitcnt lgkmcnt(0)
	v_cndmask_b32_e32 v1, v1, v38, vcc
	v_cmp_eq_u32_e32 vcc, 0, v56
	v_cndmask_b32_e64 v15, v15, v38, s[34:35]
	v_cndmask_b32_e64 v14, v14, v38, s[30:31]
	;; [unrolled: 1-line block ×14, first 2 shown]
	v_cndmask_b32_e32 v38, v0, v38, vcc
	v_cmp_eq_u32_e32 vcc, 1, v57
	v_cmp_eq_u32_e64 s[6:7], 2, v57
	v_cmp_eq_u32_e64 s[8:9], 3, v57
	v_cndmask_b32_e32 v0, v38, v1, vcc
	v_cndmask_b32_e64 v0, v0, v74, s[6:7]
	v_cndmask_b32_e64 v0, v0, v73, s[8:9]
	v_cmp_eq_u32_e64 s[10:11], 4, v57
	v_cmp_eq_u32_e64 s[12:13], 5, v57
	v_cmp_eq_u32_e64 s[14:15], 6, v57
	v_cndmask_b32_e64 v0, v0, v45, s[10:11]
	v_cndmask_b32_e64 v0, v0, v44, s[12:13]
	v_cndmask_b32_e64 v0, v0, v43, s[14:15]
	v_cmp_eq_u32_e64 s[16:17], 7, v57
	v_cmp_eq_u32_e64 s[18:19], 8, v57
	v_cmp_eq_u32_e64 s[20:21], 9, v57
	v_cndmask_b32_e64 v0, v0, v42, s[16:17]
	;; [unrolled: 6-line block ×4, first 2 shown]
	v_cndmask_b32_e64 v0, v0, v14, s[30:31]
	v_cndmask_b32_e64 v0, v0, v15, s[34:35]
	ds_bpermute_b32 v75, v71, v0
	s_waitcnt lgkmcnt(0)
	v_cndmask_b32_e32 v0, v1, v75, vcc
	v_cmp_eq_u32_e32 vcc, 0, v57
	v_cndmask_b32_e64 v4, v15, v75, s[34:35]
	v_cndmask_b32_e64 v15, v74, v75, s[6:7]
	v_cndmask_b32_e32 v1, v38, v75, vcc
	v_cmp_eq_u32_e32 vcc, 1, v58
	v_cndmask_b32_e64 v5, v14, v75, s[30:31]
	v_cndmask_b32_e64 v14, v73, v75, s[8:9]
	;; [unrolled: 4-line block ×7, first 2 shown]
	v_cndmask_b32_e32 v38, v38, v13, vcc
	v_cmp_eq_u32_e32 vcc, 7, v58
	s_nop 1
	v_cndmask_b32_e32 v38, v38, v12, vcc
	v_cmp_eq_u32_e32 vcc, 8, v58
	s_nop 1
	;; [unrolled: 3-line block ×9, first 2 shown]
	v_cndmask_b32_e32 v38, v38, v4, vcc
	ds_bpermute_b32 v38, v71, v38
	v_cmp_lt_i32_e32 vcc, s75, v59
	s_and_saveexec_b64 s[60:61], vcc
	s_cbranch_execz .LBB28_29
; %bb.21:                               ;   in Loop: Header=BB28_7 Depth=1
	s_mul_i32 s6, s73, s37
	s_ashr_i32 s7, s6, 31
	s_lshl_b64 s[6:7], s[6:7], 1
	v_cmp_eq_u32_e64 s[30:31], 1, v58
	s_add_u32 s8, s48, s6
	s_addc_u32 s9, s49, s7
	s_waitcnt lgkmcnt(0)
	v_cndmask_b32_e64 v0, v0, v38, s[30:31]
	v_cmp_eq_u32_e64 s[30:31], 0, v58
	s_ashr_i32 s55, s54, 31
	s_lshl_b64 s[6:7], s[54:55], 1
	v_cndmask_b32_e64 v1, v1, v38, s[30:31]
	v_cvt_f16_f32_e32 v39, v1
	v_cvt_f16_f32_sdwa v41, v0 dst_sel:WORD_1 dst_unused:UNUSED_PAD src0_sel:DWORD
	s_add_u32 s34, s8, s6
	s_addc_u32 s35, s9, s7
	v_cmp_eq_u32_e64 s[8:9], 15, v58
	v_cmp_eq_u32_e64 s[10:11], 14, v58
	;; [unrolled: 1-line block ×10, first 2 shown]
	v_cmp_eq_u32_e32 vcc, 5, v58
	v_cmp_eq_u32_e64 s[6:7], 4, v58
	v_cmp_eq_u32_e64 s[28:29], 3, v58
	;; [unrolled: 1-line block ×3, first 2 shown]
	v_lshl_add_u64 v[0:1], s[34:35], 0, v[16:17]
	v_cmp_lt_i32_e64 s[34:35], s75, v60
	v_lshl_add_u64 v[42:43], v[18:19], 1, v[0:1]
	v_or_b32_e32 v39, v41, v39
	;;#ASMSTART
	global_atomic_pk_add_f16 v[42:43], v39, off
	
	;;#ASMEND
	s_and_b64 exec, exec, s[34:35]
	s_cbranch_execz .LBB28_29
; %bb.22:                               ;   in Loop: Header=BB28_7 Depth=1
	v_cndmask_b32_e64 v14, v14, v38, s[28:29]
	v_cndmask_b32_e64 v15, v15, v38, s[30:31]
	v_cvt_f16_f32_e32 v39, v15
	v_cvt_f16_f32_sdwa v41, v14 dst_sel:WORD_1 dst_unused:UNUSED_PAD src0_sel:DWORD
	v_cndmask_b32_e64 v4, v4, v38, s[8:9]
	v_cndmask_b32_e64 v5, v5, v38, s[10:11]
	;; [unrolled: 1-line block ×10, first 2 shown]
	v_cndmask_b32_e32 v2, v2, v38, vcc
	v_cndmask_b32_e64 v3, v3, v38, s[6:7]
	v_cmp_lt_i32_e32 vcc, s75, v61
	v_lshl_add_u64 v[14:15], v[20:21], 1, v[0:1]
	v_or_b32_e32 v38, v41, v39
	;;#ASMSTART
	global_atomic_pk_add_f16 v[14:15], v38, off
	
	;;#ASMEND
	s_and_b64 exec, exec, vcc
	s_cbranch_execz .LBB28_29
; %bb.23:                               ;   in Loop: Header=BB28_7 Depth=1
	v_cvt_f16_f32_e32 v14, v3
	v_cvt_f16_f32_sdwa v15, v2 dst_sel:WORD_1 dst_unused:UNUSED_PAD src0_sel:DWORD
	v_cmp_lt_i32_e32 vcc, s75, v62
	v_lshl_add_u64 v[2:3], v[22:23], 1, v[0:1]
	v_or_b32_e32 v14, v15, v14
	;;#ASMSTART
	global_atomic_pk_add_f16 v[2:3], v14, off
	
	;;#ASMEND
	s_and_b64 exec, exec, vcc
	s_cbranch_execz .LBB28_29
; %bb.24:                               ;   in Loop: Header=BB28_7 Depth=1
	v_cvt_f16_f32_e32 v13, v13
	v_cvt_f16_f32_sdwa v12, v12 dst_sel:WORD_1 dst_unused:UNUSED_PAD src0_sel:DWORD
	;; [unrolled: 12-line block ×6, first 2 shown]
	v_lshl_add_u64 v[0:1], v[32:33], 1, v[0:1]
	v_or_b32_e32 v2, v3, v2
	;;#ASMSTART
	global_atomic_pk_add_f16 v[0:1], v2, off
	
	;;#ASMEND
.LBB28_29:                              ;   in Loop: Header=BB28_7 Depth=1
	s_or_b64 exec, exec, s[60:61]
	v_subrev_u32_e32 v72, s72, v72
.LBB28_30:                              ;   in Loop: Header=BB28_7 Depth=1
	s_or_b64 exec, exec, s[58:59]
.LBB28_31:                              ;   in Loop: Header=BB28_7 Depth=1
	s_andn2_saveexec_b64 s[6:7], s[56:57]
	s_cbranch_execz .LBB28_40
; %bb.32:                               ;   in Loop: Header=BB28_7 Depth=1
	v_cmp_gt_i32_e32 vcc, s72, v72
	s_and_saveexec_b64 s[8:9], vcc
	s_cbranch_execz .LBB28_39
; %bb.33:                               ;   in Loop: Header=BB28_7 Depth=1
	s_mul_i32 s10, s54, s39
	s_ashr_i32 s11, s10, 31
	s_waitcnt lgkmcnt(0)
	s_add_u32 s10, s46, s10
	s_addc_u32 s11, s47, s11
	s_ashr_i32 s12, s74, 31
	s_add_u32 s10, s10, s74
	s_addc_u32 s11, s11, s12
	v_lshl_add_u64 v[0:1], s[10:11], 0, v[36:37]
	v_lshl_add_u64 v[8:9], v[0:1], 0, v[34:35]
	s_mov_b64 s[10:11], 0
	s_branch .LBB28_35
.LBB28_34:                              ;   in Loop: Header=BB28_35 Depth=2
	s_or_b64 exec, exec, s[12:13]
	v_lshl_add_u32 v12, v10, 11, v67
	;;#ASMSTART
	s_waitcnt vmcnt(1)
	;;#ASMEND
	ds_write2_b32 v12, v4, v5 offset1:32
	ds_write2_b32 v12, v6, v7 offset0:64 offset1:96
	v_add_u32_e32 v4, 0x400, v12
	v_add_u32_e32 v72, s42, v72
	;;#ASMSTART
	s_waitcnt vmcnt(0)
	;;#ASMEND
	ds_write2_b32 v4, v0, v1 offset1:32
	ds_write2_b32 v4, v2, v3 offset0:64 offset1:96
	v_add_u32_e32 v0, 1, v47
	v_add_u32_e32 v40, s42, v10
	v_cmp_le_i32_e32 vcc, s72, v72
	ds_write_b32 v11, v0 offset:20
	v_add_u32_e32 v0, 2, v47
	s_or_b64 s[10:11], vcc, s[10:11]
	v_cmp_lt_i32_e32 vcc, 4, v40
	s_nop 1
	v_cndmask_b32_e32 v47, v47, v0, vcc
	s_andn2_b64 exec, exec, s[10:11]
	s_cbranch_execz .LBB28_38
.LBB28_35:                              ;   Parent Loop BB28_7 Depth=1
                                        ; =>  This Loop Header: Depth=2
                                        ;       Child Loop BB28_37 Depth 3
	v_cmp_gt_i32_e32 vcc, 5, v40
	s_nop 1
	v_cndmask_b32_e64 v0, -5, 0, vcc
	v_add_u32_e32 v10, v0, v40
	v_lshlrev_b32_e32 v0, 6, v72
	v_ashrrev_i32_e32 v1, 31, v0
	v_lshl_add_u64 v[0:1], v[8:9], 0, v[0:1]
	v_lshlrev_b32_e32 v11, 2, v10
	;;#ASMSTART
	global_load_dwordx4 v[4:7], v[0:1], off offset:0   sc0 sc1 nt  
	global_load_dwordx4 v[0:3], v[0:1], off offset:32  sc0 sc1 nt  
	
	;;#ASMEND
	ds_read_b32 v12, v11 offset:20500
	v_add_u32_e32 v11, 0x5000, v11
	s_waitcnt lgkmcnt(0)
	v_cmp_ne_u32_e32 vcc, v12, v47
	s_and_saveexec_b64 s[12:13], vcc
	s_cbranch_execz .LBB28_34
; %bb.36:                               ;   in Loop: Header=BB28_35 Depth=2
	s_mov_b64 s[14:15], 0
.LBB28_37:                              ;   Parent Loop BB28_7 Depth=1
                                        ;     Parent Loop BB28_35 Depth=2
                                        ; =>    This Inner Loop Header: Depth=3
	;;#ASMSTART
	s_sleep 0
	;;#ASMEND
	ds_read_b32 v12, v11 offset:20
	s_waitcnt lgkmcnt(0)
	v_cmp_eq_u32_e32 vcc, v12, v47
	s_or_b64 s[14:15], vcc, s[14:15]
	s_andn2_b64 exec, exec, s[14:15]
	s_cbranch_execnz .LBB28_37
	s_branch .LBB28_34
.LBB28_38:                              ;   in Loop: Header=BB28_7 Depth=1
	s_or_b64 exec, exec, s[10:11]
.LBB28_39:                              ;   in Loop: Header=BB28_7 Depth=1
	s_or_b64 exec, exec, s[8:9]
	v_subrev_u32_e32 v72, s72, v72
.LBB28_40:                              ;   in Loop: Header=BB28_7 Depth=1
	s_or_b64 exec, exec, s[6:7]
.LBB28_41:                              ;   in Loop: Header=BB28_7 Depth=1
	s_andn2_saveexec_b64 s[6:7], s[52:53]
	s_cbranch_execz .LBB28_6
; %bb.42:                               ;   in Loop: Header=BB28_7 Depth=1
	v_cmp_gt_i32_e32 vcc, s72, v72
	s_and_saveexec_b64 s[8:9], vcc
	s_cbranch_execz .LBB28_5
; %bb.43:                               ;   in Loop: Header=BB28_7 Depth=1
	s_mul_i32 s73, s73, s38
	s_ashr_i32 s10, s73, 31
	s_waitcnt lgkmcnt(0)
	s_add_u32 s11, s44, s73
	s_addc_u32 s12, s45, s10
	s_ashr_i32 s13, s74, 31
	v_cmp_le_i32_e32 vcc, s75, v68
	s_add_u32 s10, s11, s74
	s_addc_u32 s11, s12, s13
	v_cndmask_b32_e32 v0, 0, v69, vcc
	v_ashrrev_i32_e32 v1, 31, v0
	v_lshl_add_u64 v[0:1], s[10:11], 0, v[0:1]
	v_lshl_add_u64 v[8:9], v[0:1], 0, v[34:35]
	s_mov_b64 s[10:11], 0
	s_branch .LBB28_45
.LBB28_44:                              ;   in Loop: Header=BB28_45 Depth=2
	s_or_b64 exec, exec, s[12:13]
	v_lshl_or_b32 v12, v10, 11, v70
	;;#ASMSTART
	s_waitcnt vmcnt(1)
	;;#ASMEND
	ds_write2_b32 v12, v4, v5 offset1:32
	ds_write2_b32 v12, v6, v7 offset0:64 offset1:96
	v_add_u32_e32 v4, 0x400, v12
	v_add_u32_e32 v72, s41, v72
	;;#ASMSTART
	s_waitcnt vmcnt(0)
	;;#ASMEND
	ds_write2_b32 v4, v0, v1 offset1:32
	ds_write2_b32 v4, v2, v3 offset0:64 offset1:96
	v_add_u32_e32 v0, 1, v47
	v_add_u32_e32 v40, s41, v10
	v_cmp_le_i32_e32 vcc, s72, v72
	ds_write_b32 v11, v0
	v_add_u32_e32 v0, 2, v47
	s_or_b64 s[10:11], vcc, s[10:11]
	v_cmp_lt_i32_e32 vcc, 4, v40
	s_nop 1
	v_cndmask_b32_e32 v47, v47, v0, vcc
	s_andn2_b64 exec, exec, s[10:11]
	s_cbranch_execz .LBB28_4
.LBB28_45:                              ;   Parent Loop BB28_7 Depth=1
                                        ; =>  This Loop Header: Depth=2
                                        ;       Child Loop BB28_47 Depth 3
	v_cmp_gt_i32_e32 vcc, 5, v40
	s_nop 1
	v_cndmask_b32_e64 v0, -5, 0, vcc
	v_add_u32_e32 v10, v0, v40
	v_lshlrev_b32_e32 v0, 6, v72
	v_ashrrev_i32_e32 v1, 31, v0
	v_lshl_add_u64 v[0:1], v[8:9], 0, v[0:1]
	v_lshlrev_b32_e32 v11, 2, v10
	;;#ASMSTART
	global_load_dwordx4 v[4:7], v[0:1], off offset:0   
	global_load_dwordx4 v[0:3], v[0:1], off offset:32  
	
	;;#ASMEND
	ds_read_b32 v12, v11 offset:20480
	v_add_u32_e32 v11, 0x5000, v11
	s_waitcnt lgkmcnt(0)
	v_cmp_ne_u32_e32 vcc, v12, v47
	s_and_saveexec_b64 s[12:13], vcc
	s_cbranch_execz .LBB28_44
; %bb.46:                               ;   in Loop: Header=BB28_45 Depth=2
	s_mov_b64 s[14:15], 0
.LBB28_47:                              ;   Parent Loop BB28_7 Depth=1
                                        ;     Parent Loop BB28_45 Depth=2
                                        ; =>    This Inner Loop Header: Depth=3
	;;#ASMSTART
	s_sleep 0
	;;#ASMEND
	ds_read_b32 v12, v11
	s_waitcnt lgkmcnt(0)
	v_cmp_eq_u32_e32 vcc, v12, v47
	s_or_b64 s[14:15], vcc, s[14:15]
	s_andn2_b64 exec, exec, s[14:15]
	s_cbranch_execnz .LBB28_47
	s_branch .LBB28_44
.LBB28_48:
	s_endpgm
	.section	.rodata,"a",@progbits
	.p2align	6, 0x0
	.amdhsa_kernel _Z19_skinny_gemm_kernelILi1ELi1ELi5ELi32ELi4EEvPKhS1_P6__halfPKfiiiiiiii
		.amdhsa_group_segment_fixed_size 20520
		.amdhsa_private_segment_fixed_size 0
		.amdhsa_kernarg_size 64
		.amdhsa_user_sgpr_count 2
		.amdhsa_user_sgpr_dispatch_ptr 0
		.amdhsa_user_sgpr_queue_ptr 0
		.amdhsa_user_sgpr_kernarg_segment_ptr 1
		.amdhsa_user_sgpr_dispatch_id 0
		.amdhsa_user_sgpr_kernarg_preload_length 0
		.amdhsa_user_sgpr_kernarg_preload_offset 0
		.amdhsa_user_sgpr_private_segment_size 0
		.amdhsa_uses_dynamic_stack 0
		.amdhsa_enable_private_segment 0
		.amdhsa_system_sgpr_workgroup_id_x 1
		.amdhsa_system_sgpr_workgroup_id_y 0
		.amdhsa_system_sgpr_workgroup_id_z 0
		.amdhsa_system_sgpr_workgroup_info 0
		.amdhsa_system_vgpr_workitem_id 0
		.amdhsa_next_free_vgpr 80
		.amdhsa_next_free_sgpr 76
		.amdhsa_accum_offset 80
		.amdhsa_reserve_vcc 1
		.amdhsa_float_round_mode_32 0
		.amdhsa_float_round_mode_16_64 0
		.amdhsa_float_denorm_mode_32 3
		.amdhsa_float_denorm_mode_16_64 3
		.amdhsa_dx10_clamp 1
		.amdhsa_ieee_mode 1
		.amdhsa_fp16_overflow 0
		.amdhsa_tg_split 0
		.amdhsa_exception_fp_ieee_invalid_op 0
		.amdhsa_exception_fp_denorm_src 0
		.amdhsa_exception_fp_ieee_div_zero 0
		.amdhsa_exception_fp_ieee_overflow 0
		.amdhsa_exception_fp_ieee_underflow 0
		.amdhsa_exception_fp_ieee_inexact 0
		.amdhsa_exception_int_div_zero 0
	.end_amdhsa_kernel
	.section	.text._Z19_skinny_gemm_kernelILi1ELi1ELi5ELi32ELi4EEvPKhS1_P6__halfPKfiiiiiiii,"axG",@progbits,_Z19_skinny_gemm_kernelILi1ELi1ELi5ELi32ELi4EEvPKhS1_P6__halfPKfiiiiiiii,comdat
.Lfunc_end28:
	.size	_Z19_skinny_gemm_kernelILi1ELi1ELi5ELi32ELi4EEvPKhS1_P6__halfPKfiiiiiiii, .Lfunc_end28-_Z19_skinny_gemm_kernelILi1ELi1ELi5ELi32ELi4EEvPKhS1_P6__halfPKfiiiiiiii
                                        ; -- End function
	.set _Z19_skinny_gemm_kernelILi1ELi1ELi5ELi32ELi4EEvPKhS1_P6__halfPKfiiiiiiii.num_vgpr, 80
	.set _Z19_skinny_gemm_kernelILi1ELi1ELi5ELi32ELi4EEvPKhS1_P6__halfPKfiiiiiiii.num_agpr, 0
	.set _Z19_skinny_gemm_kernelILi1ELi1ELi5ELi32ELi4EEvPKhS1_P6__halfPKfiiiiiiii.numbered_sgpr, 76
	.set _Z19_skinny_gemm_kernelILi1ELi1ELi5ELi32ELi4EEvPKhS1_P6__halfPKfiiiiiiii.num_named_barrier, 0
	.set _Z19_skinny_gemm_kernelILi1ELi1ELi5ELi32ELi4EEvPKhS1_P6__halfPKfiiiiiiii.private_seg_size, 0
	.set _Z19_skinny_gemm_kernelILi1ELi1ELi5ELi32ELi4EEvPKhS1_P6__halfPKfiiiiiiii.uses_vcc, 1
	.set _Z19_skinny_gemm_kernelILi1ELi1ELi5ELi32ELi4EEvPKhS1_P6__halfPKfiiiiiiii.uses_flat_scratch, 0
	.set _Z19_skinny_gemm_kernelILi1ELi1ELi5ELi32ELi4EEvPKhS1_P6__halfPKfiiiiiiii.has_dyn_sized_stack, 0
	.set _Z19_skinny_gemm_kernelILi1ELi1ELi5ELi32ELi4EEvPKhS1_P6__halfPKfiiiiiiii.has_recursion, 0
	.set _Z19_skinny_gemm_kernelILi1ELi1ELi5ELi32ELi4EEvPKhS1_P6__halfPKfiiiiiiii.has_indirect_call, 0
	.section	.AMDGPU.csdata,"",@progbits
; Kernel info:
; codeLenInByte = 5972
; TotalNumSgprs: 82
; NumVgprs: 80
; NumAgprs: 0
; TotalNumVgprs: 80
; ScratchSize: 0
; MemoryBound: 0
; FloatMode: 240
; IeeeMode: 1
; LDSByteSize: 20520 bytes/workgroup (compile time only)
; SGPRBlocks: 10
; VGPRBlocks: 9
; NumSGPRsForWavesPerEU: 82
; NumVGPRsForWavesPerEU: 80
; AccumOffset: 80
; Occupancy: 6
; WaveLimiterHint : 0
; COMPUTE_PGM_RSRC2:SCRATCH_EN: 0
; COMPUTE_PGM_RSRC2:USER_SGPR: 2
; COMPUTE_PGM_RSRC2:TRAP_HANDLER: 0
; COMPUTE_PGM_RSRC2:TGID_X_EN: 1
; COMPUTE_PGM_RSRC2:TGID_Y_EN: 0
; COMPUTE_PGM_RSRC2:TGID_Z_EN: 0
; COMPUTE_PGM_RSRC2:TIDIG_COMP_CNT: 0
; COMPUTE_PGM_RSRC3_GFX90A:ACCUM_OFFSET: 19
; COMPUTE_PGM_RSRC3_GFX90A:TG_SPLIT: 0
	.section	.text._Z19_skinny_gemm_kernelILi1ELi1ELi5ELi32ELi8EEvPKhS1_P6__halfPKfiiiiiiii,"axG",@progbits,_Z19_skinny_gemm_kernelILi1ELi1ELi5ELi32ELi8EEvPKhS1_P6__halfPKfiiiiiiii,comdat
	.protected	_Z19_skinny_gemm_kernelILi1ELi1ELi5ELi32ELi8EEvPKhS1_P6__halfPKfiiiiiiii ; -- Begin function _Z19_skinny_gemm_kernelILi1ELi1ELi5ELi32ELi8EEvPKhS1_P6__halfPKfiiiiiiii
	.globl	_Z19_skinny_gemm_kernelILi1ELi1ELi5ELi32ELi8EEvPKhS1_P6__halfPKfiiiiiiii
	.p2align	8
	.type	_Z19_skinny_gemm_kernelILi1ELi1ELi5ELi32ELi8EEvPKhS1_P6__halfPKfiiiiiiii,@function
_Z19_skinny_gemm_kernelILi1ELi1ELi5ELi32ELi8EEvPKhS1_P6__halfPKfiiiiiiii: ; @_Z19_skinny_gemm_kernelILi1ELi1ELi5ELi32ELi8EEvPKhS1_P6__halfPKfiiiiiiii
; %bb.0:
	v_cmp_gt_u32_e32 vcc, 10, v0
	s_and_saveexec_b64 s[4:5], vcc
; %bb.1:
	v_lshlrev_b32_e32 v1, 2, v0
	v_mov_b32_e32 v2, 0
	ds_write_b32 v1, v2 offset:40960
; %bb.2:
	s_or_b64 exec, exec, s[4:5]
	s_load_dwordx8 s[36:43], s[0:1], 0x20
	s_waitcnt lgkmcnt(0)
	s_barrier
	s_add_i32 s3, s36, 31
	s_ashr_i32 s5, s3, 31
	s_add_i32 s4, s37, 31
	s_lshr_b32 s5, s5, 27
	s_ashr_i32 s6, s4, 31
	s_add_i32 s3, s3, s5
	s_ashr_i32 s33, s3, 5
	s_lshr_b32 s3, s6, 27
	s_add_i32 s4, s4, s3
	s_ashr_i32 s62, s4, 5
	s_mul_i32 s3, s62, s33
	s_mul_i32 s3, s3, s40
	s_add_i32 s4, s3, 0x12f
	s_mul_hi_i32 s4, s4, 0x6bca1af3
	s_lshr_b32 s5, s4, 31
	s_ashr_i32 s4, s4, 7
	s_add_i32 s4, s4, s5
	s_add_i32 s5, s2, 1
	s_mul_i32 s5, s4, s5
	v_cvt_f64_i32_e32 v[2:3], s3
	v_cvt_f64_u32_e32 v[4:5], s5
	v_min_f64 v[2:3], v[2:3], v[4:5]
	v_cvt_i32_f64_e32 v54, v[2:3]
	s_mul_i32 s63, s4, s2
	v_cmp_ge_i32_e32 vcc, s63, v54
	s_cbranch_vccnz .LBB29_48
; %bb.3:
	v_lshrrev_b32_e32 v1, 6, v0
	s_add_i32 s4, s42, s41
	s_load_dwordx8 s[44:51], s[0:1], 0x0
	v_cmp_le_i32_e64 s[0:1], s4, v1
	v_mov_b32_e32 v2, s41
	v_cmp_le_i32_e64 s[2:3], s41, v1
	v_mov_b32_e32 v3, s42
	v_cndmask_b32_e64 v3, 0, v3, s[0:1]
	v_cndmask_b32_e64 v2, 0, v2, s[2:3]
	s_abs_i32 s5, s40
	v_add_u32_e32 v2, v2, v3
	v_cvt_f32_u32_e32 v3, s5
	v_sub_u32_e32 v40, v1, v2
	s_ashr_i32 s6, s38, 31
	s_lshr_b32 s6, s6, 25
	v_rcp_iflag_f32_e32 v2, v3
	s_sub_i32 s9, 0, s5
	s_add_i32 s6, s38, s6
	s_ashr_i32 s6, s6, 7
	v_mul_f32_e32 v2, 0x4f7ffffe, v2
	v_cvt_u32_f32_e32 v2, v2
	s_abs_i32 s8, s6
	s_xor_b32 s7, s6, s40
	s_ashr_i32 s7, s7, 31
	v_readfirstlane_b32 s10, v2
	s_mul_i32 s9, s9, s10
	s_mul_hi_u32 s9, s10, s9
	s_add_i32 s10, s10, s9
	s_mul_hi_u32 s9, s8, s10
	s_mul_i32 s10, s9, s5
	s_sub_i32 s8, s8, s10
	s_add_i32 s10, s9, 1
	s_sub_i32 s11, s8, s5
	s_cmp_ge_u32 s8, s5
	s_cselect_b32 s9, s10, s9
	s_cselect_b32 s8, s11, s8
	s_add_i32 s10, s9, 1
	s_cmp_ge_u32 s8, s5
	s_cselect_b32 s5, s10, s9
	s_xor_b32 s5, s5, s7
	s_sub_i32 s64, s5, s7
	s_add_i32 s40, s40, -1
	s_mul_i32 s5, s64, s40
	s_add_i32 s4, s4, s43
	v_and_b32_e32 v56, 31, v0
	v_lshrrev_b32_e32 v2, 3, v0
	s_sub_i32 s65, s6, s5
	v_cmp_gt_i32_e64 s[4:5], s4, v1
	v_lshlrev_b32_e32 v1, 2, v56
	v_and_b32_e32 v3, 4, v2
	v_and_b32_e32 v5, 1, v0
	v_lshlrev_b32_e32 v2, 6, v3
	v_or_b32_e32 v4, 0x5000, v1
	v_or_b32_e32 v3, v3, v5
	;; [unrolled: 1-line block ×4, first 2 shown]
	v_lshlrev_b32_e32 v2, 1, v5
	v_or_b32_e32 v5, 2, v3
	v_sub_u32_e32 v68, 32, v5
	v_or_b32_e32 v5, 8, v3
	v_sub_u32_e32 v69, 32, v5
	v_or_b32_e32 v5, 10, v3
	v_sub_u32_e32 v70, 32, v5
	v_or_b32_e32 v5, 16, v3
	v_sub_u32_e32 v71, 32, v5
	v_or_b32_e32 v5, 18, v3
	v_sub_u32_e32 v67, 32, v3
	v_mul_lo_u32 v18, s37, v3
	v_sub_u32_e32 v72, 32, v5
	v_or_b32_e32 v5, 24, v3
	v_or_b32_e32 v3, 26, v3
	v_sub_u32_e32 v74, 32, v3
	v_lshrrev_b32_e32 v3, 1, v0
	s_abs_i32 s66, s33
	v_and_b32_e32 v34, 16, v3
	v_cvt_f32_u32_e32 v3, s66
	v_sub_u32_e32 v73, 32, v5
	v_lshlrev_b32_e32 v5, 4, v0
	v_and_b32_e32 v5, 0x200, v5
	v_rcp_iflag_f32_e32 v3, v3
	s_abs_i32 s67, s62
	v_or_b32_e32 v78, v1, v5
	v_cvt_f32_u32_e32 v1, s67
	v_sub_u32_e32 v2, v0, v2
	v_add_u32_e32 v2, 1, v2
	s_lshl_b32 s6, s37, 1
	v_and_b32_e32 v6, 63, v2
	v_bitop3_b32 v59, v0, 1, v0 bitop3:0xc
	v_bitop3_b32 v60, v0, 3, 1 bitop3:0x6c
	;; [unrolled: 1-line block ×8, first 2 shown]
	v_and_b32_e32 v2, 30, v0
	v_add_u32_e32 v20, s6, v18
	s_mul_i32 s7, s37, 6
	v_bitop3_b32 v76, v0, 31, v0 bitop3:0xc
	v_mul_f32_e32 v0, 0x4f7ffffe, v3
	v_add_u32_e32 v22, s7, v20
	v_cvt_u32_f32_e32 v0, v0
	v_rcp_iflag_f32_e32 v1, v1
	v_add_u32_e32 v24, s6, v22
	v_add_u32_e32 v26, s7, v24
	;; [unrolled: 1-line block ×4, first 2 shown]
	v_readfirstlane_b32 s7, v0
	v_mul_f32_e32 v0, 0x4f7ffffe, v1
	v_cvt_u32_f32_e32 v0, v0
	v_add_u32_e32 v32, s6, v30
	s_sub_i32 s6, 0, s66
	s_mul_i32 s6, s6, s7
	s_mul_hi_u32 s6, s7, s6
	s_add_i32 s69, s7, s6
	s_sub_i32 s6, 0, s67
	v_readfirstlane_b32 s7, v0
	v_mbcnt_lo_u32_b32 v0, -1, 0
	s_mul_i32 s6, s6, s7
	v_mbcnt_hi_u32_b32 v0, -1, v0
	v_mov_b32_e32 v17, 0
	v_mul_lo_u32 v36, s39, v56
	s_mul_hi_u32 s6, s7, s6
	v_and_or_b32 v0, v0, 64, v6
	v_cndmask_b32_e64 v55, 0, 1, s[0:1]
	v_ashrrev_i32_e32 v19, 31, v18
	v_ashrrev_i32_e32 v21, 31, v20
	;; [unrolled: 1-line block ×9, first 2 shown]
	v_mov_b32_e32 v35, v17
	v_or_b32_e32 v75, v4, v5
	v_mul_lo_u32 v77, s38, v56
	s_ashr_i32 s68, s33, 31
	s_ashr_i32 s70, s62, 31
	s_add_i32 s71, s7, s6
	v_lshlrev_b32_e32 v16, 1, v2
	v_lshlrev_b32_e32 v79, 2, v0
	v_mov_b32_e32 v80, v40
	s_branch .LBB29_7
.LBB29_4:                               ;   in Loop: Header=BB29_7 Depth=1
	s_or_b64 exec, exec, s[10:11]
.LBB29_5:                               ;   in Loop: Header=BB29_7 Depth=1
	s_or_b64 exec, exec, s[8:9]
	v_subrev_u32_e32 v80, s72, v80
.LBB29_6:                               ;   in Loop: Header=BB29_7 Depth=1
	s_or_b64 exec, exec, s[6:7]
	s_add_i32 s63, s63, 1
	v_cmp_ge_i32_e32 vcc, s63, v54
	s_cbranch_vccnz .LBB29_48
.LBB29_7:                               ; =>This Loop Header: Depth=1
                                        ;     Child Loop BB29_13 Depth 2
                                        ;       Child Loop BB29_15 Depth 3
                                        ;       Child Loop BB29_18 Depth 3
                                        ;     Child Loop BB29_35 Depth 2
                                        ;       Child Loop BB29_37 Depth 3
                                        ;     Child Loop BB29_45 Depth 2
                                        ;       Child Loop BB29_47 Depth 3
	s_abs_i32 s7, s63
	s_mul_hi_u32 s8, s7, s69
	s_mul_i32 s9, s8, s66
	s_ashr_i32 s6, s63, 31
	s_sub_i32 s7, s7, s9
	s_xor_b32 s6, s6, s68
	s_add_i32 s9, s8, 1
	s_sub_i32 s10, s7, s66
	s_cmp_ge_u32 s7, s66
	s_cselect_b32 s8, s9, s8
	s_cselect_b32 s7, s10, s7
	s_add_i32 s9, s8, 1
	s_cmp_ge_u32 s7, s66
	s_cselect_b32 s7, s9, s8
	s_xor_b32 s7, s7, s6
	s_sub_i32 s6, s7, s6
	s_abs_i32 s8, s6
	s_mul_i32 s7, s6, s33
	s_mul_hi_u32 s9, s8, s71
	s_sub_i32 s7, s63, s7
	s_mul_i32 s10, s9, s67
	s_lshl_b32 s73, s7, 5
	s_ashr_i32 s7, s6, 31
	s_sub_i32 s8, s8, s10
	s_xor_b32 s7, s7, s70
	s_add_i32 s10, s9, 1
	s_sub_i32 s11, s8, s67
	s_cmp_ge_u32 s8, s67
	s_cselect_b32 s9, s10, s9
	s_cselect_b32 s8, s11, s8
	s_add_i32 s10, s9, 1
	s_cmp_ge_u32 s8, s67
	s_cselect_b32 s8, s10, s9
	s_xor_b32 s8, s8, s7
	s_sub_i32 s7, s8, s7
	s_mul_i32 s8, s7, s64
	s_lshl_b32 s74, s8, 7
	s_cmp_eq_u32 s7, s40
	s_cselect_b32 s72, s65, s64
	s_sub_i32 s75, s73, s36
	s_add_i32 s75, s75, 32
	s_and_saveexec_b64 s[8:9], s[2:3]
	s_xor_b64 s[52:53], exec, s[8:9]
	s_cbranch_execz .LBB29_41
; %bb.8:                                ;   in Loop: Header=BB29_7 Depth=1
	s_mul_i32 s7, s7, s62
	s_sub_i32 s6, s6, s7
	s_lshl_b32 s6, s6, 5
	s_sub_i32 s14, s6, s37
	s_add_i32 s14, s14, 32
	s_max_i32 s7, s14, 0
	s_sub_i32 s54, s6, s7
	s_and_saveexec_b64 s[6:7], s[0:1]
	s_xor_b64 s[56:57], exec, s[6:7]
	s_cbranch_execz .LBB29_31
; %bb.9:                                ;   in Loop: Header=BB29_7 Depth=1
	s_and_saveexec_b64 s[58:59], s[4:5]
	s_cbranch_execz .LBB29_30
; %bb.10:                               ;   in Loop: Header=BB29_7 Depth=1
	s_waitcnt lgkmcnt(0)
	global_load_dword v81, v17, s[50:51]
	v_mov_b32_e32 v15, 0
	v_cmp_gt_i32_e32 vcc, s72, v80
	v_mov_b32_e32 v14, v15
	v_mov_b32_e32 v13, v15
	;; [unrolled: 1-line block ×15, first 2 shown]
	s_and_saveexec_b64 s[6:7], vcc
	s_cbranch_execz .LBB29_20
; %bb.11:                               ;   in Loop: Header=BB29_7 Depth=1
	v_mov_b32_e32 v0, 0
	s_mov_b64 s[8:9], 0
	v_mov_b32_e32 v1, v0
	v_mov_b32_e32 v2, v0
	;; [unrolled: 1-line block ×15, first 2 shown]
	s_branch .LBB29_13
.LBB29_12:                              ;   in Loop: Header=BB29_13 Depth=2
	s_or_b64 exec, exec, s[10:11]
	v_add_u32_e32 v85, v58, v85
	ds_read2_b32 v[86:87], v85 offset1:32
	v_add_u32_e32 v80, s43, v80
	s_waitcnt lgkmcnt(0)
	v_mfma_f32_32x32x16_fp8_fp8 v[0:15], v[52:53], v[86:87], v[0:15]
	ds_read2_b32 v[52:53], v85 offset0:128 offset1:160
	s_waitcnt lgkmcnt(0)
	v_mfma_f32_32x32x16_fp8_fp8 v[0:15], v[50:51], v[52:53], v[0:15]
	v_add_u32_e32 v52, 0x400, v85
	ds_read2_b32 v[50:51], v52 offset1:32
	s_waitcnt lgkmcnt(0)
	v_mfma_f32_32x32x16_fp8_fp8 v[0:15], v[48:49], v[50:51], v[0:15]
	ds_read2_b32 v[48:49], v52 offset0:128 offset1:160
	s_waitcnt lgkmcnt(0)
	v_mfma_f32_32x32x16_fp8_fp8 v[0:15], v[46:47], v[48:49], v[0:15]
	v_add_u32_e32 v48, 0x800, v85
	ds_read2_b32 v[46:47], v48 offset1:32
	;; [unrolled: 7-line block ×3, first 2 shown]
	ds_read2_b32 v[44:45], v44 offset0:128 offset1:160
	ds_write_b32 v83, v84 offset:40964
	s_waitcnt lgkmcnt(2)
	v_mfma_f32_32x32x16_fp8_fp8 v[0:15], v[40:41], v[42:43], v[0:15]
	v_add_u32_e32 v40, s43, v82
	v_add_u32_e32 v41, 2, v55
	v_cmp_lt_i32_e32 vcc, 4, v40
	s_nop 1
	v_cndmask_b32_e32 v55, v55, v41, vcc
	v_cmp_le_i32_e32 vcc, s72, v80
	s_waitcnt lgkmcnt(1)
	v_mfma_f32_32x32x16_fp8_fp8 v[0:15], v[38:39], v[44:45], v[0:15]
	s_or_b64 s[8:9], vcc, s[8:9]
	s_andn2_b64 exec, exec, s[8:9]
	s_cbranch_execz .LBB29_19
.LBB29_13:                              ;   Parent Loop BB29_7 Depth=1
                                        ; =>  This Loop Header: Depth=2
                                        ;       Child Loop BB29_15 Depth 3
                                        ;       Child Loop BB29_18 Depth 3
	v_cmp_gt_i32_e32 vcc, 5, v40
	s_nop 1
	v_cndmask_b32_e64 v38, -5, 0, vcc
	v_add_u32_e32 v82, v38, v40
	v_lshlrev_b32_e32 v83, 3, v82
	ds_read_b32 v38, v83 offset:40960
	s_waitcnt lgkmcnt(0)
	v_cmp_ne_u32_e32 vcc, v38, v55
	s_and_saveexec_b64 s[10:11], vcc
	s_cbranch_execz .LBB29_16
; %bb.14:                               ;   in Loop: Header=BB29_13 Depth=2
	s_mov_b64 s[12:13], 0
.LBB29_15:                              ;   Parent Loop BB29_7 Depth=1
                                        ;     Parent Loop BB29_13 Depth=2
                                        ; =>    This Inner Loop Header: Depth=3
	;;#ASMSTART
	s_sleep 0
	;;#ASMEND
	ds_read_b32 v38, v83 offset:40960
	s_waitcnt lgkmcnt(0)
	v_cmp_eq_u32_e32 vcc, v38, v55
	s_or_b64 s[12:13], vcc, s[12:13]
	s_andn2_b64 exec, exec, s[12:13]
	s_cbranch_execnz .LBB29_15
.LBB29_16:                              ;   in Loop: Header=BB29_13 Depth=2
	s_or_b64 exec, exec, s[10:11]
	v_lshlrev_b32_e32 v85, 12, v82
	v_or_b32_e32 v38, v57, v85
	v_add_u32_e32 v39, 0x400, v38
	ds_read2_b32 v[52:53], v38 offset1:32
	ds_read2_b32 v[50:51], v38 offset0:128 offset1:160
	ds_read2_b32 v[48:49], v39 offset1:32
	ds_read2_b32 v[46:47], v39 offset0:128 offset1:160
	v_add_u32_e32 v39, 0x800, v38
	v_add_u32_e32 v38, 0xc00, v38
	ds_read2_b32 v[44:45], v39 offset1:32
	ds_read2_b32 v[42:43], v39 offset0:128 offset1:160
	ds_read2_b32 v[40:41], v38 offset1:32
	ds_read_b32 v86, v83 offset:40964
	ds_read2_b32 v[38:39], v38 offset0:128 offset1:160
	v_add_u32_e32 v84, 1, v55
	ds_write_b32 v83, v84 offset:40960
	s_waitcnt lgkmcnt(2)
	v_cmp_ne_u32_e32 vcc, v86, v55
	s_and_saveexec_b64 s[10:11], vcc
	s_cbranch_execz .LBB29_12
; %bb.17:                               ;   in Loop: Header=BB29_13 Depth=2
	s_mov_b64 s[12:13], 0
.LBB29_18:                              ;   Parent Loop BB29_7 Depth=1
                                        ;     Parent Loop BB29_13 Depth=2
                                        ; =>    This Inner Loop Header: Depth=3
	;;#ASMSTART
	s_sleep 0
	;;#ASMEND
	ds_read_b32 v86, v83 offset:40964
	s_waitcnt lgkmcnt(0)
	v_cmp_eq_u32_e32 vcc, v86, v55
	s_or_b64 s[12:13], vcc, s[12:13]
	s_andn2_b64 exec, exec, s[12:13]
	s_cbranch_execnz .LBB29_18
	s_branch .LBB29_12
.LBB29_19:                              ;   in Loop: Header=BB29_7 Depth=1
	s_or_b64 exec, exec, s[8:9]
.LBB29_20:                              ;   in Loop: Header=BB29_7 Depth=1
	s_or_b64 exec, exec, s[6:7]
	v_cmp_le_i32_e32 vcc, s14, v56
	v_cmp_eq_u32_e64 s[6:7], 3, v59
	v_cmp_eq_u32_e64 s[8:9], 4, v59
	s_waitcnt vmcnt(0)
	v_cndmask_b32_e32 v38, 0, v81, vcc
	s_nop 1
	v_pk_mul_f32 v[0:1], v[38:39], v[0:1] op_sel_hi:[0,1]
	v_cmp_eq_u32_e32 vcc, 1, v59
	v_pk_mul_f32 v[14:15], v[38:39], v[14:15] op_sel_hi:[0,1]
	v_pk_mul_f32 v[12:13], v[38:39], v[12:13] op_sel_hi:[0,1]
	v_pk_mul_f32 v[10:11], v[38:39], v[10:11] op_sel_hi:[0,1]
	v_pk_mul_f32 v[8:9], v[38:39], v[8:9] op_sel_hi:[0,1]
	v_pk_mul_f32 v[6:7], v[38:39], v[6:7] op_sel_hi:[0,1]
	v_pk_mul_f32 v[4:5], v[38:39], v[4:5] op_sel_hi:[0,1]
	v_pk_mul_f32 v[2:3], v[38:39], v[2:3] op_sel_hi:[0,1]
	v_cndmask_b32_e32 v38, v0, v1, vcc
	v_cmp_eq_u32_e32 vcc, 2, v59
	v_cmp_eq_u32_e64 s[10:11], 5, v59
	v_cmp_eq_u32_e64 s[12:13], 6, v59
	v_cndmask_b32_e32 v38, v38, v2, vcc
	v_cndmask_b32_e64 v38, v38, v3, s[6:7]
	v_cndmask_b32_e64 v38, v38, v4, s[8:9]
	;; [unrolled: 1-line block ×4, first 2 shown]
	v_cmp_eq_u32_e64 s[14:15], 7, v59
	v_cmp_eq_u32_e64 s[16:17], 8, v59
	v_cmp_eq_u32_e64 s[18:19], 9, v59
	v_cndmask_b32_e64 v38, v38, v7, s[14:15]
	v_cndmask_b32_e64 v38, v38, v8, s[16:17]
	v_cndmask_b32_e64 v38, v38, v9, s[18:19]
	v_cmp_eq_u32_e64 s[20:21], 10, v59
	v_cmp_eq_u32_e64 s[22:23], 11, v59
	v_cmp_eq_u32_e64 s[24:25], 12, v59
	v_cndmask_b32_e64 v38, v38, v10, s[20:21]
	v_cndmask_b32_e64 v38, v38, v11, s[22:23]
	v_cndmask_b32_e64 v38, v38, v12, s[24:25]
	;; [unrolled: 6-line block ×3, first 2 shown]
	ds_bpermute_b32 v38, v79, v38
	v_cmp_eq_u32_e64 s[34:35], 15, v60
	s_waitcnt lgkmcnt(0)
	v_cndmask_b32_e32 v2, v2, v38, vcc
	v_cmp_ne_u32_e32 vcc, 0, v59
	v_cndmask_b32_e64 v15, v15, v38, s[30:31]
	v_cndmask_b32_e64 v14, v14, v38, s[28:29]
	v_cndmask_b32_e32 v1, v1, v38, vcc
	v_cmp_eq_u32_e32 vcc, 0, v59
	v_cndmask_b32_e64 v13, v13, v38, s[26:27]
	v_cndmask_b32_e64 v12, v12, v38, s[24:25]
	v_cndmask_b32_e32 v0, v0, v38, vcc
	v_cmp_eq_u32_e32 vcc, 1, v60
	v_cndmask_b32_e64 v11, v11, v38, s[22:23]
	v_cndmask_b32_e64 v10, v10, v38, s[20:21]
	;; [unrolled: 1-line block ×9, first 2 shown]
	v_cndmask_b32_e32 v38, v0, v1, vcc
	v_cmp_eq_u32_e64 s[6:7], 2, v60
	v_cmp_eq_u32_e64 s[8:9], 3, v60
	v_cmp_eq_u32_e64 s[10:11], 4, v60
	v_cndmask_b32_e64 v38, v38, v2, s[6:7]
	v_cndmask_b32_e64 v38, v38, v3, s[8:9]
	v_cndmask_b32_e64 v38, v38, v4, s[10:11]
	v_cmp_eq_u32_e64 s[12:13], 5, v60
	v_cmp_eq_u32_e64 s[14:15], 6, v60
	v_cmp_eq_u32_e64 s[16:17], 7, v60
	v_cndmask_b32_e64 v38, v38, v5, s[12:13]
	v_cndmask_b32_e64 v38, v38, v6, s[14:15]
	v_cndmask_b32_e64 v38, v38, v7, s[16:17]
	;; [unrolled: 6-line block ×4, first 2 shown]
	v_cmp_eq_u32_e64 s[30:31], 14, v60
	s_nop 1
	v_cndmask_b32_e64 v38, v38, v14, s[30:31]
	v_cndmask_b32_e64 v38, v38, v15, s[34:35]
	ds_bpermute_b32 v38, v79, v38
	s_waitcnt lgkmcnt(0)
	v_cndmask_b32_e32 v1, v1, v38, vcc
	v_cmp_eq_u32_e32 vcc, 0, v60
	v_cndmask_b32_e64 v15, v15, v38, s[34:35]
	v_cndmask_b32_e64 v14, v14, v38, s[30:31]
	v_cndmask_b32_e32 v0, v0, v38, vcc
	v_cmp_eq_u32_e32 vcc, 1, v61
	v_cndmask_b32_e64 v13, v13, v38, s[28:29]
	v_cndmask_b32_e64 v12, v12, v38, s[26:27]
	v_cndmask_b32_e64 v11, v11, v38, s[24:25]
	v_cndmask_b32_e64 v10, v10, v38, s[22:23]
	v_cndmask_b32_e64 v9, v9, v38, s[20:21]
	v_cndmask_b32_e64 v8, v8, v38, s[18:19]
	v_cndmask_b32_e64 v7, v7, v38, s[16:17]
	v_cndmask_b32_e64 v6, v6, v38, s[14:15]
	v_cndmask_b32_e64 v5, v5, v38, s[12:13]
	v_cndmask_b32_e64 v4, v4, v38, s[10:11]
	v_cndmask_b32_e64 v3, v3, v38, s[8:9]
	v_cndmask_b32_e64 v2, v2, v38, s[6:7]
	v_cndmask_b32_e32 v38, v0, v1, vcc
	v_cmp_eq_u32_e64 s[6:7], 2, v61
	v_cmp_eq_u32_e64 s[8:9], 3, v61
	v_cmp_eq_u32_e64 s[10:11], 4, v61
	v_cndmask_b32_e64 v38, v38, v2, s[6:7]
	v_cndmask_b32_e64 v38, v38, v3, s[8:9]
	v_cndmask_b32_e64 v38, v38, v4, s[10:11]
	v_cmp_eq_u32_e64 s[12:13], 5, v61
	v_cmp_eq_u32_e64 s[14:15], 6, v61
	v_cmp_eq_u32_e64 s[16:17], 7, v61
	v_cndmask_b32_e64 v38, v38, v5, s[12:13]
	v_cndmask_b32_e64 v38, v38, v6, s[14:15]
	v_cndmask_b32_e64 v38, v38, v7, s[16:17]
	v_cmp_eq_u32_e64 s[18:19], 8, v61
	v_cmp_eq_u32_e64 s[20:21], 9, v61
	v_cmp_eq_u32_e64 s[22:23], 10, v61
	v_cndmask_b32_e64 v38, v38, v8, s[18:19]
	v_cndmask_b32_e64 v38, v38, v9, s[20:21]
	v_cndmask_b32_e64 v38, v38, v10, s[22:23]
	v_cmp_eq_u32_e64 s[24:25], 11, v61
	v_cmp_eq_u32_e64 s[26:27], 12, v61
	v_cmp_eq_u32_e64 s[28:29], 13, v61
	v_cndmask_b32_e64 v38, v38, v11, s[24:25]
	v_cndmask_b32_e64 v38, v38, v12, s[26:27]
	v_cndmask_b32_e64 v38, v38, v13, s[28:29]
	v_cmp_eq_u32_e64 s[30:31], 14, v61
	v_cmp_eq_u32_e64 s[34:35], 15, v61
	s_nop 0
	v_cndmask_b32_e64 v38, v38, v14, s[30:31]
	v_cndmask_b32_e64 v38, v38, v15, s[34:35]
	ds_bpermute_b32 v38, v79, v38
	s_waitcnt lgkmcnt(0)
	v_cndmask_b32_e32 v1, v1, v38, vcc
	v_cmp_eq_u32_e32 vcc, 0, v61
	v_cndmask_b32_e64 v15, v15, v38, s[34:35]
	v_cndmask_b32_e64 v14, v14, v38, s[30:31]
	v_cndmask_b32_e32 v0, v0, v38, vcc
	v_cmp_eq_u32_e32 vcc, 1, v62
	v_cndmask_b32_e64 v13, v13, v38, s[28:29]
	v_cndmask_b32_e64 v12, v12, v38, s[26:27]
	v_cndmask_b32_e64 v11, v11, v38, s[24:25]
	v_cndmask_b32_e64 v10, v10, v38, s[22:23]
	v_cndmask_b32_e64 v9, v9, v38, s[20:21]
	v_cndmask_b32_e64 v8, v8, v38, s[18:19]
	v_cndmask_b32_e64 v7, v7, v38, s[16:17]
	v_cndmask_b32_e64 v6, v6, v38, s[14:15]
	v_cndmask_b32_e64 v5, v5, v38, s[12:13]
	v_cndmask_b32_e64 v4, v4, v38, s[10:11]
	v_cndmask_b32_e64 v3, v3, v38, s[8:9]
	v_cndmask_b32_e64 v2, v2, v38, s[6:7]
	v_cndmask_b32_e32 v38, v0, v1, vcc
	v_cmp_eq_u32_e64 s[6:7], 2, v62
	v_cmp_eq_u32_e64 s[8:9], 3, v62
	v_cmp_eq_u32_e64 s[10:11], 4, v62
	v_cndmask_b32_e64 v38, v38, v2, s[6:7]
	v_cndmask_b32_e64 v38, v38, v3, s[8:9]
	v_cndmask_b32_e64 v38, v38, v4, s[10:11]
	v_cmp_eq_u32_e64 s[12:13], 5, v62
	v_cmp_eq_u32_e64 s[14:15], 6, v62
	v_cmp_eq_u32_e64 s[16:17], 7, v62
	v_cndmask_b32_e64 v38, v38, v5, s[12:13]
	v_cndmask_b32_e64 v38, v38, v6, s[14:15]
	v_cndmask_b32_e64 v38, v38, v7, s[16:17]
	v_cmp_eq_u32_e64 s[18:19], 8, v62
	v_cmp_eq_u32_e64 s[20:21], 9, v62
	v_cmp_eq_u32_e64 s[22:23], 10, v62
	v_cndmask_b32_e64 v38, v38, v8, s[18:19]
	v_cndmask_b32_e64 v38, v38, v9, s[20:21]
	v_cndmask_b32_e64 v38, v38, v10, s[22:23]
	v_cmp_eq_u32_e64 s[24:25], 11, v62
	v_cmp_eq_u32_e64 s[26:27], 12, v62
	v_cmp_eq_u32_e64 s[28:29], 13, v62
	v_cndmask_b32_e64 v38, v38, v11, s[24:25]
	v_cndmask_b32_e64 v38, v38, v12, s[26:27]
	v_cndmask_b32_e64 v38, v38, v13, s[28:29]
	v_cmp_eq_u32_e64 s[30:31], 14, v62
	v_cmp_eq_u32_e64 s[34:35], 15, v62
	s_nop 0
	v_cndmask_b32_e64 v38, v38, v14, s[30:31]
	v_cndmask_b32_e64 v38, v38, v15, s[34:35]
	ds_bpermute_b32 v38, v79, v38
	s_waitcnt lgkmcnt(0)
	v_cndmask_b32_e32 v1, v1, v38, vcc
	v_cmp_eq_u32_e32 vcc, 0, v62
	v_cndmask_b32_e64 v15, v15, v38, s[34:35]
	v_cndmask_b32_e64 v14, v14, v38, s[30:31]
	v_cndmask_b32_e32 v0, v0, v38, vcc
	v_cmp_eq_u32_e32 vcc, 1, v63
	v_cndmask_b32_e64 v13, v13, v38, s[28:29]
	v_cndmask_b32_e64 v12, v12, v38, s[26:27]
	v_cndmask_b32_e64 v11, v11, v38, s[24:25]
	v_cndmask_b32_e64 v10, v10, v38, s[22:23]
	v_cndmask_b32_e64 v9, v9, v38, s[20:21]
	v_cndmask_b32_e64 v8, v8, v38, s[18:19]
	v_cndmask_b32_e64 v7, v7, v38, s[16:17]
	v_cndmask_b32_e64 v6, v6, v38, s[14:15]
	v_cndmask_b32_e64 v5, v5, v38, s[12:13]
	v_cndmask_b32_e64 v4, v4, v38, s[10:11]
	v_cndmask_b32_e64 v3, v3, v38, s[8:9]
	v_cndmask_b32_e64 v2, v2, v38, s[6:7]
	v_cndmask_b32_e32 v38, v0, v1, vcc
	v_cmp_eq_u32_e64 s[6:7], 2, v63
	v_cmp_eq_u32_e64 s[8:9], 3, v63
	v_cmp_eq_u32_e64 s[10:11], 4, v63
	v_cndmask_b32_e64 v38, v38, v2, s[6:7]
	v_cndmask_b32_e64 v38, v38, v3, s[8:9]
	v_cndmask_b32_e64 v38, v38, v4, s[10:11]
	v_cmp_eq_u32_e64 s[12:13], 5, v63
	v_cmp_eq_u32_e64 s[14:15], 6, v63
	v_cmp_eq_u32_e64 s[16:17], 7, v63
	v_cndmask_b32_e64 v38, v38, v5, s[12:13]
	v_cndmask_b32_e64 v38, v38, v6, s[14:15]
	v_cndmask_b32_e64 v38, v38, v7, s[16:17]
	v_cmp_eq_u32_e64 s[18:19], 8, v63
	v_cmp_eq_u32_e64 s[20:21], 9, v63
	v_cmp_eq_u32_e64 s[22:23], 10, v63
	v_cndmask_b32_e64 v38, v38, v8, s[18:19]
	v_cndmask_b32_e64 v38, v38, v9, s[20:21]
	v_cndmask_b32_e64 v38, v38, v10, s[22:23]
	v_cmp_eq_u32_e64 s[24:25], 11, v63
	v_cmp_eq_u32_e64 s[26:27], 12, v63
	v_cmp_eq_u32_e64 s[28:29], 13, v63
	v_cndmask_b32_e64 v38, v38, v11, s[24:25]
	v_cndmask_b32_e64 v38, v38, v12, s[26:27]
	v_cndmask_b32_e64 v38, v38, v13, s[28:29]
	v_cmp_eq_u32_e64 s[30:31], 14, v63
	v_cmp_eq_u32_e64 s[34:35], 15, v63
	s_nop 0
	v_cndmask_b32_e64 v38, v38, v14, s[30:31]
	v_cndmask_b32_e64 v38, v38, v15, s[34:35]
	ds_bpermute_b32 v38, v79, v38
	s_waitcnt lgkmcnt(0)
	v_cndmask_b32_e32 v1, v1, v38, vcc
	v_cmp_eq_u32_e32 vcc, 0, v63
	v_cndmask_b32_e64 v15, v15, v38, s[34:35]
	v_cndmask_b32_e64 v14, v14, v38, s[30:31]
	v_cndmask_b32_e32 v0, v0, v38, vcc
	v_cmp_eq_u32_e32 vcc, 1, v64
	v_cndmask_b32_e64 v13, v13, v38, s[28:29]
	v_cndmask_b32_e64 v12, v12, v38, s[26:27]
	v_cndmask_b32_e64 v11, v11, v38, s[24:25]
	v_cndmask_b32_e64 v10, v10, v38, s[22:23]
	v_cndmask_b32_e64 v9, v9, v38, s[20:21]
	v_cndmask_b32_e64 v8, v8, v38, s[18:19]
	v_cndmask_b32_e64 v7, v7, v38, s[16:17]
	v_cndmask_b32_e64 v6, v6, v38, s[14:15]
	v_cndmask_b32_e64 v5, v5, v38, s[12:13]
	v_cndmask_b32_e64 v4, v4, v38, s[10:11]
	v_cndmask_b32_e64 v3, v3, v38, s[8:9]
	v_cndmask_b32_e64 v2, v2, v38, s[6:7]
	v_cndmask_b32_e32 v38, v0, v1, vcc
	v_cmp_eq_u32_e64 s[6:7], 2, v64
	v_cmp_eq_u32_e64 s[8:9], 3, v64
	v_cmp_eq_u32_e64 s[10:11], 4, v64
	v_cndmask_b32_e64 v38, v38, v2, s[6:7]
	v_cndmask_b32_e64 v38, v38, v3, s[8:9]
	v_cndmask_b32_e64 v38, v38, v4, s[10:11]
	v_cmp_eq_u32_e64 s[12:13], 5, v64
	v_cmp_eq_u32_e64 s[14:15], 6, v64
	v_cmp_eq_u32_e64 s[16:17], 7, v64
	v_cndmask_b32_e64 v38, v38, v5, s[12:13]
	v_cndmask_b32_e64 v38, v38, v6, s[14:15]
	v_cndmask_b32_e64 v38, v38, v7, s[16:17]
	v_cmp_eq_u32_e64 s[18:19], 8, v64
	v_cmp_eq_u32_e64 s[20:21], 9, v64
	v_cmp_eq_u32_e64 s[22:23], 10, v64
	v_cndmask_b32_e64 v38, v38, v8, s[18:19]
	v_cndmask_b32_e64 v38, v38, v9, s[20:21]
	v_cndmask_b32_e64 v38, v38, v10, s[22:23]
	v_cmp_eq_u32_e64 s[24:25], 11, v64
	v_cmp_eq_u32_e64 s[26:27], 12, v64
	v_cmp_eq_u32_e64 s[28:29], 13, v64
	v_cndmask_b32_e64 v38, v38, v11, s[24:25]
	v_cndmask_b32_e64 v38, v38, v12, s[26:27]
	v_cndmask_b32_e64 v38, v38, v13, s[28:29]
	v_cmp_eq_u32_e64 s[30:31], 14, v64
	v_cmp_eq_u32_e64 s[34:35], 15, v64
	s_nop 0
	v_cndmask_b32_e64 v38, v38, v14, s[30:31]
	v_cndmask_b32_e64 v38, v38, v15, s[34:35]
	ds_bpermute_b32 v38, v79, v38
	s_waitcnt lgkmcnt(0)
	v_cndmask_b32_e32 v1, v1, v38, vcc
	v_cmp_eq_u32_e32 vcc, 0, v64
	v_cndmask_b32_e64 v15, v15, v38, s[34:35]
	v_cndmask_b32_e64 v14, v14, v38, s[30:31]
	;; [unrolled: 1-line block ×14, first 2 shown]
	v_cndmask_b32_e32 v38, v0, v38, vcc
	v_cmp_eq_u32_e32 vcc, 1, v65
	v_cmp_eq_u32_e64 s[6:7], 2, v65
	v_cmp_eq_u32_e64 s[8:9], 3, v65
	v_cndmask_b32_e32 v0, v38, v1, vcc
	v_cndmask_b32_e64 v0, v0, v47, s[6:7]
	v_cndmask_b32_e64 v0, v0, v46, s[8:9]
	v_cmp_eq_u32_e64 s[10:11], 4, v65
	v_cmp_eq_u32_e64 s[12:13], 5, v65
	v_cmp_eq_u32_e64 s[14:15], 6, v65
	v_cndmask_b32_e64 v0, v0, v45, s[10:11]
	v_cndmask_b32_e64 v0, v0, v44, s[12:13]
	v_cndmask_b32_e64 v0, v0, v43, s[14:15]
	v_cmp_eq_u32_e64 s[16:17], 7, v65
	v_cmp_eq_u32_e64 s[18:19], 8, v65
	v_cmp_eq_u32_e64 s[20:21], 9, v65
	v_cndmask_b32_e64 v0, v0, v42, s[16:17]
	;; [unrolled: 6-line block ×4, first 2 shown]
	v_cndmask_b32_e64 v0, v0, v14, s[30:31]
	v_cndmask_b32_e64 v0, v0, v15, s[34:35]
	ds_bpermute_b32 v48, v79, v0
	s_waitcnt lgkmcnt(0)
	v_cndmask_b32_e32 v0, v1, v48, vcc
	v_cmp_eq_u32_e32 vcc, 0, v65
	v_cndmask_b32_e64 v4, v15, v48, s[34:35]
	v_cndmask_b32_e64 v15, v47, v48, s[6:7]
	v_cndmask_b32_e32 v1, v38, v48, vcc
	v_cmp_eq_u32_e32 vcc, 1, v66
	v_cndmask_b32_e64 v5, v14, v48, s[30:31]
	v_cndmask_b32_e64 v14, v46, v48, s[8:9]
	;; [unrolled: 4-line block ×7, first 2 shown]
	v_cndmask_b32_e32 v38, v38, v13, vcc
	v_cmp_eq_u32_e32 vcc, 7, v66
	s_nop 1
	v_cndmask_b32_e32 v38, v38, v12, vcc
	v_cmp_eq_u32_e32 vcc, 8, v66
	s_nop 1
	;; [unrolled: 3-line block ×9, first 2 shown]
	v_cndmask_b32_e32 v38, v38, v4, vcc
	ds_bpermute_b32 v38, v79, v38
	v_cmp_lt_i32_e32 vcc, s75, v67
	s_and_saveexec_b64 s[60:61], vcc
	s_cbranch_execz .LBB29_29
; %bb.21:                               ;   in Loop: Header=BB29_7 Depth=1
	s_mul_i32 s6, s73, s37
	s_ashr_i32 s7, s6, 31
	s_lshl_b64 s[6:7], s[6:7], 1
	v_cmp_eq_u32_e64 s[30:31], 1, v66
	s_add_u32 s8, s48, s6
	s_addc_u32 s9, s49, s7
	s_waitcnt lgkmcnt(0)
	v_cndmask_b32_e64 v0, v0, v38, s[30:31]
	v_cmp_eq_u32_e64 s[30:31], 0, v66
	s_ashr_i32 s55, s54, 31
	s_lshl_b64 s[6:7], s[54:55], 1
	v_cndmask_b32_e64 v1, v1, v38, s[30:31]
	v_cvt_f16_f32_e32 v39, v1
	v_cvt_f16_f32_sdwa v41, v0 dst_sel:WORD_1 dst_unused:UNUSED_PAD src0_sel:DWORD
	s_add_u32 s34, s8, s6
	s_addc_u32 s35, s9, s7
	v_cmp_eq_u32_e64 s[8:9], 15, v66
	v_cmp_eq_u32_e64 s[10:11], 14, v66
	;; [unrolled: 1-line block ×10, first 2 shown]
	v_cmp_eq_u32_e32 vcc, 5, v66
	v_cmp_eq_u32_e64 s[6:7], 4, v66
	v_cmp_eq_u32_e64 s[28:29], 3, v66
	;; [unrolled: 1-line block ×3, first 2 shown]
	v_lshl_add_u64 v[0:1], s[34:35], 0, v[16:17]
	v_cmp_lt_i32_e64 s[34:35], s75, v68
	v_lshl_add_u64 v[42:43], v[18:19], 1, v[0:1]
	v_or_b32_e32 v39, v41, v39
	;;#ASMSTART
	global_atomic_pk_add_f16 v[42:43], v39, off
	
	;;#ASMEND
	s_and_b64 exec, exec, s[34:35]
	s_cbranch_execz .LBB29_29
; %bb.22:                               ;   in Loop: Header=BB29_7 Depth=1
	v_cndmask_b32_e64 v14, v14, v38, s[28:29]
	v_cndmask_b32_e64 v15, v15, v38, s[30:31]
	v_cvt_f16_f32_e32 v39, v15
	v_cvt_f16_f32_sdwa v41, v14 dst_sel:WORD_1 dst_unused:UNUSED_PAD src0_sel:DWORD
	v_cndmask_b32_e64 v4, v4, v38, s[8:9]
	v_cndmask_b32_e64 v5, v5, v38, s[10:11]
	;; [unrolled: 1-line block ×10, first 2 shown]
	v_cndmask_b32_e32 v2, v2, v38, vcc
	v_cndmask_b32_e64 v3, v3, v38, s[6:7]
	v_cmp_lt_i32_e32 vcc, s75, v69
	v_lshl_add_u64 v[14:15], v[20:21], 1, v[0:1]
	v_or_b32_e32 v38, v41, v39
	;;#ASMSTART
	global_atomic_pk_add_f16 v[14:15], v38, off
	
	;;#ASMEND
	s_and_b64 exec, exec, vcc
	s_cbranch_execz .LBB29_29
; %bb.23:                               ;   in Loop: Header=BB29_7 Depth=1
	v_cvt_f16_f32_e32 v14, v3
	v_cvt_f16_f32_sdwa v15, v2 dst_sel:WORD_1 dst_unused:UNUSED_PAD src0_sel:DWORD
	v_cmp_lt_i32_e32 vcc, s75, v70
	v_lshl_add_u64 v[2:3], v[22:23], 1, v[0:1]
	v_or_b32_e32 v14, v15, v14
	;;#ASMSTART
	global_atomic_pk_add_f16 v[2:3], v14, off
	
	;;#ASMEND
	s_and_b64 exec, exec, vcc
	s_cbranch_execz .LBB29_29
; %bb.24:                               ;   in Loop: Header=BB29_7 Depth=1
	v_cvt_f16_f32_e32 v13, v13
	v_cvt_f16_f32_sdwa v12, v12 dst_sel:WORD_1 dst_unused:UNUSED_PAD src0_sel:DWORD
	;; [unrolled: 12-line block ×6, first 2 shown]
	v_lshl_add_u64 v[0:1], v[32:33], 1, v[0:1]
	v_or_b32_e32 v2, v3, v2
	;;#ASMSTART
	global_atomic_pk_add_f16 v[0:1], v2, off
	
	;;#ASMEND
.LBB29_29:                              ;   in Loop: Header=BB29_7 Depth=1
	s_or_b64 exec, exec, s[60:61]
	v_subrev_u32_e32 v80, s72, v80
.LBB29_30:                              ;   in Loop: Header=BB29_7 Depth=1
	s_or_b64 exec, exec, s[58:59]
.LBB29_31:                              ;   in Loop: Header=BB29_7 Depth=1
	s_andn2_saveexec_b64 s[6:7], s[56:57]
	s_cbranch_execz .LBB29_40
; %bb.32:                               ;   in Loop: Header=BB29_7 Depth=1
	v_cmp_gt_i32_e32 vcc, s72, v80
	s_and_saveexec_b64 s[8:9], vcc
	s_cbranch_execz .LBB29_39
; %bb.33:                               ;   in Loop: Header=BB29_7 Depth=1
	s_mul_i32 s10, s54, s39
	s_ashr_i32 s11, s10, 31
	s_waitcnt lgkmcnt(0)
	s_add_u32 s10, s46, s10
	s_addc_u32 s11, s47, s11
	s_ashr_i32 s12, s74, 31
	s_add_u32 s10, s10, s74
	s_addc_u32 s11, s11, s12
	v_lshl_add_u64 v[0:1], s[10:11], 0, v[36:37]
	v_lshl_add_u64 v[38:39], v[0:1], 0, v[34:35]
	s_mov_b64 s[10:11], 0
	s_branch .LBB29_35
.LBB29_34:                              ;   in Loop: Header=BB29_35 Depth=2
	s_or_b64 exec, exec, s[12:13]
	v_lshl_add_u32 v42, v40, 12, v75
	;;#ASMSTART
	s_waitcnt vmcnt(3)
	;;#ASMEND
	ds_write2_b32 v42, v12, v13 offset1:32
	ds_write2_b32 v42, v14, v15 offset0:64 offset1:96
	v_add_u32_e32 v12, 0x400, v42
	;;#ASMSTART
	s_waitcnt vmcnt(2)
	;;#ASMEND
	ds_write2_b32 v12, v8, v9 offset1:32
	ds_write2_b32 v12, v10, v11 offset0:64 offset1:96
	v_add_u32_e32 v8, 0x800, v42
	;; [unrolled: 6-line block ×3, first 2 shown]
	v_add_u32_e32 v80, s42, v80
	;;#ASMSTART
	s_waitcnt vmcnt(0)
	;;#ASMEND
	ds_write2_b32 v4, v0, v1 offset1:32
	ds_write2_b32 v4, v2, v3 offset0:64 offset1:96
	v_add_u32_e32 v0, 1, v55
	v_add_u32_e32 v40, s42, v40
	v_cmp_le_i32_e32 vcc, s72, v80
	ds_write_b32 v41, v0 offset:20
	v_add_u32_e32 v0, 2, v55
	s_or_b64 s[10:11], vcc, s[10:11]
	v_cmp_lt_i32_e32 vcc, 4, v40
	s_nop 1
	v_cndmask_b32_e32 v55, v55, v0, vcc
	s_andn2_b64 exec, exec, s[10:11]
	s_cbranch_execz .LBB29_38
.LBB29_35:                              ;   Parent Loop BB29_7 Depth=1
                                        ; =>  This Loop Header: Depth=2
                                        ;       Child Loop BB29_37 Depth 3
	v_cmp_gt_i32_e32 vcc, 5, v40
	s_nop 1
	v_cndmask_b32_e64 v0, -5, 0, vcc
	v_add_u32_e32 v40, v0, v40
	v_lshlrev_b32_e32 v0, 7, v80
	v_ashrrev_i32_e32 v1, 31, v0
	v_lshl_add_u64 v[0:1], v[38:39], 0, v[0:1]
	v_lshlrev_b32_e32 v41, 2, v40
	;;#ASMSTART
	global_load_dwordx4 v[12:15], v[0:1], off offset:0   sc0 sc1 nt  
	global_load_dwordx4 v[8:11], v[0:1], off offset:32  sc0 sc1 nt  
	global_load_dwordx4 v[4:7], v[0:1], off offset:64  sc0 sc1 nt  
	;; [unrolled: 1-line block ×3, first 2 shown]
	
	;;#ASMEND
	ds_read_b32 v42, v41 offset:40980
	v_add_u32_e32 v41, 0xa000, v41
	s_waitcnt lgkmcnt(0)
	v_cmp_ne_u32_e32 vcc, v42, v55
	s_and_saveexec_b64 s[12:13], vcc
	s_cbranch_execz .LBB29_34
; %bb.36:                               ;   in Loop: Header=BB29_35 Depth=2
	s_mov_b64 s[14:15], 0
.LBB29_37:                              ;   Parent Loop BB29_7 Depth=1
                                        ;     Parent Loop BB29_35 Depth=2
                                        ; =>    This Inner Loop Header: Depth=3
	;;#ASMSTART
	s_sleep 0
	;;#ASMEND
	ds_read_b32 v42, v41 offset:20
	s_waitcnt lgkmcnt(0)
	v_cmp_eq_u32_e32 vcc, v42, v55
	s_or_b64 s[14:15], vcc, s[14:15]
	s_andn2_b64 exec, exec, s[14:15]
	s_cbranch_execnz .LBB29_37
	s_branch .LBB29_34
.LBB29_38:                              ;   in Loop: Header=BB29_7 Depth=1
	s_or_b64 exec, exec, s[10:11]
.LBB29_39:                              ;   in Loop: Header=BB29_7 Depth=1
	s_or_b64 exec, exec, s[8:9]
	v_subrev_u32_e32 v80, s72, v80
.LBB29_40:                              ;   in Loop: Header=BB29_7 Depth=1
	s_or_b64 exec, exec, s[6:7]
.LBB29_41:                              ;   in Loop: Header=BB29_7 Depth=1
	s_andn2_saveexec_b64 s[6:7], s[52:53]
	s_cbranch_execz .LBB29_6
; %bb.42:                               ;   in Loop: Header=BB29_7 Depth=1
	v_cmp_gt_i32_e32 vcc, s72, v80
	s_and_saveexec_b64 s[8:9], vcc
	s_cbranch_execz .LBB29_5
; %bb.43:                               ;   in Loop: Header=BB29_7 Depth=1
	s_mul_i32 s73, s73, s38
	s_ashr_i32 s10, s73, 31
	s_waitcnt lgkmcnt(0)
	s_add_u32 s11, s44, s73
	s_addc_u32 s12, s45, s10
	s_ashr_i32 s13, s74, 31
	v_cmp_le_i32_e32 vcc, s75, v76
	s_add_u32 s10, s11, s74
	s_addc_u32 s11, s12, s13
	v_cndmask_b32_e32 v0, 0, v77, vcc
	v_ashrrev_i32_e32 v1, 31, v0
	v_lshl_add_u64 v[0:1], s[10:11], 0, v[0:1]
	v_lshl_add_u64 v[38:39], v[0:1], 0, v[34:35]
	s_mov_b64 s[10:11], 0
	s_branch .LBB29_45
.LBB29_44:                              ;   in Loop: Header=BB29_45 Depth=2
	s_or_b64 exec, exec, s[12:13]
	v_lshl_or_b32 v42, v40, 12, v78
	;;#ASMSTART
	s_waitcnt vmcnt(3)
	;;#ASMEND
	ds_write2_b32 v42, v12, v13 offset1:32
	ds_write2_b32 v42, v14, v15 offset0:64 offset1:96
	v_add_u32_e32 v12, 0x400, v42
	;;#ASMSTART
	s_waitcnt vmcnt(2)
	;;#ASMEND
	ds_write2_b32 v12, v8, v9 offset1:32
	ds_write2_b32 v12, v10, v11 offset0:64 offset1:96
	v_add_u32_e32 v8, 0x800, v42
	;; [unrolled: 6-line block ×3, first 2 shown]
	v_add_u32_e32 v80, s41, v80
	;;#ASMSTART
	s_waitcnt vmcnt(0)
	;;#ASMEND
	ds_write2_b32 v4, v0, v1 offset1:32
	ds_write2_b32 v4, v2, v3 offset0:64 offset1:96
	v_add_u32_e32 v0, 1, v55
	v_add_u32_e32 v40, s41, v40
	v_cmp_le_i32_e32 vcc, s72, v80
	ds_write_b32 v41, v0
	v_add_u32_e32 v0, 2, v55
	s_or_b64 s[10:11], vcc, s[10:11]
	v_cmp_lt_i32_e32 vcc, 4, v40
	s_nop 1
	v_cndmask_b32_e32 v55, v55, v0, vcc
	s_andn2_b64 exec, exec, s[10:11]
	s_cbranch_execz .LBB29_4
.LBB29_45:                              ;   Parent Loop BB29_7 Depth=1
                                        ; =>  This Loop Header: Depth=2
                                        ;       Child Loop BB29_47 Depth 3
	v_cmp_gt_i32_e32 vcc, 5, v40
	s_nop 1
	v_cndmask_b32_e64 v0, -5, 0, vcc
	v_add_u32_e32 v40, v0, v40
	v_lshlrev_b32_e32 v0, 7, v80
	v_ashrrev_i32_e32 v1, 31, v0
	v_lshl_add_u64 v[0:1], v[38:39], 0, v[0:1]
	v_lshlrev_b32_e32 v41, 2, v40
	;;#ASMSTART
	global_load_dwordx4 v[12:15], v[0:1], off offset:0   
	global_load_dwordx4 v[8:11], v[0:1], off offset:32  
	;; [unrolled: 1-line block ×4, first 2 shown]
	
	;;#ASMEND
	ds_read_b32 v42, v41 offset:40960
	v_add_u32_e32 v41, 0xa000, v41
	s_waitcnt lgkmcnt(0)
	v_cmp_ne_u32_e32 vcc, v42, v55
	s_and_saveexec_b64 s[12:13], vcc
	s_cbranch_execz .LBB29_44
; %bb.46:                               ;   in Loop: Header=BB29_45 Depth=2
	s_mov_b64 s[14:15], 0
.LBB29_47:                              ;   Parent Loop BB29_7 Depth=1
                                        ;     Parent Loop BB29_45 Depth=2
                                        ; =>    This Inner Loop Header: Depth=3
	;;#ASMSTART
	s_sleep 0
	;;#ASMEND
	ds_read_b32 v42, v41
	s_waitcnt lgkmcnt(0)
	v_cmp_eq_u32_e32 vcc, v42, v55
	s_or_b64 s[14:15], vcc, s[14:15]
	s_andn2_b64 exec, exec, s[14:15]
	s_cbranch_execnz .LBB29_47
	s_branch .LBB29_44
.LBB29_48:
	s_endpgm
	.section	.rodata,"a",@progbits
	.p2align	6, 0x0
	.amdhsa_kernel _Z19_skinny_gemm_kernelILi1ELi1ELi5ELi32ELi8EEvPKhS1_P6__halfPKfiiiiiiii
		.amdhsa_group_segment_fixed_size 41000
		.amdhsa_private_segment_fixed_size 0
		.amdhsa_kernarg_size 64
		.amdhsa_user_sgpr_count 2
		.amdhsa_user_sgpr_dispatch_ptr 0
		.amdhsa_user_sgpr_queue_ptr 0
		.amdhsa_user_sgpr_kernarg_segment_ptr 1
		.amdhsa_user_sgpr_dispatch_id 0
		.amdhsa_user_sgpr_kernarg_preload_length 0
		.amdhsa_user_sgpr_kernarg_preload_offset 0
		.amdhsa_user_sgpr_private_segment_size 0
		.amdhsa_uses_dynamic_stack 0
		.amdhsa_enable_private_segment 0
		.amdhsa_system_sgpr_workgroup_id_x 1
		.amdhsa_system_sgpr_workgroup_id_y 0
		.amdhsa_system_sgpr_workgroup_id_z 0
		.amdhsa_system_sgpr_workgroup_info 0
		.amdhsa_system_vgpr_workitem_id 0
		.amdhsa_next_free_vgpr 88
		.amdhsa_next_free_sgpr 76
		.amdhsa_accum_offset 88
		.amdhsa_reserve_vcc 1
		.amdhsa_float_round_mode_32 0
		.amdhsa_float_round_mode_16_64 0
		.amdhsa_float_denorm_mode_32 3
		.amdhsa_float_denorm_mode_16_64 3
		.amdhsa_dx10_clamp 1
		.amdhsa_ieee_mode 1
		.amdhsa_fp16_overflow 0
		.amdhsa_tg_split 0
		.amdhsa_exception_fp_ieee_invalid_op 0
		.amdhsa_exception_fp_denorm_src 0
		.amdhsa_exception_fp_ieee_div_zero 0
		.amdhsa_exception_fp_ieee_overflow 0
		.amdhsa_exception_fp_ieee_underflow 0
		.amdhsa_exception_fp_ieee_inexact 0
		.amdhsa_exception_int_div_zero 0
	.end_amdhsa_kernel
	.section	.text._Z19_skinny_gemm_kernelILi1ELi1ELi5ELi32ELi8EEvPKhS1_P6__halfPKfiiiiiiii,"axG",@progbits,_Z19_skinny_gemm_kernelILi1ELi1ELi5ELi32ELi8EEvPKhS1_P6__halfPKfiiiiiiii,comdat
.Lfunc_end29:
	.size	_Z19_skinny_gemm_kernelILi1ELi1ELi5ELi32ELi8EEvPKhS1_P6__halfPKfiiiiiiii, .Lfunc_end29-_Z19_skinny_gemm_kernelILi1ELi1ELi5ELi32ELi8EEvPKhS1_P6__halfPKfiiiiiiii
                                        ; -- End function
	.set _Z19_skinny_gemm_kernelILi1ELi1ELi5ELi32ELi8EEvPKhS1_P6__halfPKfiiiiiiii.num_vgpr, 88
	.set _Z19_skinny_gemm_kernelILi1ELi1ELi5ELi32ELi8EEvPKhS1_P6__halfPKfiiiiiiii.num_agpr, 0
	.set _Z19_skinny_gemm_kernelILi1ELi1ELi5ELi32ELi8EEvPKhS1_P6__halfPKfiiiiiiii.numbered_sgpr, 76
	.set _Z19_skinny_gemm_kernelILi1ELi1ELi5ELi32ELi8EEvPKhS1_P6__halfPKfiiiiiiii.num_named_barrier, 0
	.set _Z19_skinny_gemm_kernelILi1ELi1ELi5ELi32ELi8EEvPKhS1_P6__halfPKfiiiiiiii.private_seg_size, 0
	.set _Z19_skinny_gemm_kernelILi1ELi1ELi5ELi32ELi8EEvPKhS1_P6__halfPKfiiiiiiii.uses_vcc, 1
	.set _Z19_skinny_gemm_kernelILi1ELi1ELi5ELi32ELi8EEvPKhS1_P6__halfPKfiiiiiiii.uses_flat_scratch, 0
	.set _Z19_skinny_gemm_kernelILi1ELi1ELi5ELi32ELi8EEvPKhS1_P6__halfPKfiiiiiiii.has_dyn_sized_stack, 0
	.set _Z19_skinny_gemm_kernelILi1ELi1ELi5ELi32ELi8EEvPKhS1_P6__halfPKfiiiiiiii.has_recursion, 0
	.set _Z19_skinny_gemm_kernelILi1ELi1ELi5ELi32ELi8EEvPKhS1_P6__halfPKfiiiiiiii.has_indirect_call, 0
	.section	.AMDGPU.csdata,"",@progbits
; Kernel info:
; codeLenInByte = 6340
; TotalNumSgprs: 82
; NumVgprs: 88
; NumAgprs: 0
; TotalNumVgprs: 88
; ScratchSize: 0
; MemoryBound: 0
; FloatMode: 240
; IeeeMode: 1
; LDSByteSize: 41000 bytes/workgroup (compile time only)
; SGPRBlocks: 10
; VGPRBlocks: 10
; NumSGPRsForWavesPerEU: 82
; NumVGPRsForWavesPerEU: 88
; AccumOffset: 88
; Occupancy: 5
; WaveLimiterHint : 0
; COMPUTE_PGM_RSRC2:SCRATCH_EN: 0
; COMPUTE_PGM_RSRC2:USER_SGPR: 2
; COMPUTE_PGM_RSRC2:TRAP_HANDLER: 0
; COMPUTE_PGM_RSRC2:TGID_X_EN: 1
; COMPUTE_PGM_RSRC2:TGID_Y_EN: 0
; COMPUTE_PGM_RSRC2:TGID_Z_EN: 0
; COMPUTE_PGM_RSRC2:TIDIG_COMP_CNT: 0
; COMPUTE_PGM_RSRC3_GFX90A:ACCUM_OFFSET: 21
; COMPUTE_PGM_RSRC3_GFX90A:TG_SPLIT: 0
	.section	.text._Z19_skinny_gemm_kernelILi1ELi1ELi6ELi8ELi4EEvPKhS1_P6__halfPKfiiiiiiii,"axG",@progbits,_Z19_skinny_gemm_kernelILi1ELi1ELi6ELi8ELi4EEvPKhS1_P6__halfPKfiiiiiiii,comdat
	.protected	_Z19_skinny_gemm_kernelILi1ELi1ELi6ELi8ELi4EEvPKhS1_P6__halfPKfiiiiiiii ; -- Begin function _Z19_skinny_gemm_kernelILi1ELi1ELi6ELi8ELi4EEvPKhS1_P6__halfPKfiiiiiiii
	.globl	_Z19_skinny_gemm_kernelILi1ELi1ELi6ELi8ELi4EEvPKhS1_P6__halfPKfiiiiiiii
	.p2align	8
	.type	_Z19_skinny_gemm_kernelILi1ELi1ELi6ELi8ELi4EEvPKhS1_P6__halfPKfiiiiiiii,@function
_Z19_skinny_gemm_kernelILi1ELi1ELi6ELi8ELi4EEvPKhS1_P6__halfPKfiiiiiiii: ; @_Z19_skinny_gemm_kernelILi1ELi1ELi6ELi8ELi4EEvPKhS1_P6__halfPKfiiiiiiii
; %bb.0:
	v_cmp_gt_u32_e32 vcc, 12, v0
	v_lshlrev_b32_e32 v1, 2, v0
	s_and_saveexec_b64 s[4:5], vcc
; %bb.1:
	v_mov_b32_e32 v2, 0
	ds_write_b32 v1, v2 offset:36864
; %bb.2:
	s_or_b64 exec, exec, s[4:5]
	s_load_dwordx8 s[8:15], s[0:1], 0x20
	s_waitcnt lgkmcnt(0)
	s_barrier
	s_add_i32 s3, s8, 7
	s_ashr_i32 s5, s3, 31
	s_add_i32 s4, s9, 15
	s_lshr_b32 s5, s5, 29
	s_ashr_i32 s6, s4, 31
	s_add_i32 s3, s3, s5
	s_ashr_i32 s33, s3, 3
	s_lshr_b32 s3, s6, 28
	s_add_i32 s4, s4, s3
	s_ashr_i32 s42, s4, 4
	s_mul_i32 s3, s42, s33
	s_mul_i32 s3, s3, s12
	s_add_i32 s4, s3, 0x12f
	s_mul_hi_i32 s4, s4, 0x6bca1af3
	s_lshr_b32 s5, s4, 31
	s_ashr_i32 s4, s4, 7
	s_add_i32 s4, s4, s5
	s_add_i32 s5, s2, 1
	s_mul_i32 s5, s4, s5
	v_cvt_f64_i32_e32 v[2:3], s3
	v_cvt_f64_u32_e32 v[4:5], s5
	v_min_f64 v[2:3], v[2:3], v[4:5]
	v_cvt_i32_f64_e32 v17, v[2:3]
	s_mul_i32 s43, s4, s2
	v_cmp_ge_i32_e32 vcc, s43, v17
	s_cbranch_vccnz .LBB30_41
; %bb.3:
	v_lshrrev_b32_e32 v2, 6, v0
	s_add_i32 s4, s14, s13
	s_load_dwordx8 s[16:23], s[0:1], 0x0
	v_cmp_le_i32_e64 s[0:1], s4, v2
	v_mov_b32_e32 v3, s13
	v_cmp_le_i32_e64 s[2:3], s13, v2
	v_mov_b32_e32 v4, s14
	v_cndmask_b32_e64 v4, 0, v4, s[0:1]
	v_cndmask_b32_e64 v3, 0, v3, s[2:3]
	s_abs_i32 s5, s12
	v_add_u32_e32 v3, v3, v4
	v_cvt_f32_u32_e32 v4, s5
	v_sub_u32_e32 v6, v2, v3
	s_ashr_i32 s6, s10, 31
	s_lshr_b32 s6, s6, 24
	v_rcp_iflag_f32_e32 v3, v4
	s_sub_i32 s26, 0, s5
	s_add_i32 s6, s10, s6
	s_ashr_i32 s6, s6, 8
	v_mul_f32_e32 v3, 0x4f7ffffe, v3
	v_cvt_u32_f32_e32 v3, v3
	s_abs_i32 s25, s6
	s_xor_b32 s24, s6, s12
	s_ashr_i32 s24, s24, 31
	v_readfirstlane_b32 s27, v3
	s_mul_i32 s26, s26, s27
	s_mul_hi_u32 s26, s27, s26
	s_add_i32 s27, s27, s26
	s_mul_hi_u32 s26, s25, s27
	s_mul_i32 s27, s26, s5
	s_sub_i32 s25, s25, s27
	s_add_i32 s27, s26, 1
	s_sub_i32 s28, s25, s5
	s_cmp_ge_u32 s25, s5
	s_cselect_b32 s26, s27, s26
	s_cselect_b32 s25, s28, s25
	s_add_i32 s27, s26, 1
	s_cmp_ge_u32 s25, s5
	s_cselect_b32 s5, s27, s26
	s_xor_b32 s5, s5, s24
	s_sub_i32 s44, s5, s24
	s_add_i32 s12, s12, -1
	s_mul_i32 s5, s44, s12
	s_add_i32 s4, s4, s15
	s_sub_i32 s45, s6, s5
	v_cmp_gt_i32_e64 s[4:5], s4, v2
	v_and_b32_e32 v2, 1, v0
	v_lshlrev_b32_e32 v3, 1, v0
	v_and_b32_e32 v3, 0x7c, v3
	v_lshlrev_b32_e32 v4, 8, v2
	v_lshlrev_b32_e32 v5, 4, v0
	s_movk_i32 s24, 0x6000
	s_movk_i32 s6, 0x7c
	v_and_b32_e32 v7, 0x200, v5
	v_or3_b32 v32, v3, v4, s24
	v_lshrrev_b32_e32 v3, 3, v0
	v_cmp_eq_u32_e32 vcc, 0, v2
	v_and_or_b32 v33, v1, s6, v7
	v_lshlrev_b32_e32 v1, 1, v2
	v_and_or_b32 v2, v3, 6, v2
	v_sub_u32_e32 v35, 8, v2
	v_mul_lo_u32 v18, s9, v2
	v_bfe_u32 v2, v0, 2, 4
	v_lshlrev_b32_e32 v4, 8, v0
	v_lshlrev_b32_e32 v7, 6, v0
	v_mul_lo_u32 v24, s11, v2
	v_and_b32_e32 v2, 60, v0
	v_and_b32_e32 v4, 0x200, v4
	;; [unrolled: 1-line block ×3, first 2 shown]
	s_abs_i32 s46, s33
	v_or3_b32 v36, v2, v4, v7
	v_cvt_f32_u32_e32 v7, s46
	v_lshlrev_b32_e32 v4, 7, v0
	v_and_b32_e32 v16, 14, v0
	v_bitop3_b32 v34, v0, 1, v0 bitop3:0xc
	v_sub_u32_e32 v1, v0, v1
	v_bfe_u32 v2, v0, 3, 3
	v_and_b32_e32 v4, 0x200, v4
	v_lshlrev_b32_e32 v0, 5, v0
	v_lshl_or_b32 v4, v2, 2, v4
	v_and_b32_e32 v0, 0x60, v0
	v_or3_b32 v37, v4, v0, s24
	v_rcp_iflag_f32_e32 v0, v7
	s_abs_i32 s47, s42
	v_mul_lo_u32 v39, s10, v2
	v_cvt_f32_u32_e32 v2, s47
	v_mul_f32_e32 v0, 0x4f7ffffe, v0
	v_cvt_u32_f32_e32 v0, v0
	s_sub_i32 s24, 0, s46
	v_rcp_iflag_f32_e32 v2, v2
	v_add_u32_e32 v1, 1, v1
	v_readfirstlane_b32 s25, v0
	s_mul_i32 s24, s24, s25
	v_mul_f32_e32 v0, 0x4f7ffffe, v2
	v_cvt_u32_f32_e32 v0, v0
	s_mul_hi_u32 s24, s25, s24
	s_add_i32 s49, s25, s24
	s_sub_i32 s24, 0, s47
	v_readfirstlane_b32 s25, v0
	v_mbcnt_lo_u32_b32 v0, -1, 0
	v_and_b32_e32 v1, 63, v1
	s_mul_i32 s24, s24, s25
	v_mbcnt_hi_u32_b32 v0, -1, v0
	v_mov_b32_e32 v8, 0xeeee
	v_mov_b32_e32 v9, 0x4444
	;; [unrolled: 1-line block ×3, first 2 shown]
	s_mul_hi_u32 s24, s25, s24
	v_and_or_b32 v0, v0, 64, v1
	v_cndmask_b32_e64 v30, 0, 1, s[0:1]
	s_mov_b32 s7, 0
	v_cndmask_b32_e32 v31, v8, v9, vcc
	v_ashrrev_i32_e32 v19, 31, v18
	v_and_b32_e32 v22, 48, v5
	v_ashrrev_i32_e32 v25, 31, v24
	v_mov_b32_e32 v23, v21
	v_bitop3_b32 v38, v3, 7, v3 bitop3:0xc
	v_and_b32_e32 v26, 0x70, v5
	v_mov_b32_e32 v27, v21
	s_lshl_b32 s6, s13, 8
	s_ashr_i32 s48, s33, 31
	s_ashr_i32 s50, s42, 31
	s_add_i32 s51, s25, s24
	v_lshlrev_b32_e32 v40, 2, v0
	v_lshlrev_b32_e32 v20, 1, v16
	v_mov_b32_e32 v41, v6
	s_branch .LBB30_7
.LBB30_4:                               ;   in Loop: Header=BB30_7 Depth=1
	s_or_b64 exec, exec, s[28:29]
.LBB30_5:                               ;   in Loop: Header=BB30_7 Depth=1
	s_or_b64 exec, exec, s[26:27]
	v_subrev_u32_e32 v41, s52, v41
.LBB30_6:                               ;   in Loop: Header=BB30_7 Depth=1
	s_or_b64 exec, exec, s[24:25]
	s_add_i32 s43, s43, 1
	v_cmp_ge_i32_e32 vcc, s43, v17
	s_cbranch_vccnz .LBB30_41
.LBB30_7:                               ; =>This Loop Header: Depth=1
                                        ;     Child Loop BB30_13 Depth 2
                                        ;       Child Loop BB30_15 Depth 3
                                        ;       Child Loop BB30_18 Depth 3
                                        ;     Child Loop BB30_28 Depth 2
                                        ;       Child Loop BB30_30 Depth 3
                                        ;     Child Loop BB30_38 Depth 2
                                        ;       Child Loop BB30_40 Depth 3
	s_abs_i32 s25, s43
	s_mul_hi_u32 s26, s25, s49
	s_mul_i32 s27, s26, s46
	s_ashr_i32 s24, s43, 31
	s_sub_i32 s25, s25, s27
	s_xor_b32 s24, s24, s48
	s_add_i32 s27, s26, 1
	s_sub_i32 s28, s25, s46
	s_cmp_ge_u32 s25, s46
	s_cselect_b32 s26, s27, s26
	s_cselect_b32 s25, s28, s25
	s_add_i32 s27, s26, 1
	s_cmp_ge_u32 s25, s46
	s_cselect_b32 s25, s27, s26
	s_xor_b32 s25, s25, s24
	s_sub_i32 s26, s25, s24
	s_abs_i32 s25, s26
	s_mul_i32 s24, s26, s33
	s_mul_hi_u32 s27, s25, s51
	s_sub_i32 s24, s43, s24
	s_mul_i32 s28, s27, s47
	s_lshl_b32 s53, s24, 3
	s_ashr_i32 s24, s26, 31
	s_sub_i32 s25, s25, s28
	s_xor_b32 s24, s24, s50
	s_add_i32 s28, s27, 1
	s_sub_i32 s29, s25, s47
	s_cmp_ge_u32 s25, s47
	s_cselect_b32 s27, s28, s27
	s_cselect_b32 s25, s29, s25
	s_add_i32 s28, s27, 1
	s_cmp_ge_u32 s25, s47
	s_cselect_b32 s25, s28, s27
	s_xor_b32 s25, s25, s24
	s_sub_i32 s27, s25, s24
	s_mul_i32 s24, s27, s44
	s_lshl_b32 s54, s24, 8
	s_cmp_eq_u32 s27, s12
	s_cselect_b32 s52, s45, s44
	s_sub_i32 s55, s53, s8
	s_add_i32 s55, s55, 8
	s_and_saveexec_b64 s[24:25], s[2:3]
	s_xor_b64 s[24:25], exec, s[24:25]
	s_cbranch_execz .LBB30_34
; %bb.8:                                ;   in Loop: Header=BB30_7 Depth=1
	s_mul_i32 s27, s27, s42
	s_sub_i32 s26, s26, s27
	s_lshl_b32 s26, s26, 4
	s_sub_i32 s27, s26, s9
	s_add_i32 s27, s27, 16
	s_max_i32 s28, s27, 0
	s_sub_i32 s26, s26, s28
	s_and_saveexec_b64 s[28:29], s[0:1]
	s_xor_b64 s[28:29], exec, s[28:29]
	s_cbranch_execz .LBB30_24
; %bb.9:                                ;   in Loop: Header=BB30_7 Depth=1
	s_and_saveexec_b64 s[30:31], s[4:5]
	s_cbranch_execz .LBB30_23
; %bb.10:                               ;   in Loop: Header=BB30_7 Depth=1
	s_waitcnt lgkmcnt(0)
	global_load_dword v12, v21, s[22:23]
	v_mov_b32_e32 v3, 0
	v_cmp_gt_i32_e32 vcc, s52, v41
	v_mov_b32_e32 v2, v3
	v_mov_b32_e32 v1, v3
	;; [unrolled: 1-line block ×3, first 2 shown]
	s_and_saveexec_b64 s[34:35], vcc
	s_cbranch_execz .LBB30_20
; %bb.11:                               ;   in Loop: Header=BB30_7 Depth=1
	v_mov_b32_e32 v0, 0
	s_mov_b64 s[36:37], 0
	v_mov_b32_e32 v1, v0
	v_mov_b32_e32 v2, v0
	;; [unrolled: 1-line block ×3, first 2 shown]
	s_branch .LBB30_13
.LBB30_12:                              ;   in Loop: Header=BB30_13 Depth=2
	s_or_b64 exec, exec, s[38:39]
	v_lshl_or_b32 v28, v13, 12, v33
	ds_read2_b32 v[42:43], v28 offset1:32
	ds_read2_b32 v[44:45], v28 offset0:64 offset1:96
	v_add_u32_e32 v29, 0x400, v28
	ds_read2_b32 v[46:47], v29 offset1:32
	ds_read2_b32 v[48:49], v29 offset0:64 offset1:96
	v_add_u32_e32 v41, s15, v41
	v_cmp_le_i32_e32 vcc, s52, v41
	s_waitcnt lgkmcnt(2)
	v_smfmac_f32_16x16x64_fp8_fp8 v[0:3], v[10:11], v[42:45], v31 cbsz:7 abid:1
	v_add_u32_e32 v10, 0x800, v28
	ds_read2_b32 v[42:43], v10 offset1:32
	ds_read2_b32 v[44:45], v10 offset0:64 offset1:96
	v_add_u32_e32 v10, 0xc00, v28
	s_waitcnt lgkmcnt(2)
	v_smfmac_f32_16x16x64_fp8_fp8 v[0:3], v[8:9], v[46:49], v31 cbsz:7 abid:1
	ds_read2_b32 v[8:9], v10 offset1:32
	ds_read2_b32 v[10:11], v10 offset0:64 offset1:96
	s_or_b64 s[36:37], vcc, s[36:37]
	ds_write_b32 v14, v15 offset:24
	s_waitcnt lgkmcnt(3)
	v_smfmac_f32_16x16x64_fp8_fp8 v[0:3], v[6:7], v[42:45], v31 cbsz:7 abid:1
	v_add_u32_e32 v6, s15, v13
	v_add_u32_e32 v7, 2, v30
	v_cmp_lt_i32_e32 vcc, 5, v6
	s_waitcnt lgkmcnt(1)
	v_smfmac_f32_16x16x64_fp8_fp8 v[0:3], v[4:5], v[8:11], v31 cbsz:7 abid:1
	v_cndmask_b32_e32 v30, v30, v7, vcc
	s_andn2_b64 exec, exec, s[36:37]
	s_cbranch_execz .LBB30_19
.LBB30_13:                              ;   Parent Loop BB30_7 Depth=1
                                        ; =>  This Loop Header: Depth=2
                                        ;       Child Loop BB30_15 Depth 3
                                        ;       Child Loop BB30_18 Depth 3
	v_cmp_gt_i32_e32 vcc, 6, v6
	s_nop 1
	v_cndmask_b32_e64 v4, -6, 0, vcc
	v_add_u32_e32 v13, v4, v6
	v_lshlrev_b32_e32 v4, 2, v13
	ds_read_b32 v5, v4 offset:36864
	v_add_u32_e32 v14, 0x9000, v4
	s_waitcnt lgkmcnt(0)
	v_cmp_ne_u32_e32 vcc, v5, v30
	s_and_saveexec_b64 s[38:39], vcc
	s_cbranch_execz .LBB30_16
; %bb.14:                               ;   in Loop: Header=BB30_13 Depth=2
	s_mov_b64 s[40:41], 0
.LBB30_15:                              ;   Parent Loop BB30_7 Depth=1
                                        ;     Parent Loop BB30_13 Depth=2
                                        ; =>    This Inner Loop Header: Depth=3
	;;#ASMSTART
	s_sleep 0
	;;#ASMEND
	ds_read_b32 v4, v14
	s_waitcnt lgkmcnt(0)
	v_cmp_eq_u32_e32 vcc, v4, v30
	s_or_b64 s[40:41], vcc, s[40:41]
	s_andn2_b64 exec, exec, s[40:41]
	s_cbranch_execnz .LBB30_15
.LBB30_16:                              ;   in Loop: Header=BB30_13 Depth=2
	s_or_b64 exec, exec, s[38:39]
	v_lshl_add_u32 v4, v13, 11, v32
	ds_read2_b32 v[10:11], v4 offset1:32
	ds_read2_b32 v[8:9], v4 offset0:128 offset1:160
	v_add_u32_e32 v4, 0x400, v4
	ds_read2_b32 v[6:7], v4 offset1:32
	ds_read2_b32 v[4:5], v4 offset0:128 offset1:160
	;;#ASMSTART
	s_waitcnt lgkmcnt(0)
	;;#ASMEND
	ds_read_b32 v28, v14 offset:24
	v_add_u32_e32 v15, 1, v30
	ds_write_b32 v14, v15
	s_waitcnt lgkmcnt(1)
	v_cmp_ne_u32_e32 vcc, v28, v30
	s_and_saveexec_b64 s[38:39], vcc
	s_cbranch_execz .LBB30_12
; %bb.17:                               ;   in Loop: Header=BB30_13 Depth=2
	s_mov_b64 s[40:41], 0
.LBB30_18:                              ;   Parent Loop BB30_7 Depth=1
                                        ;     Parent Loop BB30_13 Depth=2
                                        ; =>    This Inner Loop Header: Depth=3
	;;#ASMSTART
	s_sleep 0
	;;#ASMEND
	ds_read_b32 v28, v14 offset:24
	s_waitcnt lgkmcnt(0)
	v_cmp_eq_u32_e32 vcc, v28, v30
	s_or_b64 s[40:41], vcc, s[40:41]
	s_andn2_b64 exec, exec, s[40:41]
	s_cbranch_execnz .LBB30_18
	s_branch .LBB30_12
.LBB30_19:                              ;   in Loop: Header=BB30_7 Depth=1
	s_or_b64 exec, exec, s[36:37]
.LBB30_20:                              ;   in Loop: Header=BB30_7 Depth=1
	s_or_b64 exec, exec, s[34:35]
	v_cmp_le_i32_e32 vcc, s27, v16
	s_nop 1
	v_mov_b32_e32 v8, v1
	v_mov_b32_e32 v9, v2
	;; [unrolled: 1-line block ×3, first 2 shown]
	s_waitcnt vmcnt(0)
	v_cndmask_b32_e32 v4, 0, v12, vcc
	v_pk_add_f32 v[0:1], v[8:9], v[0:1]
	v_cmp_ne_u32_e32 vcc, 0, v34
	v_pk_mul_f32 v[0:1], v[4:5], v[0:1] op_sel_hi:[0,1]
	s_nop 0
	v_cndmask_b32_e32 v4, v0, v1, vcc
	v_cmp_eq_u32_e32 vcc, 2, v34
	s_nop 1
	v_cndmask_b32_e32 v2, v4, v2, vcc
	v_cmp_eq_u32_e32 vcc, 3, v34
	s_nop 1
	v_cndmask_b32_e32 v2, v2, v3, vcc
	ds_bpermute_b32 v2, v40, v2
	v_cmp_lt_i32_e32 vcc, s55, v35
	s_and_saveexec_b64 s[34:35], vcc
	s_cbranch_execz .LBB30_22
; %bb.21:                               ;   in Loop: Header=BB30_7 Depth=1
	s_mul_i32 s36, s53, s9
	s_ashr_i32 s37, s36, 31
	s_lshl_b64 s[36:37], s[36:37], 1
	v_cmp_ne_u32_e32 vcc, 0, v34
	s_add_u32 s38, s20, s36
	s_addc_u32 s39, s21, s37
	s_waitcnt lgkmcnt(0)
	v_cndmask_b32_e32 v1, v1, v2, vcc
	v_cmp_eq_u32_e32 vcc, 0, v34
	s_ashr_i32 s27, s26, 31
	s_lshl_b64 s[36:37], s[26:27], 1
	v_cndmask_b32_e32 v0, v0, v2, vcc
	v_cvt_f16_f32_e32 v2, v0
	v_cvt_f16_f32_sdwa v3, v1 dst_sel:WORD_1 dst_unused:UNUSED_PAD src0_sel:DWORD
	s_add_u32 s36, s38, s36
	s_addc_u32 s37, s39, s37
	v_lshl_add_u64 v[0:1], v[18:19], 1, s[36:37]
	v_lshl_add_u64 v[0:1], v[0:1], 0, v[20:21]
	v_or_b32_e32 v2, v3, v2
	;;#ASMSTART
	global_atomic_pk_add_f16 v[0:1], v2, off
	
	;;#ASMEND
.LBB30_22:                              ;   in Loop: Header=BB30_7 Depth=1
	s_or_b64 exec, exec, s[34:35]
	v_subrev_u32_e32 v41, s52, v41
.LBB30_23:                              ;   in Loop: Header=BB30_7 Depth=1
	s_or_b64 exec, exec, s[30:31]
.LBB30_24:                              ;   in Loop: Header=BB30_7 Depth=1
	s_andn2_saveexec_b64 s[28:29], s[28:29]
	s_cbranch_execz .LBB30_33
; %bb.25:                               ;   in Loop: Header=BB30_7 Depth=1
	v_cmp_gt_i32_e32 vcc, s52, v41
	s_and_saveexec_b64 s[30:31], vcc
	s_cbranch_execz .LBB30_32
; %bb.26:                               ;   in Loop: Header=BB30_7 Depth=1
	s_mul_i32 s26, s26, s11
	s_ashr_i32 s27, s26, 31
	s_waitcnt lgkmcnt(0)
	s_add_u32 s26, s18, s26
	s_addc_u32 s27, s19, s27
	s_ashr_i32 s34, s54, 31
	s_add_u32 s26, s26, s54
	s_addc_u32 s27, s27, s34
	v_lshl_add_u64 v[0:1], s[26:27], 0, v[24:25]
	v_lshl_add_u64 v[28:29], v[0:1], 0, v[22:23]
	s_mov_b64 s[26:27], 0
	s_branch .LBB30_28
.LBB30_27:                              ;   in Loop: Header=BB30_28 Depth=2
	s_or_b64 exec, exec, s[34:35]
	v_lshl_or_b32 v44, v42, 12, v36
	;;#ASMSTART
	s_waitcnt vmcnt(3)
	;;#ASMEND
	ds_write2_b32 v44, v12, v13 offset1:32
	ds_write2_b32 v44, v14, v15 offset0:64 offset1:96
	v_add_u32_e32 v12, 0x400, v44
	;;#ASMSTART
	s_waitcnt vmcnt(2)
	;;#ASMEND
	ds_write2_b32 v12, v8, v9 offset1:32
	ds_write2_b32 v12, v10, v11 offset0:64 offset1:96
	v_add_u32_e32 v8, 0x800, v44
	;; [unrolled: 6-line block ×3, first 2 shown]
	v_add_u32_e32 v41, s14, v41
	;;#ASMSTART
	s_waitcnt vmcnt(0)
	;;#ASMEND
	ds_write2_b32 v4, v0, v1 offset1:32
	ds_write2_b32 v4, v2, v3 offset0:64 offset1:96
	v_add_u32_e32 v0, 1, v30
	v_add_u32_e32 v6, s14, v42
	v_cmp_le_i32_e32 vcc, s52, v41
	ds_write_b32 v43, v0 offset:24
	v_add_u32_e32 v0, 2, v30
	s_or_b64 s[26:27], vcc, s[26:27]
	v_cmp_lt_i32_e32 vcc, 5, v6
	s_nop 1
	v_cndmask_b32_e32 v30, v30, v0, vcc
	s_andn2_b64 exec, exec, s[26:27]
	s_cbranch_execz .LBB30_31
.LBB30_28:                              ;   Parent Loop BB30_7 Depth=1
                                        ; =>  This Loop Header: Depth=2
                                        ;       Child Loop BB30_30 Depth 3
	v_cmp_gt_i32_e32 vcc, 6, v6
	s_nop 1
	v_cndmask_b32_e64 v0, -6, 0, vcc
	v_add_u32_e32 v42, v0, v6
	v_lshlrev_b32_e32 v0, 8, v41
	v_ashrrev_i32_e32 v1, 31, v0
	v_lshl_add_u64 v[0:1], v[28:29], 0, v[0:1]
	v_lshlrev_b32_e32 v43, 2, v42
	;;#ASMSTART
	global_load_dwordx4 v[12:15], v[0:1], off offset:0    sc0 sc1 nt  
	global_load_dwordx4 v[8:11], v[0:1], off offset:64   sc0 sc1 nt  
	global_load_dwordx4 v[4:7], v[0:1], off offset:128  sc0 sc1 nt  
	global_load_dwordx4 v[0:3], v[0:1], off offset:192  sc0 sc1 nt  
	
	;;#ASMEND
	ds_read_b32 v44, v43 offset:36888
	v_add_u32_e32 v43, 0x9000, v43
	s_waitcnt lgkmcnt(0)
	v_cmp_ne_u32_e32 vcc, v44, v30
	s_and_saveexec_b64 s[34:35], vcc
	s_cbranch_execz .LBB30_27
; %bb.29:                               ;   in Loop: Header=BB30_28 Depth=2
	s_mov_b64 s[36:37], 0
.LBB30_30:                              ;   Parent Loop BB30_7 Depth=1
                                        ;     Parent Loop BB30_28 Depth=2
                                        ; =>    This Inner Loop Header: Depth=3
	;;#ASMSTART
	s_sleep 0
	;;#ASMEND
	ds_read_b32 v44, v43 offset:24
	s_waitcnt lgkmcnt(0)
	v_cmp_eq_u32_e32 vcc, v44, v30
	s_or_b64 s[36:37], vcc, s[36:37]
	s_andn2_b64 exec, exec, s[36:37]
	s_cbranch_execnz .LBB30_30
	s_branch .LBB30_27
.LBB30_31:                              ;   in Loop: Header=BB30_7 Depth=1
	s_or_b64 exec, exec, s[26:27]
.LBB30_32:                              ;   in Loop: Header=BB30_7 Depth=1
	s_or_b64 exec, exec, s[30:31]
	v_subrev_u32_e32 v41, s52, v41
.LBB30_33:                              ;   in Loop: Header=BB30_7 Depth=1
	s_or_b64 exec, exec, s[28:29]
.LBB30_34:                              ;   in Loop: Header=BB30_7 Depth=1
	s_andn2_saveexec_b64 s[24:25], s[24:25]
	s_cbranch_execz .LBB30_6
; %bb.35:                               ;   in Loop: Header=BB30_7 Depth=1
	v_cmp_gt_i32_e32 vcc, s52, v41
	s_and_saveexec_b64 s[26:27], vcc
	s_cbranch_execz .LBB30_5
; %bb.36:                               ;   in Loop: Header=BB30_7 Depth=1
	s_mul_i32 s53, s53, s10
	s_ashr_i32 s28, s53, 31
	s_waitcnt lgkmcnt(0)
	s_add_u32 s29, s16, s53
	s_addc_u32 s30, s17, s28
	s_ashr_i32 s31, s54, 31
	v_cmp_le_i32_e32 vcc, s55, v38
	s_add_u32 s28, s29, s54
	s_addc_u32 s29, s30, s31
	v_cndmask_b32_e32 v0, 0, v39, vcc
	v_ashrrev_i32_e32 v1, 31, v0
	v_lshl_add_u64 v[0:1], s[28:29], 0, v[0:1]
	v_lshlrev_b32_e32 v2, 8, v41
	v_lshl_add_u64 v[0:1], v[0:1], 0, v[26:27]
	v_ashrrev_i32_e32 v3, 31, v2
	v_lshl_add_u64 v[8:9], v[0:1], 0, v[2:3]
	s_mov_b64 s[28:29], 0
	s_branch .LBB30_38
.LBB30_37:                              ;   in Loop: Header=BB30_38 Depth=2
	s_or_b64 exec, exec, s[30:31]
	;;#ASMSTART
	s_waitcnt vmcnt(1)
	v_pack_b32_f16 v12, v4, v5, op_sel:[0,0]
	v_pack_b32_f16 v13, v4, v5, op_sel:[1,1]
	;; [unrolled: 1-line block ×4, first 2 shown]
	v_swap_b32 v12, v4
	v_swap_b32 v13, v6
	;; [unrolled: 1-line block ×4, first 2 shown]
	;;#ASMEND
	v_add_u32_e32 v41, s13, v41
	v_lshl_add_u32 v12, v10, 11, v37
	ds_write2_b32 v12, v4, v5 offset1:32
	ds_write2_b32 v12, v6, v7 offset0:64 offset1:96
	;;#ASMSTART
	s_waitcnt vmcnt(0)
	v_pack_b32_f16 v4, v0, v1, op_sel:[0,0]
	v_pack_b32_f16 v5, v0, v1, op_sel:[1,1]
	;; [unrolled: 1-line block ×4, first 2 shown]
	v_swap_b32 v4, v0
	v_swap_b32 v5, v2
	;; [unrolled: 1-line block ×4, first 2 shown]
	;;#ASMEND
	v_cmp_le_i32_e32 vcc, s52, v41
	v_add_u32_e32 v4, 0x400, v12
	ds_write2_b32 v4, v0, v1 offset1:32
	ds_write2_b32 v4, v2, v3 offset0:64 offset1:96
	v_add_u32_e32 v0, 1, v30
	v_add_u32_e32 v6, s13, v10
	ds_write_b32 v11, v0
	v_add_u32_e32 v0, 2, v30
	s_or_b64 s[28:29], vcc, s[28:29]
	v_cmp_lt_i32_e32 vcc, 5, v6
	v_lshl_add_u64 v[8:9], v[8:9], 0, s[6:7]
	s_nop 0
	v_cndmask_b32_e32 v30, v30, v0, vcc
	s_andn2_b64 exec, exec, s[28:29]
	s_cbranch_execz .LBB30_4
.LBB30_38:                              ;   Parent Loop BB30_7 Depth=1
                                        ; =>  This Loop Header: Depth=2
                                        ;       Child Loop BB30_40 Depth 3
	v_cmp_gt_i32_e32 vcc, 6, v6
	s_nop 1
	v_cndmask_b32_e64 v0, -6, 0, vcc
	v_add_u32_e32 v10, v0, v6
	v_lshlrev_b32_e32 v11, 2, v10
	;;#ASMSTART
	global_load_dwordx4 v[4:7], v[8:9], off offset:0  
	global_load_dwordx4 v[0:3], v[8:9], off offset:128
	
	;;#ASMEND
	ds_read_b32 v12, v11 offset:36864
	v_add_u32_e32 v11, 0x9000, v11
	s_waitcnt lgkmcnt(0)
	v_cmp_ne_u32_e32 vcc, v12, v30
	s_and_saveexec_b64 s[30:31], vcc
	s_cbranch_execz .LBB30_37
; %bb.39:                               ;   in Loop: Header=BB30_38 Depth=2
	s_mov_b64 s[34:35], 0
.LBB30_40:                              ;   Parent Loop BB30_7 Depth=1
                                        ;     Parent Loop BB30_38 Depth=2
                                        ; =>    This Inner Loop Header: Depth=3
	;;#ASMSTART
	s_sleep 0
	;;#ASMEND
	ds_read_b32 v12, v11
	s_waitcnt lgkmcnt(0)
	v_cmp_eq_u32_e32 vcc, v12, v30
	s_or_b64 s[34:35], vcc, s[34:35]
	s_andn2_b64 exec, exec, s[34:35]
	s_cbranch_execnz .LBB30_40
	s_branch .LBB30_37
.LBB30_41:
	s_endpgm
	.section	.rodata,"a",@progbits
	.p2align	6, 0x0
	.amdhsa_kernel _Z19_skinny_gemm_kernelILi1ELi1ELi6ELi8ELi4EEvPKhS1_P6__halfPKfiiiiiiii
		.amdhsa_group_segment_fixed_size 36912
		.amdhsa_private_segment_fixed_size 0
		.amdhsa_kernarg_size 64
		.amdhsa_user_sgpr_count 2
		.amdhsa_user_sgpr_dispatch_ptr 0
		.amdhsa_user_sgpr_queue_ptr 0
		.amdhsa_user_sgpr_kernarg_segment_ptr 1
		.amdhsa_user_sgpr_dispatch_id 0
		.amdhsa_user_sgpr_kernarg_preload_length 0
		.amdhsa_user_sgpr_kernarg_preload_offset 0
		.amdhsa_user_sgpr_private_segment_size 0
		.amdhsa_uses_dynamic_stack 0
		.amdhsa_enable_private_segment 0
		.amdhsa_system_sgpr_workgroup_id_x 1
		.amdhsa_system_sgpr_workgroup_id_y 0
		.amdhsa_system_sgpr_workgroup_id_z 0
		.amdhsa_system_sgpr_workgroup_info 0
		.amdhsa_system_vgpr_workitem_id 0
		.amdhsa_next_free_vgpr 50
		.amdhsa_next_free_sgpr 56
		.amdhsa_accum_offset 52
		.amdhsa_reserve_vcc 1
		.amdhsa_float_round_mode_32 0
		.amdhsa_float_round_mode_16_64 0
		.amdhsa_float_denorm_mode_32 3
		.amdhsa_float_denorm_mode_16_64 3
		.amdhsa_dx10_clamp 1
		.amdhsa_ieee_mode 1
		.amdhsa_fp16_overflow 0
		.amdhsa_tg_split 0
		.amdhsa_exception_fp_ieee_invalid_op 0
		.amdhsa_exception_fp_denorm_src 0
		.amdhsa_exception_fp_ieee_div_zero 0
		.amdhsa_exception_fp_ieee_overflow 0
		.amdhsa_exception_fp_ieee_underflow 0
		.amdhsa_exception_fp_ieee_inexact 0
		.amdhsa_exception_int_div_zero 0
	.end_amdhsa_kernel
	.section	.text._Z19_skinny_gemm_kernelILi1ELi1ELi6ELi8ELi4EEvPKhS1_P6__halfPKfiiiiiiii,"axG",@progbits,_Z19_skinny_gemm_kernelILi1ELi1ELi6ELi8ELi4EEvPKhS1_P6__halfPKfiiiiiiii,comdat
.Lfunc_end30:
	.size	_Z19_skinny_gemm_kernelILi1ELi1ELi6ELi8ELi4EEvPKhS1_P6__halfPKfiiiiiiii, .Lfunc_end30-_Z19_skinny_gemm_kernelILi1ELi1ELi6ELi8ELi4EEvPKhS1_P6__halfPKfiiiiiiii
                                        ; -- End function
	.set _Z19_skinny_gemm_kernelILi1ELi1ELi6ELi8ELi4EEvPKhS1_P6__halfPKfiiiiiiii.num_vgpr, 50
	.set _Z19_skinny_gemm_kernelILi1ELi1ELi6ELi8ELi4EEvPKhS1_P6__halfPKfiiiiiiii.num_agpr, 0
	.set _Z19_skinny_gemm_kernelILi1ELi1ELi6ELi8ELi4EEvPKhS1_P6__halfPKfiiiiiiii.numbered_sgpr, 56
	.set _Z19_skinny_gemm_kernelILi1ELi1ELi6ELi8ELi4EEvPKhS1_P6__halfPKfiiiiiiii.num_named_barrier, 0
	.set _Z19_skinny_gemm_kernelILi1ELi1ELi6ELi8ELi4EEvPKhS1_P6__halfPKfiiiiiiii.private_seg_size, 0
	.set _Z19_skinny_gemm_kernelILi1ELi1ELi6ELi8ELi4EEvPKhS1_P6__halfPKfiiiiiiii.uses_vcc, 1
	.set _Z19_skinny_gemm_kernelILi1ELi1ELi6ELi8ELi4EEvPKhS1_P6__halfPKfiiiiiiii.uses_flat_scratch, 0
	.set _Z19_skinny_gemm_kernelILi1ELi1ELi6ELi8ELi4EEvPKhS1_P6__halfPKfiiiiiiii.has_dyn_sized_stack, 0
	.set _Z19_skinny_gemm_kernelILi1ELi1ELi6ELi8ELi4EEvPKhS1_P6__halfPKfiiiiiiii.has_recursion, 0
	.set _Z19_skinny_gemm_kernelILi1ELi1ELi6ELi8ELi4EEvPKhS1_P6__halfPKfiiiiiiii.has_indirect_call, 0
	.section	.AMDGPU.csdata,"",@progbits
; Kernel info:
; codeLenInByte = 2936
; TotalNumSgprs: 62
; NumVgprs: 50
; NumAgprs: 0
; TotalNumVgprs: 50
; ScratchSize: 0
; MemoryBound: 0
; FloatMode: 240
; IeeeMode: 1
; LDSByteSize: 36912 bytes/workgroup (compile time only)
; SGPRBlocks: 7
; VGPRBlocks: 6
; NumSGPRsForWavesPerEU: 62
; NumVGPRsForWavesPerEU: 50
; AccumOffset: 52
; Occupancy: 8
; WaveLimiterHint : 0
; COMPUTE_PGM_RSRC2:SCRATCH_EN: 0
; COMPUTE_PGM_RSRC2:USER_SGPR: 2
; COMPUTE_PGM_RSRC2:TRAP_HANDLER: 0
; COMPUTE_PGM_RSRC2:TGID_X_EN: 1
; COMPUTE_PGM_RSRC2:TGID_Y_EN: 0
; COMPUTE_PGM_RSRC2:TGID_Z_EN: 0
; COMPUTE_PGM_RSRC2:TIDIG_COMP_CNT: 0
; COMPUTE_PGM_RSRC3_GFX90A:ACCUM_OFFSET: 12
; COMPUTE_PGM_RSRC3_GFX90A:TG_SPLIT: 0
	.section	.text._Z19_skinny_gemm_kernelILi1ELi1ELi6ELi16ELi4EEvPKhS1_P6__halfPKfiiiiiiii,"axG",@progbits,_Z19_skinny_gemm_kernelILi1ELi1ELi6ELi16ELi4EEvPKhS1_P6__halfPKfiiiiiiii,comdat
	.protected	_Z19_skinny_gemm_kernelILi1ELi1ELi6ELi16ELi4EEvPKhS1_P6__halfPKfiiiiiiii ; -- Begin function _Z19_skinny_gemm_kernelILi1ELi1ELi6ELi16ELi4EEvPKhS1_P6__halfPKfiiiiiiii
	.globl	_Z19_skinny_gemm_kernelILi1ELi1ELi6ELi16ELi4EEvPKhS1_P6__halfPKfiiiiiiii
	.p2align	8
	.type	_Z19_skinny_gemm_kernelILi1ELi1ELi6ELi16ELi4EEvPKhS1_P6__halfPKfiiiiiiii,@function
_Z19_skinny_gemm_kernelILi1ELi1ELi6ELi16ELi4EEvPKhS1_P6__halfPKfiiiiiiii: ; @_Z19_skinny_gemm_kernelILi1ELi1ELi6ELi16ELi4EEvPKhS1_P6__halfPKfiiiiiiii
; %bb.0:
	v_cmp_gt_u32_e32 vcc, 12, v0
	v_lshlrev_b32_e32 v1, 2, v0
	s_and_saveexec_b64 s[4:5], vcc
; %bb.1:
	v_mov_b32_e32 v2, 0
	ds_write_b32 v1, v2 offset:24576
; %bb.2:
	s_or_b64 exec, exec, s[4:5]
	s_load_dwordx8 s[12:19], s[0:1], 0x20
	s_waitcnt lgkmcnt(0)
	s_barrier
	s_add_i32 s3, s12, 15
	s_ashr_i32 s5, s3, 31
	s_add_i32 s4, s13, 15
	s_lshr_b32 s5, s5, 28
	s_ashr_i32 s6, s4, 31
	s_add_i32 s3, s3, s5
	s_ashr_i32 s33, s3, 4
	s_lshr_b32 s3, s6, 28
	s_add_i32 s4, s4, s3
	s_ashr_i32 s42, s4, 4
	s_mul_i32 s3, s42, s33
	s_mul_i32 s3, s3, s16
	s_add_i32 s4, s3, 0x12f
	s_mul_hi_i32 s4, s4, 0x6bca1af3
	s_lshr_b32 s5, s4, 31
	s_ashr_i32 s4, s4, 7
	s_add_i32 s4, s4, s5
	s_add_i32 s5, s2, 1
	s_mul_i32 s5, s4, s5
	v_cvt_f64_i32_e32 v[2:3], s3
	v_cvt_f64_u32_e32 v[4:5], s5
	v_min_f64 v[2:3], v[2:3], v[4:5]
	v_cvt_i32_f64_e32 v9, v[2:3]
	s_mul_i32 s43, s4, s2
	v_cmp_ge_i32_e32 vcc, s43, v9
	s_cbranch_vccnz .LBB31_42
; %bb.3:
	v_lshrrev_b32_e32 v2, 6, v0
	s_add_i32 s4, s18, s17
	s_load_dwordx8 s[20:27], s[0:1], 0x0
	v_cmp_le_i32_e64 s[0:1], s4, v2
	v_mov_b32_e32 v3, s17
	v_cmp_le_i32_e64 s[2:3], s17, v2
	v_mov_b32_e32 v4, s18
	v_cndmask_b32_e64 v4, 0, v4, s[0:1]
	v_cndmask_b32_e64 v3, 0, v3, s[2:3]
	s_abs_i32 s5, s16
	v_add_u32_e32 v3, v3, v4
	v_cvt_f32_u32_e32 v4, s5
	v_sub_u32_e32 v18, v2, v3
	s_ashr_i32 s6, s14, 31
	s_lshr_b32 s6, s6, 25
	v_rcp_iflag_f32_e32 v3, v4
	s_sub_i32 s9, 0, s5
	s_add_i32 s6, s14, s6
	s_ashr_i32 s6, s6, 7
	v_mul_f32_e32 v3, 0x4f7ffffe, v3
	v_cvt_u32_f32_e32 v3, v3
	s_abs_i32 s8, s6
	s_xor_b32 s7, s6, s16
	s_ashr_i32 s7, s7, 31
	v_readfirstlane_b32 s10, v3
	s_mul_i32 s9, s9, s10
	s_mul_hi_u32 s9, s10, s9
	s_add_i32 s10, s10, s9
	s_mul_hi_u32 s9, s8, s10
	s_mul_i32 s10, s9, s5
	s_sub_i32 s8, s8, s10
	s_add_i32 s10, s9, 1
	s_sub_i32 s11, s8, s5
	s_cmp_ge_u32 s8, s5
	s_cselect_b32 s9, s10, s9
	s_cselect_b32 s8, s11, s8
	s_add_i32 s10, s9, 1
	s_cmp_ge_u32 s8, s5
	s_cselect_b32 s5, s10, s9
	s_xor_b32 s5, s5, s7
	s_sub_i32 s44, s5, s7
	s_add_i32 s16, s16, -1
	s_mul_i32 s5, s44, s16
	s_add_i32 s4, s4, s19
	s_sub_i32 s45, s6, s5
	v_cmp_gt_i32_e64 s[4:5], s4, v2
	v_lshlrev_b32_e32 v2, 1, v0
	v_lshlrev_b32_e32 v3, 4, v0
	v_and_b32_e32 v1, 60, v1
	v_and_b32_e32 v2, 64, v2
	;; [unrolled: 1-line block ×3, first 2 shown]
	s_abs_i32 s46, s33
	v_or3_b32 v21, v1, v2, v4
	v_and_b32_e32 v1, 1, v0
	v_cvt_f32_u32_e32 v6, s46
	v_lshlrev_b32_e32 v2, 1, v1
	v_lshrrev_b32_e32 v4, 2, v0
	v_and_b32_e32 v8, 14, v0
	v_sub_u32_e32 v2, v0, v2
	v_and_or_b32 v23, v4, 12, v1
	v_bitop3_b32 v24, v0, 1, v0 bitop3:0xc
	v_bitop3_b32 v25, v0, 3, 1 bitop3:0x6c
	v_and_b32_e32 v12, 48, v3
	v_bfe_u32 v1, v0, 2, 4
	v_and_b32_e32 v3, 60, v0
	v_lshlrev_b32_e32 v5, 8, v0
	v_lshlrev_b32_e32 v0, 6, v0
	v_and_b32_e32 v5, 0x200, v5
	v_and_b32_e32 v0, 64, v0
	v_or3_b32 v26, v3, v5, v0
	v_rcp_iflag_f32_e32 v0, v6
	s_abs_i32 s47, s42
	v_mul_lo_u32 v14, s15, v1
	v_mul_lo_u32 v29, s14, v1
	v_cvt_f32_u32_e32 v1, s47
	v_mul_f32_e32 v0, 0x4f7ffffe, v0
	v_cvt_u32_f32_e32 v0, v0
	v_mad_u64_u32 v[10:11], s[6:7], s13, v23, v[8:9]
	v_rcp_iflag_f32_e32 v1, v1
	v_readfirstlane_b32 s7, v0
	s_sub_i32 s6, 0, s46
	s_mul_i32 s6, s6, s7
	v_mul_f32_e32 v0, 0x4f7ffffe, v1
	v_cvt_u32_f32_e32 v0, v0
	s_mul_hi_u32 s6, s7, s6
	v_add_u32_e32 v2, 1, v2
	s_add_i32 s49, s7, s6
	s_sub_i32 s6, 0, s47
	v_readfirstlane_b32 s7, v0
	v_mbcnt_lo_u32_b32 v0, -1, 0
	v_and_b32_e32 v2, 63, v2
	s_mul_i32 s6, s6, s7
	v_mbcnt_hi_u32_b32 v0, -1, v0
	s_mul_hi_u32 s6, s7, s6
	v_and_or_b32 v0, v0, 64, v2
	v_cndmask_b32_e64 v20, 0, 1, s[0:1]
	v_or_b32_e32 v22, 0x3000, v21
	v_ashrrev_i32_e32 v11, 31, v10
	s_ashr_i32 s11, s13, 31
	s_mov_b32 s10, s13
	v_ashrrev_i32_e32 v15, 31, v14
	v_mov_b32_e32 v13, 0
	v_or_b32_e32 v27, 0x3000, v26
	v_bitop3_b32 v28, v4, 15, v4 bitop3:0xc
	s_ashr_i32 s48, s33, 31
	s_ashr_i32 s50, s42, 31
	s_add_i32 s51, s7, s6
	v_lshlrev_b32_e32 v30, 2, v0
	v_mov_b32_e32 v31, v18
	s_branch .LBB31_7
.LBB31_4:                               ;   in Loop: Header=BB31_7 Depth=1
	s_or_b64 exec, exec, s[28:29]
.LBB31_5:                               ;   in Loop: Header=BB31_7 Depth=1
	s_or_b64 exec, exec, s[8:9]
	v_subrev_u32_e32 v31, s52, v31
.LBB31_6:                               ;   in Loop: Header=BB31_7 Depth=1
	s_or_b64 exec, exec, s[6:7]
	s_add_i32 s43, s43, 1
	v_cmp_ge_i32_e32 vcc, s43, v9
	s_cbranch_vccnz .LBB31_42
.LBB31_7:                               ; =>This Loop Header: Depth=1
                                        ;     Child Loop BB31_13 Depth 2
                                        ;       Child Loop BB31_15 Depth 3
                                        ;       Child Loop BB31_18 Depth 3
                                        ;     Child Loop BB31_29 Depth 2
                                        ;       Child Loop BB31_31 Depth 3
                                        ;     Child Loop BB31_39 Depth 2
                                        ;       Child Loop BB31_41 Depth 3
	s_abs_i32 s7, s43
	s_mul_hi_u32 s8, s7, s49
	s_mul_i32 s9, s8, s46
	s_ashr_i32 s6, s43, 31
	s_sub_i32 s7, s7, s9
	s_xor_b32 s6, s6, s48
	s_add_i32 s9, s8, 1
	s_sub_i32 s28, s7, s46
	s_cmp_ge_u32 s7, s46
	s_cselect_b32 s8, s9, s8
	s_cselect_b32 s7, s28, s7
	s_add_i32 s9, s8, 1
	s_cmp_ge_u32 s7, s46
	s_cselect_b32 s7, s9, s8
	s_xor_b32 s7, s7, s6
	s_sub_i32 s6, s7, s6
	s_abs_i32 s8, s6
	s_mul_i32 s7, s6, s33
	s_mul_hi_u32 s9, s8, s51
	s_sub_i32 s7, s43, s7
	s_mul_i32 s28, s9, s47
	s_lshl_b32 s53, s7, 4
	s_ashr_i32 s7, s6, 31
	s_sub_i32 s8, s8, s28
	s_xor_b32 s7, s7, s50
	s_add_i32 s28, s9, 1
	s_sub_i32 s29, s8, s47
	s_cmp_ge_u32 s8, s47
	s_cselect_b32 s9, s28, s9
	s_cselect_b32 s8, s29, s8
	s_add_i32 s28, s9, 1
	s_cmp_ge_u32 s8, s47
	s_cselect_b32 s8, s28, s9
	s_xor_b32 s8, s8, s7
	s_sub_i32 s7, s8, s7
	s_mul_i32 s8, s7, s44
	s_lshl_b32 s54, s8, 7
	s_cmp_eq_u32 s7, s16
	s_cselect_b32 s52, s45, s44
	s_sub_i32 s55, s53, s12
	s_add_i32 s55, s55, 16
	s_and_saveexec_b64 s[8:9], s[2:3]
	s_xor_b64 s[28:29], exec, s[8:9]
	s_cbranch_execz .LBB31_35
; %bb.8:                                ;   in Loop: Header=BB31_7 Depth=1
	s_mul_i32 s7, s7, s42
	s_sub_i32 s6, s6, s7
	s_lshl_b32 s6, s6, 4
	s_sub_i32 s31, s6, s13
	s_add_i32 s31, s31, 16
	s_max_i32 s7, s31, 0
	s_sub_i32 s30, s6, s7
	s_and_saveexec_b64 s[6:7], s[0:1]
	s_xor_b64 s[34:35], exec, s[6:7]
	s_cbranch_execz .LBB31_25
; %bb.9:                                ;   in Loop: Header=BB31_7 Depth=1
	s_and_saveexec_b64 s[36:37], s[4:5]
	s_cbranch_execz .LBB31_24
; %bb.10:                               ;   in Loop: Header=BB31_7 Depth=1
	s_waitcnt lgkmcnt(0)
	global_load_dword v32, v13, s[26:27]
	v_mov_b32_e32 v3, 0
	v_cmp_gt_i32_e32 vcc, s52, v31
	v_mov_b32_e32 v2, v3
	v_mov_b32_e32 v1, v3
	;; [unrolled: 1-line block ×3, first 2 shown]
	s_and_saveexec_b64 s[6:7], vcc
	s_cbranch_execz .LBB31_20
; %bb.11:                               ;   in Loop: Header=BB31_7 Depth=1
	v_mov_b32_e32 v0, 0
	s_mov_b64 s[8:9], 0
	v_mov_b32_e32 v1, v0
	v_mov_b32_e32 v2, v0
	;; [unrolled: 1-line block ×3, first 2 shown]
	s_branch .LBB31_13
.LBB31_12:                              ;   in Loop: Header=BB31_13 Depth=2
	s_or_b64 exec, exec, s[38:39]
	v_add_u32_e32 v40, v21, v36
	ds_read2_b32 v[36:37], v40 offset1:32
	ds_read2_b32 v[38:39], v40 offset0:128 offset1:160
	v_add_u32_e32 v40, 0x400, v40
	v_add_u32_e32 v31, s19, v31
	v_cmp_le_i32_e32 vcc, s52, v31
	s_waitcnt lgkmcnt(1)
	v_mfma_f32_16x16x32_fp8_fp8 v[0:3], v[36:37], v[16:17], v[0:3]
	ds_read2_b32 v[16:17], v40 offset1:32
	ds_read2_b32 v[36:37], v40 offset0:128 offset1:160
	s_or_b64 s[8:9], vcc, s[8:9]
	s_waitcnt lgkmcnt(2)
	v_mfma_f32_16x16x32_fp8_fp8 v[0:3], v[38:39], v[18:19], v[0:3]
	v_add_u32_e32 v18, s19, v34
	v_add_u32_e32 v19, 2, v20
	v_cmp_lt_i32_e32 vcc, 5, v18
	;;#ASMSTART
	s_waitcnt lgkmcnt(0)
	;;#ASMEND
	s_waitcnt lgkmcnt(1)
	v_mfma_f32_16x16x32_fp8_fp8 v[0:3], v[16:17], v[6:7], v[0:3]
	v_cndmask_b32_e32 v20, v20, v19, vcc
	ds_write_b32 v33, v35
	s_waitcnt lgkmcnt(1)
	v_mfma_f32_16x16x32_fp8_fp8 v[0:3], v[36:37], v[4:5], v[0:3]
	s_andn2_b64 exec, exec, s[8:9]
	s_cbranch_execz .LBB31_19
.LBB31_13:                              ;   Parent Loop BB31_7 Depth=1
                                        ; =>  This Loop Header: Depth=2
                                        ;       Child Loop BB31_15 Depth 3
                                        ;       Child Loop BB31_18 Depth 3
	v_cmp_gt_i32_e32 vcc, 6, v18
	s_nop 1
	v_cndmask_b32_e64 v4, -6, 0, vcc
	v_add_u32_e32 v34, v4, v18
	v_lshlrev_b32_e32 v4, 2, v34
	ds_read_b32 v5, v4 offset:24600
	v_add_u32_e32 v33, 0x6000, v4
	s_waitcnt lgkmcnt(0)
	v_cmp_ne_u32_e32 vcc, v5, v20
	s_and_saveexec_b64 s[38:39], vcc
	s_cbranch_execz .LBB31_16
; %bb.14:                               ;   in Loop: Header=BB31_13 Depth=2
	s_mov_b64 s[40:41], 0
.LBB31_15:                              ;   Parent Loop BB31_7 Depth=1
                                        ;     Parent Loop BB31_13 Depth=2
                                        ; =>    This Inner Loop Header: Depth=3
	;;#ASMSTART
	s_sleep 0
	;;#ASMEND
	ds_read_b32 v4, v33 offset:24
	s_waitcnt lgkmcnt(0)
	v_cmp_eq_u32_e32 vcc, v4, v20
	s_or_b64 s[40:41], vcc, s[40:41]
	s_andn2_b64 exec, exec, s[40:41]
	s_cbranch_execnz .LBB31_15
.LBB31_16:                              ;   in Loop: Header=BB31_13 Depth=2
	s_or_b64 exec, exec, s[38:39]
	v_lshlrev_b32_e32 v36, 11, v34
	v_add_u32_e32 v4, v22, v36
	ds_read2_b32 v[16:17], v4 offset1:32
	ds_read2_b32 v[18:19], v4 offset0:128 offset1:160
	v_add_u32_e32 v4, 0x400, v4
	ds_read2_b32 v[6:7], v4 offset1:32
	ds_read2_b32 v[4:5], v4 offset0:128 offset1:160
	;;#ASMSTART
	s_waitcnt lgkmcnt(0)
	;;#ASMEND
	ds_read_b32 v37, v33
	v_add_u32_e32 v35, 1, v20
	ds_write_b32 v33, v35 offset:24
	s_waitcnt lgkmcnt(1)
	v_cmp_ne_u32_e32 vcc, v37, v20
	s_and_saveexec_b64 s[38:39], vcc
	s_cbranch_execz .LBB31_12
; %bb.17:                               ;   in Loop: Header=BB31_13 Depth=2
	s_mov_b64 s[40:41], 0
.LBB31_18:                              ;   Parent Loop BB31_7 Depth=1
                                        ;     Parent Loop BB31_13 Depth=2
                                        ; =>    This Inner Loop Header: Depth=3
	;;#ASMSTART
	s_sleep 0
	;;#ASMEND
	ds_read_b32 v37, v33
	s_waitcnt lgkmcnt(0)
	v_cmp_eq_u32_e32 vcc, v37, v20
	s_or_b64 s[40:41], vcc, s[40:41]
	s_andn2_b64 exec, exec, s[40:41]
	s_cbranch_execnz .LBB31_18
	s_branch .LBB31_12
.LBB31_19:                              ;   in Loop: Header=BB31_7 Depth=1
	s_or_b64 exec, exec, s[8:9]
.LBB31_20:                              ;   in Loop: Header=BB31_7 Depth=1
	s_or_b64 exec, exec, s[6:7]
	v_cmp_le_i32_e32 vcc, s31, v8
	v_cmp_eq_u32_e64 s[6:7], 3, v24
	s_waitcnt vmcnt(0)
	v_cndmask_b32_e32 v4, 0, v32, vcc
	v_pk_mul_f32 v[6:7], v[4:5], v[2:3] op_sel_hi:[0,1]
	v_pk_mul_f32 v[4:5], v[4:5], v[0:1] op_sel_hi:[0,1]
	v_cmp_eq_u32_e32 vcc, 1, v24
	s_nop 1
	v_cndmask_b32_e32 v0, v4, v5, vcc
	v_cmp_eq_u32_e32 vcc, 2, v24
	s_nop 1
	v_cndmask_b32_e32 v0, v0, v6, vcc
	v_cndmask_b32_e64 v0, v0, v7, s[6:7]
	ds_bpermute_b32 v1, v30, v0
	s_waitcnt lgkmcnt(0)
	v_cndmask_b32_e32 v3, v6, v1, vcc
	v_cmp_ne_u32_e32 vcc, 0, v24
	v_cndmask_b32_e64 v2, v7, v1, s[6:7]
	s_max_i32 s6, s55, 0
	v_cndmask_b32_e32 v0, v5, v1, vcc
	v_cmp_eq_u32_e32 vcc, 0, v24
	v_add_u32_e32 v5, s6, v23
	s_nop 0
	v_cndmask_b32_e32 v1, v4, v1, vcc
	v_cmp_eq_u32_e32 vcc, 1, v25
	s_nop 1
	v_cndmask_b32_e32 v4, v1, v0, vcc
	v_cmp_eq_u32_e32 vcc, 2, v25
	;; [unrolled: 3-line block ×3, first 2 shown]
	s_nop 1
	v_cndmask_b32_e32 v4, v4, v2, vcc
	ds_bpermute_b32 v4, v30, v4
	v_cmp_gt_u32_e32 vcc, 16, v5
	s_and_saveexec_b64 s[38:39], vcc
	s_cbranch_execz .LBB31_23
; %bb.21:                               ;   in Loop: Header=BB31_7 Depth=1
	v_cmp_eq_u32_e64 s[8:9], 1, v25
	v_cmp_eq_u32_e32 vcc, 3, v25
	v_cmp_eq_u32_e64 s[6:7], 2, v25
	s_waitcnt lgkmcnt(0)
	v_cndmask_b32_e64 v0, v0, v4, s[8:9]
	v_cmp_eq_u32_e64 s[8:9], 0, v25
	v_cvt_f16_f32_sdwa v7, v0 dst_sel:WORD_1 dst_unused:UNUSED_PAD src0_sel:DWORD
	s_nop 0
	v_cndmask_b32_e64 v1, v1, v4, s[8:9]
	s_mul_i32 s8, s53, s13
	s_ashr_i32 s9, s8, 31
	s_lshl_b64 s[8:9], s[8:9], 1
	s_add_u32 s40, s24, s8
	s_addc_u32 s41, s25, s9
	s_ashr_i32 s31, s30, 31
	s_lshl_b64 s[8:9], s[30:31], 1
	v_cvt_f16_f32_e32 v6, v1
	s_add_u32 s8, s40, s8
	s_addc_u32 s9, s41, s9
	v_lshl_add_u64 v[0:1], v[10:11], 1, s[8:9]
	v_cmp_gt_u32_e64 s[8:9], 14, v5
	v_or_b32_e32 v6, v7, v6
	;;#ASMSTART
	global_atomic_pk_add_f16 v[0:1], v6, off
	
	;;#ASMEND
	s_and_b64 exec, exec, s[8:9]
	s_cbranch_execz .LBB31_23
; %bb.22:                               ;   in Loop: Header=BB31_7 Depth=1
	v_cndmask_b32_e32 v2, v2, v4, vcc
	v_cndmask_b32_e64 v3, v3, v4, s[6:7]
	v_cvt_f16_f32_e32 v3, v3
	v_cvt_f16_f32_sdwa v2, v2 dst_sel:WORD_1 dst_unused:UNUSED_PAD src0_sel:DWORD
	v_lshl_add_u64 v[0:1], s[10:11], 2, v[0:1]
	v_or_b32_e32 v2, v2, v3
	;;#ASMSTART
	global_atomic_pk_add_f16 v[0:1], v2, off
	
	;;#ASMEND
.LBB31_23:                              ;   in Loop: Header=BB31_7 Depth=1
	s_or_b64 exec, exec, s[38:39]
	v_subrev_u32_e32 v31, s52, v31
.LBB31_24:                              ;   in Loop: Header=BB31_7 Depth=1
	s_or_b64 exec, exec, s[36:37]
.LBB31_25:                              ;   in Loop: Header=BB31_7 Depth=1
	s_andn2_saveexec_b64 s[6:7], s[34:35]
	s_cbranch_execz .LBB31_34
; %bb.26:                               ;   in Loop: Header=BB31_7 Depth=1
	v_cmp_gt_i32_e32 vcc, s52, v31
	s_and_saveexec_b64 s[8:9], vcc
	s_cbranch_execz .LBB31_33
; %bb.27:                               ;   in Loop: Header=BB31_7 Depth=1
	s_mul_i32 s30, s30, s15
	s_ashr_i32 s31, s30, 31
	s_waitcnt lgkmcnt(0)
	s_add_u32 s30, s22, s30
	s_addc_u32 s31, s23, s31
	s_ashr_i32 s34, s54, 31
	s_add_u32 s30, s30, s54
	s_addc_u32 s31, s31, s34
	v_lshl_add_u64 v[0:1], s[30:31], 0, v[14:15]
	v_lshl_add_u64 v[16:17], v[0:1], 0, v[12:13]
	s_mov_b64 s[30:31], 0
	s_branch .LBB31_29
.LBB31_28:                              ;   in Loop: Header=BB31_29 Depth=2
	s_or_b64 exec, exec, s[34:35]
	v_lshl_add_u32 v32, v18, 11, v27
	;;#ASMSTART
	s_waitcnt vmcnt(1)
	;;#ASMEND
	ds_write2_b32 v32, v4, v5 offset1:32
	ds_write2_b32 v32, v6, v7 offset0:64 offset1:96
	v_add_u32_e32 v4, 0x400, v32
	v_add_u32_e32 v31, s18, v31
	;;#ASMSTART
	s_waitcnt vmcnt(0)
	;;#ASMEND
	ds_write2_b32 v4, v0, v1 offset1:32
	ds_write2_b32 v4, v2, v3 offset0:64 offset1:96
	v_add_u32_e32 v0, 1, v20
	v_add_u32_e32 v18, s18, v18
	v_cmp_le_i32_e32 vcc, s52, v31
	ds_write_b32 v19, v0 offset:24
	v_add_u32_e32 v0, 2, v20
	s_or_b64 s[30:31], vcc, s[30:31]
	v_cmp_lt_i32_e32 vcc, 5, v18
	s_nop 1
	v_cndmask_b32_e32 v20, v20, v0, vcc
	s_andn2_b64 exec, exec, s[30:31]
	s_cbranch_execz .LBB31_32
.LBB31_29:                              ;   Parent Loop BB31_7 Depth=1
                                        ; =>  This Loop Header: Depth=2
                                        ;       Child Loop BB31_31 Depth 3
	v_cmp_gt_i32_e32 vcc, 6, v18
	s_nop 1
	v_cndmask_b32_e64 v0, -6, 0, vcc
	v_add_u32_e32 v18, v0, v18
	v_lshlrev_b32_e32 v0, 7, v31
	v_ashrrev_i32_e32 v1, 31, v0
	v_lshl_add_u64 v[0:1], v[16:17], 0, v[0:1]
	v_lshlrev_b32_e32 v19, 2, v18
	;;#ASMSTART
	global_load_dwordx4 v[4:7], v[0:1], off offset:0   sc0 sc1 nt  
	global_load_dwordx4 v[0:3], v[0:1], off offset:64  sc0 sc1 nt  
	
	;;#ASMEND
	ds_read_b32 v32, v19 offset:24600
	v_add_u32_e32 v19, 0x6000, v19
	s_waitcnt lgkmcnt(0)
	v_cmp_ne_u32_e32 vcc, v32, v20
	s_and_saveexec_b64 s[34:35], vcc
	s_cbranch_execz .LBB31_28
; %bb.30:                               ;   in Loop: Header=BB31_29 Depth=2
	s_mov_b64 s[36:37], 0
.LBB31_31:                              ;   Parent Loop BB31_7 Depth=1
                                        ;     Parent Loop BB31_29 Depth=2
                                        ; =>    This Inner Loop Header: Depth=3
	;;#ASMSTART
	s_sleep 0
	;;#ASMEND
	ds_read_b32 v32, v19 offset:24
	s_waitcnt lgkmcnt(0)
	v_cmp_eq_u32_e32 vcc, v32, v20
	s_or_b64 s[36:37], vcc, s[36:37]
	s_andn2_b64 exec, exec, s[36:37]
	s_cbranch_execnz .LBB31_31
	s_branch .LBB31_28
.LBB31_32:                              ;   in Loop: Header=BB31_7 Depth=1
	s_or_b64 exec, exec, s[30:31]
.LBB31_33:                              ;   in Loop: Header=BB31_7 Depth=1
	s_or_b64 exec, exec, s[8:9]
	v_subrev_u32_e32 v31, s52, v31
.LBB31_34:                              ;   in Loop: Header=BB31_7 Depth=1
	s_or_b64 exec, exec, s[6:7]
.LBB31_35:                              ;   in Loop: Header=BB31_7 Depth=1
	s_andn2_saveexec_b64 s[6:7], s[28:29]
	s_cbranch_execz .LBB31_6
; %bb.36:                               ;   in Loop: Header=BB31_7 Depth=1
	v_cmp_gt_i32_e32 vcc, s52, v31
	s_and_saveexec_b64 s[8:9], vcc
	s_cbranch_execz .LBB31_5
; %bb.37:                               ;   in Loop: Header=BB31_7 Depth=1
	s_mul_i32 s53, s53, s14
	s_ashr_i32 s28, s53, 31
	s_waitcnt lgkmcnt(0)
	s_add_u32 s29, s20, s53
	s_addc_u32 s30, s21, s28
	s_ashr_i32 s31, s54, 31
	v_cmp_le_i32_e32 vcc, s55, v28
	s_add_u32 s28, s29, s54
	s_addc_u32 s29, s30, s31
	v_cndmask_b32_e32 v0, 0, v29, vcc
	v_ashrrev_i32_e32 v1, 31, v0
	v_lshl_add_u64 v[0:1], s[28:29], 0, v[0:1]
	v_lshl_add_u64 v[16:17], v[0:1], 0, v[12:13]
	s_mov_b64 s[28:29], 0
	s_branch .LBB31_39
.LBB31_38:                              ;   in Loop: Header=BB31_39 Depth=2
	s_or_b64 exec, exec, s[30:31]
	v_lshl_or_b32 v32, v18, 11, v26
	;;#ASMSTART
	s_waitcnt vmcnt(1)
	;;#ASMEND
	ds_write2_b32 v32, v4, v5 offset1:32
	ds_write2_b32 v32, v6, v7 offset0:64 offset1:96
	v_add_u32_e32 v4, 0x400, v32
	v_add_u32_e32 v31, s17, v31
	;;#ASMSTART
	s_waitcnt vmcnt(0)
	;;#ASMEND
	ds_write2_b32 v4, v0, v1 offset1:32
	ds_write2_b32 v4, v2, v3 offset0:64 offset1:96
	v_add_u32_e32 v0, 1, v20
	v_add_u32_e32 v18, s17, v18
	v_cmp_le_i32_e32 vcc, s52, v31
	ds_write_b32 v19, v0
	v_add_u32_e32 v0, 2, v20
	s_or_b64 s[28:29], vcc, s[28:29]
	v_cmp_lt_i32_e32 vcc, 5, v18
	s_nop 1
	v_cndmask_b32_e32 v20, v20, v0, vcc
	s_andn2_b64 exec, exec, s[28:29]
	s_cbranch_execz .LBB31_4
.LBB31_39:                              ;   Parent Loop BB31_7 Depth=1
                                        ; =>  This Loop Header: Depth=2
                                        ;       Child Loop BB31_41 Depth 3
	v_cmp_gt_i32_e32 vcc, 6, v18
	s_nop 1
	v_cndmask_b32_e64 v0, -6, 0, vcc
	v_add_u32_e32 v18, v0, v18
	v_lshlrev_b32_e32 v0, 7, v31
	v_ashrrev_i32_e32 v1, 31, v0
	v_lshl_add_u64 v[0:1], v[16:17], 0, v[0:1]
	v_lshlrev_b32_e32 v19, 2, v18
	;;#ASMSTART
	global_load_dwordx4 v[4:7], v[0:1], off offset:0   
	global_load_dwordx4 v[0:3], v[0:1], off offset:64  
	
	;;#ASMEND
	ds_read_b32 v32, v19 offset:24576
	v_add_u32_e32 v19, 0x6000, v19
	s_waitcnt lgkmcnt(0)
	v_cmp_ne_u32_e32 vcc, v32, v20
	s_and_saveexec_b64 s[30:31], vcc
	s_cbranch_execz .LBB31_38
; %bb.40:                               ;   in Loop: Header=BB31_39 Depth=2
	s_mov_b64 s[34:35], 0
.LBB31_41:                              ;   Parent Loop BB31_7 Depth=1
                                        ;     Parent Loop BB31_39 Depth=2
                                        ; =>    This Inner Loop Header: Depth=3
	;;#ASMSTART
	s_sleep 0
	;;#ASMEND
	ds_read_b32 v32, v19
	s_waitcnt lgkmcnt(0)
	v_cmp_eq_u32_e32 vcc, v32, v20
	s_or_b64 s[34:35], vcc, s[34:35]
	s_andn2_b64 exec, exec, s[34:35]
	s_cbranch_execnz .LBB31_41
	s_branch .LBB31_38
.LBB31_42:
	s_endpgm
	.section	.rodata,"a",@progbits
	.p2align	6, 0x0
	.amdhsa_kernel _Z19_skinny_gemm_kernelILi1ELi1ELi6ELi16ELi4EEvPKhS1_P6__halfPKfiiiiiiii
		.amdhsa_group_segment_fixed_size 24624
		.amdhsa_private_segment_fixed_size 0
		.amdhsa_kernarg_size 64
		.amdhsa_user_sgpr_count 2
		.amdhsa_user_sgpr_dispatch_ptr 0
		.amdhsa_user_sgpr_queue_ptr 0
		.amdhsa_user_sgpr_kernarg_segment_ptr 1
		.amdhsa_user_sgpr_dispatch_id 0
		.amdhsa_user_sgpr_kernarg_preload_length 0
		.amdhsa_user_sgpr_kernarg_preload_offset 0
		.amdhsa_user_sgpr_private_segment_size 0
		.amdhsa_uses_dynamic_stack 0
		.amdhsa_enable_private_segment 0
		.amdhsa_system_sgpr_workgroup_id_x 1
		.amdhsa_system_sgpr_workgroup_id_y 0
		.amdhsa_system_sgpr_workgroup_id_z 0
		.amdhsa_system_sgpr_workgroup_info 0
		.amdhsa_system_vgpr_workitem_id 0
		.amdhsa_next_free_vgpr 41
		.amdhsa_next_free_sgpr 56
		.amdhsa_accum_offset 44
		.amdhsa_reserve_vcc 1
		.amdhsa_float_round_mode_32 0
		.amdhsa_float_round_mode_16_64 0
		.amdhsa_float_denorm_mode_32 3
		.amdhsa_float_denorm_mode_16_64 3
		.amdhsa_dx10_clamp 1
		.amdhsa_ieee_mode 1
		.amdhsa_fp16_overflow 0
		.amdhsa_tg_split 0
		.amdhsa_exception_fp_ieee_invalid_op 0
		.amdhsa_exception_fp_denorm_src 0
		.amdhsa_exception_fp_ieee_div_zero 0
		.amdhsa_exception_fp_ieee_overflow 0
		.amdhsa_exception_fp_ieee_underflow 0
		.amdhsa_exception_fp_ieee_inexact 0
		.amdhsa_exception_int_div_zero 0
	.end_amdhsa_kernel
	.section	.text._Z19_skinny_gemm_kernelILi1ELi1ELi6ELi16ELi4EEvPKhS1_P6__halfPKfiiiiiiii,"axG",@progbits,_Z19_skinny_gemm_kernelILi1ELi1ELi6ELi16ELi4EEvPKhS1_P6__halfPKfiiiiiiii,comdat
.Lfunc_end31:
	.size	_Z19_skinny_gemm_kernelILi1ELi1ELi6ELi16ELi4EEvPKhS1_P6__halfPKfiiiiiiii, .Lfunc_end31-_Z19_skinny_gemm_kernelILi1ELi1ELi6ELi16ELi4EEvPKhS1_P6__halfPKfiiiiiiii
                                        ; -- End function
	.set _Z19_skinny_gemm_kernelILi1ELi1ELi6ELi16ELi4EEvPKhS1_P6__halfPKfiiiiiiii.num_vgpr, 41
	.set _Z19_skinny_gemm_kernelILi1ELi1ELi6ELi16ELi4EEvPKhS1_P6__halfPKfiiiiiiii.num_agpr, 0
	.set _Z19_skinny_gemm_kernelILi1ELi1ELi6ELi16ELi4EEvPKhS1_P6__halfPKfiiiiiiii.numbered_sgpr, 56
	.set _Z19_skinny_gemm_kernelILi1ELi1ELi6ELi16ELi4EEvPKhS1_P6__halfPKfiiiiiiii.num_named_barrier, 0
	.set _Z19_skinny_gemm_kernelILi1ELi1ELi6ELi16ELi4EEvPKhS1_P6__halfPKfiiiiiiii.private_seg_size, 0
	.set _Z19_skinny_gemm_kernelILi1ELi1ELi6ELi16ELi4EEvPKhS1_P6__halfPKfiiiiiiii.uses_vcc, 1
	.set _Z19_skinny_gemm_kernelILi1ELi1ELi6ELi16ELi4EEvPKhS1_P6__halfPKfiiiiiiii.uses_flat_scratch, 0
	.set _Z19_skinny_gemm_kernelILi1ELi1ELi6ELi16ELi4EEvPKhS1_P6__halfPKfiiiiiiii.has_dyn_sized_stack, 0
	.set _Z19_skinny_gemm_kernelILi1ELi1ELi6ELi16ELi4EEvPKhS1_P6__halfPKfiiiiiiii.has_recursion, 0
	.set _Z19_skinny_gemm_kernelILi1ELi1ELi6ELi16ELi4EEvPKhS1_P6__halfPKfiiiiiiii.has_indirect_call, 0
	.section	.AMDGPU.csdata,"",@progbits
; Kernel info:
; codeLenInByte = 2600
; TotalNumSgprs: 62
; NumVgprs: 41
; NumAgprs: 0
; TotalNumVgprs: 41
; ScratchSize: 0
; MemoryBound: 0
; FloatMode: 240
; IeeeMode: 1
; LDSByteSize: 24624 bytes/workgroup (compile time only)
; SGPRBlocks: 7
; VGPRBlocks: 5
; NumSGPRsForWavesPerEU: 62
; NumVGPRsForWavesPerEU: 41
; AccumOffset: 44
; Occupancy: 8
; WaveLimiterHint : 0
; COMPUTE_PGM_RSRC2:SCRATCH_EN: 0
; COMPUTE_PGM_RSRC2:USER_SGPR: 2
; COMPUTE_PGM_RSRC2:TRAP_HANDLER: 0
; COMPUTE_PGM_RSRC2:TGID_X_EN: 1
; COMPUTE_PGM_RSRC2:TGID_Y_EN: 0
; COMPUTE_PGM_RSRC2:TGID_Z_EN: 0
; COMPUTE_PGM_RSRC2:TIDIG_COMP_CNT: 0
; COMPUTE_PGM_RSRC3_GFX90A:ACCUM_OFFSET: 10
; COMPUTE_PGM_RSRC3_GFX90A:TG_SPLIT: 0
	.section	.text._Z19_skinny_gemm_kernelILi1ELi1ELi6ELi16ELi8EEvPKhS1_P6__halfPKfiiiiiiii,"axG",@progbits,_Z19_skinny_gemm_kernelILi1ELi1ELi6ELi16ELi8EEvPKhS1_P6__halfPKfiiiiiiii,comdat
	.protected	_Z19_skinny_gemm_kernelILi1ELi1ELi6ELi16ELi8EEvPKhS1_P6__halfPKfiiiiiiii ; -- Begin function _Z19_skinny_gemm_kernelILi1ELi1ELi6ELi16ELi8EEvPKhS1_P6__halfPKfiiiiiiii
	.globl	_Z19_skinny_gemm_kernelILi1ELi1ELi6ELi16ELi8EEvPKhS1_P6__halfPKfiiiiiiii
	.p2align	8
	.type	_Z19_skinny_gemm_kernelILi1ELi1ELi6ELi16ELi8EEvPKhS1_P6__halfPKfiiiiiiii,@function
_Z19_skinny_gemm_kernelILi1ELi1ELi6ELi16ELi8EEvPKhS1_P6__halfPKfiiiiiiii: ; @_Z19_skinny_gemm_kernelILi1ELi1ELi6ELi16ELi8EEvPKhS1_P6__halfPKfiiiiiiii
; %bb.0:
	v_cmp_gt_u32_e32 vcc, 12, v0
	v_lshlrev_b32_e32 v1, 2, v0
	s_and_saveexec_b64 s[4:5], vcc
; %bb.1:
	v_mov_b32_e32 v2, 0
	ds_write_b32 v1, v2 offset:49152
; %bb.2:
	s_or_b64 exec, exec, s[4:5]
	s_load_dwordx8 s[12:19], s[0:1], 0x20
	s_waitcnt lgkmcnt(0)
	s_barrier
	s_add_i32 s3, s12, 15
	s_ashr_i32 s5, s3, 31
	s_add_i32 s4, s13, 15
	s_lshr_b32 s5, s5, 28
	s_ashr_i32 s6, s4, 31
	s_add_i32 s3, s3, s5
	s_ashr_i32 s33, s3, 4
	s_lshr_b32 s3, s6, 28
	s_add_i32 s4, s4, s3
	s_ashr_i32 s42, s4, 4
	s_mul_i32 s3, s42, s33
	s_mul_i32 s3, s3, s16
	s_add_i32 s4, s3, 0x12f
	s_mul_hi_i32 s4, s4, 0x6bca1af3
	s_lshr_b32 s5, s4, 31
	s_ashr_i32 s4, s4, 7
	s_add_i32 s4, s4, s5
	s_add_i32 s5, s2, 1
	s_mul_i32 s5, s4, s5
	v_cvt_f64_i32_e32 v[2:3], s3
	v_cvt_f64_u32_e32 v[4:5], s5
	v_min_f64 v[2:3], v[2:3], v[4:5]
	v_cvt_i32_f64_e32 v17, v[2:3]
	s_mul_i32 s43, s4, s2
	v_cmp_ge_i32_e32 vcc, s43, v17
	s_cbranch_vccnz .LBB32_42
; %bb.3:
	v_lshrrev_b32_e32 v2, 6, v0
	s_add_i32 s4, s18, s17
	s_load_dwordx8 s[20:27], s[0:1], 0x0
	v_cmp_le_i32_e64 s[0:1], s4, v2
	v_mov_b32_e32 v3, s17
	v_cmp_le_i32_e64 s[2:3], s17, v2
	v_mov_b32_e32 v4, s18
	v_cndmask_b32_e64 v4, 0, v4, s[0:1]
	v_cndmask_b32_e64 v3, 0, v3, s[2:3]
	s_abs_i32 s5, s16
	v_add_u32_e32 v3, v3, v4
	v_cvt_f32_u32_e32 v4, s5
	v_sub_u32_e32 v6, v2, v3
	s_ashr_i32 s6, s14, 31
	s_lshr_b32 s6, s6, 24
	v_rcp_iflag_f32_e32 v3, v4
	s_sub_i32 s9, 0, s5
	s_add_i32 s6, s14, s6
	s_ashr_i32 s6, s6, 8
	v_mul_f32_e32 v3, 0x4f7ffffe, v3
	v_cvt_u32_f32_e32 v3, v3
	s_abs_i32 s8, s6
	s_xor_b32 s7, s6, s16
	s_ashr_i32 s7, s7, 31
	v_readfirstlane_b32 s10, v3
	s_mul_i32 s9, s9, s10
	s_mul_hi_u32 s9, s10, s9
	s_add_i32 s10, s10, s9
	s_mul_hi_u32 s9, s8, s10
	s_mul_i32 s10, s9, s5
	s_sub_i32 s8, s8, s10
	s_add_i32 s10, s9, 1
	s_sub_i32 s11, s8, s5
	s_cmp_ge_u32 s8, s5
	s_cselect_b32 s9, s10, s9
	s_cselect_b32 s8, s11, s8
	s_add_i32 s10, s9, 1
	s_cmp_ge_u32 s8, s5
	s_cselect_b32 s5, s10, s9
	s_xor_b32 s5, s5, s7
	s_sub_i32 s44, s5, s7
	s_add_i32 s16, s16, -1
	s_mul_i32 s5, s44, s16
	s_add_i32 s4, s4, s19
	s_sub_i32 s45, s6, s5
	v_cmp_gt_i32_e64 s[4:5], s4, v2
	v_lshlrev_b32_e32 v2, 1, v0
	v_lshlrev_b32_e32 v3, 4, v0
	v_and_b32_e32 v1, 60, v1
	v_and_b32_e32 v2, 64, v2
	v_and_b32_e32 v4, 0x100, v3
	s_abs_i32 s46, s33
	v_or3_b32 v29, v1, v2, v4
	v_and_b32_e32 v1, 1, v0
	v_cvt_f32_u32_e32 v7, s46
	v_lshlrev_b32_e32 v2, 1, v1
	v_lshrrev_b32_e32 v4, 2, v0
	v_and_b32_e32 v16, 14, v0
	v_sub_u32_e32 v2, v0, v2
	v_and_or_b32 v31, v4, 12, v1
	v_bitop3_b32 v32, v0, 1, v0 bitop3:0xc
	v_bitop3_b32 v33, v0, 3, 1 bitop3:0x6c
	v_and_b32_e32 v20, 48, v3
	v_bfe_u32 v1, v0, 2, 4
	v_and_b32_e32 v3, 60, v0
	v_lshlrev_b32_e32 v5, 8, v0
	v_lshlrev_b32_e32 v0, 6, v0
	v_and_b32_e32 v5, 0x200, v5
	v_and_b32_e32 v0, 64, v0
	v_or3_b32 v34, v3, v5, v0
	v_rcp_iflag_f32_e32 v0, v7
	s_abs_i32 s47, s42
	v_mul_lo_u32 v22, s15, v1
	v_mul_lo_u32 v37, s14, v1
	v_cvt_f32_u32_e32 v1, s47
	v_mul_f32_e32 v0, 0x4f7ffffe, v0
	v_cvt_u32_f32_e32 v0, v0
	v_mad_u64_u32 v[18:19], s[6:7], s13, v31, v[16:17]
	v_rcp_iflag_f32_e32 v1, v1
	v_readfirstlane_b32 s7, v0
	s_sub_i32 s6, 0, s46
	s_mul_i32 s6, s6, s7
	v_mul_f32_e32 v0, 0x4f7ffffe, v1
	v_cvt_u32_f32_e32 v0, v0
	s_mul_hi_u32 s6, s7, s6
	v_add_u32_e32 v2, 1, v2
	s_add_i32 s49, s7, s6
	s_sub_i32 s6, 0, s47
	v_readfirstlane_b32 s7, v0
	v_mbcnt_lo_u32_b32 v0, -1, 0
	v_and_b32_e32 v2, 63, v2
	s_mul_i32 s6, s6, s7
	v_mbcnt_hi_u32_b32 v0, -1, v0
	s_mul_hi_u32 s6, s7, s6
	v_and_or_b32 v0, v0, 64, v2
	v_cndmask_b32_e64 v28, 0, 1, s[0:1]
	v_or_b32_e32 v30, 0x6000, v29
	v_ashrrev_i32_e32 v19, 31, v18
	s_ashr_i32 s11, s13, 31
	s_mov_b32 s10, s13
	v_ashrrev_i32_e32 v23, 31, v22
	v_mov_b32_e32 v21, 0
	v_or_b32_e32 v35, 0x6000, v34
	v_bitop3_b32 v36, v4, 15, v4 bitop3:0xc
	s_ashr_i32 s48, s33, 31
	s_ashr_i32 s50, s42, 31
	s_add_i32 s51, s7, s6
	v_lshlrev_b32_e32 v38, 2, v0
	v_mov_b32_e32 v39, v6
	s_branch .LBB32_7
.LBB32_4:                               ;   in Loop: Header=BB32_7 Depth=1
	s_or_b64 exec, exec, s[28:29]
.LBB32_5:                               ;   in Loop: Header=BB32_7 Depth=1
	s_or_b64 exec, exec, s[8:9]
	v_subrev_u32_e32 v39, s52, v39
.LBB32_6:                               ;   in Loop: Header=BB32_7 Depth=1
	s_or_b64 exec, exec, s[6:7]
	s_add_i32 s43, s43, 1
	v_cmp_ge_i32_e32 vcc, s43, v17
	s_cbranch_vccnz .LBB32_42
.LBB32_7:                               ; =>This Loop Header: Depth=1
                                        ;     Child Loop BB32_13 Depth 2
                                        ;       Child Loop BB32_15 Depth 3
                                        ;       Child Loop BB32_18 Depth 3
                                        ;     Child Loop BB32_29 Depth 2
                                        ;       Child Loop BB32_31 Depth 3
                                        ;     Child Loop BB32_39 Depth 2
                                        ;       Child Loop BB32_41 Depth 3
	s_abs_i32 s7, s43
	s_mul_hi_u32 s8, s7, s49
	s_mul_i32 s9, s8, s46
	s_ashr_i32 s6, s43, 31
	s_sub_i32 s7, s7, s9
	s_xor_b32 s6, s6, s48
	s_add_i32 s9, s8, 1
	s_sub_i32 s28, s7, s46
	s_cmp_ge_u32 s7, s46
	s_cselect_b32 s8, s9, s8
	s_cselect_b32 s7, s28, s7
	s_add_i32 s9, s8, 1
	s_cmp_ge_u32 s7, s46
	s_cselect_b32 s7, s9, s8
	s_xor_b32 s7, s7, s6
	s_sub_i32 s6, s7, s6
	s_abs_i32 s8, s6
	s_mul_i32 s7, s6, s33
	s_mul_hi_u32 s9, s8, s51
	s_sub_i32 s7, s43, s7
	s_mul_i32 s28, s9, s47
	s_lshl_b32 s53, s7, 4
	s_ashr_i32 s7, s6, 31
	s_sub_i32 s8, s8, s28
	s_xor_b32 s7, s7, s50
	s_add_i32 s28, s9, 1
	s_sub_i32 s29, s8, s47
	s_cmp_ge_u32 s8, s47
	s_cselect_b32 s9, s28, s9
	s_cselect_b32 s8, s29, s8
	s_add_i32 s28, s9, 1
	s_cmp_ge_u32 s8, s47
	s_cselect_b32 s8, s28, s9
	s_xor_b32 s8, s8, s7
	s_sub_i32 s7, s8, s7
	s_mul_i32 s8, s7, s44
	s_lshl_b32 s54, s8, 8
	s_cmp_eq_u32 s7, s16
	s_cselect_b32 s52, s45, s44
	s_sub_i32 s55, s53, s12
	s_add_i32 s55, s55, 16
	s_and_saveexec_b64 s[8:9], s[2:3]
	s_xor_b64 s[28:29], exec, s[8:9]
	s_cbranch_execz .LBB32_35
; %bb.8:                                ;   in Loop: Header=BB32_7 Depth=1
	s_mul_i32 s7, s7, s42
	s_sub_i32 s6, s6, s7
	s_lshl_b32 s6, s6, 4
	s_sub_i32 s31, s6, s13
	s_add_i32 s31, s31, 16
	s_max_i32 s7, s31, 0
	s_sub_i32 s30, s6, s7
	s_and_saveexec_b64 s[6:7], s[0:1]
	s_xor_b64 s[34:35], exec, s[6:7]
	s_cbranch_execz .LBB32_25
; %bb.9:                                ;   in Loop: Header=BB32_7 Depth=1
	s_and_saveexec_b64 s[36:37], s[4:5]
	s_cbranch_execz .LBB32_24
; %bb.10:                               ;   in Loop: Header=BB32_7 Depth=1
	s_waitcnt lgkmcnt(0)
	global_load_dword v40, v21, s[26:27]
	v_mov_b32_e32 v3, 0
	v_cmp_gt_i32_e32 vcc, s52, v39
	v_mov_b32_e32 v2, v3
	v_mov_b32_e32 v1, v3
	;; [unrolled: 1-line block ×3, first 2 shown]
	s_and_saveexec_b64 s[6:7], vcc
	s_cbranch_execz .LBB32_20
; %bb.11:                               ;   in Loop: Header=BB32_7 Depth=1
	v_mov_b32_e32 v0, 0
	s_mov_b64 s[8:9], 0
	v_mov_b32_e32 v1, v0
	v_mov_b32_e32 v2, v0
	;; [unrolled: 1-line block ×3, first 2 shown]
	s_branch .LBB32_13
.LBB32_12:                              ;   in Loop: Header=BB32_13 Depth=2
	s_or_b64 exec, exec, s[38:39]
	v_add_u32_e32 v48, v29, v44
	ds_read2_b32 v[44:45], v48 offset1:32
	ds_read2_b32 v[46:47], v48 offset0:128 offset1:160
	v_add_u32_e32 v49, 0x400, v48
	v_add_u32_e32 v39, s19, v39
	v_cmp_le_i32_e32 vcc, s52, v39
	s_waitcnt lgkmcnt(1)
	v_mfma_f32_16x16x32_fp8_fp8 v[0:3], v[44:45], v[6:7], v[0:3]
	ds_read2_b32 v[6:7], v49 offset1:32
	v_add_u32_e32 v44, 0x800, v48
	s_or_b64 s[8:9], vcc, s[8:9]
	s_waitcnt lgkmcnt(1)
	v_mfma_f32_16x16x32_fp8_fp8 v[0:3], v[46:47], v[8:9], v[0:3]
	ds_read2_b32 v[8:9], v49 offset0:128 offset1:160
	s_waitcnt lgkmcnt(1)
	v_mfma_f32_16x16x32_fp8_fp8 v[0:3], v[6:7], v[12:13], v[0:3]
	ds_read2_b32 v[6:7], v44 offset1:32
	s_waitcnt lgkmcnt(1)
	v_mfma_f32_16x16x32_fp8_fp8 v[0:3], v[8:9], v[14:15], v[0:3]
	ds_read2_b32 v[8:9], v44 offset0:128 offset1:160
	v_add_u32_e32 v14, 0xc00, v48
	ds_read2_b32 v[12:13], v14 offset1:32
	s_waitcnt lgkmcnt(2)
	v_mfma_f32_16x16x32_fp8_fp8 v[0:3], v[6:7], v[24:25], v[0:3]
	v_add_u32_e32 v6, s19, v42
	v_add_u32_e32 v7, 2, v28
	v_cmp_lt_i32_e32 vcc, 5, v6
	s_waitcnt lgkmcnt(1)
	v_mfma_f32_16x16x32_fp8_fp8 v[0:3], v[8:9], v[26:27], v[0:3]
	ds_read2_b32 v[8:9], v14 offset0:128 offset1:160
	v_cndmask_b32_e32 v28, v28, v7, vcc
	;;#ASMSTART
	s_waitcnt lgkmcnt(0)
	;;#ASMEND
	s_waitcnt lgkmcnt(1)
	v_mfma_f32_16x16x32_fp8_fp8 v[0:3], v[12:13], v[10:11], v[0:3]
	ds_write_b32 v41, v43
	s_waitcnt lgkmcnt(1)
	v_mfma_f32_16x16x32_fp8_fp8 v[0:3], v[8:9], v[4:5], v[0:3]
	s_andn2_b64 exec, exec, s[8:9]
	s_cbranch_execz .LBB32_19
.LBB32_13:                              ;   Parent Loop BB32_7 Depth=1
                                        ; =>  This Loop Header: Depth=2
                                        ;       Child Loop BB32_15 Depth 3
                                        ;       Child Loop BB32_18 Depth 3
	v_cmp_gt_i32_e32 vcc, 6, v6
	s_nop 1
	v_cndmask_b32_e64 v4, -6, 0, vcc
	v_add_u32_e32 v42, v4, v6
	v_lshlrev_b32_e32 v4, 2, v42
	ds_read_b32 v5, v4 offset:49176
	v_add_u32_e32 v41, 0xc000, v4
	s_waitcnt lgkmcnt(0)
	v_cmp_ne_u32_e32 vcc, v5, v28
	s_and_saveexec_b64 s[38:39], vcc
	s_cbranch_execz .LBB32_16
; %bb.14:                               ;   in Loop: Header=BB32_13 Depth=2
	s_mov_b64 s[40:41], 0
.LBB32_15:                              ;   Parent Loop BB32_7 Depth=1
                                        ;     Parent Loop BB32_13 Depth=2
                                        ; =>    This Inner Loop Header: Depth=3
	;;#ASMSTART
	s_sleep 0
	;;#ASMEND
	ds_read_b32 v4, v41 offset:24
	s_waitcnt lgkmcnt(0)
	v_cmp_eq_u32_e32 vcc, v4, v28
	s_or_b64 s[40:41], vcc, s[40:41]
	s_andn2_b64 exec, exec, s[40:41]
	s_cbranch_execnz .LBB32_15
.LBB32_16:                              ;   in Loop: Header=BB32_13 Depth=2
	s_or_b64 exec, exec, s[38:39]
	v_lshlrev_b32_e32 v44, 12, v42
	v_add_u32_e32 v4, v30, v44
	v_add_u32_e32 v5, 0x400, v4
	ds_read2_b32 v[6:7], v4 offset1:32
	ds_read2_b32 v[8:9], v4 offset0:128 offset1:160
	ds_read2_b32 v[12:13], v5 offset1:32
	ds_read2_b32 v[14:15], v5 offset0:128 offset1:160
	v_add_u32_e32 v5, 0x800, v4
	v_add_u32_e32 v4, 0xc00, v4
	ds_read2_b32 v[24:25], v5 offset1:32
	ds_read2_b32 v[26:27], v5 offset0:128 offset1:160
	ds_read2_b32 v[10:11], v4 offset1:32
	ds_read2_b32 v[4:5], v4 offset0:128 offset1:160
	;;#ASMSTART
	s_waitcnt lgkmcnt(0)
	;;#ASMEND
	ds_read_b32 v45, v41
	v_add_u32_e32 v43, 1, v28
	ds_write_b32 v41, v43 offset:24
	s_waitcnt lgkmcnt(1)
	v_cmp_ne_u32_e32 vcc, v45, v28
	s_and_saveexec_b64 s[38:39], vcc
	s_cbranch_execz .LBB32_12
; %bb.17:                               ;   in Loop: Header=BB32_13 Depth=2
	s_mov_b64 s[40:41], 0
.LBB32_18:                              ;   Parent Loop BB32_7 Depth=1
                                        ;     Parent Loop BB32_13 Depth=2
                                        ; =>    This Inner Loop Header: Depth=3
	;;#ASMSTART
	s_sleep 0
	;;#ASMEND
	ds_read_b32 v45, v41
	s_waitcnt lgkmcnt(0)
	v_cmp_eq_u32_e32 vcc, v45, v28
	s_or_b64 s[40:41], vcc, s[40:41]
	s_andn2_b64 exec, exec, s[40:41]
	s_cbranch_execnz .LBB32_18
	s_branch .LBB32_12
.LBB32_19:                              ;   in Loop: Header=BB32_7 Depth=1
	s_or_b64 exec, exec, s[8:9]
.LBB32_20:                              ;   in Loop: Header=BB32_7 Depth=1
	s_or_b64 exec, exec, s[6:7]
	v_cmp_le_i32_e32 vcc, s31, v16
	v_cmp_eq_u32_e64 s[6:7], 3, v32
	s_waitcnt vmcnt(0)
	v_cndmask_b32_e32 v4, 0, v40, vcc
	v_pk_mul_f32 v[8:9], v[4:5], v[2:3] op_sel_hi:[0,1]
	v_pk_mul_f32 v[4:5], v[4:5], v[0:1] op_sel_hi:[0,1]
	v_cmp_eq_u32_e32 vcc, 1, v32
	s_nop 1
	v_cndmask_b32_e32 v0, v4, v5, vcc
	v_cmp_eq_u32_e32 vcc, 2, v32
	s_nop 1
	v_cndmask_b32_e32 v0, v0, v8, vcc
	v_cndmask_b32_e64 v0, v0, v9, s[6:7]
	ds_bpermute_b32 v1, v38, v0
	s_waitcnt lgkmcnt(0)
	v_cndmask_b32_e32 v3, v8, v1, vcc
	v_cmp_ne_u32_e32 vcc, 0, v32
	v_cndmask_b32_e64 v2, v9, v1, s[6:7]
	s_max_i32 s6, s55, 0
	v_cndmask_b32_e32 v0, v5, v1, vcc
	v_cmp_eq_u32_e32 vcc, 0, v32
	v_add_u32_e32 v5, s6, v31
	s_nop 0
	v_cndmask_b32_e32 v1, v4, v1, vcc
	v_cmp_eq_u32_e32 vcc, 1, v33
	s_nop 1
	v_cndmask_b32_e32 v4, v1, v0, vcc
	v_cmp_eq_u32_e32 vcc, 2, v33
	;; [unrolled: 3-line block ×3, first 2 shown]
	s_nop 1
	v_cndmask_b32_e32 v4, v4, v2, vcc
	ds_bpermute_b32 v4, v38, v4
	v_cmp_gt_u32_e32 vcc, 16, v5
	s_and_saveexec_b64 s[38:39], vcc
	s_cbranch_execz .LBB32_23
; %bb.21:                               ;   in Loop: Header=BB32_7 Depth=1
	v_cmp_eq_u32_e64 s[8:9], 1, v33
	v_cmp_eq_u32_e32 vcc, 3, v33
	v_cmp_eq_u32_e64 s[6:7], 2, v33
	s_waitcnt lgkmcnt(0)
	v_cndmask_b32_e64 v0, v0, v4, s[8:9]
	v_cmp_eq_u32_e64 s[8:9], 0, v33
	v_cvt_f16_f32_sdwa v8, v0 dst_sel:WORD_1 dst_unused:UNUSED_PAD src0_sel:DWORD
	s_nop 0
	v_cndmask_b32_e64 v1, v1, v4, s[8:9]
	s_mul_i32 s8, s53, s13
	s_ashr_i32 s9, s8, 31
	s_lshl_b64 s[8:9], s[8:9], 1
	s_add_u32 s40, s24, s8
	s_addc_u32 s41, s25, s9
	s_ashr_i32 s31, s30, 31
	s_lshl_b64 s[8:9], s[30:31], 1
	v_cvt_f16_f32_e32 v7, v1
	s_add_u32 s8, s40, s8
	s_addc_u32 s9, s41, s9
	v_lshl_add_u64 v[0:1], v[18:19], 1, s[8:9]
	v_cmp_gt_u32_e64 s[8:9], 14, v5
	v_or_b32_e32 v7, v8, v7
	;;#ASMSTART
	global_atomic_pk_add_f16 v[0:1], v7, off
	
	;;#ASMEND
	s_and_b64 exec, exec, s[8:9]
	s_cbranch_execz .LBB32_23
; %bb.22:                               ;   in Loop: Header=BB32_7 Depth=1
	v_cndmask_b32_e32 v2, v2, v4, vcc
	v_cndmask_b32_e64 v3, v3, v4, s[6:7]
	v_cvt_f16_f32_e32 v3, v3
	v_cvt_f16_f32_sdwa v2, v2 dst_sel:WORD_1 dst_unused:UNUSED_PAD src0_sel:DWORD
	v_lshl_add_u64 v[0:1], s[10:11], 2, v[0:1]
	v_or_b32_e32 v2, v2, v3
	;;#ASMSTART
	global_atomic_pk_add_f16 v[0:1], v2, off
	
	;;#ASMEND
.LBB32_23:                              ;   in Loop: Header=BB32_7 Depth=1
	s_or_b64 exec, exec, s[38:39]
	v_subrev_u32_e32 v39, s52, v39
.LBB32_24:                              ;   in Loop: Header=BB32_7 Depth=1
	s_or_b64 exec, exec, s[36:37]
.LBB32_25:                              ;   in Loop: Header=BB32_7 Depth=1
	s_andn2_saveexec_b64 s[6:7], s[34:35]
	s_cbranch_execz .LBB32_34
; %bb.26:                               ;   in Loop: Header=BB32_7 Depth=1
	v_cmp_gt_i32_e32 vcc, s52, v39
	s_and_saveexec_b64 s[8:9], vcc
	s_cbranch_execz .LBB32_33
; %bb.27:                               ;   in Loop: Header=BB32_7 Depth=1
	s_mul_i32 s30, s30, s15
	s_ashr_i32 s31, s30, 31
	s_waitcnt lgkmcnt(0)
	s_add_u32 s30, s22, s30
	s_addc_u32 s31, s23, s31
	s_ashr_i32 s34, s54, 31
	s_add_u32 s30, s30, s54
	s_addc_u32 s31, s31, s34
	v_lshl_add_u64 v[0:1], s[30:31], 0, v[22:23]
	v_lshl_add_u64 v[24:25], v[0:1], 0, v[20:21]
	s_mov_b64 s[30:31], 0
	s_branch .LBB32_29
.LBB32_28:                              ;   in Loop: Header=BB32_29 Depth=2
	s_or_b64 exec, exec, s[34:35]
	v_lshl_add_u32 v40, v26, 12, v35
	;;#ASMSTART
	s_waitcnt vmcnt(3)
	;;#ASMEND
	ds_write2_b32 v40, v12, v13 offset1:32
	ds_write2_b32 v40, v14, v15 offset0:64 offset1:96
	v_add_u32_e32 v12, 0x400, v40
	;;#ASMSTART
	s_waitcnt vmcnt(2)
	;;#ASMEND
	ds_write2_b32 v12, v8, v9 offset1:32
	ds_write2_b32 v12, v10, v11 offset0:64 offset1:96
	v_add_u32_e32 v8, 0x800, v40
	;; [unrolled: 6-line block ×3, first 2 shown]
	v_add_u32_e32 v39, s18, v39
	;;#ASMSTART
	s_waitcnt vmcnt(0)
	;;#ASMEND
	ds_write2_b32 v4, v0, v1 offset1:32
	ds_write2_b32 v4, v2, v3 offset0:64 offset1:96
	v_add_u32_e32 v0, 1, v28
	v_add_u32_e32 v6, s18, v26
	v_cmp_le_i32_e32 vcc, s52, v39
	ds_write_b32 v27, v0 offset:24
	v_add_u32_e32 v0, 2, v28
	s_or_b64 s[30:31], vcc, s[30:31]
	v_cmp_lt_i32_e32 vcc, 5, v6
	s_nop 1
	v_cndmask_b32_e32 v28, v28, v0, vcc
	s_andn2_b64 exec, exec, s[30:31]
	s_cbranch_execz .LBB32_32
.LBB32_29:                              ;   Parent Loop BB32_7 Depth=1
                                        ; =>  This Loop Header: Depth=2
                                        ;       Child Loop BB32_31 Depth 3
	v_cmp_gt_i32_e32 vcc, 6, v6
	s_nop 1
	v_cndmask_b32_e64 v0, -6, 0, vcc
	v_add_u32_e32 v26, v0, v6
	v_lshlrev_b32_e32 v0, 8, v39
	v_ashrrev_i32_e32 v1, 31, v0
	v_lshl_add_u64 v[0:1], v[24:25], 0, v[0:1]
	v_lshlrev_b32_e32 v27, 2, v26
	;;#ASMSTART
	global_load_dwordx4 v[12:15], v[0:1], off offset:0    sc0 sc1 nt  
	global_load_dwordx4 v[8:11], v[0:1], off offset:64   sc0 sc1 nt  
	global_load_dwordx4 v[4:7], v[0:1], off offset:128  sc0 sc1 nt  
	global_load_dwordx4 v[0:3], v[0:1], off offset:192  sc0 sc1 nt  
	
	;;#ASMEND
	ds_read_b32 v40, v27 offset:49176
	v_add_u32_e32 v27, 0xc000, v27
	s_waitcnt lgkmcnt(0)
	v_cmp_ne_u32_e32 vcc, v40, v28
	s_and_saveexec_b64 s[34:35], vcc
	s_cbranch_execz .LBB32_28
; %bb.30:                               ;   in Loop: Header=BB32_29 Depth=2
	s_mov_b64 s[36:37], 0
.LBB32_31:                              ;   Parent Loop BB32_7 Depth=1
                                        ;     Parent Loop BB32_29 Depth=2
                                        ; =>    This Inner Loop Header: Depth=3
	;;#ASMSTART
	s_sleep 0
	;;#ASMEND
	ds_read_b32 v40, v27 offset:24
	s_waitcnt lgkmcnt(0)
	v_cmp_eq_u32_e32 vcc, v40, v28
	s_or_b64 s[36:37], vcc, s[36:37]
	s_andn2_b64 exec, exec, s[36:37]
	s_cbranch_execnz .LBB32_31
	s_branch .LBB32_28
.LBB32_32:                              ;   in Loop: Header=BB32_7 Depth=1
	s_or_b64 exec, exec, s[30:31]
.LBB32_33:                              ;   in Loop: Header=BB32_7 Depth=1
	s_or_b64 exec, exec, s[8:9]
	v_subrev_u32_e32 v39, s52, v39
.LBB32_34:                              ;   in Loop: Header=BB32_7 Depth=1
	s_or_b64 exec, exec, s[6:7]
.LBB32_35:                              ;   in Loop: Header=BB32_7 Depth=1
	s_andn2_saveexec_b64 s[6:7], s[28:29]
	s_cbranch_execz .LBB32_6
; %bb.36:                               ;   in Loop: Header=BB32_7 Depth=1
	v_cmp_gt_i32_e32 vcc, s52, v39
	s_and_saveexec_b64 s[8:9], vcc
	s_cbranch_execz .LBB32_5
; %bb.37:                               ;   in Loop: Header=BB32_7 Depth=1
	s_mul_i32 s53, s53, s14
	s_ashr_i32 s28, s53, 31
	s_waitcnt lgkmcnt(0)
	s_add_u32 s29, s20, s53
	s_addc_u32 s30, s21, s28
	s_ashr_i32 s31, s54, 31
	v_cmp_le_i32_e32 vcc, s55, v36
	s_add_u32 s28, s29, s54
	s_addc_u32 s29, s30, s31
	v_cndmask_b32_e32 v0, 0, v37, vcc
	v_ashrrev_i32_e32 v1, 31, v0
	v_lshl_add_u64 v[0:1], s[28:29], 0, v[0:1]
	v_lshl_add_u64 v[24:25], v[0:1], 0, v[20:21]
	s_mov_b64 s[28:29], 0
	s_branch .LBB32_39
.LBB32_38:                              ;   in Loop: Header=BB32_39 Depth=2
	s_or_b64 exec, exec, s[30:31]
	v_lshl_or_b32 v40, v26, 12, v34
	;;#ASMSTART
	s_waitcnt vmcnt(3)
	;;#ASMEND
	ds_write2_b32 v40, v12, v13 offset1:32
	ds_write2_b32 v40, v14, v15 offset0:64 offset1:96
	v_add_u32_e32 v12, 0x400, v40
	;;#ASMSTART
	s_waitcnt vmcnt(2)
	;;#ASMEND
	ds_write2_b32 v12, v8, v9 offset1:32
	ds_write2_b32 v12, v10, v11 offset0:64 offset1:96
	v_add_u32_e32 v8, 0x800, v40
	;; [unrolled: 6-line block ×3, first 2 shown]
	v_add_u32_e32 v39, s17, v39
	;;#ASMSTART
	s_waitcnt vmcnt(0)
	;;#ASMEND
	ds_write2_b32 v4, v0, v1 offset1:32
	ds_write2_b32 v4, v2, v3 offset0:64 offset1:96
	v_add_u32_e32 v0, 1, v28
	v_add_u32_e32 v6, s17, v26
	v_cmp_le_i32_e32 vcc, s52, v39
	ds_write_b32 v27, v0
	v_add_u32_e32 v0, 2, v28
	s_or_b64 s[28:29], vcc, s[28:29]
	v_cmp_lt_i32_e32 vcc, 5, v6
	s_nop 1
	v_cndmask_b32_e32 v28, v28, v0, vcc
	s_andn2_b64 exec, exec, s[28:29]
	s_cbranch_execz .LBB32_4
.LBB32_39:                              ;   Parent Loop BB32_7 Depth=1
                                        ; =>  This Loop Header: Depth=2
                                        ;       Child Loop BB32_41 Depth 3
	v_cmp_gt_i32_e32 vcc, 6, v6
	s_nop 1
	v_cndmask_b32_e64 v0, -6, 0, vcc
	v_add_u32_e32 v26, v0, v6
	v_lshlrev_b32_e32 v0, 8, v39
	v_ashrrev_i32_e32 v1, 31, v0
	v_lshl_add_u64 v[0:1], v[24:25], 0, v[0:1]
	v_lshlrev_b32_e32 v27, 2, v26
	;;#ASMSTART
	global_load_dwordx4 v[12:15], v[0:1], off offset:0    
	global_load_dwordx4 v[8:11], v[0:1], off offset:64   
	;; [unrolled: 1-line block ×4, first 2 shown]
	
	;;#ASMEND
	ds_read_b32 v40, v27 offset:49152
	v_add_u32_e32 v27, 0xc000, v27
	s_waitcnt lgkmcnt(0)
	v_cmp_ne_u32_e32 vcc, v40, v28
	s_and_saveexec_b64 s[30:31], vcc
	s_cbranch_execz .LBB32_38
; %bb.40:                               ;   in Loop: Header=BB32_39 Depth=2
	s_mov_b64 s[34:35], 0
.LBB32_41:                              ;   Parent Loop BB32_7 Depth=1
                                        ;     Parent Loop BB32_39 Depth=2
                                        ; =>    This Inner Loop Header: Depth=3
	;;#ASMSTART
	s_sleep 0
	;;#ASMEND
	ds_read_b32 v40, v27
	s_waitcnt lgkmcnt(0)
	v_cmp_eq_u32_e32 vcc, v40, v28
	s_or_b64 s[34:35], vcc, s[34:35]
	s_andn2_b64 exec, exec, s[34:35]
	s_cbranch_execnz .LBB32_41
	s_branch .LBB32_38
.LBB32_42:
	s_endpgm
	.section	.rodata,"a",@progbits
	.p2align	6, 0x0
	.amdhsa_kernel _Z19_skinny_gemm_kernelILi1ELi1ELi6ELi16ELi8EEvPKhS1_P6__halfPKfiiiiiiii
		.amdhsa_group_segment_fixed_size 49200
		.amdhsa_private_segment_fixed_size 0
		.amdhsa_kernarg_size 64
		.amdhsa_user_sgpr_count 2
		.amdhsa_user_sgpr_dispatch_ptr 0
		.amdhsa_user_sgpr_queue_ptr 0
		.amdhsa_user_sgpr_kernarg_segment_ptr 1
		.amdhsa_user_sgpr_dispatch_id 0
		.amdhsa_user_sgpr_kernarg_preload_length 0
		.amdhsa_user_sgpr_kernarg_preload_offset 0
		.amdhsa_user_sgpr_private_segment_size 0
		.amdhsa_uses_dynamic_stack 0
		.amdhsa_enable_private_segment 0
		.amdhsa_system_sgpr_workgroup_id_x 1
		.amdhsa_system_sgpr_workgroup_id_y 0
		.amdhsa_system_sgpr_workgroup_id_z 0
		.amdhsa_system_sgpr_workgroup_info 0
		.amdhsa_system_vgpr_workitem_id 0
		.amdhsa_next_free_vgpr 50
		.amdhsa_next_free_sgpr 56
		.amdhsa_accum_offset 52
		.amdhsa_reserve_vcc 1
		.amdhsa_float_round_mode_32 0
		.amdhsa_float_round_mode_16_64 0
		.amdhsa_float_denorm_mode_32 3
		.amdhsa_float_denorm_mode_16_64 3
		.amdhsa_dx10_clamp 1
		.amdhsa_ieee_mode 1
		.amdhsa_fp16_overflow 0
		.amdhsa_tg_split 0
		.amdhsa_exception_fp_ieee_invalid_op 0
		.amdhsa_exception_fp_denorm_src 0
		.amdhsa_exception_fp_ieee_div_zero 0
		.amdhsa_exception_fp_ieee_overflow 0
		.amdhsa_exception_fp_ieee_underflow 0
		.amdhsa_exception_fp_ieee_inexact 0
		.amdhsa_exception_int_div_zero 0
	.end_amdhsa_kernel
	.section	.text._Z19_skinny_gemm_kernelILi1ELi1ELi6ELi16ELi8EEvPKhS1_P6__halfPKfiiiiiiii,"axG",@progbits,_Z19_skinny_gemm_kernelILi1ELi1ELi6ELi16ELi8EEvPKhS1_P6__halfPKfiiiiiiii,comdat
.Lfunc_end32:
	.size	_Z19_skinny_gemm_kernelILi1ELi1ELi6ELi16ELi8EEvPKhS1_P6__halfPKfiiiiiiii, .Lfunc_end32-_Z19_skinny_gemm_kernelILi1ELi1ELi6ELi16ELi8EEvPKhS1_P6__halfPKfiiiiiiii
                                        ; -- End function
	.set _Z19_skinny_gemm_kernelILi1ELi1ELi6ELi16ELi8EEvPKhS1_P6__halfPKfiiiiiiii.num_vgpr, 50
	.set _Z19_skinny_gemm_kernelILi1ELi1ELi6ELi16ELi8EEvPKhS1_P6__halfPKfiiiiiiii.num_agpr, 0
	.set _Z19_skinny_gemm_kernelILi1ELi1ELi6ELi16ELi8EEvPKhS1_P6__halfPKfiiiiiiii.numbered_sgpr, 56
	.set _Z19_skinny_gemm_kernelILi1ELi1ELi6ELi16ELi8EEvPKhS1_P6__halfPKfiiiiiiii.num_named_barrier, 0
	.set _Z19_skinny_gemm_kernelILi1ELi1ELi6ELi16ELi8EEvPKhS1_P6__halfPKfiiiiiiii.private_seg_size, 0
	.set _Z19_skinny_gemm_kernelILi1ELi1ELi6ELi16ELi8EEvPKhS1_P6__halfPKfiiiiiiii.uses_vcc, 1
	.set _Z19_skinny_gemm_kernelILi1ELi1ELi6ELi16ELi8EEvPKhS1_P6__halfPKfiiiiiiii.uses_flat_scratch, 0
	.set _Z19_skinny_gemm_kernelILi1ELi1ELi6ELi16ELi8EEvPKhS1_P6__halfPKfiiiiiiii.has_dyn_sized_stack, 0
	.set _Z19_skinny_gemm_kernelILi1ELi1ELi6ELi16ELi8EEvPKhS1_P6__halfPKfiiiiiiii.has_recursion, 0
	.set _Z19_skinny_gemm_kernelILi1ELi1ELi6ELi16ELi8EEvPKhS1_P6__halfPKfiiiiiiii.has_indirect_call, 0
	.section	.AMDGPU.csdata,"",@progbits
; Kernel info:
; codeLenInByte = 2968
; TotalNumSgprs: 62
; NumVgprs: 50
; NumAgprs: 0
; TotalNumVgprs: 50
; ScratchSize: 0
; MemoryBound: 0
; FloatMode: 240
; IeeeMode: 1
; LDSByteSize: 49200 bytes/workgroup (compile time only)
; SGPRBlocks: 7
; VGPRBlocks: 6
; NumSGPRsForWavesPerEU: 62
; NumVGPRsForWavesPerEU: 50
; AccumOffset: 52
; Occupancy: 8
; WaveLimiterHint : 0
; COMPUTE_PGM_RSRC2:SCRATCH_EN: 0
; COMPUTE_PGM_RSRC2:USER_SGPR: 2
; COMPUTE_PGM_RSRC2:TRAP_HANDLER: 0
; COMPUTE_PGM_RSRC2:TGID_X_EN: 1
; COMPUTE_PGM_RSRC2:TGID_Y_EN: 0
; COMPUTE_PGM_RSRC2:TGID_Z_EN: 0
; COMPUTE_PGM_RSRC2:TIDIG_COMP_CNT: 0
; COMPUTE_PGM_RSRC3_GFX90A:ACCUM_OFFSET: 12
; COMPUTE_PGM_RSRC3_GFX90A:TG_SPLIT: 0
	.section	.text._Z19_skinny_gemm_kernelILi1ELi1ELi6ELi32ELi4EEvPKhS1_P6__halfPKfiiiiiiii,"axG",@progbits,_Z19_skinny_gemm_kernelILi1ELi1ELi6ELi32ELi4EEvPKhS1_P6__halfPKfiiiiiiii,comdat
	.protected	_Z19_skinny_gemm_kernelILi1ELi1ELi6ELi32ELi4EEvPKhS1_P6__halfPKfiiiiiiii ; -- Begin function _Z19_skinny_gemm_kernelILi1ELi1ELi6ELi32ELi4EEvPKhS1_P6__halfPKfiiiiiiii
	.globl	_Z19_skinny_gemm_kernelILi1ELi1ELi6ELi32ELi4EEvPKhS1_P6__halfPKfiiiiiiii
	.p2align	8
	.type	_Z19_skinny_gemm_kernelILi1ELi1ELi6ELi32ELi4EEvPKhS1_P6__halfPKfiiiiiiii,@function
_Z19_skinny_gemm_kernelILi1ELi1ELi6ELi32ELi4EEvPKhS1_P6__halfPKfiiiiiiii: ; @_Z19_skinny_gemm_kernelILi1ELi1ELi6ELi32ELi4EEvPKhS1_P6__halfPKfiiiiiiii
; %bb.0:
	v_cmp_gt_u32_e32 vcc, 12, v0
	s_and_saveexec_b64 s[4:5], vcc
; %bb.1:
	v_lshlrev_b32_e32 v1, 2, v0
	v_mov_b32_e32 v2, 0
	ds_write_b32 v1, v2 offset:24576
; %bb.2:
	s_or_b64 exec, exec, s[4:5]
	s_load_dwordx8 s[36:43], s[0:1], 0x20
	s_waitcnt lgkmcnt(0)
	s_barrier
	s_add_i32 s3, s36, 31
	s_ashr_i32 s5, s3, 31
	s_add_i32 s4, s37, 31
	s_lshr_b32 s5, s5, 27
	s_ashr_i32 s6, s4, 31
	s_add_i32 s3, s3, s5
	s_ashr_i32 s33, s3, 5
	s_lshr_b32 s3, s6, 27
	s_add_i32 s4, s4, s3
	s_ashr_i32 s62, s4, 5
	s_mul_i32 s3, s62, s33
	s_mul_i32 s3, s3, s40
	s_add_i32 s4, s3, 0x12f
	s_mul_hi_i32 s4, s4, 0x6bca1af3
	s_lshr_b32 s5, s4, 31
	s_ashr_i32 s4, s4, 7
	s_add_i32 s4, s4, s5
	s_add_i32 s5, s2, 1
	s_mul_i32 s5, s4, s5
	v_cvt_f64_i32_e32 v[2:3], s3
	v_cvt_f64_u32_e32 v[4:5], s5
	v_min_f64 v[2:3], v[2:3], v[4:5]
	v_cvt_i32_f64_e32 v46, v[2:3]
	s_mul_i32 s63, s4, s2
	v_cmp_ge_i32_e32 vcc, s63, v46
	s_cbranch_vccnz .LBB33_48
; %bb.3:
	v_lshrrev_b32_e32 v1, 6, v0
	s_add_i32 s4, s42, s41
	s_load_dwordx8 s[44:51], s[0:1], 0x0
	v_cmp_le_i32_e64 s[0:1], s4, v1
	v_mov_b32_e32 v2, s41
	v_cmp_le_i32_e64 s[2:3], s41, v1
	v_mov_b32_e32 v3, s42
	v_cndmask_b32_e64 v3, 0, v3, s[0:1]
	v_cndmask_b32_e64 v2, 0, v2, s[2:3]
	s_abs_i32 s5, s40
	v_add_u32_e32 v2, v2, v3
	v_cvt_f32_u32_e32 v3, s5
	v_sub_u32_e32 v40, v1, v2
	s_ashr_i32 s6, s38, 31
	s_lshr_b32 s6, s6, 26
	v_rcp_iflag_f32_e32 v2, v3
	s_sub_i32 s9, 0, s5
	s_add_i32 s6, s38, s6
	s_ashr_i32 s6, s6, 6
	v_mul_f32_e32 v2, 0x4f7ffffe, v2
	v_cvt_u32_f32_e32 v2, v2
	s_abs_i32 s8, s6
	s_xor_b32 s7, s6, s40
	s_ashr_i32 s7, s7, 31
	v_readfirstlane_b32 s10, v2
	s_mul_i32 s9, s9, s10
	s_mul_hi_u32 s9, s10, s9
	s_add_i32 s10, s10, s9
	s_mul_hi_u32 s9, s8, s10
	s_mul_i32 s10, s9, s5
	s_sub_i32 s8, s8, s10
	s_add_i32 s10, s9, 1
	s_sub_i32 s11, s8, s5
	s_cmp_ge_u32 s8, s5
	s_cselect_b32 s9, s10, s9
	s_cselect_b32 s8, s11, s8
	s_add_i32 s10, s9, 1
	s_cmp_ge_u32 s8, s5
	s_cselect_b32 s5, s10, s9
	s_xor_b32 s5, s5, s7
	s_sub_i32 s64, s5, s7
	s_add_i32 s40, s40, -1
	s_mul_i32 s5, s64, s40
	s_add_i32 s4, s4, s43
	v_and_b32_e32 v48, 31, v0
	v_lshrrev_b32_e32 v2, 3, v0
	s_sub_i32 s65, s6, s5
	v_cmp_gt_i32_e64 s[4:5], s4, v1
	v_lshlrev_b32_e32 v1, 2, v48
	v_and_b32_e32 v3, 4, v2
	v_and_b32_e32 v5, 1, v0
	v_lshlrev_b32_e32 v2, 6, v3
	v_or_b32_e32 v4, 0x3000, v1
	v_or_b32_e32 v3, v3, v5
	;; [unrolled: 1-line block ×4, first 2 shown]
	v_lshlrev_b32_e32 v2, 1, v5
	v_or_b32_e32 v5, 2, v3
	v_sub_u32_e32 v60, 32, v5
	v_or_b32_e32 v5, 8, v3
	v_sub_u32_e32 v61, 32, v5
	;; [unrolled: 2-line block ×5, first 2 shown]
	v_mul_lo_u32 v18, s37, v3
	v_sub_u32_e32 v64, 32, v5
	v_or_b32_e32 v5, 24, v3
	v_or_b32_e32 v3, 26, v3
	v_sub_u32_e32 v66, 32, v3
	v_lshrrev_b32_e32 v3, 1, v0
	s_abs_i32 s66, s33
	v_and_b32_e32 v34, 16, v3
	v_cvt_f32_u32_e32 v3, s66
	v_sub_u32_e32 v65, 32, v5
	v_lshlrev_b32_e32 v5, 4, v0
	v_and_b32_e32 v5, 0x200, v5
	v_rcp_iflag_f32_e32 v3, v3
	s_abs_i32 s67, s62
	v_or_b32_e32 v70, v1, v5
	v_cvt_f32_u32_e32 v1, s67
	v_sub_u32_e32 v2, v0, v2
	v_add_u32_e32 v2, 1, v2
	s_lshl_b32 s6, s37, 1
	v_and_b32_e32 v6, 63, v2
	v_bitop3_b32 v51, v0, 1, v0 bitop3:0xc
	v_bitop3_b32 v52, v0, 3, 1 bitop3:0x6c
	v_bitop3_b32 v53, v0, 5, 1 bitop3:0x6c
	v_bitop3_b32 v54, v0, 7, 1 bitop3:0x6c
	v_bitop3_b32 v55, v0, 9, 1 bitop3:0x6c
	v_bitop3_b32 v56, v0, 11, 1 bitop3:0x6c
	v_bitop3_b32 v57, v0, 13, 1 bitop3:0x6c
	v_bitop3_b32 v58, v0, 15, 1 bitop3:0x6c
	v_and_b32_e32 v2, 30, v0
	v_add_u32_e32 v20, s6, v18
	s_mul_i32 s7, s37, 6
	v_bitop3_b32 v68, v0, 31, v0 bitop3:0xc
	v_mul_f32_e32 v0, 0x4f7ffffe, v3
	v_add_u32_e32 v22, s7, v20
	v_cvt_u32_f32_e32 v0, v0
	v_rcp_iflag_f32_e32 v1, v1
	v_add_u32_e32 v24, s6, v22
	v_add_u32_e32 v26, s7, v24
	;; [unrolled: 1-line block ×4, first 2 shown]
	v_readfirstlane_b32 s7, v0
	v_mul_f32_e32 v0, 0x4f7ffffe, v1
	v_cvt_u32_f32_e32 v0, v0
	v_add_u32_e32 v32, s6, v30
	s_sub_i32 s6, 0, s66
	s_mul_i32 s6, s6, s7
	s_mul_hi_u32 s6, s7, s6
	s_add_i32 s69, s7, s6
	s_sub_i32 s6, 0, s67
	v_readfirstlane_b32 s7, v0
	v_mbcnt_lo_u32_b32 v0, -1, 0
	s_mul_i32 s6, s6, s7
	v_mbcnt_hi_u32_b32 v0, -1, v0
	v_mov_b32_e32 v17, 0
	v_mul_lo_u32 v36, s39, v48
	s_mul_hi_u32 s6, s7, s6
	v_and_or_b32 v0, v0, 64, v6
	v_cndmask_b32_e64 v47, 0, 1, s[0:1]
	v_ashrrev_i32_e32 v19, 31, v18
	v_ashrrev_i32_e32 v21, 31, v20
	;; [unrolled: 1-line block ×9, first 2 shown]
	v_mov_b32_e32 v35, v17
	v_or_b32_e32 v67, v4, v5
	v_mul_lo_u32 v69, s38, v48
	s_ashr_i32 s68, s33, 31
	s_ashr_i32 s70, s62, 31
	s_add_i32 s71, s7, s6
	v_lshlrev_b32_e32 v16, 1, v2
	v_lshlrev_b32_e32 v71, 2, v0
	v_mov_b32_e32 v72, v40
	s_branch .LBB33_7
.LBB33_4:                               ;   in Loop: Header=BB33_7 Depth=1
	s_or_b64 exec, exec, s[10:11]
.LBB33_5:                               ;   in Loop: Header=BB33_7 Depth=1
	s_or_b64 exec, exec, s[8:9]
	v_subrev_u32_e32 v72, s72, v72
.LBB33_6:                               ;   in Loop: Header=BB33_7 Depth=1
	s_or_b64 exec, exec, s[6:7]
	s_add_i32 s63, s63, 1
	v_cmp_ge_i32_e32 vcc, s63, v46
	s_cbranch_vccnz .LBB33_48
.LBB33_7:                               ; =>This Loop Header: Depth=1
                                        ;     Child Loop BB33_13 Depth 2
                                        ;       Child Loop BB33_15 Depth 3
                                        ;       Child Loop BB33_18 Depth 3
                                        ;     Child Loop BB33_35 Depth 2
                                        ;       Child Loop BB33_37 Depth 3
                                        ;     Child Loop BB33_45 Depth 2
                                        ;       Child Loop BB33_47 Depth 3
	s_abs_i32 s7, s63
	s_mul_hi_u32 s8, s7, s69
	s_mul_i32 s9, s8, s66
	s_ashr_i32 s6, s63, 31
	s_sub_i32 s7, s7, s9
	s_xor_b32 s6, s6, s68
	s_add_i32 s9, s8, 1
	s_sub_i32 s10, s7, s66
	s_cmp_ge_u32 s7, s66
	s_cselect_b32 s8, s9, s8
	s_cselect_b32 s7, s10, s7
	s_add_i32 s9, s8, 1
	s_cmp_ge_u32 s7, s66
	s_cselect_b32 s7, s9, s8
	s_xor_b32 s7, s7, s6
	s_sub_i32 s6, s7, s6
	s_abs_i32 s8, s6
	s_mul_i32 s7, s6, s33
	s_mul_hi_u32 s9, s8, s71
	s_sub_i32 s7, s63, s7
	s_mul_i32 s10, s9, s67
	s_lshl_b32 s73, s7, 5
	s_ashr_i32 s7, s6, 31
	s_sub_i32 s8, s8, s10
	s_xor_b32 s7, s7, s70
	s_add_i32 s10, s9, 1
	s_sub_i32 s11, s8, s67
	s_cmp_ge_u32 s8, s67
	s_cselect_b32 s9, s10, s9
	s_cselect_b32 s8, s11, s8
	s_add_i32 s10, s9, 1
	s_cmp_ge_u32 s8, s67
	s_cselect_b32 s8, s10, s9
	s_xor_b32 s8, s8, s7
	s_sub_i32 s7, s8, s7
	s_mul_i32 s8, s7, s64
	s_lshl_b32 s74, s8, 6
	s_cmp_eq_u32 s7, s40
	s_cselect_b32 s72, s65, s64
	s_sub_i32 s75, s73, s36
	s_add_i32 s75, s75, 32
	s_and_saveexec_b64 s[8:9], s[2:3]
	s_xor_b64 s[52:53], exec, s[8:9]
	s_cbranch_execz .LBB33_41
; %bb.8:                                ;   in Loop: Header=BB33_7 Depth=1
	s_mul_i32 s7, s7, s62
	s_sub_i32 s6, s6, s7
	s_lshl_b32 s6, s6, 5
	s_sub_i32 s14, s6, s37
	s_add_i32 s14, s14, 32
	s_max_i32 s7, s14, 0
	s_sub_i32 s54, s6, s7
	s_and_saveexec_b64 s[6:7], s[0:1]
	s_xor_b64 s[56:57], exec, s[6:7]
	s_cbranch_execz .LBB33_31
; %bb.9:                                ;   in Loop: Header=BB33_7 Depth=1
	s_and_saveexec_b64 s[58:59], s[4:5]
	s_cbranch_execz .LBB33_30
; %bb.10:                               ;   in Loop: Header=BB33_7 Depth=1
	s_waitcnt lgkmcnt(0)
	global_load_dword v73, v17, s[50:51]
	v_mov_b32_e32 v15, 0
	v_cmp_gt_i32_e32 vcc, s72, v72
	v_mov_b32_e32 v14, v15
	v_mov_b32_e32 v13, v15
	;; [unrolled: 1-line block ×15, first 2 shown]
	s_and_saveexec_b64 s[6:7], vcc
	s_cbranch_execz .LBB33_20
; %bb.11:                               ;   in Loop: Header=BB33_7 Depth=1
	v_mov_b32_e32 v0, 0
	s_mov_b64 s[8:9], 0
	v_mov_b32_e32 v1, v0
	v_mov_b32_e32 v2, v0
	;; [unrolled: 1-line block ×15, first 2 shown]
	s_branch .LBB33_13
.LBB33_12:                              ;   in Loop: Header=BB33_13 Depth=2
	s_or_b64 exec, exec, s[10:11]
	v_add_u32_e32 v77, v50, v77
	ds_read2_b32 v[78:79], v77 offset1:32
	v_add_u32_e32 v72, s43, v72
	s_waitcnt lgkmcnt(0)
	v_mfma_f32_32x32x16_fp8_fp8 v[0:15], v[44:45], v[78:79], v[0:15]
	ds_read2_b32 v[44:45], v77 offset0:128 offset1:160
	s_waitcnt lgkmcnt(0)
	v_mfma_f32_32x32x16_fp8_fp8 v[0:15], v[42:43], v[44:45], v[0:15]
	v_add_u32_e32 v44, 0x400, v77
	ds_read2_b32 v[42:43], v44 offset1:32
	ds_read2_b32 v[44:45], v44 offset0:128 offset1:160
	ds_write_b32 v75, v76 offset:24580
	s_waitcnt lgkmcnt(2)
	v_mfma_f32_32x32x16_fp8_fp8 v[0:15], v[40:41], v[42:43], v[0:15]
	v_add_u32_e32 v40, s43, v74
	v_add_u32_e32 v41, 2, v47
	v_cmp_lt_i32_e32 vcc, 5, v40
	s_nop 1
	v_cndmask_b32_e32 v47, v47, v41, vcc
	v_cmp_le_i32_e32 vcc, s72, v72
	s_waitcnt lgkmcnt(1)
	v_mfma_f32_32x32x16_fp8_fp8 v[0:15], v[38:39], v[44:45], v[0:15]
	s_or_b64 s[8:9], vcc, s[8:9]
	s_andn2_b64 exec, exec, s[8:9]
	s_cbranch_execz .LBB33_19
.LBB33_13:                              ;   Parent Loop BB33_7 Depth=1
                                        ; =>  This Loop Header: Depth=2
                                        ;       Child Loop BB33_15 Depth 3
                                        ;       Child Loop BB33_18 Depth 3
	v_cmp_gt_i32_e32 vcc, 6, v40
	s_nop 1
	v_cndmask_b32_e64 v38, -6, 0, vcc
	v_add_u32_e32 v74, v38, v40
	v_lshlrev_b32_e32 v75, 3, v74
	ds_read_b32 v38, v75 offset:24576
	s_waitcnt lgkmcnt(0)
	v_cmp_ne_u32_e32 vcc, v38, v47
	s_and_saveexec_b64 s[10:11], vcc
	s_cbranch_execz .LBB33_16
; %bb.14:                               ;   in Loop: Header=BB33_13 Depth=2
	s_mov_b64 s[12:13], 0
.LBB33_15:                              ;   Parent Loop BB33_7 Depth=1
                                        ;     Parent Loop BB33_13 Depth=2
                                        ; =>    This Inner Loop Header: Depth=3
	;;#ASMSTART
	s_sleep 0
	;;#ASMEND
	ds_read_b32 v38, v75 offset:24576
	s_waitcnt lgkmcnt(0)
	v_cmp_eq_u32_e32 vcc, v38, v47
	s_or_b64 s[12:13], vcc, s[12:13]
	s_andn2_b64 exec, exec, s[12:13]
	s_cbranch_execnz .LBB33_15
.LBB33_16:                              ;   in Loop: Header=BB33_13 Depth=2
	s_or_b64 exec, exec, s[10:11]
	v_lshlrev_b32_e32 v77, 11, v74
	v_or_b32_e32 v38, v49, v77
	ds_read2_b32 v[44:45], v38 offset1:32
	ds_read2_b32 v[42:43], v38 offset0:128 offset1:160
	v_add_u32_e32 v38, 0x400, v38
	ds_read2_b32 v[40:41], v38 offset1:32
	ds_read_b32 v78, v75 offset:24580
	ds_read2_b32 v[38:39], v38 offset0:128 offset1:160
	v_add_u32_e32 v76, 1, v47
	ds_write_b32 v75, v76 offset:24576
	s_waitcnt lgkmcnt(2)
	v_cmp_ne_u32_e32 vcc, v78, v47
	s_and_saveexec_b64 s[10:11], vcc
	s_cbranch_execz .LBB33_12
; %bb.17:                               ;   in Loop: Header=BB33_13 Depth=2
	s_mov_b64 s[12:13], 0
.LBB33_18:                              ;   Parent Loop BB33_7 Depth=1
                                        ;     Parent Loop BB33_13 Depth=2
                                        ; =>    This Inner Loop Header: Depth=3
	;;#ASMSTART
	s_sleep 0
	;;#ASMEND
	ds_read_b32 v78, v75 offset:24580
	s_waitcnt lgkmcnt(0)
	v_cmp_eq_u32_e32 vcc, v78, v47
	s_or_b64 s[12:13], vcc, s[12:13]
	s_andn2_b64 exec, exec, s[12:13]
	s_cbranch_execnz .LBB33_18
	s_branch .LBB33_12
.LBB33_19:                              ;   in Loop: Header=BB33_7 Depth=1
	s_or_b64 exec, exec, s[8:9]
.LBB33_20:                              ;   in Loop: Header=BB33_7 Depth=1
	s_or_b64 exec, exec, s[6:7]
	v_cmp_le_i32_e32 vcc, s14, v48
	v_cmp_eq_u32_e64 s[6:7], 3, v51
	v_cmp_eq_u32_e64 s[8:9], 4, v51
	s_waitcnt vmcnt(0)
	v_cndmask_b32_e32 v38, 0, v73, vcc
	s_nop 1
	v_pk_mul_f32 v[0:1], v[38:39], v[0:1] op_sel_hi:[0,1]
	v_cmp_eq_u32_e32 vcc, 1, v51
	v_pk_mul_f32 v[14:15], v[38:39], v[14:15] op_sel_hi:[0,1]
	v_pk_mul_f32 v[12:13], v[38:39], v[12:13] op_sel_hi:[0,1]
	;; [unrolled: 1-line block ×7, first 2 shown]
	v_cndmask_b32_e32 v38, v0, v1, vcc
	v_cmp_eq_u32_e32 vcc, 2, v51
	v_cmp_eq_u32_e64 s[10:11], 5, v51
	v_cmp_eq_u32_e64 s[12:13], 6, v51
	v_cndmask_b32_e32 v38, v38, v2, vcc
	v_cndmask_b32_e64 v38, v38, v3, s[6:7]
	v_cndmask_b32_e64 v38, v38, v4, s[8:9]
	;; [unrolled: 1-line block ×4, first 2 shown]
	v_cmp_eq_u32_e64 s[14:15], 7, v51
	v_cmp_eq_u32_e64 s[16:17], 8, v51
	v_cmp_eq_u32_e64 s[18:19], 9, v51
	v_cndmask_b32_e64 v38, v38, v7, s[14:15]
	v_cndmask_b32_e64 v38, v38, v8, s[16:17]
	v_cndmask_b32_e64 v38, v38, v9, s[18:19]
	v_cmp_eq_u32_e64 s[20:21], 10, v51
	v_cmp_eq_u32_e64 s[22:23], 11, v51
	v_cmp_eq_u32_e64 s[24:25], 12, v51
	v_cndmask_b32_e64 v38, v38, v10, s[20:21]
	v_cndmask_b32_e64 v38, v38, v11, s[22:23]
	v_cndmask_b32_e64 v38, v38, v12, s[24:25]
	;; [unrolled: 6-line block ×3, first 2 shown]
	ds_bpermute_b32 v38, v71, v38
	v_cmp_eq_u32_e64 s[34:35], 15, v52
	s_waitcnt lgkmcnt(0)
	v_cndmask_b32_e32 v2, v2, v38, vcc
	v_cmp_ne_u32_e32 vcc, 0, v51
	v_cndmask_b32_e64 v15, v15, v38, s[30:31]
	v_cndmask_b32_e64 v14, v14, v38, s[28:29]
	v_cndmask_b32_e32 v1, v1, v38, vcc
	v_cmp_eq_u32_e32 vcc, 0, v51
	v_cndmask_b32_e64 v13, v13, v38, s[26:27]
	v_cndmask_b32_e64 v12, v12, v38, s[24:25]
	v_cndmask_b32_e32 v0, v0, v38, vcc
	v_cmp_eq_u32_e32 vcc, 1, v52
	v_cndmask_b32_e64 v11, v11, v38, s[22:23]
	v_cndmask_b32_e64 v10, v10, v38, s[20:21]
	;; [unrolled: 1-line block ×9, first 2 shown]
	v_cndmask_b32_e32 v38, v0, v1, vcc
	v_cmp_eq_u32_e64 s[6:7], 2, v52
	v_cmp_eq_u32_e64 s[8:9], 3, v52
	v_cmp_eq_u32_e64 s[10:11], 4, v52
	v_cndmask_b32_e64 v38, v38, v2, s[6:7]
	v_cndmask_b32_e64 v38, v38, v3, s[8:9]
	v_cndmask_b32_e64 v38, v38, v4, s[10:11]
	v_cmp_eq_u32_e64 s[12:13], 5, v52
	v_cmp_eq_u32_e64 s[14:15], 6, v52
	v_cmp_eq_u32_e64 s[16:17], 7, v52
	v_cndmask_b32_e64 v38, v38, v5, s[12:13]
	v_cndmask_b32_e64 v38, v38, v6, s[14:15]
	v_cndmask_b32_e64 v38, v38, v7, s[16:17]
	;; [unrolled: 6-line block ×4, first 2 shown]
	v_cmp_eq_u32_e64 s[30:31], 14, v52
	s_nop 1
	v_cndmask_b32_e64 v38, v38, v14, s[30:31]
	v_cndmask_b32_e64 v38, v38, v15, s[34:35]
	ds_bpermute_b32 v38, v71, v38
	s_waitcnt lgkmcnt(0)
	v_cndmask_b32_e32 v1, v1, v38, vcc
	v_cmp_eq_u32_e32 vcc, 0, v52
	v_cndmask_b32_e64 v15, v15, v38, s[34:35]
	v_cndmask_b32_e64 v14, v14, v38, s[30:31]
	v_cndmask_b32_e32 v0, v0, v38, vcc
	v_cmp_eq_u32_e32 vcc, 1, v53
	v_cndmask_b32_e64 v13, v13, v38, s[28:29]
	v_cndmask_b32_e64 v12, v12, v38, s[26:27]
	v_cndmask_b32_e64 v11, v11, v38, s[24:25]
	v_cndmask_b32_e64 v10, v10, v38, s[22:23]
	v_cndmask_b32_e64 v9, v9, v38, s[20:21]
	v_cndmask_b32_e64 v8, v8, v38, s[18:19]
	v_cndmask_b32_e64 v7, v7, v38, s[16:17]
	v_cndmask_b32_e64 v6, v6, v38, s[14:15]
	v_cndmask_b32_e64 v5, v5, v38, s[12:13]
	v_cndmask_b32_e64 v4, v4, v38, s[10:11]
	v_cndmask_b32_e64 v3, v3, v38, s[8:9]
	v_cndmask_b32_e64 v2, v2, v38, s[6:7]
	v_cndmask_b32_e32 v38, v0, v1, vcc
	v_cmp_eq_u32_e64 s[6:7], 2, v53
	v_cmp_eq_u32_e64 s[8:9], 3, v53
	v_cmp_eq_u32_e64 s[10:11], 4, v53
	v_cndmask_b32_e64 v38, v38, v2, s[6:7]
	v_cndmask_b32_e64 v38, v38, v3, s[8:9]
	v_cndmask_b32_e64 v38, v38, v4, s[10:11]
	v_cmp_eq_u32_e64 s[12:13], 5, v53
	v_cmp_eq_u32_e64 s[14:15], 6, v53
	v_cmp_eq_u32_e64 s[16:17], 7, v53
	v_cndmask_b32_e64 v38, v38, v5, s[12:13]
	v_cndmask_b32_e64 v38, v38, v6, s[14:15]
	v_cndmask_b32_e64 v38, v38, v7, s[16:17]
	v_cmp_eq_u32_e64 s[18:19], 8, v53
	v_cmp_eq_u32_e64 s[20:21], 9, v53
	v_cmp_eq_u32_e64 s[22:23], 10, v53
	v_cndmask_b32_e64 v38, v38, v8, s[18:19]
	v_cndmask_b32_e64 v38, v38, v9, s[20:21]
	v_cndmask_b32_e64 v38, v38, v10, s[22:23]
	v_cmp_eq_u32_e64 s[24:25], 11, v53
	v_cmp_eq_u32_e64 s[26:27], 12, v53
	v_cmp_eq_u32_e64 s[28:29], 13, v53
	v_cndmask_b32_e64 v38, v38, v11, s[24:25]
	v_cndmask_b32_e64 v38, v38, v12, s[26:27]
	v_cndmask_b32_e64 v38, v38, v13, s[28:29]
	v_cmp_eq_u32_e64 s[30:31], 14, v53
	v_cmp_eq_u32_e64 s[34:35], 15, v53
	s_nop 0
	v_cndmask_b32_e64 v38, v38, v14, s[30:31]
	v_cndmask_b32_e64 v38, v38, v15, s[34:35]
	ds_bpermute_b32 v38, v71, v38
	s_waitcnt lgkmcnt(0)
	v_cndmask_b32_e32 v1, v1, v38, vcc
	v_cmp_eq_u32_e32 vcc, 0, v53
	v_cndmask_b32_e64 v15, v15, v38, s[34:35]
	v_cndmask_b32_e64 v14, v14, v38, s[30:31]
	v_cndmask_b32_e32 v0, v0, v38, vcc
	v_cmp_eq_u32_e32 vcc, 1, v54
	v_cndmask_b32_e64 v13, v13, v38, s[28:29]
	v_cndmask_b32_e64 v12, v12, v38, s[26:27]
	v_cndmask_b32_e64 v11, v11, v38, s[24:25]
	v_cndmask_b32_e64 v10, v10, v38, s[22:23]
	v_cndmask_b32_e64 v9, v9, v38, s[20:21]
	v_cndmask_b32_e64 v8, v8, v38, s[18:19]
	v_cndmask_b32_e64 v7, v7, v38, s[16:17]
	v_cndmask_b32_e64 v6, v6, v38, s[14:15]
	v_cndmask_b32_e64 v5, v5, v38, s[12:13]
	v_cndmask_b32_e64 v4, v4, v38, s[10:11]
	v_cndmask_b32_e64 v3, v3, v38, s[8:9]
	v_cndmask_b32_e64 v2, v2, v38, s[6:7]
	v_cndmask_b32_e32 v38, v0, v1, vcc
	v_cmp_eq_u32_e64 s[6:7], 2, v54
	v_cmp_eq_u32_e64 s[8:9], 3, v54
	v_cmp_eq_u32_e64 s[10:11], 4, v54
	v_cndmask_b32_e64 v38, v38, v2, s[6:7]
	v_cndmask_b32_e64 v38, v38, v3, s[8:9]
	v_cndmask_b32_e64 v38, v38, v4, s[10:11]
	v_cmp_eq_u32_e64 s[12:13], 5, v54
	v_cmp_eq_u32_e64 s[14:15], 6, v54
	v_cmp_eq_u32_e64 s[16:17], 7, v54
	v_cndmask_b32_e64 v38, v38, v5, s[12:13]
	v_cndmask_b32_e64 v38, v38, v6, s[14:15]
	v_cndmask_b32_e64 v38, v38, v7, s[16:17]
	v_cmp_eq_u32_e64 s[18:19], 8, v54
	v_cmp_eq_u32_e64 s[20:21], 9, v54
	v_cmp_eq_u32_e64 s[22:23], 10, v54
	v_cndmask_b32_e64 v38, v38, v8, s[18:19]
	v_cndmask_b32_e64 v38, v38, v9, s[20:21]
	v_cndmask_b32_e64 v38, v38, v10, s[22:23]
	v_cmp_eq_u32_e64 s[24:25], 11, v54
	v_cmp_eq_u32_e64 s[26:27], 12, v54
	v_cmp_eq_u32_e64 s[28:29], 13, v54
	v_cndmask_b32_e64 v38, v38, v11, s[24:25]
	v_cndmask_b32_e64 v38, v38, v12, s[26:27]
	v_cndmask_b32_e64 v38, v38, v13, s[28:29]
	v_cmp_eq_u32_e64 s[30:31], 14, v54
	;; [unrolled: 50-line block ×4, first 2 shown]
	v_cmp_eq_u32_e64 s[34:35], 15, v56
	s_nop 0
	v_cndmask_b32_e64 v38, v38, v14, s[30:31]
	v_cndmask_b32_e64 v38, v38, v15, s[34:35]
	ds_bpermute_b32 v38, v71, v38
	s_waitcnt lgkmcnt(0)
	v_cndmask_b32_e32 v1, v1, v38, vcc
	v_cmp_eq_u32_e32 vcc, 0, v56
	v_cndmask_b32_e64 v15, v15, v38, s[34:35]
	v_cndmask_b32_e64 v14, v14, v38, s[30:31]
	;; [unrolled: 1-line block ×14, first 2 shown]
	v_cndmask_b32_e32 v38, v0, v38, vcc
	v_cmp_eq_u32_e32 vcc, 1, v57
	v_cmp_eq_u32_e64 s[6:7], 2, v57
	v_cmp_eq_u32_e64 s[8:9], 3, v57
	v_cndmask_b32_e32 v0, v38, v1, vcc
	v_cndmask_b32_e64 v0, v0, v74, s[6:7]
	v_cndmask_b32_e64 v0, v0, v73, s[8:9]
	v_cmp_eq_u32_e64 s[10:11], 4, v57
	v_cmp_eq_u32_e64 s[12:13], 5, v57
	v_cmp_eq_u32_e64 s[14:15], 6, v57
	v_cndmask_b32_e64 v0, v0, v45, s[10:11]
	v_cndmask_b32_e64 v0, v0, v44, s[12:13]
	v_cndmask_b32_e64 v0, v0, v43, s[14:15]
	v_cmp_eq_u32_e64 s[16:17], 7, v57
	v_cmp_eq_u32_e64 s[18:19], 8, v57
	v_cmp_eq_u32_e64 s[20:21], 9, v57
	v_cndmask_b32_e64 v0, v0, v42, s[16:17]
	;; [unrolled: 6-line block ×4, first 2 shown]
	v_cndmask_b32_e64 v0, v0, v14, s[30:31]
	v_cndmask_b32_e64 v0, v0, v15, s[34:35]
	ds_bpermute_b32 v75, v71, v0
	s_waitcnt lgkmcnt(0)
	v_cndmask_b32_e32 v0, v1, v75, vcc
	v_cmp_eq_u32_e32 vcc, 0, v57
	v_cndmask_b32_e64 v4, v15, v75, s[34:35]
	v_cndmask_b32_e64 v15, v74, v75, s[6:7]
	v_cndmask_b32_e32 v1, v38, v75, vcc
	v_cmp_eq_u32_e32 vcc, 1, v58
	v_cndmask_b32_e64 v5, v14, v75, s[30:31]
	v_cndmask_b32_e64 v14, v73, v75, s[8:9]
	;; [unrolled: 4-line block ×7, first 2 shown]
	v_cndmask_b32_e32 v38, v38, v13, vcc
	v_cmp_eq_u32_e32 vcc, 7, v58
	s_nop 1
	v_cndmask_b32_e32 v38, v38, v12, vcc
	v_cmp_eq_u32_e32 vcc, 8, v58
	s_nop 1
	;; [unrolled: 3-line block ×9, first 2 shown]
	v_cndmask_b32_e32 v38, v38, v4, vcc
	ds_bpermute_b32 v38, v71, v38
	v_cmp_lt_i32_e32 vcc, s75, v59
	s_and_saveexec_b64 s[60:61], vcc
	s_cbranch_execz .LBB33_29
; %bb.21:                               ;   in Loop: Header=BB33_7 Depth=1
	s_mul_i32 s6, s73, s37
	s_ashr_i32 s7, s6, 31
	s_lshl_b64 s[6:7], s[6:7], 1
	v_cmp_eq_u32_e64 s[30:31], 1, v58
	s_add_u32 s8, s48, s6
	s_addc_u32 s9, s49, s7
	s_waitcnt lgkmcnt(0)
	v_cndmask_b32_e64 v0, v0, v38, s[30:31]
	v_cmp_eq_u32_e64 s[30:31], 0, v58
	s_ashr_i32 s55, s54, 31
	s_lshl_b64 s[6:7], s[54:55], 1
	v_cndmask_b32_e64 v1, v1, v38, s[30:31]
	v_cvt_f16_f32_e32 v39, v1
	v_cvt_f16_f32_sdwa v41, v0 dst_sel:WORD_1 dst_unused:UNUSED_PAD src0_sel:DWORD
	s_add_u32 s34, s8, s6
	s_addc_u32 s35, s9, s7
	v_cmp_eq_u32_e64 s[8:9], 15, v58
	v_cmp_eq_u32_e64 s[10:11], 14, v58
	;; [unrolled: 1-line block ×10, first 2 shown]
	v_cmp_eq_u32_e32 vcc, 5, v58
	v_cmp_eq_u32_e64 s[6:7], 4, v58
	v_cmp_eq_u32_e64 s[28:29], 3, v58
	;; [unrolled: 1-line block ×3, first 2 shown]
	v_lshl_add_u64 v[0:1], s[34:35], 0, v[16:17]
	v_cmp_lt_i32_e64 s[34:35], s75, v60
	v_lshl_add_u64 v[42:43], v[18:19], 1, v[0:1]
	v_or_b32_e32 v39, v41, v39
	;;#ASMSTART
	global_atomic_pk_add_f16 v[42:43], v39, off
	
	;;#ASMEND
	s_and_b64 exec, exec, s[34:35]
	s_cbranch_execz .LBB33_29
; %bb.22:                               ;   in Loop: Header=BB33_7 Depth=1
	v_cndmask_b32_e64 v14, v14, v38, s[28:29]
	v_cndmask_b32_e64 v15, v15, v38, s[30:31]
	v_cvt_f16_f32_e32 v39, v15
	v_cvt_f16_f32_sdwa v41, v14 dst_sel:WORD_1 dst_unused:UNUSED_PAD src0_sel:DWORD
	v_cndmask_b32_e64 v4, v4, v38, s[8:9]
	v_cndmask_b32_e64 v5, v5, v38, s[10:11]
	;; [unrolled: 1-line block ×10, first 2 shown]
	v_cndmask_b32_e32 v2, v2, v38, vcc
	v_cndmask_b32_e64 v3, v3, v38, s[6:7]
	v_cmp_lt_i32_e32 vcc, s75, v61
	v_lshl_add_u64 v[14:15], v[20:21], 1, v[0:1]
	v_or_b32_e32 v38, v41, v39
	;;#ASMSTART
	global_atomic_pk_add_f16 v[14:15], v38, off
	
	;;#ASMEND
	s_and_b64 exec, exec, vcc
	s_cbranch_execz .LBB33_29
; %bb.23:                               ;   in Loop: Header=BB33_7 Depth=1
	v_cvt_f16_f32_e32 v14, v3
	v_cvt_f16_f32_sdwa v15, v2 dst_sel:WORD_1 dst_unused:UNUSED_PAD src0_sel:DWORD
	v_cmp_lt_i32_e32 vcc, s75, v62
	v_lshl_add_u64 v[2:3], v[22:23], 1, v[0:1]
	v_or_b32_e32 v14, v15, v14
	;;#ASMSTART
	global_atomic_pk_add_f16 v[2:3], v14, off
	
	;;#ASMEND
	s_and_b64 exec, exec, vcc
	s_cbranch_execz .LBB33_29
; %bb.24:                               ;   in Loop: Header=BB33_7 Depth=1
	v_cvt_f16_f32_e32 v13, v13
	v_cvt_f16_f32_sdwa v12, v12 dst_sel:WORD_1 dst_unused:UNUSED_PAD src0_sel:DWORD
	;; [unrolled: 12-line block ×6, first 2 shown]
	v_lshl_add_u64 v[0:1], v[32:33], 1, v[0:1]
	v_or_b32_e32 v2, v3, v2
	;;#ASMSTART
	global_atomic_pk_add_f16 v[0:1], v2, off
	
	;;#ASMEND
.LBB33_29:                              ;   in Loop: Header=BB33_7 Depth=1
	s_or_b64 exec, exec, s[60:61]
	v_subrev_u32_e32 v72, s72, v72
.LBB33_30:                              ;   in Loop: Header=BB33_7 Depth=1
	s_or_b64 exec, exec, s[58:59]
.LBB33_31:                              ;   in Loop: Header=BB33_7 Depth=1
	s_andn2_saveexec_b64 s[6:7], s[56:57]
	s_cbranch_execz .LBB33_40
; %bb.32:                               ;   in Loop: Header=BB33_7 Depth=1
	v_cmp_gt_i32_e32 vcc, s72, v72
	s_and_saveexec_b64 s[8:9], vcc
	s_cbranch_execz .LBB33_39
; %bb.33:                               ;   in Loop: Header=BB33_7 Depth=1
	s_mul_i32 s10, s54, s39
	s_ashr_i32 s11, s10, 31
	s_waitcnt lgkmcnt(0)
	s_add_u32 s10, s46, s10
	s_addc_u32 s11, s47, s11
	s_ashr_i32 s12, s74, 31
	s_add_u32 s10, s10, s74
	s_addc_u32 s11, s11, s12
	v_lshl_add_u64 v[0:1], s[10:11], 0, v[36:37]
	v_lshl_add_u64 v[8:9], v[0:1], 0, v[34:35]
	s_mov_b64 s[10:11], 0
	s_branch .LBB33_35
.LBB33_34:                              ;   in Loop: Header=BB33_35 Depth=2
	s_or_b64 exec, exec, s[12:13]
	v_lshl_add_u32 v12, v10, 11, v67
	;;#ASMSTART
	s_waitcnt vmcnt(1)
	;;#ASMEND
	ds_write2_b32 v12, v4, v5 offset1:32
	ds_write2_b32 v12, v6, v7 offset0:64 offset1:96
	v_add_u32_e32 v4, 0x400, v12
	v_add_u32_e32 v72, s42, v72
	;;#ASMSTART
	s_waitcnt vmcnt(0)
	;;#ASMEND
	ds_write2_b32 v4, v0, v1 offset1:32
	ds_write2_b32 v4, v2, v3 offset0:64 offset1:96
	v_add_u32_e32 v0, 1, v47
	v_add_u32_e32 v40, s42, v10
	v_cmp_le_i32_e32 vcc, s72, v72
	ds_write_b32 v11, v0 offset:24
	v_add_u32_e32 v0, 2, v47
	s_or_b64 s[10:11], vcc, s[10:11]
	v_cmp_lt_i32_e32 vcc, 5, v40
	s_nop 1
	v_cndmask_b32_e32 v47, v47, v0, vcc
	s_andn2_b64 exec, exec, s[10:11]
	s_cbranch_execz .LBB33_38
.LBB33_35:                              ;   Parent Loop BB33_7 Depth=1
                                        ; =>  This Loop Header: Depth=2
                                        ;       Child Loop BB33_37 Depth 3
	v_cmp_gt_i32_e32 vcc, 6, v40
	s_nop 1
	v_cndmask_b32_e64 v0, -6, 0, vcc
	v_add_u32_e32 v10, v0, v40
	v_lshlrev_b32_e32 v0, 6, v72
	v_ashrrev_i32_e32 v1, 31, v0
	v_lshl_add_u64 v[0:1], v[8:9], 0, v[0:1]
	v_lshlrev_b32_e32 v11, 2, v10
	;;#ASMSTART
	global_load_dwordx4 v[4:7], v[0:1], off offset:0   sc0 sc1 nt  
	global_load_dwordx4 v[0:3], v[0:1], off offset:32  sc0 sc1 nt  
	
	;;#ASMEND
	ds_read_b32 v12, v11 offset:24600
	v_add_u32_e32 v11, 0x6000, v11
	s_waitcnt lgkmcnt(0)
	v_cmp_ne_u32_e32 vcc, v12, v47
	s_and_saveexec_b64 s[12:13], vcc
	s_cbranch_execz .LBB33_34
; %bb.36:                               ;   in Loop: Header=BB33_35 Depth=2
	s_mov_b64 s[14:15], 0
.LBB33_37:                              ;   Parent Loop BB33_7 Depth=1
                                        ;     Parent Loop BB33_35 Depth=2
                                        ; =>    This Inner Loop Header: Depth=3
	;;#ASMSTART
	s_sleep 0
	;;#ASMEND
	ds_read_b32 v12, v11 offset:24
	s_waitcnt lgkmcnt(0)
	v_cmp_eq_u32_e32 vcc, v12, v47
	s_or_b64 s[14:15], vcc, s[14:15]
	s_andn2_b64 exec, exec, s[14:15]
	s_cbranch_execnz .LBB33_37
	s_branch .LBB33_34
.LBB33_38:                              ;   in Loop: Header=BB33_7 Depth=1
	s_or_b64 exec, exec, s[10:11]
.LBB33_39:                              ;   in Loop: Header=BB33_7 Depth=1
	s_or_b64 exec, exec, s[8:9]
	v_subrev_u32_e32 v72, s72, v72
.LBB33_40:                              ;   in Loop: Header=BB33_7 Depth=1
	s_or_b64 exec, exec, s[6:7]
.LBB33_41:                              ;   in Loop: Header=BB33_7 Depth=1
	s_andn2_saveexec_b64 s[6:7], s[52:53]
	s_cbranch_execz .LBB33_6
; %bb.42:                               ;   in Loop: Header=BB33_7 Depth=1
	v_cmp_gt_i32_e32 vcc, s72, v72
	s_and_saveexec_b64 s[8:9], vcc
	s_cbranch_execz .LBB33_5
; %bb.43:                               ;   in Loop: Header=BB33_7 Depth=1
	s_mul_i32 s73, s73, s38
	s_ashr_i32 s10, s73, 31
	s_waitcnt lgkmcnt(0)
	s_add_u32 s11, s44, s73
	s_addc_u32 s12, s45, s10
	s_ashr_i32 s13, s74, 31
	v_cmp_le_i32_e32 vcc, s75, v68
	s_add_u32 s10, s11, s74
	s_addc_u32 s11, s12, s13
	v_cndmask_b32_e32 v0, 0, v69, vcc
	v_ashrrev_i32_e32 v1, 31, v0
	v_lshl_add_u64 v[0:1], s[10:11], 0, v[0:1]
	v_lshl_add_u64 v[8:9], v[0:1], 0, v[34:35]
	s_mov_b64 s[10:11], 0
	s_branch .LBB33_45
.LBB33_44:                              ;   in Loop: Header=BB33_45 Depth=2
	s_or_b64 exec, exec, s[12:13]
	v_lshl_or_b32 v12, v10, 11, v70
	;;#ASMSTART
	s_waitcnt vmcnt(1)
	;;#ASMEND
	ds_write2_b32 v12, v4, v5 offset1:32
	ds_write2_b32 v12, v6, v7 offset0:64 offset1:96
	v_add_u32_e32 v4, 0x400, v12
	v_add_u32_e32 v72, s41, v72
	;;#ASMSTART
	s_waitcnt vmcnt(0)
	;;#ASMEND
	ds_write2_b32 v4, v0, v1 offset1:32
	ds_write2_b32 v4, v2, v3 offset0:64 offset1:96
	v_add_u32_e32 v0, 1, v47
	v_add_u32_e32 v40, s41, v10
	v_cmp_le_i32_e32 vcc, s72, v72
	ds_write_b32 v11, v0
	v_add_u32_e32 v0, 2, v47
	s_or_b64 s[10:11], vcc, s[10:11]
	v_cmp_lt_i32_e32 vcc, 5, v40
	s_nop 1
	v_cndmask_b32_e32 v47, v47, v0, vcc
	s_andn2_b64 exec, exec, s[10:11]
	s_cbranch_execz .LBB33_4
.LBB33_45:                              ;   Parent Loop BB33_7 Depth=1
                                        ; =>  This Loop Header: Depth=2
                                        ;       Child Loop BB33_47 Depth 3
	v_cmp_gt_i32_e32 vcc, 6, v40
	s_nop 1
	v_cndmask_b32_e64 v0, -6, 0, vcc
	v_add_u32_e32 v10, v0, v40
	v_lshlrev_b32_e32 v0, 6, v72
	v_ashrrev_i32_e32 v1, 31, v0
	v_lshl_add_u64 v[0:1], v[8:9], 0, v[0:1]
	v_lshlrev_b32_e32 v11, 2, v10
	;;#ASMSTART
	global_load_dwordx4 v[4:7], v[0:1], off offset:0   
	global_load_dwordx4 v[0:3], v[0:1], off offset:32  
	
	;;#ASMEND
	ds_read_b32 v12, v11 offset:24576
	v_add_u32_e32 v11, 0x6000, v11
	s_waitcnt lgkmcnt(0)
	v_cmp_ne_u32_e32 vcc, v12, v47
	s_and_saveexec_b64 s[12:13], vcc
	s_cbranch_execz .LBB33_44
; %bb.46:                               ;   in Loop: Header=BB33_45 Depth=2
	s_mov_b64 s[14:15], 0
.LBB33_47:                              ;   Parent Loop BB33_7 Depth=1
                                        ;     Parent Loop BB33_45 Depth=2
                                        ; =>    This Inner Loop Header: Depth=3
	;;#ASMSTART
	s_sleep 0
	;;#ASMEND
	ds_read_b32 v12, v11
	s_waitcnt lgkmcnt(0)
	v_cmp_eq_u32_e32 vcc, v12, v47
	s_or_b64 s[14:15], vcc, s[14:15]
	s_andn2_b64 exec, exec, s[14:15]
	s_cbranch_execnz .LBB33_47
	s_branch .LBB33_44
.LBB33_48:
	s_endpgm
	.section	.rodata,"a",@progbits
	.p2align	6, 0x0
	.amdhsa_kernel _Z19_skinny_gemm_kernelILi1ELi1ELi6ELi32ELi4EEvPKhS1_P6__halfPKfiiiiiiii
		.amdhsa_group_segment_fixed_size 24624
		.amdhsa_private_segment_fixed_size 0
		.amdhsa_kernarg_size 64
		.amdhsa_user_sgpr_count 2
		.amdhsa_user_sgpr_dispatch_ptr 0
		.amdhsa_user_sgpr_queue_ptr 0
		.amdhsa_user_sgpr_kernarg_segment_ptr 1
		.amdhsa_user_sgpr_dispatch_id 0
		.amdhsa_user_sgpr_kernarg_preload_length 0
		.amdhsa_user_sgpr_kernarg_preload_offset 0
		.amdhsa_user_sgpr_private_segment_size 0
		.amdhsa_uses_dynamic_stack 0
		.amdhsa_enable_private_segment 0
		.amdhsa_system_sgpr_workgroup_id_x 1
		.amdhsa_system_sgpr_workgroup_id_y 0
		.amdhsa_system_sgpr_workgroup_id_z 0
		.amdhsa_system_sgpr_workgroup_info 0
		.amdhsa_system_vgpr_workitem_id 0
		.amdhsa_next_free_vgpr 80
		.amdhsa_next_free_sgpr 76
		.amdhsa_accum_offset 80
		.amdhsa_reserve_vcc 1
		.amdhsa_float_round_mode_32 0
		.amdhsa_float_round_mode_16_64 0
		.amdhsa_float_denorm_mode_32 3
		.amdhsa_float_denorm_mode_16_64 3
		.amdhsa_dx10_clamp 1
		.amdhsa_ieee_mode 1
		.amdhsa_fp16_overflow 0
		.amdhsa_tg_split 0
		.amdhsa_exception_fp_ieee_invalid_op 0
		.amdhsa_exception_fp_denorm_src 0
		.amdhsa_exception_fp_ieee_div_zero 0
		.amdhsa_exception_fp_ieee_overflow 0
		.amdhsa_exception_fp_ieee_underflow 0
		.amdhsa_exception_fp_ieee_inexact 0
		.amdhsa_exception_int_div_zero 0
	.end_amdhsa_kernel
	.section	.text._Z19_skinny_gemm_kernelILi1ELi1ELi6ELi32ELi4EEvPKhS1_P6__halfPKfiiiiiiii,"axG",@progbits,_Z19_skinny_gemm_kernelILi1ELi1ELi6ELi32ELi4EEvPKhS1_P6__halfPKfiiiiiiii,comdat
.Lfunc_end33:
	.size	_Z19_skinny_gemm_kernelILi1ELi1ELi6ELi32ELi4EEvPKhS1_P6__halfPKfiiiiiiii, .Lfunc_end33-_Z19_skinny_gemm_kernelILi1ELi1ELi6ELi32ELi4EEvPKhS1_P6__halfPKfiiiiiiii
                                        ; -- End function
	.set _Z19_skinny_gemm_kernelILi1ELi1ELi6ELi32ELi4EEvPKhS1_P6__halfPKfiiiiiiii.num_vgpr, 80
	.set _Z19_skinny_gemm_kernelILi1ELi1ELi6ELi32ELi4EEvPKhS1_P6__halfPKfiiiiiiii.num_agpr, 0
	.set _Z19_skinny_gemm_kernelILi1ELi1ELi6ELi32ELi4EEvPKhS1_P6__halfPKfiiiiiiii.numbered_sgpr, 76
	.set _Z19_skinny_gemm_kernelILi1ELi1ELi6ELi32ELi4EEvPKhS1_P6__halfPKfiiiiiiii.num_named_barrier, 0
	.set _Z19_skinny_gemm_kernelILi1ELi1ELi6ELi32ELi4EEvPKhS1_P6__halfPKfiiiiiiii.private_seg_size, 0
	.set _Z19_skinny_gemm_kernelILi1ELi1ELi6ELi32ELi4EEvPKhS1_P6__halfPKfiiiiiiii.uses_vcc, 1
	.set _Z19_skinny_gemm_kernelILi1ELi1ELi6ELi32ELi4EEvPKhS1_P6__halfPKfiiiiiiii.uses_flat_scratch, 0
	.set _Z19_skinny_gemm_kernelILi1ELi1ELi6ELi32ELi4EEvPKhS1_P6__halfPKfiiiiiiii.has_dyn_sized_stack, 0
	.set _Z19_skinny_gemm_kernelILi1ELi1ELi6ELi32ELi4EEvPKhS1_P6__halfPKfiiiiiiii.has_recursion, 0
	.set _Z19_skinny_gemm_kernelILi1ELi1ELi6ELi32ELi4EEvPKhS1_P6__halfPKfiiiiiiii.has_indirect_call, 0
	.section	.AMDGPU.csdata,"",@progbits
; Kernel info:
; codeLenInByte = 5972
; TotalNumSgprs: 82
; NumVgprs: 80
; NumAgprs: 0
; TotalNumVgprs: 80
; ScratchSize: 0
; MemoryBound: 0
; FloatMode: 240
; IeeeMode: 1
; LDSByteSize: 24624 bytes/workgroup (compile time only)
; SGPRBlocks: 10
; VGPRBlocks: 9
; NumSGPRsForWavesPerEU: 82
; NumVGPRsForWavesPerEU: 80
; AccumOffset: 80
; Occupancy: 6
; WaveLimiterHint : 0
; COMPUTE_PGM_RSRC2:SCRATCH_EN: 0
; COMPUTE_PGM_RSRC2:USER_SGPR: 2
; COMPUTE_PGM_RSRC2:TRAP_HANDLER: 0
; COMPUTE_PGM_RSRC2:TGID_X_EN: 1
; COMPUTE_PGM_RSRC2:TGID_Y_EN: 0
; COMPUTE_PGM_RSRC2:TGID_Z_EN: 0
; COMPUTE_PGM_RSRC2:TIDIG_COMP_CNT: 0
; COMPUTE_PGM_RSRC3_GFX90A:ACCUM_OFFSET: 19
; COMPUTE_PGM_RSRC3_GFX90A:TG_SPLIT: 0
	.section	.text._Z19_skinny_gemm_kernelILi1ELi1ELi6ELi32ELi8EEvPKhS1_P6__halfPKfiiiiiiii,"axG",@progbits,_Z19_skinny_gemm_kernelILi1ELi1ELi6ELi32ELi8EEvPKhS1_P6__halfPKfiiiiiiii,comdat
	.protected	_Z19_skinny_gemm_kernelILi1ELi1ELi6ELi32ELi8EEvPKhS1_P6__halfPKfiiiiiiii ; -- Begin function _Z19_skinny_gemm_kernelILi1ELi1ELi6ELi32ELi8EEvPKhS1_P6__halfPKfiiiiiiii
	.globl	_Z19_skinny_gemm_kernelILi1ELi1ELi6ELi32ELi8EEvPKhS1_P6__halfPKfiiiiiiii
	.p2align	8
	.type	_Z19_skinny_gemm_kernelILi1ELi1ELi6ELi32ELi8EEvPKhS1_P6__halfPKfiiiiiiii,@function
_Z19_skinny_gemm_kernelILi1ELi1ELi6ELi32ELi8EEvPKhS1_P6__halfPKfiiiiiiii: ; @_Z19_skinny_gemm_kernelILi1ELi1ELi6ELi32ELi8EEvPKhS1_P6__halfPKfiiiiiiii
; %bb.0:
	v_cmp_gt_u32_e32 vcc, 12, v0
	s_and_saveexec_b64 s[4:5], vcc
; %bb.1:
	v_lshlrev_b32_e32 v1, 2, v0
	v_mov_b32_e32 v2, 0
	ds_write_b32 v1, v2 offset:49152
; %bb.2:
	s_or_b64 exec, exec, s[4:5]
	s_load_dwordx8 s[36:43], s[0:1], 0x20
	s_waitcnt lgkmcnt(0)
	s_barrier
	s_add_i32 s3, s36, 31
	s_ashr_i32 s5, s3, 31
	s_add_i32 s4, s37, 31
	s_lshr_b32 s5, s5, 27
	s_ashr_i32 s6, s4, 31
	s_add_i32 s3, s3, s5
	s_ashr_i32 s33, s3, 5
	s_lshr_b32 s3, s6, 27
	s_add_i32 s4, s4, s3
	s_ashr_i32 s62, s4, 5
	s_mul_i32 s3, s62, s33
	s_mul_i32 s3, s3, s40
	s_add_i32 s4, s3, 0x12f
	s_mul_hi_i32 s4, s4, 0x6bca1af3
	s_lshr_b32 s5, s4, 31
	s_ashr_i32 s4, s4, 7
	s_add_i32 s4, s4, s5
	s_add_i32 s5, s2, 1
	s_mul_i32 s5, s4, s5
	v_cvt_f64_i32_e32 v[2:3], s3
	v_cvt_f64_u32_e32 v[4:5], s5
	v_min_f64 v[2:3], v[2:3], v[4:5]
	v_cvt_i32_f64_e32 v54, v[2:3]
	s_mul_i32 s63, s4, s2
	v_cmp_ge_i32_e32 vcc, s63, v54
	s_cbranch_vccnz .LBB34_48
; %bb.3:
	v_lshrrev_b32_e32 v1, 6, v0
	s_add_i32 s4, s42, s41
	s_load_dwordx8 s[44:51], s[0:1], 0x0
	v_cmp_le_i32_e64 s[0:1], s4, v1
	v_mov_b32_e32 v2, s41
	v_cmp_le_i32_e64 s[2:3], s41, v1
	v_mov_b32_e32 v3, s42
	v_cndmask_b32_e64 v3, 0, v3, s[0:1]
	v_cndmask_b32_e64 v2, 0, v2, s[2:3]
	s_abs_i32 s5, s40
	v_add_u32_e32 v2, v2, v3
	v_cvt_f32_u32_e32 v3, s5
	v_sub_u32_e32 v40, v1, v2
	s_ashr_i32 s6, s38, 31
	s_lshr_b32 s6, s6, 25
	v_rcp_iflag_f32_e32 v2, v3
	s_sub_i32 s9, 0, s5
	s_add_i32 s6, s38, s6
	s_ashr_i32 s6, s6, 7
	v_mul_f32_e32 v2, 0x4f7ffffe, v2
	v_cvt_u32_f32_e32 v2, v2
	s_abs_i32 s8, s6
	s_xor_b32 s7, s6, s40
	s_ashr_i32 s7, s7, 31
	v_readfirstlane_b32 s10, v2
	s_mul_i32 s9, s9, s10
	s_mul_hi_u32 s9, s10, s9
	s_add_i32 s10, s10, s9
	s_mul_hi_u32 s9, s8, s10
	s_mul_i32 s10, s9, s5
	s_sub_i32 s8, s8, s10
	s_add_i32 s10, s9, 1
	s_sub_i32 s11, s8, s5
	s_cmp_ge_u32 s8, s5
	s_cselect_b32 s9, s10, s9
	s_cselect_b32 s8, s11, s8
	s_add_i32 s10, s9, 1
	s_cmp_ge_u32 s8, s5
	s_cselect_b32 s5, s10, s9
	s_xor_b32 s5, s5, s7
	s_sub_i32 s64, s5, s7
	s_add_i32 s40, s40, -1
	s_mul_i32 s5, s64, s40
	s_add_i32 s4, s4, s43
	v_and_b32_e32 v56, 31, v0
	v_lshrrev_b32_e32 v2, 3, v0
	s_sub_i32 s65, s6, s5
	v_cmp_gt_i32_e64 s[4:5], s4, v1
	v_lshlrev_b32_e32 v1, 2, v56
	v_and_b32_e32 v3, 4, v2
	v_and_b32_e32 v5, 1, v0
	v_lshlrev_b32_e32 v2, 6, v3
	v_or_b32_e32 v4, 0x6000, v1
	v_or_b32_e32 v3, v3, v5
	;; [unrolled: 1-line block ×4, first 2 shown]
	v_lshlrev_b32_e32 v2, 1, v5
	v_or_b32_e32 v5, 2, v3
	v_sub_u32_e32 v68, 32, v5
	v_or_b32_e32 v5, 8, v3
	v_sub_u32_e32 v69, 32, v5
	;; [unrolled: 2-line block ×5, first 2 shown]
	v_mul_lo_u32 v18, s37, v3
	v_sub_u32_e32 v72, 32, v5
	v_or_b32_e32 v5, 24, v3
	v_or_b32_e32 v3, 26, v3
	v_sub_u32_e32 v74, 32, v3
	v_lshrrev_b32_e32 v3, 1, v0
	s_abs_i32 s66, s33
	v_and_b32_e32 v34, 16, v3
	v_cvt_f32_u32_e32 v3, s66
	v_sub_u32_e32 v73, 32, v5
	v_lshlrev_b32_e32 v5, 4, v0
	v_and_b32_e32 v5, 0x200, v5
	v_rcp_iflag_f32_e32 v3, v3
	s_abs_i32 s67, s62
	v_or_b32_e32 v78, v1, v5
	v_cvt_f32_u32_e32 v1, s67
	v_sub_u32_e32 v2, v0, v2
	v_add_u32_e32 v2, 1, v2
	s_lshl_b32 s6, s37, 1
	v_and_b32_e32 v6, 63, v2
	v_bitop3_b32 v59, v0, 1, v0 bitop3:0xc
	v_bitop3_b32 v60, v0, 3, 1 bitop3:0x6c
	;; [unrolled: 1-line block ×8, first 2 shown]
	v_and_b32_e32 v2, 30, v0
	v_add_u32_e32 v20, s6, v18
	s_mul_i32 s7, s37, 6
	v_bitop3_b32 v76, v0, 31, v0 bitop3:0xc
	v_mul_f32_e32 v0, 0x4f7ffffe, v3
	v_add_u32_e32 v22, s7, v20
	v_cvt_u32_f32_e32 v0, v0
	v_rcp_iflag_f32_e32 v1, v1
	v_add_u32_e32 v24, s6, v22
	v_add_u32_e32 v26, s7, v24
	;; [unrolled: 1-line block ×4, first 2 shown]
	v_readfirstlane_b32 s7, v0
	v_mul_f32_e32 v0, 0x4f7ffffe, v1
	v_cvt_u32_f32_e32 v0, v0
	v_add_u32_e32 v32, s6, v30
	s_sub_i32 s6, 0, s66
	s_mul_i32 s6, s6, s7
	s_mul_hi_u32 s6, s7, s6
	s_add_i32 s69, s7, s6
	s_sub_i32 s6, 0, s67
	v_readfirstlane_b32 s7, v0
	v_mbcnt_lo_u32_b32 v0, -1, 0
	s_mul_i32 s6, s6, s7
	v_mbcnt_hi_u32_b32 v0, -1, v0
	v_mov_b32_e32 v17, 0
	v_mul_lo_u32 v36, s39, v56
	s_mul_hi_u32 s6, s7, s6
	v_and_or_b32 v0, v0, 64, v6
	v_cndmask_b32_e64 v55, 0, 1, s[0:1]
	v_ashrrev_i32_e32 v19, 31, v18
	v_ashrrev_i32_e32 v21, 31, v20
	;; [unrolled: 1-line block ×9, first 2 shown]
	v_mov_b32_e32 v35, v17
	v_or_b32_e32 v75, v4, v5
	v_mul_lo_u32 v77, s38, v56
	s_ashr_i32 s68, s33, 31
	s_ashr_i32 s70, s62, 31
	s_add_i32 s71, s7, s6
	v_lshlrev_b32_e32 v16, 1, v2
	v_lshlrev_b32_e32 v79, 2, v0
	v_mov_b32_e32 v80, v40
	s_branch .LBB34_7
.LBB34_4:                               ;   in Loop: Header=BB34_7 Depth=1
	s_or_b64 exec, exec, s[10:11]
.LBB34_5:                               ;   in Loop: Header=BB34_7 Depth=1
	s_or_b64 exec, exec, s[8:9]
	v_subrev_u32_e32 v80, s72, v80
.LBB34_6:                               ;   in Loop: Header=BB34_7 Depth=1
	s_or_b64 exec, exec, s[6:7]
	s_add_i32 s63, s63, 1
	v_cmp_ge_i32_e32 vcc, s63, v54
	s_cbranch_vccnz .LBB34_48
.LBB34_7:                               ; =>This Loop Header: Depth=1
                                        ;     Child Loop BB34_13 Depth 2
                                        ;       Child Loop BB34_15 Depth 3
                                        ;       Child Loop BB34_18 Depth 3
                                        ;     Child Loop BB34_35 Depth 2
                                        ;       Child Loop BB34_37 Depth 3
                                        ;     Child Loop BB34_45 Depth 2
                                        ;       Child Loop BB34_47 Depth 3
	s_abs_i32 s7, s63
	s_mul_hi_u32 s8, s7, s69
	s_mul_i32 s9, s8, s66
	s_ashr_i32 s6, s63, 31
	s_sub_i32 s7, s7, s9
	s_xor_b32 s6, s6, s68
	s_add_i32 s9, s8, 1
	s_sub_i32 s10, s7, s66
	s_cmp_ge_u32 s7, s66
	s_cselect_b32 s8, s9, s8
	s_cselect_b32 s7, s10, s7
	s_add_i32 s9, s8, 1
	s_cmp_ge_u32 s7, s66
	s_cselect_b32 s7, s9, s8
	s_xor_b32 s7, s7, s6
	s_sub_i32 s6, s7, s6
	s_abs_i32 s8, s6
	s_mul_i32 s7, s6, s33
	s_mul_hi_u32 s9, s8, s71
	s_sub_i32 s7, s63, s7
	s_mul_i32 s10, s9, s67
	s_lshl_b32 s73, s7, 5
	s_ashr_i32 s7, s6, 31
	s_sub_i32 s8, s8, s10
	s_xor_b32 s7, s7, s70
	s_add_i32 s10, s9, 1
	s_sub_i32 s11, s8, s67
	s_cmp_ge_u32 s8, s67
	s_cselect_b32 s9, s10, s9
	s_cselect_b32 s8, s11, s8
	s_add_i32 s10, s9, 1
	s_cmp_ge_u32 s8, s67
	s_cselect_b32 s8, s10, s9
	s_xor_b32 s8, s8, s7
	s_sub_i32 s7, s8, s7
	s_mul_i32 s8, s7, s64
	s_lshl_b32 s74, s8, 7
	s_cmp_eq_u32 s7, s40
	s_cselect_b32 s72, s65, s64
	s_sub_i32 s75, s73, s36
	s_add_i32 s75, s75, 32
	s_and_saveexec_b64 s[8:9], s[2:3]
	s_xor_b64 s[52:53], exec, s[8:9]
	s_cbranch_execz .LBB34_41
; %bb.8:                                ;   in Loop: Header=BB34_7 Depth=1
	s_mul_i32 s7, s7, s62
	s_sub_i32 s6, s6, s7
	s_lshl_b32 s6, s6, 5
	s_sub_i32 s14, s6, s37
	s_add_i32 s14, s14, 32
	s_max_i32 s7, s14, 0
	s_sub_i32 s54, s6, s7
	s_and_saveexec_b64 s[6:7], s[0:1]
	s_xor_b64 s[56:57], exec, s[6:7]
	s_cbranch_execz .LBB34_31
; %bb.9:                                ;   in Loop: Header=BB34_7 Depth=1
	s_and_saveexec_b64 s[58:59], s[4:5]
	s_cbranch_execz .LBB34_30
; %bb.10:                               ;   in Loop: Header=BB34_7 Depth=1
	s_waitcnt lgkmcnt(0)
	global_load_dword v81, v17, s[50:51]
	v_mov_b32_e32 v15, 0
	v_cmp_gt_i32_e32 vcc, s72, v80
	v_mov_b32_e32 v14, v15
	v_mov_b32_e32 v13, v15
	;; [unrolled: 1-line block ×15, first 2 shown]
	s_and_saveexec_b64 s[6:7], vcc
	s_cbranch_execz .LBB34_20
; %bb.11:                               ;   in Loop: Header=BB34_7 Depth=1
	v_mov_b32_e32 v0, 0
	s_mov_b64 s[8:9], 0
	v_mov_b32_e32 v1, v0
	v_mov_b32_e32 v2, v0
	v_mov_b32_e32 v3, v0
	v_mov_b32_e32 v4, v0
	v_mov_b32_e32 v5, v0
	v_mov_b32_e32 v6, v0
	v_mov_b32_e32 v7, v0
	v_mov_b32_e32 v8, v0
	v_mov_b32_e32 v9, v0
	v_mov_b32_e32 v10, v0
	v_mov_b32_e32 v11, v0
	v_mov_b32_e32 v12, v0
	v_mov_b32_e32 v13, v0
	v_mov_b32_e32 v14, v0
	v_mov_b32_e32 v15, v0
	s_branch .LBB34_13
.LBB34_12:                              ;   in Loop: Header=BB34_13 Depth=2
	s_or_b64 exec, exec, s[10:11]
	v_add_u32_e32 v85, v58, v85
	ds_read2_b32 v[86:87], v85 offset1:32
	v_add_u32_e32 v80, s43, v80
	s_waitcnt lgkmcnt(0)
	v_mfma_f32_32x32x16_fp8_fp8 v[0:15], v[52:53], v[86:87], v[0:15]
	ds_read2_b32 v[52:53], v85 offset0:128 offset1:160
	s_waitcnt lgkmcnt(0)
	v_mfma_f32_32x32x16_fp8_fp8 v[0:15], v[50:51], v[52:53], v[0:15]
	v_add_u32_e32 v52, 0x400, v85
	ds_read2_b32 v[50:51], v52 offset1:32
	s_waitcnt lgkmcnt(0)
	v_mfma_f32_32x32x16_fp8_fp8 v[0:15], v[48:49], v[50:51], v[0:15]
	ds_read2_b32 v[48:49], v52 offset0:128 offset1:160
	s_waitcnt lgkmcnt(0)
	v_mfma_f32_32x32x16_fp8_fp8 v[0:15], v[46:47], v[48:49], v[0:15]
	v_add_u32_e32 v48, 0x800, v85
	ds_read2_b32 v[46:47], v48 offset1:32
	;; [unrolled: 7-line block ×3, first 2 shown]
	ds_read2_b32 v[44:45], v44 offset0:128 offset1:160
	ds_write_b32 v83, v84 offset:49156
	s_waitcnt lgkmcnt(2)
	v_mfma_f32_32x32x16_fp8_fp8 v[0:15], v[40:41], v[42:43], v[0:15]
	v_add_u32_e32 v40, s43, v82
	v_add_u32_e32 v41, 2, v55
	v_cmp_lt_i32_e32 vcc, 5, v40
	s_nop 1
	v_cndmask_b32_e32 v55, v55, v41, vcc
	v_cmp_le_i32_e32 vcc, s72, v80
	s_waitcnt lgkmcnt(1)
	v_mfma_f32_32x32x16_fp8_fp8 v[0:15], v[38:39], v[44:45], v[0:15]
	s_or_b64 s[8:9], vcc, s[8:9]
	s_andn2_b64 exec, exec, s[8:9]
	s_cbranch_execz .LBB34_19
.LBB34_13:                              ;   Parent Loop BB34_7 Depth=1
                                        ; =>  This Loop Header: Depth=2
                                        ;       Child Loop BB34_15 Depth 3
                                        ;       Child Loop BB34_18 Depth 3
	v_cmp_gt_i32_e32 vcc, 6, v40
	s_nop 1
	v_cndmask_b32_e64 v38, -6, 0, vcc
	v_add_u32_e32 v82, v38, v40
	v_lshlrev_b32_e32 v83, 3, v82
	ds_read_b32 v38, v83 offset:49152
	s_waitcnt lgkmcnt(0)
	v_cmp_ne_u32_e32 vcc, v38, v55
	s_and_saveexec_b64 s[10:11], vcc
	s_cbranch_execz .LBB34_16
; %bb.14:                               ;   in Loop: Header=BB34_13 Depth=2
	s_mov_b64 s[12:13], 0
.LBB34_15:                              ;   Parent Loop BB34_7 Depth=1
                                        ;     Parent Loop BB34_13 Depth=2
                                        ; =>    This Inner Loop Header: Depth=3
	;;#ASMSTART
	s_sleep 0
	;;#ASMEND
	ds_read_b32 v38, v83 offset:49152
	s_waitcnt lgkmcnt(0)
	v_cmp_eq_u32_e32 vcc, v38, v55
	s_or_b64 s[12:13], vcc, s[12:13]
	s_andn2_b64 exec, exec, s[12:13]
	s_cbranch_execnz .LBB34_15
.LBB34_16:                              ;   in Loop: Header=BB34_13 Depth=2
	s_or_b64 exec, exec, s[10:11]
	v_lshlrev_b32_e32 v85, 12, v82
	v_or_b32_e32 v38, v57, v85
	v_add_u32_e32 v39, 0x400, v38
	ds_read2_b32 v[52:53], v38 offset1:32
	ds_read2_b32 v[50:51], v38 offset0:128 offset1:160
	ds_read2_b32 v[48:49], v39 offset1:32
	ds_read2_b32 v[46:47], v39 offset0:128 offset1:160
	v_add_u32_e32 v39, 0x800, v38
	v_add_u32_e32 v38, 0xc00, v38
	ds_read2_b32 v[44:45], v39 offset1:32
	ds_read2_b32 v[42:43], v39 offset0:128 offset1:160
	ds_read2_b32 v[40:41], v38 offset1:32
	ds_read_b32 v86, v83 offset:49156
	ds_read2_b32 v[38:39], v38 offset0:128 offset1:160
	v_add_u32_e32 v84, 1, v55
	ds_write_b32 v83, v84 offset:49152
	s_waitcnt lgkmcnt(2)
	v_cmp_ne_u32_e32 vcc, v86, v55
	s_and_saveexec_b64 s[10:11], vcc
	s_cbranch_execz .LBB34_12
; %bb.17:                               ;   in Loop: Header=BB34_13 Depth=2
	s_mov_b64 s[12:13], 0
.LBB34_18:                              ;   Parent Loop BB34_7 Depth=1
                                        ;     Parent Loop BB34_13 Depth=2
                                        ; =>    This Inner Loop Header: Depth=3
	;;#ASMSTART
	s_sleep 0
	;;#ASMEND
	ds_read_b32 v86, v83 offset:49156
	s_waitcnt lgkmcnt(0)
	v_cmp_eq_u32_e32 vcc, v86, v55
	s_or_b64 s[12:13], vcc, s[12:13]
	s_andn2_b64 exec, exec, s[12:13]
	s_cbranch_execnz .LBB34_18
	s_branch .LBB34_12
.LBB34_19:                              ;   in Loop: Header=BB34_7 Depth=1
	s_or_b64 exec, exec, s[8:9]
.LBB34_20:                              ;   in Loop: Header=BB34_7 Depth=1
	s_or_b64 exec, exec, s[6:7]
	v_cmp_le_i32_e32 vcc, s14, v56
	v_cmp_eq_u32_e64 s[6:7], 3, v59
	v_cmp_eq_u32_e64 s[8:9], 4, v59
	s_waitcnt vmcnt(0)
	v_cndmask_b32_e32 v38, 0, v81, vcc
	s_nop 1
	v_pk_mul_f32 v[0:1], v[38:39], v[0:1] op_sel_hi:[0,1]
	v_cmp_eq_u32_e32 vcc, 1, v59
	v_pk_mul_f32 v[14:15], v[38:39], v[14:15] op_sel_hi:[0,1]
	v_pk_mul_f32 v[12:13], v[38:39], v[12:13] op_sel_hi:[0,1]
	;; [unrolled: 1-line block ×7, first 2 shown]
	v_cndmask_b32_e32 v38, v0, v1, vcc
	v_cmp_eq_u32_e32 vcc, 2, v59
	v_cmp_eq_u32_e64 s[10:11], 5, v59
	v_cmp_eq_u32_e64 s[12:13], 6, v59
	v_cndmask_b32_e32 v38, v38, v2, vcc
	v_cndmask_b32_e64 v38, v38, v3, s[6:7]
	v_cndmask_b32_e64 v38, v38, v4, s[8:9]
	;; [unrolled: 1-line block ×4, first 2 shown]
	v_cmp_eq_u32_e64 s[14:15], 7, v59
	v_cmp_eq_u32_e64 s[16:17], 8, v59
	v_cmp_eq_u32_e64 s[18:19], 9, v59
	v_cndmask_b32_e64 v38, v38, v7, s[14:15]
	v_cndmask_b32_e64 v38, v38, v8, s[16:17]
	v_cndmask_b32_e64 v38, v38, v9, s[18:19]
	v_cmp_eq_u32_e64 s[20:21], 10, v59
	v_cmp_eq_u32_e64 s[22:23], 11, v59
	v_cmp_eq_u32_e64 s[24:25], 12, v59
	v_cndmask_b32_e64 v38, v38, v10, s[20:21]
	v_cndmask_b32_e64 v38, v38, v11, s[22:23]
	v_cndmask_b32_e64 v38, v38, v12, s[24:25]
	;; [unrolled: 6-line block ×3, first 2 shown]
	ds_bpermute_b32 v38, v79, v38
	v_cmp_eq_u32_e64 s[34:35], 15, v60
	s_waitcnt lgkmcnt(0)
	v_cndmask_b32_e32 v2, v2, v38, vcc
	v_cmp_ne_u32_e32 vcc, 0, v59
	v_cndmask_b32_e64 v15, v15, v38, s[30:31]
	v_cndmask_b32_e64 v14, v14, v38, s[28:29]
	v_cndmask_b32_e32 v1, v1, v38, vcc
	v_cmp_eq_u32_e32 vcc, 0, v59
	v_cndmask_b32_e64 v13, v13, v38, s[26:27]
	v_cndmask_b32_e64 v12, v12, v38, s[24:25]
	v_cndmask_b32_e32 v0, v0, v38, vcc
	v_cmp_eq_u32_e32 vcc, 1, v60
	v_cndmask_b32_e64 v11, v11, v38, s[22:23]
	v_cndmask_b32_e64 v10, v10, v38, s[20:21]
	;; [unrolled: 1-line block ×9, first 2 shown]
	v_cndmask_b32_e32 v38, v0, v1, vcc
	v_cmp_eq_u32_e64 s[6:7], 2, v60
	v_cmp_eq_u32_e64 s[8:9], 3, v60
	v_cmp_eq_u32_e64 s[10:11], 4, v60
	v_cndmask_b32_e64 v38, v38, v2, s[6:7]
	v_cndmask_b32_e64 v38, v38, v3, s[8:9]
	v_cndmask_b32_e64 v38, v38, v4, s[10:11]
	v_cmp_eq_u32_e64 s[12:13], 5, v60
	v_cmp_eq_u32_e64 s[14:15], 6, v60
	v_cmp_eq_u32_e64 s[16:17], 7, v60
	v_cndmask_b32_e64 v38, v38, v5, s[12:13]
	v_cndmask_b32_e64 v38, v38, v6, s[14:15]
	v_cndmask_b32_e64 v38, v38, v7, s[16:17]
	v_cmp_eq_u32_e64 s[18:19], 8, v60
	v_cmp_eq_u32_e64 s[20:21], 9, v60
	v_cmp_eq_u32_e64 s[22:23], 10, v60
	v_cndmask_b32_e64 v38, v38, v8, s[18:19]
	v_cndmask_b32_e64 v38, v38, v9, s[20:21]
	v_cndmask_b32_e64 v38, v38, v10, s[22:23]
	v_cmp_eq_u32_e64 s[24:25], 11, v60
	v_cmp_eq_u32_e64 s[26:27], 12, v60
	v_cmp_eq_u32_e64 s[28:29], 13, v60
	v_cndmask_b32_e64 v38, v38, v11, s[24:25]
	v_cndmask_b32_e64 v38, v38, v12, s[26:27]
	v_cndmask_b32_e64 v38, v38, v13, s[28:29]
	v_cmp_eq_u32_e64 s[30:31], 14, v60
	s_nop 1
	v_cndmask_b32_e64 v38, v38, v14, s[30:31]
	v_cndmask_b32_e64 v38, v38, v15, s[34:35]
	ds_bpermute_b32 v38, v79, v38
	s_waitcnt lgkmcnt(0)
	v_cndmask_b32_e32 v1, v1, v38, vcc
	v_cmp_eq_u32_e32 vcc, 0, v60
	v_cndmask_b32_e64 v15, v15, v38, s[34:35]
	v_cndmask_b32_e64 v14, v14, v38, s[30:31]
	v_cndmask_b32_e32 v0, v0, v38, vcc
	v_cmp_eq_u32_e32 vcc, 1, v61
	v_cndmask_b32_e64 v13, v13, v38, s[28:29]
	v_cndmask_b32_e64 v12, v12, v38, s[26:27]
	v_cndmask_b32_e64 v11, v11, v38, s[24:25]
	v_cndmask_b32_e64 v10, v10, v38, s[22:23]
	v_cndmask_b32_e64 v9, v9, v38, s[20:21]
	v_cndmask_b32_e64 v8, v8, v38, s[18:19]
	v_cndmask_b32_e64 v7, v7, v38, s[16:17]
	v_cndmask_b32_e64 v6, v6, v38, s[14:15]
	v_cndmask_b32_e64 v5, v5, v38, s[12:13]
	v_cndmask_b32_e64 v4, v4, v38, s[10:11]
	v_cndmask_b32_e64 v3, v3, v38, s[8:9]
	v_cndmask_b32_e64 v2, v2, v38, s[6:7]
	v_cndmask_b32_e32 v38, v0, v1, vcc
	v_cmp_eq_u32_e64 s[6:7], 2, v61
	v_cmp_eq_u32_e64 s[8:9], 3, v61
	v_cmp_eq_u32_e64 s[10:11], 4, v61
	v_cndmask_b32_e64 v38, v38, v2, s[6:7]
	v_cndmask_b32_e64 v38, v38, v3, s[8:9]
	v_cndmask_b32_e64 v38, v38, v4, s[10:11]
	v_cmp_eq_u32_e64 s[12:13], 5, v61
	v_cmp_eq_u32_e64 s[14:15], 6, v61
	v_cmp_eq_u32_e64 s[16:17], 7, v61
	v_cndmask_b32_e64 v38, v38, v5, s[12:13]
	v_cndmask_b32_e64 v38, v38, v6, s[14:15]
	v_cndmask_b32_e64 v38, v38, v7, s[16:17]
	v_cmp_eq_u32_e64 s[18:19], 8, v61
	v_cmp_eq_u32_e64 s[20:21], 9, v61
	v_cmp_eq_u32_e64 s[22:23], 10, v61
	v_cndmask_b32_e64 v38, v38, v8, s[18:19]
	v_cndmask_b32_e64 v38, v38, v9, s[20:21]
	v_cndmask_b32_e64 v38, v38, v10, s[22:23]
	v_cmp_eq_u32_e64 s[24:25], 11, v61
	v_cmp_eq_u32_e64 s[26:27], 12, v61
	v_cmp_eq_u32_e64 s[28:29], 13, v61
	v_cndmask_b32_e64 v38, v38, v11, s[24:25]
	v_cndmask_b32_e64 v38, v38, v12, s[26:27]
	v_cndmask_b32_e64 v38, v38, v13, s[28:29]
	v_cmp_eq_u32_e64 s[30:31], 14, v61
	v_cmp_eq_u32_e64 s[34:35], 15, v61
	s_nop 0
	v_cndmask_b32_e64 v38, v38, v14, s[30:31]
	v_cndmask_b32_e64 v38, v38, v15, s[34:35]
	ds_bpermute_b32 v38, v79, v38
	s_waitcnt lgkmcnt(0)
	v_cndmask_b32_e32 v1, v1, v38, vcc
	v_cmp_eq_u32_e32 vcc, 0, v61
	v_cndmask_b32_e64 v15, v15, v38, s[34:35]
	v_cndmask_b32_e64 v14, v14, v38, s[30:31]
	v_cndmask_b32_e32 v0, v0, v38, vcc
	v_cmp_eq_u32_e32 vcc, 1, v62
	v_cndmask_b32_e64 v13, v13, v38, s[28:29]
	v_cndmask_b32_e64 v12, v12, v38, s[26:27]
	v_cndmask_b32_e64 v11, v11, v38, s[24:25]
	v_cndmask_b32_e64 v10, v10, v38, s[22:23]
	v_cndmask_b32_e64 v9, v9, v38, s[20:21]
	v_cndmask_b32_e64 v8, v8, v38, s[18:19]
	v_cndmask_b32_e64 v7, v7, v38, s[16:17]
	v_cndmask_b32_e64 v6, v6, v38, s[14:15]
	v_cndmask_b32_e64 v5, v5, v38, s[12:13]
	v_cndmask_b32_e64 v4, v4, v38, s[10:11]
	v_cndmask_b32_e64 v3, v3, v38, s[8:9]
	v_cndmask_b32_e64 v2, v2, v38, s[6:7]
	v_cndmask_b32_e32 v38, v0, v1, vcc
	v_cmp_eq_u32_e64 s[6:7], 2, v62
	v_cmp_eq_u32_e64 s[8:9], 3, v62
	v_cmp_eq_u32_e64 s[10:11], 4, v62
	v_cndmask_b32_e64 v38, v38, v2, s[6:7]
	v_cndmask_b32_e64 v38, v38, v3, s[8:9]
	v_cndmask_b32_e64 v38, v38, v4, s[10:11]
	v_cmp_eq_u32_e64 s[12:13], 5, v62
	v_cmp_eq_u32_e64 s[14:15], 6, v62
	v_cmp_eq_u32_e64 s[16:17], 7, v62
	v_cndmask_b32_e64 v38, v38, v5, s[12:13]
	v_cndmask_b32_e64 v38, v38, v6, s[14:15]
	v_cndmask_b32_e64 v38, v38, v7, s[16:17]
	v_cmp_eq_u32_e64 s[18:19], 8, v62
	v_cmp_eq_u32_e64 s[20:21], 9, v62
	v_cmp_eq_u32_e64 s[22:23], 10, v62
	v_cndmask_b32_e64 v38, v38, v8, s[18:19]
	v_cndmask_b32_e64 v38, v38, v9, s[20:21]
	v_cndmask_b32_e64 v38, v38, v10, s[22:23]
	v_cmp_eq_u32_e64 s[24:25], 11, v62
	v_cmp_eq_u32_e64 s[26:27], 12, v62
	v_cmp_eq_u32_e64 s[28:29], 13, v62
	v_cndmask_b32_e64 v38, v38, v11, s[24:25]
	v_cndmask_b32_e64 v38, v38, v12, s[26:27]
	v_cndmask_b32_e64 v38, v38, v13, s[28:29]
	v_cmp_eq_u32_e64 s[30:31], 14, v62
	;; [unrolled: 50-line block ×4, first 2 shown]
	v_cmp_eq_u32_e64 s[34:35], 15, v64
	s_nop 0
	v_cndmask_b32_e64 v38, v38, v14, s[30:31]
	v_cndmask_b32_e64 v38, v38, v15, s[34:35]
	ds_bpermute_b32 v38, v79, v38
	s_waitcnt lgkmcnt(0)
	v_cndmask_b32_e32 v1, v1, v38, vcc
	v_cmp_eq_u32_e32 vcc, 0, v64
	v_cndmask_b32_e64 v15, v15, v38, s[34:35]
	v_cndmask_b32_e64 v14, v14, v38, s[30:31]
	;; [unrolled: 1-line block ×14, first 2 shown]
	v_cndmask_b32_e32 v38, v0, v38, vcc
	v_cmp_eq_u32_e32 vcc, 1, v65
	v_cmp_eq_u32_e64 s[6:7], 2, v65
	v_cmp_eq_u32_e64 s[8:9], 3, v65
	v_cndmask_b32_e32 v0, v38, v1, vcc
	v_cndmask_b32_e64 v0, v0, v47, s[6:7]
	v_cndmask_b32_e64 v0, v0, v46, s[8:9]
	v_cmp_eq_u32_e64 s[10:11], 4, v65
	v_cmp_eq_u32_e64 s[12:13], 5, v65
	v_cmp_eq_u32_e64 s[14:15], 6, v65
	v_cndmask_b32_e64 v0, v0, v45, s[10:11]
	v_cndmask_b32_e64 v0, v0, v44, s[12:13]
	v_cndmask_b32_e64 v0, v0, v43, s[14:15]
	v_cmp_eq_u32_e64 s[16:17], 7, v65
	v_cmp_eq_u32_e64 s[18:19], 8, v65
	v_cmp_eq_u32_e64 s[20:21], 9, v65
	v_cndmask_b32_e64 v0, v0, v42, s[16:17]
	;; [unrolled: 6-line block ×4, first 2 shown]
	v_cndmask_b32_e64 v0, v0, v14, s[30:31]
	v_cndmask_b32_e64 v0, v0, v15, s[34:35]
	ds_bpermute_b32 v48, v79, v0
	s_waitcnt lgkmcnt(0)
	v_cndmask_b32_e32 v0, v1, v48, vcc
	v_cmp_eq_u32_e32 vcc, 0, v65
	v_cndmask_b32_e64 v4, v15, v48, s[34:35]
	v_cndmask_b32_e64 v15, v47, v48, s[6:7]
	v_cndmask_b32_e32 v1, v38, v48, vcc
	v_cmp_eq_u32_e32 vcc, 1, v66
	v_cndmask_b32_e64 v5, v14, v48, s[30:31]
	v_cndmask_b32_e64 v14, v46, v48, s[8:9]
	;; [unrolled: 4-line block ×7, first 2 shown]
	v_cndmask_b32_e32 v38, v38, v13, vcc
	v_cmp_eq_u32_e32 vcc, 7, v66
	s_nop 1
	v_cndmask_b32_e32 v38, v38, v12, vcc
	v_cmp_eq_u32_e32 vcc, 8, v66
	s_nop 1
	;; [unrolled: 3-line block ×9, first 2 shown]
	v_cndmask_b32_e32 v38, v38, v4, vcc
	ds_bpermute_b32 v38, v79, v38
	v_cmp_lt_i32_e32 vcc, s75, v67
	s_and_saveexec_b64 s[60:61], vcc
	s_cbranch_execz .LBB34_29
; %bb.21:                               ;   in Loop: Header=BB34_7 Depth=1
	s_mul_i32 s6, s73, s37
	s_ashr_i32 s7, s6, 31
	s_lshl_b64 s[6:7], s[6:7], 1
	v_cmp_eq_u32_e64 s[30:31], 1, v66
	s_add_u32 s8, s48, s6
	s_addc_u32 s9, s49, s7
	s_waitcnt lgkmcnt(0)
	v_cndmask_b32_e64 v0, v0, v38, s[30:31]
	v_cmp_eq_u32_e64 s[30:31], 0, v66
	s_ashr_i32 s55, s54, 31
	s_lshl_b64 s[6:7], s[54:55], 1
	v_cndmask_b32_e64 v1, v1, v38, s[30:31]
	v_cvt_f16_f32_e32 v39, v1
	v_cvt_f16_f32_sdwa v41, v0 dst_sel:WORD_1 dst_unused:UNUSED_PAD src0_sel:DWORD
	s_add_u32 s34, s8, s6
	s_addc_u32 s35, s9, s7
	v_cmp_eq_u32_e64 s[8:9], 15, v66
	v_cmp_eq_u32_e64 s[10:11], 14, v66
	;; [unrolled: 1-line block ×10, first 2 shown]
	v_cmp_eq_u32_e32 vcc, 5, v66
	v_cmp_eq_u32_e64 s[6:7], 4, v66
	v_cmp_eq_u32_e64 s[28:29], 3, v66
	;; [unrolled: 1-line block ×3, first 2 shown]
	v_lshl_add_u64 v[0:1], s[34:35], 0, v[16:17]
	v_cmp_lt_i32_e64 s[34:35], s75, v68
	v_lshl_add_u64 v[42:43], v[18:19], 1, v[0:1]
	v_or_b32_e32 v39, v41, v39
	;;#ASMSTART
	global_atomic_pk_add_f16 v[42:43], v39, off
	
	;;#ASMEND
	s_and_b64 exec, exec, s[34:35]
	s_cbranch_execz .LBB34_29
; %bb.22:                               ;   in Loop: Header=BB34_7 Depth=1
	v_cndmask_b32_e64 v14, v14, v38, s[28:29]
	v_cndmask_b32_e64 v15, v15, v38, s[30:31]
	v_cvt_f16_f32_e32 v39, v15
	v_cvt_f16_f32_sdwa v41, v14 dst_sel:WORD_1 dst_unused:UNUSED_PAD src0_sel:DWORD
	v_cndmask_b32_e64 v4, v4, v38, s[8:9]
	v_cndmask_b32_e64 v5, v5, v38, s[10:11]
	;; [unrolled: 1-line block ×10, first 2 shown]
	v_cndmask_b32_e32 v2, v2, v38, vcc
	v_cndmask_b32_e64 v3, v3, v38, s[6:7]
	v_cmp_lt_i32_e32 vcc, s75, v69
	v_lshl_add_u64 v[14:15], v[20:21], 1, v[0:1]
	v_or_b32_e32 v38, v41, v39
	;;#ASMSTART
	global_atomic_pk_add_f16 v[14:15], v38, off
	
	;;#ASMEND
	s_and_b64 exec, exec, vcc
	s_cbranch_execz .LBB34_29
; %bb.23:                               ;   in Loop: Header=BB34_7 Depth=1
	v_cvt_f16_f32_e32 v14, v3
	v_cvt_f16_f32_sdwa v15, v2 dst_sel:WORD_1 dst_unused:UNUSED_PAD src0_sel:DWORD
	v_cmp_lt_i32_e32 vcc, s75, v70
	v_lshl_add_u64 v[2:3], v[22:23], 1, v[0:1]
	v_or_b32_e32 v14, v15, v14
	;;#ASMSTART
	global_atomic_pk_add_f16 v[2:3], v14, off
	
	;;#ASMEND
	s_and_b64 exec, exec, vcc
	s_cbranch_execz .LBB34_29
; %bb.24:                               ;   in Loop: Header=BB34_7 Depth=1
	v_cvt_f16_f32_e32 v13, v13
	v_cvt_f16_f32_sdwa v12, v12 dst_sel:WORD_1 dst_unused:UNUSED_PAD src0_sel:DWORD
	;; [unrolled: 12-line block ×6, first 2 shown]
	v_lshl_add_u64 v[0:1], v[32:33], 1, v[0:1]
	v_or_b32_e32 v2, v3, v2
	;;#ASMSTART
	global_atomic_pk_add_f16 v[0:1], v2, off
	
	;;#ASMEND
.LBB34_29:                              ;   in Loop: Header=BB34_7 Depth=1
	s_or_b64 exec, exec, s[60:61]
	v_subrev_u32_e32 v80, s72, v80
.LBB34_30:                              ;   in Loop: Header=BB34_7 Depth=1
	s_or_b64 exec, exec, s[58:59]
.LBB34_31:                              ;   in Loop: Header=BB34_7 Depth=1
	s_andn2_saveexec_b64 s[6:7], s[56:57]
	s_cbranch_execz .LBB34_40
; %bb.32:                               ;   in Loop: Header=BB34_7 Depth=1
	v_cmp_gt_i32_e32 vcc, s72, v80
	s_and_saveexec_b64 s[8:9], vcc
	s_cbranch_execz .LBB34_39
; %bb.33:                               ;   in Loop: Header=BB34_7 Depth=1
	s_mul_i32 s10, s54, s39
	s_ashr_i32 s11, s10, 31
	s_waitcnt lgkmcnt(0)
	s_add_u32 s10, s46, s10
	s_addc_u32 s11, s47, s11
	s_ashr_i32 s12, s74, 31
	s_add_u32 s10, s10, s74
	s_addc_u32 s11, s11, s12
	v_lshl_add_u64 v[0:1], s[10:11], 0, v[36:37]
	v_lshl_add_u64 v[38:39], v[0:1], 0, v[34:35]
	s_mov_b64 s[10:11], 0
	s_branch .LBB34_35
.LBB34_34:                              ;   in Loop: Header=BB34_35 Depth=2
	s_or_b64 exec, exec, s[12:13]
	v_lshl_add_u32 v42, v40, 12, v75
	;;#ASMSTART
	s_waitcnt vmcnt(3)
	;;#ASMEND
	ds_write2_b32 v42, v12, v13 offset1:32
	ds_write2_b32 v42, v14, v15 offset0:64 offset1:96
	v_add_u32_e32 v12, 0x400, v42
	;;#ASMSTART
	s_waitcnt vmcnt(2)
	;;#ASMEND
	ds_write2_b32 v12, v8, v9 offset1:32
	ds_write2_b32 v12, v10, v11 offset0:64 offset1:96
	v_add_u32_e32 v8, 0x800, v42
	;; [unrolled: 6-line block ×3, first 2 shown]
	v_add_u32_e32 v80, s42, v80
	;;#ASMSTART
	s_waitcnt vmcnt(0)
	;;#ASMEND
	ds_write2_b32 v4, v0, v1 offset1:32
	ds_write2_b32 v4, v2, v3 offset0:64 offset1:96
	v_add_u32_e32 v0, 1, v55
	v_add_u32_e32 v40, s42, v40
	v_cmp_le_i32_e32 vcc, s72, v80
	ds_write_b32 v41, v0 offset:24
	v_add_u32_e32 v0, 2, v55
	s_or_b64 s[10:11], vcc, s[10:11]
	v_cmp_lt_i32_e32 vcc, 5, v40
	s_nop 1
	v_cndmask_b32_e32 v55, v55, v0, vcc
	s_andn2_b64 exec, exec, s[10:11]
	s_cbranch_execz .LBB34_38
.LBB34_35:                              ;   Parent Loop BB34_7 Depth=1
                                        ; =>  This Loop Header: Depth=2
                                        ;       Child Loop BB34_37 Depth 3
	v_cmp_gt_i32_e32 vcc, 6, v40
	s_nop 1
	v_cndmask_b32_e64 v0, -6, 0, vcc
	v_add_u32_e32 v40, v0, v40
	v_lshlrev_b32_e32 v0, 7, v80
	v_ashrrev_i32_e32 v1, 31, v0
	v_lshl_add_u64 v[0:1], v[38:39], 0, v[0:1]
	v_lshlrev_b32_e32 v41, 2, v40
	;;#ASMSTART
	global_load_dwordx4 v[12:15], v[0:1], off offset:0   sc0 sc1 nt  
	global_load_dwordx4 v[8:11], v[0:1], off offset:32  sc0 sc1 nt  
	global_load_dwordx4 v[4:7], v[0:1], off offset:64  sc0 sc1 nt  
	;; [unrolled: 1-line block ×3, first 2 shown]
	
	;;#ASMEND
	ds_read_b32 v42, v41 offset:49176
	v_add_u32_e32 v41, 0xc000, v41
	s_waitcnt lgkmcnt(0)
	v_cmp_ne_u32_e32 vcc, v42, v55
	s_and_saveexec_b64 s[12:13], vcc
	s_cbranch_execz .LBB34_34
; %bb.36:                               ;   in Loop: Header=BB34_35 Depth=2
	s_mov_b64 s[14:15], 0
.LBB34_37:                              ;   Parent Loop BB34_7 Depth=1
                                        ;     Parent Loop BB34_35 Depth=2
                                        ; =>    This Inner Loop Header: Depth=3
	;;#ASMSTART
	s_sleep 0
	;;#ASMEND
	ds_read_b32 v42, v41 offset:24
	s_waitcnt lgkmcnt(0)
	v_cmp_eq_u32_e32 vcc, v42, v55
	s_or_b64 s[14:15], vcc, s[14:15]
	s_andn2_b64 exec, exec, s[14:15]
	s_cbranch_execnz .LBB34_37
	s_branch .LBB34_34
.LBB34_38:                              ;   in Loop: Header=BB34_7 Depth=1
	s_or_b64 exec, exec, s[10:11]
.LBB34_39:                              ;   in Loop: Header=BB34_7 Depth=1
	s_or_b64 exec, exec, s[8:9]
	v_subrev_u32_e32 v80, s72, v80
.LBB34_40:                              ;   in Loop: Header=BB34_7 Depth=1
	s_or_b64 exec, exec, s[6:7]
.LBB34_41:                              ;   in Loop: Header=BB34_7 Depth=1
	s_andn2_saveexec_b64 s[6:7], s[52:53]
	s_cbranch_execz .LBB34_6
; %bb.42:                               ;   in Loop: Header=BB34_7 Depth=1
	v_cmp_gt_i32_e32 vcc, s72, v80
	s_and_saveexec_b64 s[8:9], vcc
	s_cbranch_execz .LBB34_5
; %bb.43:                               ;   in Loop: Header=BB34_7 Depth=1
	s_mul_i32 s73, s73, s38
	s_ashr_i32 s10, s73, 31
	s_waitcnt lgkmcnt(0)
	s_add_u32 s11, s44, s73
	s_addc_u32 s12, s45, s10
	s_ashr_i32 s13, s74, 31
	v_cmp_le_i32_e32 vcc, s75, v76
	s_add_u32 s10, s11, s74
	s_addc_u32 s11, s12, s13
	v_cndmask_b32_e32 v0, 0, v77, vcc
	v_ashrrev_i32_e32 v1, 31, v0
	v_lshl_add_u64 v[0:1], s[10:11], 0, v[0:1]
	v_lshl_add_u64 v[38:39], v[0:1], 0, v[34:35]
	s_mov_b64 s[10:11], 0
	s_branch .LBB34_45
.LBB34_44:                              ;   in Loop: Header=BB34_45 Depth=2
	s_or_b64 exec, exec, s[12:13]
	v_lshl_or_b32 v42, v40, 12, v78
	;;#ASMSTART
	s_waitcnt vmcnt(3)
	;;#ASMEND
	ds_write2_b32 v42, v12, v13 offset1:32
	ds_write2_b32 v42, v14, v15 offset0:64 offset1:96
	v_add_u32_e32 v12, 0x400, v42
	;;#ASMSTART
	s_waitcnt vmcnt(2)
	;;#ASMEND
	ds_write2_b32 v12, v8, v9 offset1:32
	ds_write2_b32 v12, v10, v11 offset0:64 offset1:96
	v_add_u32_e32 v8, 0x800, v42
	;; [unrolled: 6-line block ×3, first 2 shown]
	v_add_u32_e32 v80, s41, v80
	;;#ASMSTART
	s_waitcnt vmcnt(0)
	;;#ASMEND
	ds_write2_b32 v4, v0, v1 offset1:32
	ds_write2_b32 v4, v2, v3 offset0:64 offset1:96
	v_add_u32_e32 v0, 1, v55
	v_add_u32_e32 v40, s41, v40
	v_cmp_le_i32_e32 vcc, s72, v80
	ds_write_b32 v41, v0
	v_add_u32_e32 v0, 2, v55
	s_or_b64 s[10:11], vcc, s[10:11]
	v_cmp_lt_i32_e32 vcc, 5, v40
	s_nop 1
	v_cndmask_b32_e32 v55, v55, v0, vcc
	s_andn2_b64 exec, exec, s[10:11]
	s_cbranch_execz .LBB34_4
.LBB34_45:                              ;   Parent Loop BB34_7 Depth=1
                                        ; =>  This Loop Header: Depth=2
                                        ;       Child Loop BB34_47 Depth 3
	v_cmp_gt_i32_e32 vcc, 6, v40
	s_nop 1
	v_cndmask_b32_e64 v0, -6, 0, vcc
	v_add_u32_e32 v40, v0, v40
	v_lshlrev_b32_e32 v0, 7, v80
	v_ashrrev_i32_e32 v1, 31, v0
	v_lshl_add_u64 v[0:1], v[38:39], 0, v[0:1]
	v_lshlrev_b32_e32 v41, 2, v40
	;;#ASMSTART
	global_load_dwordx4 v[12:15], v[0:1], off offset:0   
	global_load_dwordx4 v[8:11], v[0:1], off offset:32  
	;; [unrolled: 1-line block ×4, first 2 shown]
	
	;;#ASMEND
	ds_read_b32 v42, v41 offset:49152
	v_add_u32_e32 v41, 0xc000, v41
	s_waitcnt lgkmcnt(0)
	v_cmp_ne_u32_e32 vcc, v42, v55
	s_and_saveexec_b64 s[12:13], vcc
	s_cbranch_execz .LBB34_44
; %bb.46:                               ;   in Loop: Header=BB34_45 Depth=2
	s_mov_b64 s[14:15], 0
.LBB34_47:                              ;   Parent Loop BB34_7 Depth=1
                                        ;     Parent Loop BB34_45 Depth=2
                                        ; =>    This Inner Loop Header: Depth=3
	;;#ASMSTART
	s_sleep 0
	;;#ASMEND
	ds_read_b32 v42, v41
	s_waitcnt lgkmcnt(0)
	v_cmp_eq_u32_e32 vcc, v42, v55
	s_or_b64 s[14:15], vcc, s[14:15]
	s_andn2_b64 exec, exec, s[14:15]
	s_cbranch_execnz .LBB34_47
	s_branch .LBB34_44
.LBB34_48:
	s_endpgm
	.section	.rodata,"a",@progbits
	.p2align	6, 0x0
	.amdhsa_kernel _Z19_skinny_gemm_kernelILi1ELi1ELi6ELi32ELi8EEvPKhS1_P6__halfPKfiiiiiiii
		.amdhsa_group_segment_fixed_size 49200
		.amdhsa_private_segment_fixed_size 0
		.amdhsa_kernarg_size 64
		.amdhsa_user_sgpr_count 2
		.amdhsa_user_sgpr_dispatch_ptr 0
		.amdhsa_user_sgpr_queue_ptr 0
		.amdhsa_user_sgpr_kernarg_segment_ptr 1
		.amdhsa_user_sgpr_dispatch_id 0
		.amdhsa_user_sgpr_kernarg_preload_length 0
		.amdhsa_user_sgpr_kernarg_preload_offset 0
		.amdhsa_user_sgpr_private_segment_size 0
		.amdhsa_uses_dynamic_stack 0
		.amdhsa_enable_private_segment 0
		.amdhsa_system_sgpr_workgroup_id_x 1
		.amdhsa_system_sgpr_workgroup_id_y 0
		.amdhsa_system_sgpr_workgroup_id_z 0
		.amdhsa_system_sgpr_workgroup_info 0
		.amdhsa_system_vgpr_workitem_id 0
		.amdhsa_next_free_vgpr 88
		.amdhsa_next_free_sgpr 76
		.amdhsa_accum_offset 88
		.amdhsa_reserve_vcc 1
		.amdhsa_float_round_mode_32 0
		.amdhsa_float_round_mode_16_64 0
		.amdhsa_float_denorm_mode_32 3
		.amdhsa_float_denorm_mode_16_64 3
		.amdhsa_dx10_clamp 1
		.amdhsa_ieee_mode 1
		.amdhsa_fp16_overflow 0
		.amdhsa_tg_split 0
		.amdhsa_exception_fp_ieee_invalid_op 0
		.amdhsa_exception_fp_denorm_src 0
		.amdhsa_exception_fp_ieee_div_zero 0
		.amdhsa_exception_fp_ieee_overflow 0
		.amdhsa_exception_fp_ieee_underflow 0
		.amdhsa_exception_fp_ieee_inexact 0
		.amdhsa_exception_int_div_zero 0
	.end_amdhsa_kernel
	.section	.text._Z19_skinny_gemm_kernelILi1ELi1ELi6ELi32ELi8EEvPKhS1_P6__halfPKfiiiiiiii,"axG",@progbits,_Z19_skinny_gemm_kernelILi1ELi1ELi6ELi32ELi8EEvPKhS1_P6__halfPKfiiiiiiii,comdat
.Lfunc_end34:
	.size	_Z19_skinny_gemm_kernelILi1ELi1ELi6ELi32ELi8EEvPKhS1_P6__halfPKfiiiiiiii, .Lfunc_end34-_Z19_skinny_gemm_kernelILi1ELi1ELi6ELi32ELi8EEvPKhS1_P6__halfPKfiiiiiiii
                                        ; -- End function
	.set _Z19_skinny_gemm_kernelILi1ELi1ELi6ELi32ELi8EEvPKhS1_P6__halfPKfiiiiiiii.num_vgpr, 88
	.set _Z19_skinny_gemm_kernelILi1ELi1ELi6ELi32ELi8EEvPKhS1_P6__halfPKfiiiiiiii.num_agpr, 0
	.set _Z19_skinny_gemm_kernelILi1ELi1ELi6ELi32ELi8EEvPKhS1_P6__halfPKfiiiiiiii.numbered_sgpr, 76
	.set _Z19_skinny_gemm_kernelILi1ELi1ELi6ELi32ELi8EEvPKhS1_P6__halfPKfiiiiiiii.num_named_barrier, 0
	.set _Z19_skinny_gemm_kernelILi1ELi1ELi6ELi32ELi8EEvPKhS1_P6__halfPKfiiiiiiii.private_seg_size, 0
	.set _Z19_skinny_gemm_kernelILi1ELi1ELi6ELi32ELi8EEvPKhS1_P6__halfPKfiiiiiiii.uses_vcc, 1
	.set _Z19_skinny_gemm_kernelILi1ELi1ELi6ELi32ELi8EEvPKhS1_P6__halfPKfiiiiiiii.uses_flat_scratch, 0
	.set _Z19_skinny_gemm_kernelILi1ELi1ELi6ELi32ELi8EEvPKhS1_P6__halfPKfiiiiiiii.has_dyn_sized_stack, 0
	.set _Z19_skinny_gemm_kernelILi1ELi1ELi6ELi32ELi8EEvPKhS1_P6__halfPKfiiiiiiii.has_recursion, 0
	.set _Z19_skinny_gemm_kernelILi1ELi1ELi6ELi32ELi8EEvPKhS1_P6__halfPKfiiiiiiii.has_indirect_call, 0
	.section	.AMDGPU.csdata,"",@progbits
; Kernel info:
; codeLenInByte = 6340
; TotalNumSgprs: 82
; NumVgprs: 88
; NumAgprs: 0
; TotalNumVgprs: 88
; ScratchSize: 0
; MemoryBound: 0
; FloatMode: 240
; IeeeMode: 1
; LDSByteSize: 49200 bytes/workgroup (compile time only)
; SGPRBlocks: 10
; VGPRBlocks: 10
; NumSGPRsForWavesPerEU: 82
; NumVGPRsForWavesPerEU: 88
; AccumOffset: 88
; Occupancy: 5
; WaveLimiterHint : 0
; COMPUTE_PGM_RSRC2:SCRATCH_EN: 0
; COMPUTE_PGM_RSRC2:USER_SGPR: 2
; COMPUTE_PGM_RSRC2:TRAP_HANDLER: 0
; COMPUTE_PGM_RSRC2:TGID_X_EN: 1
; COMPUTE_PGM_RSRC2:TGID_Y_EN: 0
; COMPUTE_PGM_RSRC2:TGID_Z_EN: 0
; COMPUTE_PGM_RSRC2:TIDIG_COMP_CNT: 0
; COMPUTE_PGM_RSRC3_GFX90A:ACCUM_OFFSET: 21
; COMPUTE_PGM_RSRC3_GFX90A:TG_SPLIT: 0
	.section	.text._Z19_skinny_gemm_kernelILi1ELi2ELi1ELi8ELi4EEvPKhS1_P6__halfPKfiiiiiiii,"axG",@progbits,_Z19_skinny_gemm_kernelILi1ELi2ELi1ELi8ELi4EEvPKhS1_P6__halfPKfiiiiiiii,comdat
	.protected	_Z19_skinny_gemm_kernelILi1ELi2ELi1ELi8ELi4EEvPKhS1_P6__halfPKfiiiiiiii ; -- Begin function _Z19_skinny_gemm_kernelILi1ELi2ELi1ELi8ELi4EEvPKhS1_P6__halfPKfiiiiiiii
	.globl	_Z19_skinny_gemm_kernelILi1ELi2ELi1ELi8ELi4EEvPKhS1_P6__halfPKfiiiiiiii
	.p2align	8
	.type	_Z19_skinny_gemm_kernelILi1ELi2ELi1ELi8ELi4EEvPKhS1_P6__halfPKfiiiiiiii,@function
_Z19_skinny_gemm_kernelILi1ELi2ELi1ELi8ELi4EEvPKhS1_P6__halfPKfiiiiiiii: ; @_Z19_skinny_gemm_kernelILi1ELi2ELi1ELi8ELi4EEvPKhS1_P6__halfPKfiiiiiiii
; %bb.0:
	v_cmp_gt_u32_e32 vcc, 3, v0
	v_lshlrev_b32_e32 v1, 2, v0
	s_and_saveexec_b64 s[4:5], vcc
; %bb.1:
	v_mov_b32_e32 v2, 0
	ds_write_b32 v1, v2 offset:10240
; %bb.2:
	s_or_b64 exec, exec, s[4:5]
	s_load_dwordx8 s[12:19], s[0:1], 0x20
	s_waitcnt lgkmcnt(0)
	s_barrier
	s_add_i32 s3, s12, 7
	s_ashr_i32 s5, s3, 31
	s_add_i32 s4, s13, 31
	s_lshr_b32 s5, s5, 29
	s_ashr_i32 s6, s4, 31
	s_add_i32 s3, s3, s5
	s_ashr_i32 s33, s3, 3
	s_lshr_b32 s3, s6, 27
	s_add_i32 s4, s4, s3
	s_ashr_i32 s42, s4, 5
	s_mul_i32 s3, s42, s33
	s_mul_i32 s3, s3, s16
	s_add_i32 s4, s3, 0x12f
	s_mul_hi_i32 s4, s4, 0x6bca1af3
	s_lshr_b32 s5, s4, 31
	s_ashr_i32 s4, s4, 7
	s_add_i32 s4, s4, s5
	s_add_i32 s5, s2, 1
	s_mul_i32 s5, s4, s5
	v_cvt_f64_i32_e32 v[2:3], s3
	v_cvt_f64_u32_e32 v[4:5], s5
	v_min_f64 v[2:3], v[2:3], v[4:5]
	v_cvt_i32_f64_e32 v17, v[2:3]
	s_mul_i32 s43, s4, s2
	v_cmp_ge_i32_e32 vcc, s43, v17
	s_cbranch_vccnz .LBB35_44
; %bb.3:
	v_lshrrev_b32_e32 v2, 6, v0
	s_add_i32 s4, s18, s17
	s_load_dwordx8 s[20:27], s[0:1], 0x0
	v_cmp_le_i32_e64 s[0:1], s4, v2
	v_mov_b32_e32 v3, s17
	v_cmp_le_i32_e64 s[2:3], s17, v2
	v_mov_b32_e32 v4, s18
	v_cndmask_b32_e64 v4, 0, v4, s[0:1]
	v_cndmask_b32_e64 v3, 0, v3, s[2:3]
	s_abs_i32 s5, s16
	v_add_u32_e32 v3, v3, v4
	v_cvt_f32_u32_e32 v4, s5
	v_sub_u32_e32 v10, v2, v3
	s_ashr_i32 s6, s14, 31
	s_lshr_b32 s6, s6, 24
	v_rcp_iflag_f32_e32 v3, v4
	s_sub_i32 s9, 0, s5
	s_add_i32 s6, s14, s6
	s_ashr_i32 s6, s6, 8
	v_mul_f32_e32 v3, 0x4f7ffffe, v3
	v_cvt_u32_f32_e32 v3, v3
	s_abs_i32 s8, s6
	s_xor_b32 s7, s6, s16
	s_ashr_i32 s7, s7, 31
	v_readfirstlane_b32 s10, v3
	s_mul_i32 s9, s9, s10
	s_mul_hi_u32 s9, s10, s9
	s_add_i32 s10, s10, s9
	s_mul_hi_u32 s9, s8, s10
	s_mul_i32 s10, s9, s5
	s_sub_i32 s8, s8, s10
	s_add_i32 s10, s9, 1
	s_sub_i32 s28, s8, s5
	s_cmp_ge_u32 s8, s5
	s_cselect_b32 s9, s10, s9
	s_cselect_b32 s8, s28, s8
	s_add_i32 s10, s9, 1
	s_cmp_ge_u32 s8, s5
	s_cselect_b32 s5, s10, s9
	s_xor_b32 s5, s5, s7
	s_sub_i32 s44, s5, s7
	s_add_i32 s16, s16, -1
	s_mul_i32 s5, s44, s16
	s_add_i32 s4, s4, s19
	s_sub_i32 s45, s6, s5
	v_cmp_gt_i32_e64 s[4:5], s4, v2
	v_and_b32_e32 v2, 1, v0
	v_lshlrev_b32_e32 v3, 1, v0
	v_and_b32_e32 v3, 0x7c, v3
	v_lshlrev_b32_e32 v4, 8, v2
	v_lshlrev_b32_e32 v5, 4, v0
	s_movk_i32 s7, 0x2000
	s_movk_i32 s6, 0x7c
	v_and_b32_e32 v6, 0x200, v5
	v_or3_b32 v32, v3, v4, s7
	v_lshrrev_b32_e32 v3, 3, v0
	v_cmp_eq_u32_e32 vcc, 0, v2
	v_and_or_b32 v33, v1, s6, v6
	v_lshlrev_b32_e32 v1, 1, v2
	v_and_or_b32 v2, v3, 6, v2
	v_sub_u32_e32 v36, 8, v2
	v_mul_lo_u32 v18, s13, v2
	v_bfe_u32 v2, v0, 2, 4
	v_lshlrev_b32_e32 v4, 8, v0
	v_lshlrev_b32_e32 v6, 6, v0
	v_mul_lo_u32 v24, s15, v2
	v_and_b32_e32 v2, 60, v0
	v_and_b32_e32 v4, 0x200, v4
	;; [unrolled: 1-line block ×3, first 2 shown]
	s_abs_i32 s47, s33
	v_or3_b32 v37, v2, v4, v6
	v_cvt_f32_u32_e32 v6, s47
	v_lshlrev_b32_e32 v4, 7, v0
	v_and_b32_e32 v16, 14, v0
	v_bitop3_b32 v34, v0, 1, v0 bitop3:0xc
	v_sub_u32_e32 v1, v0, v1
	v_bfe_u32 v2, v0, 3, 3
	v_and_b32_e32 v4, 0x200, v4
	v_lshlrev_b32_e32 v0, 5, v0
	v_lshl_or_b32 v4, v2, 2, v4
	v_and_b32_e32 v0, 0x60, v0
	v_or3_b32 v38, v4, v0, s7
	v_rcp_iflag_f32_e32 v0, v6
	s_abs_i32 s48, s42
	v_mul_lo_u32 v40, s14, v2
	v_cvt_f32_u32_e32 v2, s48
	v_mul_f32_e32 v0, 0x4f7ffffe, v0
	v_cvt_u32_f32_e32 v0, v0
	s_sub_i32 s6, 0, s47
	v_rcp_iflag_f32_e32 v2, v2
	v_add_u32_e32 v1, 1, v1
	v_readfirstlane_b32 s7, v0
	s_mul_i32 s6, s6, s7
	v_mul_f32_e32 v0, 0x4f7ffffe, v2
	v_cvt_u32_f32_e32 v0, v0
	s_mul_hi_u32 s6, s7, s6
	s_add_i32 s50, s7, s6
	s_sub_i32 s6, 0, s48
	v_readfirstlane_b32 s7, v0
	v_mbcnt_lo_u32_b32 v0, -1, 0
	v_and_b32_e32 v1, 63, v1
	s_mul_i32 s6, s6, s7
	v_mbcnt_hi_u32_b32 v0, -1, v0
	v_mov_b32_e32 v7, 0xeeee
	v_mov_b32_e32 v8, 0x4444
	;; [unrolled: 1-line block ×3, first 2 shown]
	s_mul_hi_u32 s6, s7, s6
	v_and_or_b32 v0, v0, 64, v1
	v_cndmask_b32_e64 v30, 0, 1, s[0:1]
	s_mov_b32 s11, 0
	v_cndmask_b32_e32 v31, v7, v8, vcc
	v_or_b32_e32 v35, 16, v16
	v_ashrrev_i32_e32 v19, 31, v18
	v_and_b32_e32 v22, 48, v5
	v_ashrrev_i32_e32 v25, 31, v24
	v_mov_b32_e32 v23, v21
	s_lshl_b32 s46, s15, 4
	v_bitop3_b32 v39, v3, 7, v3 bitop3:0xc
	v_and_b32_e32 v26, 0x70, v5
	v_mov_b32_e32 v27, v21
	s_lshl_b32 s10, s17, 8
	s_ashr_i32 s49, s33, 31
	s_ashr_i32 s51, s42, 31
	s_add_i32 s52, s7, s6
	v_lshlrev_b32_e32 v41, 2, v0
	v_lshlrev_b32_e32 v20, 1, v16
	v_mov_b32_e32 v42, v10
	s_branch .LBB35_7
.LBB35_4:                               ;   in Loop: Header=BB35_7 Depth=1
	s_or_b64 exec, exec, s[28:29]
.LBB35_5:                               ;   in Loop: Header=BB35_7 Depth=1
	s_or_b64 exec, exec, s[8:9]
	v_subrev_u32_e32 v42, s53, v42
.LBB35_6:                               ;   in Loop: Header=BB35_7 Depth=1
	s_or_b64 exec, exec, s[6:7]
	s_add_i32 s43, s43, 1
	v_cmp_ge_i32_e32 vcc, s43, v17
	s_cbranch_vccnz .LBB35_44
.LBB35_7:                               ; =>This Loop Header: Depth=1
                                        ;     Child Loop BB35_13 Depth 2
                                        ;       Child Loop BB35_15 Depth 3
                                        ;       Child Loop BB35_18 Depth 3
                                        ;       Child Loop BB35_21 Depth 3
                                        ;     Child Loop BB35_31 Depth 2
                                        ;       Child Loop BB35_33 Depth 3
                                        ;     Child Loop BB35_41 Depth 2
                                        ;       Child Loop BB35_43 Depth 3
	s_abs_i32 s7, s43
	s_mul_hi_u32 s8, s7, s50
	s_mul_i32 s9, s8, s47
	s_ashr_i32 s6, s43, 31
	s_sub_i32 s7, s7, s9
	s_xor_b32 s6, s6, s49
	s_add_i32 s9, s8, 1
	s_sub_i32 s28, s7, s47
	s_cmp_ge_u32 s7, s47
	s_cselect_b32 s8, s9, s8
	s_cselect_b32 s7, s28, s7
	s_add_i32 s9, s8, 1
	s_cmp_ge_u32 s7, s47
	s_cselect_b32 s7, s9, s8
	s_xor_b32 s7, s7, s6
	s_sub_i32 s6, s7, s6
	s_abs_i32 s8, s6
	s_mul_i32 s7, s6, s33
	s_mul_hi_u32 s9, s8, s52
	s_sub_i32 s7, s43, s7
	s_mul_i32 s28, s9, s48
	s_lshl_b32 s54, s7, 3
	s_ashr_i32 s7, s6, 31
	s_sub_i32 s8, s8, s28
	s_xor_b32 s7, s7, s51
	s_add_i32 s28, s9, 1
	s_sub_i32 s29, s8, s48
	s_cmp_ge_u32 s8, s48
	s_cselect_b32 s9, s28, s9
	s_cselect_b32 s8, s29, s8
	s_add_i32 s28, s9, 1
	s_cmp_ge_u32 s8, s48
	s_cselect_b32 s8, s28, s9
	s_xor_b32 s8, s8, s7
	s_sub_i32 s7, s8, s7
	s_mul_i32 s8, s7, s44
	s_lshl_b32 s55, s8, 8
	s_cmp_eq_u32 s7, s16
	s_cselect_b32 s53, s45, s44
	s_sub_i32 s56, s54, s12
	s_add_i32 s56, s56, 8
	s_and_saveexec_b64 s[8:9], s[2:3]
	s_xor_b64 s[28:29], exec, s[8:9]
	s_cbranch_execz .LBB35_37
; %bb.8:                                ;   in Loop: Header=BB35_7 Depth=1
	s_mul_i32 s7, s7, s42
	s_sub_i32 s6, s6, s7
	s_lshl_b32 s6, s6, 5
	s_sub_i32 s31, s6, s13
	s_add_i32 s31, s31, 32
	s_max_i32 s7, s31, 0
	s_sub_i32 s30, s6, s7
	s_and_saveexec_b64 s[6:7], s[0:1]
	s_xor_b64 s[34:35], exec, s[6:7]
	s_cbranch_execz .LBB35_27
; %bb.9:                                ;   in Loop: Header=BB35_7 Depth=1
	s_and_saveexec_b64 s[36:37], s[4:5]
	s_cbranch_execz .LBB35_26
; %bb.10:                               ;   in Loop: Header=BB35_7 Depth=1
	s_waitcnt lgkmcnt(0)
	global_load_dword v28, v21, s[26:27]
	v_mov_b32_e32 v7, 0
	v_cmp_gt_i32_e32 vcc, s53, v42
	v_mov_b32_e32 v6, v7
	v_mov_b32_e32 v5, v7
	;; [unrolled: 1-line block ×7, first 2 shown]
	s_and_saveexec_b64 s[6:7], vcc
	s_cbranch_execz .LBB35_23
; %bb.11:                               ;   in Loop: Header=BB35_7 Depth=1
	v_mov_b32_e32 v0, 0
	s_mov_b64 s[8:9], 0
	v_mov_b32_e32 v1, v0
	v_mov_b32_e32 v2, v0
	;; [unrolled: 1-line block ×7, first 2 shown]
	s_branch .LBB35_13
.LBB35_12:                              ;   in Loop: Header=BB35_13 Depth=2
	s_or_b64 exec, exec, s[38:39]
	v_add_u32_e32 v45, v33, v45
	v_add_u32_e32 v48, 0x1000, v45
	ds_read2_b32 v[46:47], v48 offset1:32
	ds_read2_b32 v[48:49], v48 offset0:64 offset1:96
	v_add_u32_e32 v52, 0x1400, v45
	ds_read2_b32 v[50:51], v52 offset1:32
	ds_read2_b32 v[52:53], v52 offset0:64 offset1:96
	v_add_u32_e32 v42, s19, v42
	v_cmp_le_i32_e32 vcc, s53, v42
	s_waitcnt lgkmcnt(2)
	v_smfmac_f32_16x16x64_fp8_fp8 v[0:3], v[14:15], v[46:49], v31 cbsz:7 abid:1
	v_add_u32_e32 v14, 0x1800, v45
	ds_read2_b32 v[46:47], v14 offset1:32
	ds_read2_b32 v[48:49], v14 offset0:64 offset1:96
	v_add_u32_e32 v14, 0x1c00, v45
	s_waitcnt lgkmcnt(2)
	v_smfmac_f32_16x16x64_fp8_fp8 v[0:3], v[12:13], v[50:53], v31 cbsz:7 abid:1
	ds_read2_b32 v[12:13], v14 offset1:32
	ds_read2_b32 v[14:15], v14 offset0:64 offset1:96
	s_or_b64 s[8:9], vcc, s[8:9]
	ds_write_b32 v44, v43 offset:10248
	s_waitcnt lgkmcnt(3)
	v_smfmac_f32_16x16x64_fp8_fp8 v[0:3], v[10:11], v[46:49], v31 cbsz:7 abid:1
	v_add_u32_e32 v10, s19, v29
	v_add_u32_e32 v11, 2, v30
	v_cmp_lt_i32_e32 vcc, 0, v10
	s_waitcnt lgkmcnt(1)
	v_smfmac_f32_16x16x64_fp8_fp8 v[0:3], v[8:9], v[12:15], v31 cbsz:7 abid:1
	v_cndmask_b32_e32 v30, v30, v11, vcc
	s_andn2_b64 exec, exec, s[8:9]
	s_cbranch_execz .LBB35_22
.LBB35_13:                              ;   Parent Loop BB35_7 Depth=1
                                        ; =>  This Loop Header: Depth=2
                                        ;       Child Loop BB35_15 Depth 3
                                        ;       Child Loop BB35_18 Depth 3
	;; [unrolled: 1-line block ×3, first 2 shown]
	v_cmp_lt_i32_e32 vcc, 0, v10
	s_nop 1
	v_subbrev_co_u32_e32 v29, vcc, 0, v10, vcc
	v_lshlrev_b32_e32 v8, 2, v29
	ds_read_b32 v9, v8 offset:10240
	v_add_u32_e32 v44, 0x2800, v8
	s_waitcnt lgkmcnt(0)
	v_cmp_ne_u32_e32 vcc, v9, v30
	s_and_saveexec_b64 s[38:39], vcc
	s_cbranch_execz .LBB35_16
; %bb.14:                               ;   in Loop: Header=BB35_13 Depth=2
	s_mov_b64 s[40:41], 0
.LBB35_15:                              ;   Parent Loop BB35_7 Depth=1
                                        ;     Parent Loop BB35_13 Depth=2
                                        ; =>    This Inner Loop Header: Depth=3
	;;#ASMSTART
	s_sleep 0
	;;#ASMEND
	ds_read_b32 v8, v44
	s_waitcnt lgkmcnt(0)
	v_cmp_eq_u32_e32 vcc, v8, v30
	s_or_b64 s[40:41], vcc, s[40:41]
	s_andn2_b64 exec, exec, s[40:41]
	s_cbranch_execnz .LBB35_15
.LBB35_16:                              ;   in Loop: Header=BB35_13 Depth=2
	s_or_b64 exec, exec, s[38:39]
	v_lshl_add_u32 v8, v29, 11, v32
	ds_read2_b32 v[14:15], v8 offset1:32
	ds_read2_b32 v[12:13], v8 offset0:128 offset1:160
	v_add_u32_e32 v8, 0x400, v8
	v_add_u32_e32 v43, 1, v30
	ds_read2_b32 v[10:11], v8 offset1:32
	ds_read2_b32 v[8:9], v8 offset0:128 offset1:160
	;;#ASMSTART
	s_waitcnt lgkmcnt(0)
	;;#ASMEND
	ds_write_b32 v44, v43
	v_lshlrev_b32_e32 v44, 3, v29
	ds_read_b32 v45, v44 offset:10244
	s_waitcnt lgkmcnt(0)
	v_cmp_ne_u32_e32 vcc, v45, v30
	s_and_saveexec_b64 s[38:39], vcc
	s_cbranch_execz .LBB35_19
; %bb.17:                               ;   in Loop: Header=BB35_13 Depth=2
	s_mov_b64 s[40:41], 0
.LBB35_18:                              ;   Parent Loop BB35_7 Depth=1
                                        ;     Parent Loop BB35_13 Depth=2
                                        ; =>    This Inner Loop Header: Depth=3
	;;#ASMSTART
	s_sleep 0
	;;#ASMEND
	ds_read_b32 v45, v44 offset:10244
	s_waitcnt lgkmcnt(0)
	v_cmp_eq_u32_e32 vcc, v45, v30
	s_or_b64 s[40:41], vcc, s[40:41]
	s_andn2_b64 exec, exec, s[40:41]
	s_cbranch_execnz .LBB35_18
.LBB35_19:                              ;   in Loop: Header=BB35_13 Depth=2
	s_or_b64 exec, exec, s[38:39]
	v_lshlrev_b32_e32 v45, 13, v29
	v_or_b32_e32 v54, v33, v45
	ds_read2_b32 v[46:47], v54 offset1:32
	ds_read2_b32 v[48:49], v54 offset0:64 offset1:96
	v_add_u32_e32 v52, 0x400, v54
	ds_read2_b32 v[50:51], v52 offset1:32
	ds_read2_b32 v[52:53], v52 offset0:64 offset1:96
	s_waitcnt lgkmcnt(2)
	v_smfmac_f32_16x16x64_fp8_fp8 v[4:7], v[14:15], v[46:49], v31 cbsz:7 abid:1
	v_add_u32_e32 v48, 0x800, v54
	ds_read2_b32 v[46:47], v48 offset1:32
	ds_read2_b32 v[48:49], v48 offset0:64 offset1:96
	s_waitcnt lgkmcnt(2)
	v_smfmac_f32_16x16x64_fp8_fp8 v[4:7], v[12:13], v[50:53], v31 cbsz:7 abid:1
	v_add_u32_e32 v52, 0xc00, v54
	ds_read2_b32 v[50:51], v52 offset1:32
	s_waitcnt lgkmcnt(1)
	v_smfmac_f32_16x16x64_fp8_fp8 v[4:7], v[10:11], v[46:49], v31 cbsz:7 abid:1
	ds_read2_b32 v[52:53], v52 offset0:64 offset1:96
	ds_read_b32 v46, v44 offset:10248
	ds_write_b32 v44, v43 offset:10244
	s_waitcnt lgkmcnt(1)
	v_cmp_ne_u32_e32 vcc, v46, v30
	v_smfmac_f32_16x16x64_fp8_fp8 v[4:7], v[8:9], v[50:53], v31 cbsz:7 abid:1
	s_and_saveexec_b64 s[38:39], vcc
	s_cbranch_execz .LBB35_12
; %bb.20:                               ;   in Loop: Header=BB35_13 Depth=2
	s_mov_b64 s[40:41], 0
.LBB35_21:                              ;   Parent Loop BB35_7 Depth=1
                                        ;     Parent Loop BB35_13 Depth=2
                                        ; =>    This Inner Loop Header: Depth=3
	;;#ASMSTART
	s_sleep 0
	;;#ASMEND
	ds_read_b32 v46, v44 offset:10248
	s_waitcnt lgkmcnt(0)
	v_cmp_eq_u32_e32 vcc, v46, v30
	s_or_b64 s[40:41], vcc, s[40:41]
	s_andn2_b64 exec, exec, s[40:41]
	s_cbranch_execnz .LBB35_21
	s_branch .LBB35_12
.LBB35_22:                              ;   in Loop: Header=BB35_7 Depth=1
	s_or_b64 exec, exec, s[8:9]
.LBB35_23:                              ;   in Loop: Header=BB35_7 Depth=1
	s_or_b64 exec, exec, s[6:7]
	v_cmp_le_i32_e32 vcc, s31, v16
	v_mov_b32_e32 v12, v5
	v_mov_b32_e32 v13, v6
	;; [unrolled: 1-line block ×3, first 2 shown]
	s_waitcnt vmcnt(0)
	v_cndmask_b32_e32 v8, 0, v28, vcc
	v_pk_add_f32 v[4:5], v[12:13], v[4:5]
	v_cmp_eq_u32_e32 vcc, 1, v34
	v_pk_mul_f32 v[4:5], v[8:9], v[4:5] op_sel_hi:[0,1]
	v_cmp_le_i32_e64 s[8:9], s31, v35
	v_cndmask_b32_e32 v8, v4, v5, vcc
	v_cmp_eq_u32_e32 vcc, 2, v34
	v_mov_b32_e32 v12, v1
	v_mov_b32_e32 v13, v2
	;; [unrolled: 1-line block ×3, first 2 shown]
	v_cndmask_b32_e32 v6, v8, v6, vcc
	v_cndmask_b32_e64 v8, 0, v28, s[8:9]
	v_pk_add_f32 v[0:1], v[12:13], v[0:1]
	v_cmp_eq_u32_e64 s[6:7], 3, v34
	v_pk_mul_f32 v[0:1], v[8:9], v[0:1] op_sel_hi:[0,1]
	v_cmp_ne_u32_e64 s[8:9], 0, v34
	v_cndmask_b32_e64 v6, v6, v7, s[6:7]
	ds_bpermute_b32 v6, v41, v6
	v_cndmask_b32_e64 v7, v0, v1, s[8:9]
	v_cndmask_b32_e32 v2, v7, v2, vcc
	v_cndmask_b32_e64 v2, v2, v3, s[6:7]
	ds_bpermute_b32 v2, v41, v2
	v_cmp_lt_i32_e32 vcc, s56, v36
	s_and_saveexec_b64 s[8:9], vcc
	s_cbranch_execz .LBB35_25
; %bb.24:                               ;   in Loop: Header=BB35_7 Depth=1
	s_mul_i32 s6, s54, s13
	s_ashr_i32 s7, s6, 31
	s_lshl_b64 s[6:7], s[6:7], 1
	s_add_u32 s38, s24, s6
	s_addc_u32 s39, s25, s7
	s_ashr_i32 s31, s30, 31
	s_lshl_b64 s[6:7], s[30:31], 1
	s_add_u32 s38, s38, s6
	s_addc_u32 s39, s39, s7
	v_cmp_ne_u32_e32 vcc, 0, v34
	v_cmp_eq_u32_e64 s[6:7], 0, v34
	s_waitcnt lgkmcnt(0)
	v_cndmask_b32_e32 v3, v1, v2, vcc
	v_cndmask_b32_e64 v2, v0, v2, s[6:7]
	v_cndmask_b32_e32 v5, v5, v6, vcc
	v_cndmask_b32_e64 v4, v4, v6, s[6:7]
	v_cvt_f16_f32_e32 v4, v4
	v_cvt_f16_f32_sdwa v5, v5 dst_sel:WORD_1 dst_unused:UNUSED_PAD src0_sel:DWORD
	v_cvt_f16_f32_e32 v2, v2
	v_cvt_f16_f32_sdwa v3, v3 dst_sel:WORD_1 dst_unused:UNUSED_PAD src0_sel:DWORD
	v_lshl_add_u64 v[0:1], v[18:19], 1, s[38:39]
	v_lshl_add_u64 v[0:1], v[0:1], 0, v[20:21]
	v_or_b32_e32 v4, v5, v4
	;;#ASMSTART
	global_atomic_pk_add_f16 v[0:1], v4, off
	
	;;#ASMEND
	v_lshl_add_u64 v[0:1], v[0:1], 0, 32
	v_or_b32_e32 v2, v3, v2
	;;#ASMSTART
	global_atomic_pk_add_f16 v[0:1], v2, off
	
	;;#ASMEND
.LBB35_25:                              ;   in Loop: Header=BB35_7 Depth=1
	s_or_b64 exec, exec, s[8:9]
	v_subrev_u32_e32 v42, s53, v42
.LBB35_26:                              ;   in Loop: Header=BB35_7 Depth=1
	s_or_b64 exec, exec, s[36:37]
.LBB35_27:                              ;   in Loop: Header=BB35_7 Depth=1
	s_andn2_saveexec_b64 s[6:7], s[34:35]
	s_cbranch_execz .LBB35_36
; %bb.28:                               ;   in Loop: Header=BB35_7 Depth=1
	s_lshl_b32 s38, s53, 1
	v_cmp_gt_i32_e32 vcc, s38, v42
	s_and_saveexec_b64 s[8:9], vcc
	s_cbranch_execz .LBB35_35
; %bb.29:                               ;   in Loop: Header=BB35_7 Depth=1
	s_mul_i32 s30, s30, s15
	s_ashr_i32 s31, s30, 31
	s_waitcnt lgkmcnt(0)
	s_add_u32 s30, s22, s30
	s_addc_u32 s31, s23, s31
	s_ashr_i32 s34, s55, 31
	s_add_u32 s30, s30, s55
	s_addc_u32 s31, s31, s34
	v_lshl_add_u64 v[0:1], s[30:31], 0, v[24:25]
	v_lshl_add_u64 v[28:29], v[0:1], 0, v[22:23]
	s_mov_b64 s[30:31], 0
	s_branch .LBB35_31
.LBB35_30:                              ;   in Loop: Header=BB35_31 Depth=2
	s_or_b64 exec, exec, s[34:35]
	v_lshl_or_b32 v45, v43, 12, v37
	;;#ASMSTART
	s_waitcnt vmcnt(3)
	;;#ASMEND
	ds_write2_b32 v45, v12, v13 offset1:32
	ds_write2_b32 v45, v14, v15 offset0:64 offset1:96
	v_add_u32_e32 v12, 0x400, v45
	;;#ASMSTART
	s_waitcnt vmcnt(2)
	;;#ASMEND
	ds_write2_b32 v12, v8, v9 offset1:32
	ds_write2_b32 v12, v10, v11 offset0:64 offset1:96
	v_add_u32_e32 v8, 0x800, v45
	;;#ASMSTART
	s_waitcnt vmcnt(1)
	;;#ASMEND
	ds_write2_b32 v8, v4, v5 offset1:32
	ds_write2_b32 v8, v6, v7 offset0:64 offset1:96
	v_add_u32_e32 v4, 0xc00, v45
	v_add_u32_e32 v42, s18, v42
	;;#ASMSTART
	s_waitcnt vmcnt(0)
	;;#ASMEND
	ds_write2_b32 v4, v0, v1 offset1:32
	ds_write2_b32 v4, v2, v3 offset0:64 offset1:96
	v_add_u32_e32 v0, 1, v30
	v_add_u32_e32 v10, s18, v43
	v_cmp_le_i32_e32 vcc, s38, v42
	ds_write_b32 v44, v0 offset:4
	v_add_u32_e32 v0, 2, v30
	s_or_b64 s[30:31], vcc, s[30:31]
	v_cmp_lt_i32_e32 vcc, 1, v10
	s_nop 1
	v_cndmask_b32_e32 v30, v30, v0, vcc
	s_andn2_b64 exec, exec, s[30:31]
	s_cbranch_execz .LBB35_34
.LBB35_31:                              ;   Parent Loop BB35_7 Depth=1
                                        ; =>  This Loop Header: Depth=2
                                        ;       Child Loop BB35_33 Depth 3
	v_cmp_gt_i32_e32 vcc, 2, v10
	s_nop 1
	v_cndmask_b32_e64 v0, -2, 0, vcc
	v_add_u32_e32 v43, v0, v10
	v_lshrrev_b32_e32 v0, 31, v42
	v_add_u32_e32 v0, v42, v0
	v_and_b32_e32 v1, -2, v0
	v_lshlrev_b32_e32 v0, 7, v0
	v_sub_u32_e32 v2, v42, v1
	v_and_b32_e32 v0, 0xffffff00, v0
	v_ashrrev_i32_e32 v1, 31, v0
	v_mul_lo_u32 v2, s46, v2
	v_lshl_add_u64 v[0:1], v[28:29], 0, v[0:1]
	v_ashrrev_i32_e32 v3, 31, v2
	v_lshl_add_u64 v[0:1], v[0:1], 0, v[2:3]
	v_lshlrev_b32_e32 v44, 2, v43
	;;#ASMSTART
	global_load_dwordx4 v[12:15], v[0:1], off offset:0    sc0 sc1 nt  
	global_load_dwordx4 v[8:11], v[0:1], off offset:64   sc0 sc1 nt  
	global_load_dwordx4 v[4:7], v[0:1], off offset:128  sc0 sc1 nt  
	global_load_dwordx4 v[0:3], v[0:1], off offset:192  sc0 sc1 nt  
	
	;;#ASMEND
	ds_read_b32 v45, v44 offset:10244
	v_add_u32_e32 v44, 0x2800, v44
	s_waitcnt lgkmcnt(0)
	v_cmp_ne_u32_e32 vcc, v45, v30
	s_and_saveexec_b64 s[34:35], vcc
	s_cbranch_execz .LBB35_30
; %bb.32:                               ;   in Loop: Header=BB35_31 Depth=2
	s_mov_b64 s[36:37], 0
.LBB35_33:                              ;   Parent Loop BB35_7 Depth=1
                                        ;     Parent Loop BB35_31 Depth=2
                                        ; =>    This Inner Loop Header: Depth=3
	;;#ASMSTART
	s_sleep 0
	;;#ASMEND
	ds_read_b32 v45, v44 offset:4
	s_waitcnt lgkmcnt(0)
	v_cmp_eq_u32_e32 vcc, v45, v30
	s_or_b64 s[36:37], vcc, s[36:37]
	s_andn2_b64 exec, exec, s[36:37]
	s_cbranch_execnz .LBB35_33
	s_branch .LBB35_30
.LBB35_34:                              ;   in Loop: Header=BB35_7 Depth=1
	s_or_b64 exec, exec, s[30:31]
.LBB35_35:                              ;   in Loop: Header=BB35_7 Depth=1
	s_or_b64 exec, exec, s[8:9]
	v_subrev_u32_e32 v42, s38, v42
.LBB35_36:                              ;   in Loop: Header=BB35_7 Depth=1
	s_or_b64 exec, exec, s[6:7]
.LBB35_37:                              ;   in Loop: Header=BB35_7 Depth=1
	s_andn2_saveexec_b64 s[6:7], s[28:29]
	s_cbranch_execz .LBB35_6
; %bb.38:                               ;   in Loop: Header=BB35_7 Depth=1
	v_cmp_gt_i32_e32 vcc, s53, v42
	s_and_saveexec_b64 s[8:9], vcc
	s_cbranch_execz .LBB35_5
; %bb.39:                               ;   in Loop: Header=BB35_7 Depth=1
	s_mul_i32 s54, s54, s14
	s_ashr_i32 s28, s54, 31
	s_waitcnt lgkmcnt(0)
	s_add_u32 s29, s20, s54
	s_addc_u32 s30, s21, s28
	s_ashr_i32 s31, s55, 31
	v_cmp_le_i32_e32 vcc, s56, v39
	s_add_u32 s28, s29, s55
	s_addc_u32 s29, s30, s31
	v_cndmask_b32_e32 v0, 0, v40, vcc
	v_ashrrev_i32_e32 v1, 31, v0
	v_lshl_add_u64 v[0:1], s[28:29], 0, v[0:1]
	v_lshlrev_b32_e32 v2, 8, v42
	v_lshl_add_u64 v[0:1], v[0:1], 0, v[26:27]
	v_ashrrev_i32_e32 v3, 31, v2
	v_lshl_add_u64 v[8:9], v[0:1], 0, v[2:3]
	s_mov_b64 s[28:29], 0
	s_branch .LBB35_41
.LBB35_40:                              ;   in Loop: Header=BB35_41 Depth=2
	s_or_b64 exec, exec, s[30:31]
	;;#ASMSTART
	s_waitcnt vmcnt(1)
	v_pack_b32_f16 v12, v4, v5, op_sel:[0,0]
	v_pack_b32_f16 v13, v4, v5, op_sel:[1,1]
	;; [unrolled: 1-line block ×4, first 2 shown]
	v_swap_b32 v12, v4
	v_swap_b32 v13, v6
	;; [unrolled: 1-line block ×4, first 2 shown]
	;;#ASMEND
	v_add_u32_e32 v42, s17, v42
	v_lshl_add_u32 v12, v10, 11, v38
	ds_write2_b32 v12, v4, v5 offset1:32
	ds_write2_b32 v12, v6, v7 offset0:64 offset1:96
	;;#ASMSTART
	s_waitcnt vmcnt(0)
	v_pack_b32_f16 v4, v0, v1, op_sel:[0,0]
	v_pack_b32_f16 v5, v0, v1, op_sel:[1,1]
	;; [unrolled: 1-line block ×4, first 2 shown]
	v_swap_b32 v4, v0
	v_swap_b32 v5, v2
	;; [unrolled: 1-line block ×4, first 2 shown]
	;;#ASMEND
	v_add_u32_e32 v10, s17, v10
	v_add_u32_e32 v4, 0x400, v12
	ds_write2_b32 v4, v0, v1 offset1:32
	ds_write2_b32 v4, v2, v3 offset0:64 offset1:96
	v_add_u32_e32 v0, 1, v30
	v_cmp_le_i32_e32 vcc, s53, v42
	ds_write_b32 v11, v0
	v_add_u32_e32 v0, 2, v30
	s_or_b64 s[28:29], vcc, s[28:29]
	v_cmp_lt_i32_e32 vcc, 0, v10
	v_lshl_add_u64 v[8:9], v[8:9], 0, s[10:11]
	s_nop 0
	v_cndmask_b32_e32 v30, v30, v0, vcc
	s_andn2_b64 exec, exec, s[28:29]
	s_cbranch_execz .LBB35_4
.LBB35_41:                              ;   Parent Loop BB35_7 Depth=1
                                        ; =>  This Loop Header: Depth=2
                                        ;       Child Loop BB35_43 Depth 3
	v_cmp_lt_i32_e32 vcc, 0, v10
	;;#ASMSTART
	global_load_dwordx4 v[4:7], v[8:9], off offset:0  
	global_load_dwordx4 v[0:3], v[8:9], off offset:128
	
	;;#ASMEND
	s_nop 1
	v_subbrev_co_u32_e32 v10, vcc, 0, v10, vcc
	v_lshlrev_b32_e32 v11, 2, v10
	ds_read_b32 v12, v11 offset:10240
	v_add_u32_e32 v11, 0x2800, v11
	s_waitcnt lgkmcnt(0)
	v_cmp_ne_u32_e32 vcc, v12, v30
	s_and_saveexec_b64 s[30:31], vcc
	s_cbranch_execz .LBB35_40
; %bb.42:                               ;   in Loop: Header=BB35_41 Depth=2
	s_mov_b64 s[34:35], 0
.LBB35_43:                              ;   Parent Loop BB35_7 Depth=1
                                        ;     Parent Loop BB35_41 Depth=2
                                        ; =>    This Inner Loop Header: Depth=3
	;;#ASMSTART
	s_sleep 0
	;;#ASMEND
	ds_read_b32 v12, v11
	s_waitcnt lgkmcnt(0)
	v_cmp_eq_u32_e32 vcc, v12, v30
	s_or_b64 s[34:35], vcc, s[34:35]
	s_andn2_b64 exec, exec, s[34:35]
	s_cbranch_execnz .LBB35_43
	s_branch .LBB35_40
.LBB35_44:
	s_endpgm
	.section	.rodata,"a",@progbits
	.p2align	6, 0x0
	.amdhsa_kernel _Z19_skinny_gemm_kernelILi1ELi2ELi1ELi8ELi4EEvPKhS1_P6__halfPKfiiiiiiii
		.amdhsa_group_segment_fixed_size 10252
		.amdhsa_private_segment_fixed_size 0
		.amdhsa_kernarg_size 64
		.amdhsa_user_sgpr_count 2
		.amdhsa_user_sgpr_dispatch_ptr 0
		.amdhsa_user_sgpr_queue_ptr 0
		.amdhsa_user_sgpr_kernarg_segment_ptr 1
		.amdhsa_user_sgpr_dispatch_id 0
		.amdhsa_user_sgpr_kernarg_preload_length 0
		.amdhsa_user_sgpr_kernarg_preload_offset 0
		.amdhsa_user_sgpr_private_segment_size 0
		.amdhsa_uses_dynamic_stack 0
		.amdhsa_enable_private_segment 0
		.amdhsa_system_sgpr_workgroup_id_x 1
		.amdhsa_system_sgpr_workgroup_id_y 0
		.amdhsa_system_sgpr_workgroup_id_z 0
		.amdhsa_system_sgpr_workgroup_info 0
		.amdhsa_system_vgpr_workitem_id 0
		.amdhsa_next_free_vgpr 55
		.amdhsa_next_free_sgpr 57
		.amdhsa_accum_offset 56
		.amdhsa_reserve_vcc 1
		.amdhsa_float_round_mode_32 0
		.amdhsa_float_round_mode_16_64 0
		.amdhsa_float_denorm_mode_32 3
		.amdhsa_float_denorm_mode_16_64 3
		.amdhsa_dx10_clamp 1
		.amdhsa_ieee_mode 1
		.amdhsa_fp16_overflow 0
		.amdhsa_tg_split 0
		.amdhsa_exception_fp_ieee_invalid_op 0
		.amdhsa_exception_fp_denorm_src 0
		.amdhsa_exception_fp_ieee_div_zero 0
		.amdhsa_exception_fp_ieee_overflow 0
		.amdhsa_exception_fp_ieee_underflow 0
		.amdhsa_exception_fp_ieee_inexact 0
		.amdhsa_exception_int_div_zero 0
	.end_amdhsa_kernel
	.section	.text._Z19_skinny_gemm_kernelILi1ELi2ELi1ELi8ELi4EEvPKhS1_P6__halfPKfiiiiiiii,"axG",@progbits,_Z19_skinny_gemm_kernelILi1ELi2ELi1ELi8ELi4EEvPKhS1_P6__halfPKfiiiiiiii,comdat
.Lfunc_end35:
	.size	_Z19_skinny_gemm_kernelILi1ELi2ELi1ELi8ELi4EEvPKhS1_P6__halfPKfiiiiiiii, .Lfunc_end35-_Z19_skinny_gemm_kernelILi1ELi2ELi1ELi8ELi4EEvPKhS1_P6__halfPKfiiiiiiii
                                        ; -- End function
	.set _Z19_skinny_gemm_kernelILi1ELi2ELi1ELi8ELi4EEvPKhS1_P6__halfPKfiiiiiiii.num_vgpr, 55
	.set _Z19_skinny_gemm_kernelILi1ELi2ELi1ELi8ELi4EEvPKhS1_P6__halfPKfiiiiiiii.num_agpr, 0
	.set _Z19_skinny_gemm_kernelILi1ELi2ELi1ELi8ELi4EEvPKhS1_P6__halfPKfiiiiiiii.numbered_sgpr, 57
	.set _Z19_skinny_gemm_kernelILi1ELi2ELi1ELi8ELi4EEvPKhS1_P6__halfPKfiiiiiiii.num_named_barrier, 0
	.set _Z19_skinny_gemm_kernelILi1ELi2ELi1ELi8ELi4EEvPKhS1_P6__halfPKfiiiiiiii.private_seg_size, 0
	.set _Z19_skinny_gemm_kernelILi1ELi2ELi1ELi8ELi4EEvPKhS1_P6__halfPKfiiiiiiii.uses_vcc, 1
	.set _Z19_skinny_gemm_kernelILi1ELi2ELi1ELi8ELi4EEvPKhS1_P6__halfPKfiiiiiiii.uses_flat_scratch, 0
	.set _Z19_skinny_gemm_kernelILi1ELi2ELi1ELi8ELi4EEvPKhS1_P6__halfPKfiiiiiiii.has_dyn_sized_stack, 0
	.set _Z19_skinny_gemm_kernelILi1ELi2ELi1ELi8ELi4EEvPKhS1_P6__halfPKfiiiiiiii.has_recursion, 0
	.set _Z19_skinny_gemm_kernelILi1ELi2ELi1ELi8ELi4EEvPKhS1_P6__halfPKfiiiiiiii.has_indirect_call, 0
	.section	.AMDGPU.csdata,"",@progbits
; Kernel info:
; codeLenInByte = 3372
; TotalNumSgprs: 63
; NumVgprs: 55
; NumAgprs: 0
; TotalNumVgprs: 55
; ScratchSize: 0
; MemoryBound: 0
; FloatMode: 240
; IeeeMode: 1
; LDSByteSize: 10252 bytes/workgroup (compile time only)
; SGPRBlocks: 7
; VGPRBlocks: 6
; NumSGPRsForWavesPerEU: 63
; NumVGPRsForWavesPerEU: 55
; AccumOffset: 56
; Occupancy: 8
; WaveLimiterHint : 0
; COMPUTE_PGM_RSRC2:SCRATCH_EN: 0
; COMPUTE_PGM_RSRC2:USER_SGPR: 2
; COMPUTE_PGM_RSRC2:TRAP_HANDLER: 0
; COMPUTE_PGM_RSRC2:TGID_X_EN: 1
; COMPUTE_PGM_RSRC2:TGID_Y_EN: 0
; COMPUTE_PGM_RSRC2:TGID_Z_EN: 0
; COMPUTE_PGM_RSRC2:TIDIG_COMP_CNT: 0
; COMPUTE_PGM_RSRC3_GFX90A:ACCUM_OFFSET: 13
; COMPUTE_PGM_RSRC3_GFX90A:TG_SPLIT: 0
	.section	.text._Z19_skinny_gemm_kernelILi1ELi2ELi1ELi8ELi8EEvPKhS1_P6__halfPKfiiiiiiii,"axG",@progbits,_Z19_skinny_gemm_kernelILi1ELi2ELi1ELi8ELi8EEvPKhS1_P6__halfPKfiiiiiiii,comdat
	.protected	_Z19_skinny_gemm_kernelILi1ELi2ELi1ELi8ELi8EEvPKhS1_P6__halfPKfiiiiiiii ; -- Begin function _Z19_skinny_gemm_kernelILi1ELi2ELi1ELi8ELi8EEvPKhS1_P6__halfPKfiiiiiiii
	.globl	_Z19_skinny_gemm_kernelILi1ELi2ELi1ELi8ELi8EEvPKhS1_P6__halfPKfiiiiiiii
	.p2align	8
	.type	_Z19_skinny_gemm_kernelILi1ELi2ELi1ELi8ELi8EEvPKhS1_P6__halfPKfiiiiiiii,@function
_Z19_skinny_gemm_kernelILi1ELi2ELi1ELi8ELi8EEvPKhS1_P6__halfPKfiiiiiiii: ; @_Z19_skinny_gemm_kernelILi1ELi2ELi1ELi8ELi8EEvPKhS1_P6__halfPKfiiiiiiii
; %bb.0:
	v_cmp_gt_u32_e32 vcc, 3, v0
	v_lshlrev_b32_e32 v1, 2, v0
	s_and_saveexec_b64 s[4:5], vcc
; %bb.1:
	v_mov_b32_e32 v2, 0
	ds_write_b32 v1, v2 offset:20480
; %bb.2:
	s_or_b64 exec, exec, s[4:5]
	s_load_dwordx8 s[12:19], s[0:1], 0x20
	s_waitcnt lgkmcnt(0)
	s_barrier
	s_add_i32 s3, s12, 7
	s_ashr_i32 s5, s3, 31
	s_add_i32 s4, s13, 31
	s_lshr_b32 s5, s5, 29
	s_ashr_i32 s6, s4, 31
	s_add_i32 s3, s3, s5
	s_ashr_i32 s15, s3, 3
	s_lshr_b32 s3, s6, 27
	s_add_i32 s4, s4, s3
	s_ashr_i32 s33, s4, 5
	s_mul_i32 s3, s33, s15
	s_mul_i32 s3, s3, s16
	s_add_i32 s4, s3, 0x12f
	s_mul_hi_i32 s4, s4, 0x6bca1af3
	s_lshr_b32 s5, s4, 31
	s_ashr_i32 s4, s4, 7
	s_add_i32 s4, s4, s5
	s_add_i32 s5, s2, 1
	s_mul_i32 s5, s4, s5
	v_cvt_f64_i32_e32 v[2:3], s3
	v_cvt_f64_u32_e32 v[4:5], s5
	v_min_f64 v[2:3], v[2:3], v[4:5]
	v_cvt_i32_f64_e32 v9, v[2:3]
	s_mul_i32 s38, s4, s2
	v_cmp_ge_i32_e32 vcc, s38, v9
	s_cbranch_vccnz .LBB36_44
; %bb.3:
	v_lshrrev_b32_e32 v2, 6, v0
	s_add_i32 s4, s18, s17
	s_load_dwordx2 s[10:11], s[0:1], 0x0
	s_load_dwordx4 s[20:23], s[0:1], 0x10
	v_cmp_le_i32_e64 s[0:1], s4, v2
	v_mov_b32_e32 v3, s17
	v_cmp_le_i32_e64 s[2:3], s17, v2
	v_mov_b32_e32 v4, s18
	v_cndmask_b32_e64 v4, 0, v4, s[0:1]
	v_cndmask_b32_e64 v3, 0, v3, s[2:3]
	s_abs_i32 s5, s16
	v_add_u32_e32 v3, v3, v4
	v_cvt_f32_u32_e32 v4, s5
	v_sub_u32_e32 v18, v2, v3
	s_ashr_i32 s6, s14, 31
	s_lshr_b32 s6, s6, 23
	v_rcp_iflag_f32_e32 v3, v4
	s_sub_i32 s9, 0, s5
	s_add_i32 s6, s14, s6
	s_ashr_i32 s6, s6, 9
	v_mul_f32_e32 v3, 0x4f7ffffe, v3
	v_cvt_u32_f32_e32 v3, v3
	s_abs_i32 s8, s6
	s_xor_b32 s7, s6, s16
	s_ashr_i32 s7, s7, 31
	v_readfirstlane_b32 s24, v3
	s_mul_i32 s9, s9, s24
	s_mul_hi_u32 s9, s24, s9
	s_add_i32 s24, s24, s9
	s_mul_hi_u32 s9, s8, s24
	s_mul_i32 s24, s9, s5
	s_sub_i32 s8, s8, s24
	s_add_i32 s24, s9, 1
	s_sub_i32 s26, s8, s5
	s_cmp_ge_u32 s8, s5
	s_cselect_b32 s9, s24, s9
	s_cselect_b32 s8, s26, s8
	s_add_i32 s24, s9, 1
	s_cmp_ge_u32 s8, s5
	s_cselect_b32 s5, s24, s9
	s_xor_b32 s5, s5, s7
	s_sub_i32 s39, s5, s7
	s_add_i32 s16, s16, -1
	s_mul_i32 s5, s39, s16
	s_add_i32 s4, s4, s19
	s_sub_i32 s40, s6, s5
	v_cmp_gt_i32_e64 s[4:5], s4, v2
	v_and_b32_e32 v2, 1, v0
	v_lshlrev_b32_e32 v3, 1, v0
	v_and_b32_e32 v3, 0x7c, v3
	v_lshlrev_b32_e32 v4, 8, v2
	v_lshlrev_b32_e32 v5, 4, v0
	s_movk_i32 s7, 0x4000
	s_movk_i32 s6, 0x7c
	v_and_b32_e32 v6, 0x200, v5
	v_or3_b32 v34, v3, v4, s7
	v_lshrrev_b32_e32 v3, 3, v0
	v_mov_b32_e32 v7, 0xeeee
	v_mov_b32_e32 v8, 0x4444
	v_cmp_eq_u32_e32 vcc, 0, v2
	v_and_or_b32 v35, v1, s6, v6
	v_lshlrev_b32_e32 v1, 1, v2
	v_and_or_b32 v2, v3, 6, v2
	v_lshlrev_b32_e32 v4, 7, v0
	v_cndmask_b32_e32 v33, v7, v8, vcc
	v_and_b32_e32 v8, 14, v0
	v_bitop3_b32 v36, v0, 1, v0 bitop3:0xc
	v_sub_u32_e32 v1, v0, v1
	v_sub_u32_e32 v38, 8, v2
	v_mul_lo_u32 v10, s13, v2
	v_bfe_u32 v2, v0, 3, 3
	v_and_b32_e32 v4, 0x200, v4
	v_lshlrev_b32_e32 v0, 5, v0
	v_lshl_or_b32 v4, v2, 2, v4
	v_and_b32_e32 v0, 0x60, v0
	s_abs_i32 s41, s15
	v_or3_b32 v39, v4, v0, s7
	v_cvt_f32_u32_e32 v0, s41
	s_abs_i32 s43, s33
	v_mul_lo_u32 v41, s14, v2
	v_cvt_f32_u32_e32 v2, s43
	v_rcp_iflag_f32_e32 v0, v0
	s_sub_i32 s6, 0, s41
	v_add_u32_e32 v1, 1, v1
	v_rcp_iflag_f32_e32 v2, v2
	v_mul_f32_e32 v0, 0x4f7ffffe, v0
	v_cvt_u32_f32_e32 v0, v0
	v_and_b32_e32 v1, 63, v1
	v_mov_b32_e32 v13, 0
	v_cndmask_b32_e64 v32, 0, 1, s[0:1]
	v_readfirstlane_b32 s7, v0
	v_mul_f32_e32 v0, 0x4f7ffffe, v2
	v_cvt_u32_f32_e32 v0, v0
	s_mul_i32 s6, s6, s7
	s_mul_hi_u32 s6, s7, s6
	s_add_i32 s45, s7, s6
	s_sub_i32 s6, 0, s43
	v_readfirstlane_b32 s7, v0
	v_mbcnt_lo_u32_b32 v0, -1, 0
	s_mul_i32 s6, s6, s7
	v_mbcnt_hi_u32_b32 v0, -1, v0
	s_mul_hi_u32 s6, s7, s6
	v_and_or_b32 v0, v0, 64, v1
	s_mov_b32 s25, 0
	v_or_b32_e32 v37, 16, v8
	v_ashrrev_i32_e32 v11, 31, v10
	s_lshl_b32 s42, s39, 9
	v_bitop3_b32 v40, v3, 7, v3 bitop3:0xc
	v_and_b32_e32 v14, 0x70, v5
	v_mov_b32_e32 v15, v13
	s_lshl_b32 s24, s17, 9
	s_ashr_i32 s44, s15, 31
	s_ashr_i32 s46, s33, 31
	s_add_i32 s47, s7, s6
	v_lshlrev_b32_e32 v42, 2, v0
	v_mov_b32_e32 v43, v18
	s_branch .LBB36_7
.LBB36_4:                               ;   in Loop: Header=BB36_7 Depth=1
	s_or_b64 exec, exec, s[26:27]
.LBB36_5:                               ;   in Loop: Header=BB36_7 Depth=1
	s_or_b64 exec, exec, s[8:9]
	v_subrev_u32_e32 v43, s48, v43
.LBB36_6:                               ;   in Loop: Header=BB36_7 Depth=1
	s_or_b64 exec, exec, s[6:7]
	s_add_i32 s38, s38, 1
	v_cmp_ge_i32_e32 vcc, s38, v9
	s_cbranch_vccnz .LBB36_44
.LBB36_7:                               ; =>This Loop Header: Depth=1
                                        ;     Child Loop BB36_13 Depth 2
                                        ;       Child Loop BB36_15 Depth 3
                                        ;       Child Loop BB36_18 Depth 3
                                        ;       Child Loop BB36_21 Depth 3
                                        ;     Child Loop BB36_31 Depth 2
                                        ;       Child Loop BB36_33 Depth 3
                                        ;     Child Loop BB36_41 Depth 2
                                        ;       Child Loop BB36_43 Depth 3
	s_abs_i32 s7, s38
	s_mul_hi_u32 s8, s7, s45
	s_mul_i32 s9, s8, s41
	s_ashr_i32 s6, s38, 31
	s_sub_i32 s7, s7, s9
	s_xor_b32 s6, s6, s44
	s_add_i32 s9, s8, 1
	s_sub_i32 s26, s7, s41
	s_cmp_ge_u32 s7, s41
	s_cselect_b32 s8, s9, s8
	s_cselect_b32 s7, s26, s7
	s_add_i32 s9, s8, 1
	s_cmp_ge_u32 s7, s41
	s_cselect_b32 s7, s9, s8
	s_xor_b32 s7, s7, s6
	s_sub_i32 s52, s7, s6
	s_abs_i32 s7, s52
	s_mul_i32 s6, s52, s15
	s_mul_hi_u32 s8, s7, s47
	s_sub_i32 s6, s38, s6
	s_mul_i32 s9, s8, s43
	s_lshl_b32 s49, s6, 3
	s_ashr_i32 s6, s52, 31
	s_sub_i32 s7, s7, s9
	s_xor_b32 s6, s6, s46
	s_add_i32 s9, s8, 1
	s_sub_i32 s26, s7, s43
	s_cmp_ge_u32 s7, s43
	s_cselect_b32 s8, s9, s8
	s_cselect_b32 s7, s26, s7
	s_add_i32 s9, s8, 1
	s_cmp_ge_u32 s7, s43
	s_cselect_b32 s7, s9, s8
	s_xor_b32 s7, s7, s6
	s_sub_i32 s51, s7, s6
	s_cmp_eq_u32 s51, s16
	s_cselect_b32 s48, s40, s39
	s_sub_i32 s50, s49, s12
	s_add_i32 s50, s50, 8
	s_and_saveexec_b64 s[6:7], s[2:3]
	s_xor_b64 s[26:27], exec, s[6:7]
	s_cbranch_execz .LBB36_37
; %bb.8:                                ;   in Loop: Header=BB36_7 Depth=1
	s_and_saveexec_b64 s[6:7], s[0:1]
	s_xor_b64 s[28:29], exec, s[6:7]
	s_cbranch_execz .LBB36_27
; %bb.9:                                ;   in Loop: Header=BB36_7 Depth=1
	s_and_saveexec_b64 s[30:31], s[4:5]
	s_cbranch_execz .LBB36_26
; %bb.10:                               ;   in Loop: Header=BB36_7 Depth=1
	s_waitcnt lgkmcnt(0)
	global_load_dword v12, v13, s[22:23]
	v_mov_b32_e32 v7, 0
	v_cmp_gt_i32_e32 vcc, s48, v43
	v_mov_b32_e32 v6, v7
	v_mov_b32_e32 v5, v7
	v_mov_b32_e32 v4, v7
	v_mov_b32_e32 v3, v7
	v_mov_b32_e32 v2, v7
	v_mov_b32_e32 v1, v7
	v_mov_b32_e32 v0, v7
	s_and_saveexec_b64 s[6:7], vcc
	s_cbranch_execz .LBB36_23
; %bb.11:                               ;   in Loop: Header=BB36_7 Depth=1
	v_mov_b32_e32 v0, 0
	s_mov_b64 s[8:9], 0
	v_mov_b32_e32 v1, v0
	v_mov_b32_e32 v2, v0
	;; [unrolled: 1-line block ×7, first 2 shown]
	s_branch .LBB36_13
.LBB36_12:                              ;   in Loop: Header=BB36_13 Depth=2
	s_or_b64 exec, exec, s[34:35]
	v_add_u32_e32 v50, 0x2000, v47
	ds_read2_b32 v[48:49], v50 offset1:32
	ds_read2_b32 v[50:51], v50 offset0:64 offset1:96
	v_add_u32_e32 v54, 0x2400, v47
	ds_read2_b32 v[52:53], v54 offset1:32
	ds_read2_b32 v[54:55], v54 offset0:64 offset1:96
	v_add_u32_e32 v43, s19, v43
	v_cmp_le_i32_e32 vcc, s48, v43
	s_waitcnt lgkmcnt(2)
	v_smfmac_f32_16x16x64_fp8_fp8 v[0:3], v[30:31], v[48:51], v33 cbsz:7 abid:1
	v_add_u32_e32 v30, 0x2800, v47
	ds_read2_b32 v[48:49], v30 offset1:32
	ds_read2_b32 v[50:51], v30 offset0:64 offset1:96
	v_add_u32_e32 v30, 0x2c00, v47
	s_waitcnt lgkmcnt(2)
	v_smfmac_f32_16x16x64_fp8_fp8 v[0:3], v[28:29], v[52:55], v33 cbsz:7 abid:1
	ds_read2_b32 v[28:29], v30 offset1:32
	ds_read2_b32 v[30:31], v30 offset0:64 offset1:96
	s_or_b64 s[8:9], vcc, s[8:9]
	s_waitcnt lgkmcnt(2)
	v_smfmac_f32_16x16x64_fp8_fp8 v[0:3], v[26:27], v[48:51], v33 cbsz:7 abid:1
	v_add_u32_e32 v26, 0x3000, v47
	ds_read2_b32 v[48:49], v26 offset1:32
	ds_read2_b32 v[50:51], v26 offset0:64 offset1:96
	v_add_u32_e32 v26, 0x3400, v47
	s_waitcnt lgkmcnt(2)
	v_smfmac_f32_16x16x64_fp8_fp8 v[0:3], v[24:25], v[28:31], v33 cbsz:7 abid:1
	ds_read2_b32 v[24:25], v26 offset1:32
	ds_read2_b32 v[26:27], v26 offset0:64 offset1:96
	s_waitcnt lgkmcnt(2)
	v_smfmac_f32_16x16x64_fp8_fp8 v[0:3], v[22:23], v[48:51], v33 cbsz:7 abid:1
	v_add_u32_e32 v22, 0x3800, v47
	ds_read2_b32 v[28:29], v22 offset1:32
	ds_read2_b32 v[30:31], v22 offset0:64 offset1:96
	v_add_u32_e32 v22, 0x3c00, v47
	s_waitcnt lgkmcnt(2)
	v_smfmac_f32_16x16x64_fp8_fp8 v[0:3], v[20:21], v[24:27], v33 cbsz:7 abid:1
	ds_read2_b32 v[20:21], v22 offset1:32
	ds_read2_b32 v[22:23], v22 offset0:64 offset1:96
	ds_write_b32 v46, v45 offset:20488
	s_waitcnt lgkmcnt(3)
	v_smfmac_f32_16x16x64_fp8_fp8 v[0:3], v[18:19], v[28:31], v33 cbsz:7 abid:1
	v_add_u32_e32 v18, s19, v44
	v_add_u32_e32 v19, 2, v32
	v_cmp_lt_i32_e32 vcc, 0, v18
	s_waitcnt lgkmcnt(1)
	v_smfmac_f32_16x16x64_fp8_fp8 v[0:3], v[16:17], v[20:23], v33 cbsz:7 abid:1
	v_cndmask_b32_e32 v32, v32, v19, vcc
	s_andn2_b64 exec, exec, s[8:9]
	s_cbranch_execz .LBB36_22
.LBB36_13:                              ;   Parent Loop BB36_7 Depth=1
                                        ; =>  This Loop Header: Depth=2
                                        ;       Child Loop BB36_15 Depth 3
                                        ;       Child Loop BB36_18 Depth 3
	;; [unrolled: 1-line block ×3, first 2 shown]
	v_cmp_lt_i32_e32 vcc, 0, v18
	s_nop 1
	v_subbrev_co_u32_e32 v44, vcc, 0, v18, vcc
	v_lshlrev_b32_e32 v16, 2, v44
	ds_read_b32 v17, v16 offset:20480
	v_add_u32_e32 v46, 0x5000, v16
	s_waitcnt lgkmcnt(0)
	v_cmp_ne_u32_e32 vcc, v17, v32
	s_and_saveexec_b64 s[34:35], vcc
	s_cbranch_execz .LBB36_16
; %bb.14:                               ;   in Loop: Header=BB36_13 Depth=2
	s_mov_b64 s[36:37], 0
.LBB36_15:                              ;   Parent Loop BB36_7 Depth=1
                                        ;     Parent Loop BB36_13 Depth=2
                                        ; =>    This Inner Loop Header: Depth=3
	;;#ASMSTART
	s_sleep 0
	;;#ASMEND
	ds_read_b32 v16, v46
	s_waitcnt lgkmcnt(0)
	v_cmp_eq_u32_e32 vcc, v16, v32
	s_or_b64 s[36:37], vcc, s[36:37]
	s_andn2_b64 exec, exec, s[36:37]
	s_cbranch_execnz .LBB36_15
.LBB36_16:                              ;   in Loop: Header=BB36_13 Depth=2
	s_or_b64 exec, exec, s[34:35]
	v_lshl_add_u32 v16, v44, 12, v34
	v_add_u32_e32 v17, 0x400, v16
	ds_read2_b32 v[30:31], v16 offset1:32
	ds_read2_b32 v[28:29], v16 offset0:128 offset1:160
	ds_read2_b32 v[26:27], v17 offset1:32
	ds_read2_b32 v[24:25], v17 offset0:128 offset1:160
	v_add_u32_e32 v17, 0x800, v16
	v_add_u32_e32 v16, 0xc00, v16
	;; [unrolled: 1-line block ×3, first 2 shown]
	ds_read2_b32 v[22:23], v17 offset1:32
	ds_read2_b32 v[20:21], v17 offset0:128 offset1:160
	ds_read2_b32 v[18:19], v16 offset1:32
	ds_read2_b32 v[16:17], v16 offset0:128 offset1:160
	;;#ASMSTART
	s_waitcnt lgkmcnt(0)
	;;#ASMEND
	ds_write_b32 v46, v45
	v_lshlrev_b32_e32 v46, 3, v44
	ds_read_b32 v47, v46 offset:20484
	s_waitcnt lgkmcnt(0)
	v_cmp_ne_u32_e32 vcc, v47, v32
	s_and_saveexec_b64 s[34:35], vcc
	s_cbranch_execz .LBB36_19
; %bb.17:                               ;   in Loop: Header=BB36_13 Depth=2
	s_mov_b64 s[36:37], 0
.LBB36_18:                              ;   Parent Loop BB36_7 Depth=1
                                        ;     Parent Loop BB36_13 Depth=2
                                        ; =>    This Inner Loop Header: Depth=3
	;;#ASMSTART
	s_sleep 0
	;;#ASMEND
	ds_read_b32 v47, v46 offset:20484
	s_waitcnt lgkmcnt(0)
	v_cmp_eq_u32_e32 vcc, v47, v32
	s_or_b64 s[36:37], vcc, s[36:37]
	s_andn2_b64 exec, exec, s[36:37]
	s_cbranch_execnz .LBB36_18
.LBB36_19:                              ;   in Loop: Header=BB36_13 Depth=2
	s_or_b64 exec, exec, s[34:35]
	v_lshl_or_b32 v47, v44, 14, v35
	ds_read2_b32 v[48:49], v47 offset1:32
	ds_read2_b32 v[50:51], v47 offset0:64 offset1:96
	v_add_u32_e32 v54, 0x400, v47
	ds_read2_b32 v[52:53], v54 offset1:32
	ds_read2_b32 v[54:55], v54 offset0:64 offset1:96
	s_waitcnt lgkmcnt(2)
	v_smfmac_f32_16x16x64_fp8_fp8 v[4:7], v[30:31], v[48:51], v33 cbsz:7 abid:1
	v_add_u32_e32 v50, 0x800, v47
	ds_read2_b32 v[48:49], v50 offset1:32
	ds_read2_b32 v[50:51], v50 offset0:64 offset1:96
	s_waitcnt lgkmcnt(2)
	v_smfmac_f32_16x16x64_fp8_fp8 v[4:7], v[28:29], v[52:55], v33 cbsz:7 abid:1
	v_add_u32_e32 v54, 0xc00, v47
	ds_read2_b32 v[52:53], v54 offset1:32
	ds_read2_b32 v[54:55], v54 offset0:64 offset1:96
	s_waitcnt lgkmcnt(2)
	v_smfmac_f32_16x16x64_fp8_fp8 v[4:7], v[26:27], v[48:51], v33 cbsz:7 abid:1
	v_add_u32_e32 v50, 0x1000, v47
	ds_read2_b32 v[48:49], v50 offset1:32
	ds_read2_b32 v[50:51], v50 offset0:64 offset1:96
	s_waitcnt lgkmcnt(2)
	v_smfmac_f32_16x16x64_fp8_fp8 v[4:7], v[24:25], v[52:55], v33 cbsz:7 abid:1
	v_add_u32_e32 v54, 0x1400, v47
	ds_read2_b32 v[52:53], v54 offset1:32
	ds_read2_b32 v[54:55], v54 offset0:64 offset1:96
	s_waitcnt lgkmcnt(2)
	v_smfmac_f32_16x16x64_fp8_fp8 v[4:7], v[22:23], v[48:51], v33 cbsz:7 abid:1
	v_add_u32_e32 v50, 0x1800, v47
	ds_read2_b32 v[48:49], v50 offset1:32
	ds_read2_b32 v[50:51], v50 offset0:64 offset1:96
	s_waitcnt lgkmcnt(2)
	v_smfmac_f32_16x16x64_fp8_fp8 v[4:7], v[20:21], v[52:55], v33 cbsz:7 abid:1
	v_add_u32_e32 v54, 0x1c00, v47
	ds_read2_b32 v[52:53], v54 offset1:32
	s_waitcnt lgkmcnt(1)
	v_smfmac_f32_16x16x64_fp8_fp8 v[4:7], v[18:19], v[48:51], v33 cbsz:7 abid:1
	ds_read2_b32 v[54:55], v54 offset0:64 offset1:96
	ds_read_b32 v48, v46 offset:20488
	ds_write_b32 v46, v45 offset:20484
	s_waitcnt lgkmcnt(1)
	v_cmp_ne_u32_e32 vcc, v48, v32
	v_smfmac_f32_16x16x64_fp8_fp8 v[4:7], v[16:17], v[52:55], v33 cbsz:7 abid:1
	s_and_saveexec_b64 s[34:35], vcc
	s_cbranch_execz .LBB36_12
; %bb.20:                               ;   in Loop: Header=BB36_13 Depth=2
	s_mov_b64 s[36:37], 0
.LBB36_21:                              ;   Parent Loop BB36_7 Depth=1
                                        ;     Parent Loop BB36_13 Depth=2
                                        ; =>    This Inner Loop Header: Depth=3
	;;#ASMSTART
	s_sleep 0
	;;#ASMEND
	ds_read_b32 v48, v46 offset:20488
	s_waitcnt lgkmcnt(0)
	v_cmp_eq_u32_e32 vcc, v48, v32
	s_or_b64 s[36:37], vcc, s[36:37]
	s_andn2_b64 exec, exec, s[36:37]
	s_cbranch_execnz .LBB36_21
	s_branch .LBB36_12
.LBB36_22:                              ;   in Loop: Header=BB36_7 Depth=1
	s_or_b64 exec, exec, s[8:9]
.LBB36_23:                              ;   in Loop: Header=BB36_7 Depth=1
	s_or_b64 exec, exec, s[6:7]
	s_mul_i32 s6, s51, s33
	s_sub_i32 s6, s52, s6
	s_lshl_b32 s34, s6, 5
	s_sub_i32 s35, s34, s13
	s_add_i32 s35, s35, 32
	v_cmp_le_i32_e32 vcc, s35, v8
	v_mov_b32_e32 v20, v5
	v_mov_b32_e32 v21, v6
	;; [unrolled: 1-line block ×3, first 2 shown]
	s_waitcnt vmcnt(0)
	v_cndmask_b32_e32 v16, 0, v12, vcc
	v_pk_add_f32 v[4:5], v[20:21], v[4:5]
	v_cmp_eq_u32_e32 vcc, 1, v36
	v_pk_mul_f32 v[4:5], v[16:17], v[4:5] op_sel_hi:[0,1]
	v_cmp_le_i32_e64 s[8:9], s35, v37
	v_cndmask_b32_e32 v16, v4, v5, vcc
	v_cmp_eq_u32_e32 vcc, 2, v36
	v_mov_b32_e32 v17, v2
	v_cndmask_b32_e64 v12, 0, v12, s[8:9]
	v_cndmask_b32_e32 v6, v16, v6, vcc
	v_mov_b32_e32 v16, v1
	v_mov_b32_e32 v1, v3
	v_pk_add_f32 v[0:1], v[16:17], v[0:1]
	v_cmp_eq_u32_e64 s[6:7], 3, v36
	v_pk_mul_f32 v[0:1], v[12:13], v[0:1] op_sel_hi:[0,1]
	v_cmp_ne_u32_e64 s[8:9], 0, v36
	v_cndmask_b32_e64 v6, v6, v7, s[6:7]
	ds_bpermute_b32 v6, v42, v6
	v_cndmask_b32_e64 v7, v0, v1, s[8:9]
	v_cndmask_b32_e32 v2, v7, v2, vcc
	v_cndmask_b32_e64 v2, v2, v3, s[6:7]
	ds_bpermute_b32 v2, v42, v2
	v_cmp_lt_i32_e32 vcc, s50, v38
	s_and_saveexec_b64 s[8:9], vcc
	s_cbranch_execz .LBB36_25
; %bb.24:                               ;   in Loop: Header=BB36_7 Depth=1
	s_max_i32 s6, s35, 0
	s_sub_i32 s6, s34, s6
	s_mul_i32 s34, s49, s13
	s_ashr_i32 s35, s34, 31
	s_lshl_b64 s[34:35], s[34:35], 1
	s_add_u32 s34, s20, s34
	s_addc_u32 s35, s21, s35
	s_ashr_i32 s7, s6, 31
	s_lshl_b64 s[6:7], s[6:7], 1
	s_add_u32 s34, s34, s6
	s_addc_u32 s35, s35, s7
	v_cmp_ne_u32_e32 vcc, 0, v36
	v_cmp_eq_u32_e64 s[6:7], 0, v36
	v_lshlrev_b32_e32 v12, 1, v8
	s_waitcnt lgkmcnt(0)
	v_cndmask_b32_e32 v3, v1, v2, vcc
	v_cndmask_b32_e64 v2, v0, v2, s[6:7]
	v_cndmask_b32_e32 v5, v5, v6, vcc
	v_cndmask_b32_e64 v4, v4, v6, s[6:7]
	v_cvt_f16_f32_e32 v4, v4
	v_cvt_f16_f32_sdwa v5, v5 dst_sel:WORD_1 dst_unused:UNUSED_PAD src0_sel:DWORD
	v_cvt_f16_f32_e32 v2, v2
	v_cvt_f16_f32_sdwa v3, v3 dst_sel:WORD_1 dst_unused:UNUSED_PAD src0_sel:DWORD
	v_lshl_add_u64 v[0:1], v[10:11], 1, s[34:35]
	v_lshl_add_u64 v[0:1], v[0:1], 0, v[12:13]
	v_or_b32_e32 v4, v5, v4
	;;#ASMSTART
	global_atomic_pk_add_f16 v[0:1], v4, off
	
	;;#ASMEND
	v_lshl_add_u64 v[0:1], v[0:1], 0, 32
	v_or_b32_e32 v2, v3, v2
	;;#ASMSTART
	global_atomic_pk_add_f16 v[0:1], v2, off
	
	;;#ASMEND
.LBB36_25:                              ;   in Loop: Header=BB36_7 Depth=1
	s_or_b64 exec, exec, s[8:9]
	v_subrev_u32_e32 v43, s48, v43
.LBB36_26:                              ;   in Loop: Header=BB36_7 Depth=1
	s_or_b64 exec, exec, s[30:31]
.LBB36_27:                              ;   in Loop: Header=BB36_7 Depth=1
	s_andn2_saveexec_b64 s[6:7], s[28:29]
	s_cbranch_execz .LBB36_36
; %bb.28:                               ;   in Loop: Header=BB36_7 Depth=1
	s_lshl_b32 s36, s48, 1
	v_cmp_gt_i32_e32 vcc, s36, v43
	s_and_saveexec_b64 s[8:9], vcc
	s_cbranch_execz .LBB36_35
; %bb.29:                               ;   in Loop: Header=BB36_7 Depth=1
	s_mov_b64 s[28:29], 0
	s_branch .LBB36_31
.LBB36_30:                              ;   in Loop: Header=BB36_31 Depth=2
	s_or_b64 exec, exec, s[30:31]
	v_add_u32_e32 v43, s18, v43
	v_add_u32_e32 v18, s18, v0
	v_cmp_le_i32_e32 vcc, s36, v43
	v_add_u32_e32 v0, 2, v32
	s_or_b64 s[28:29], vcc, s[28:29]
	v_cmp_lt_i32_e32 vcc, 1, v18
	v_add_u32_e32 v2, 1, v32
	;;#ASMSTART
	s_waitcnt vmcnt(3)
	;;#ASMEND
	;;#ASMSTART
	s_waitcnt vmcnt(2)
	;;#ASMEND
	;; [unrolled: 3-line block ×4, first 2 shown]
	s_nop 0
	v_cndmask_b32_e32 v32, v32, v0, vcc
	ds_write_b32 v1, v2 offset:4
	s_andn2_b64 exec, exec, s[28:29]
	s_cbranch_execz .LBB36_34
.LBB36_31:                              ;   Parent Loop BB36_7 Depth=1
                                        ; =>  This Loop Header: Depth=2
                                        ;       Child Loop BB36_33 Depth 3
	v_cmp_gt_i32_e32 vcc, 2, v18
	s_nop 1
	v_cndmask_b32_e64 v0, -2, 0, vcc
	v_add_u32_e32 v0, v0, v18
	v_lshlrev_b32_e32 v1, 2, v0
	s_waitcnt lgkmcnt(0)
	ds_read_b32 v2, v1 offset:20484
	v_add_u32_e32 v1, 0x5000, v1
	s_waitcnt lgkmcnt(0)
	v_cmp_ne_u32_e32 vcc, v2, v32
	s_and_saveexec_b64 s[30:31], vcc
	s_cbranch_execz .LBB36_30
; %bb.32:                               ;   in Loop: Header=BB36_31 Depth=2
	s_mov_b64 s[34:35], 0
.LBB36_33:                              ;   Parent Loop BB36_7 Depth=1
                                        ;     Parent Loop BB36_31 Depth=2
                                        ; =>    This Inner Loop Header: Depth=3
	;;#ASMSTART
	s_sleep 0
	;;#ASMEND
	ds_read_b32 v2, v1 offset:4
	s_waitcnt lgkmcnt(0)
	v_cmp_eq_u32_e32 vcc, v2, v32
	s_or_b64 s[34:35], vcc, s[34:35]
	s_andn2_b64 exec, exec, s[34:35]
	s_cbranch_execnz .LBB36_33
	s_branch .LBB36_30
.LBB36_34:                              ;   in Loop: Header=BB36_7 Depth=1
	s_or_b64 exec, exec, s[28:29]
.LBB36_35:                              ;   in Loop: Header=BB36_7 Depth=1
	s_or_b64 exec, exec, s[8:9]
	v_subrev_u32_e32 v43, s36, v43
.LBB36_36:                              ;   in Loop: Header=BB36_7 Depth=1
	s_or_b64 exec, exec, s[6:7]
.LBB36_37:                              ;   in Loop: Header=BB36_7 Depth=1
	s_andn2_saveexec_b64 s[6:7], s[26:27]
	s_cbranch_execz .LBB36_6
; %bb.38:                               ;   in Loop: Header=BB36_7 Depth=1
	v_cmp_gt_i32_e32 vcc, s48, v43
	s_and_saveexec_b64 s[8:9], vcc
	s_cbranch_execz .LBB36_5
; %bb.39:                               ;   in Loop: Header=BB36_7 Depth=1
	s_mul_i32 s49, s49, s14
	s_ashr_i32 s26, s49, 31
	s_waitcnt lgkmcnt(0)
	s_add_u32 s27, s10, s49
	s_mul_i32 s51, s51, s42
	s_addc_u32 s28, s11, s26
	s_ashr_i32 s29, s51, 31
	v_cmp_le_i32_e32 vcc, s50, v40
	s_add_u32 s26, s27, s51
	s_addc_u32 s27, s28, s29
	v_cndmask_b32_e32 v0, 0, v41, vcc
	v_ashrrev_i32_e32 v1, 31, v0
	v_lshl_add_u64 v[0:1], s[26:27], 0, v[0:1]
	v_lshlrev_b32_e32 v2, 9, v43
	v_lshl_add_u64 v[0:1], v[0:1], 0, v[14:15]
	v_ashrrev_i32_e32 v3, 31, v2
	v_lshl_add_u64 v[16:17], v[0:1], 0, v[2:3]
	s_mov_b64 s[26:27], 0
	s_branch .LBB36_41
.LBB36_40:                              ;   in Loop: Header=BB36_41 Depth=2
	s_or_b64 exec, exec, s[28:29]
	;;#ASMSTART
	s_waitcnt vmcnt(1)
	v_pack_b32_f16 v19, v4, v5, op_sel:[0,0]
	v_pack_b32_f16 v20, v4, v5, op_sel:[1,1]
	;; [unrolled: 1-line block ×4, first 2 shown]
	v_swap_b32 v19, v4
	v_swap_b32 v20, v6
	;; [unrolled: 1-line block ×4, first 2 shown]
	;;#ASMEND
	v_add_u32_e32 v43, s17, v43
	v_lshl_add_u32 v19, v12, 12, v39
	ds_write2_b32 v19, v4, v5 offset1:32
	ds_write2_b32 v19, v6, v7 offset0:64 offset1:96
	;;#ASMSTART
	s_waitcnt vmcnt(0)
	v_pack_b32_f16 v4, v0, v1, op_sel:[0,0]
	v_pack_b32_f16 v5, v0, v1, op_sel:[1,1]
	;; [unrolled: 1-line block ×4, first 2 shown]
	v_swap_b32 v4, v0
	v_swap_b32 v5, v2
	;; [unrolled: 1-line block ×4, first 2 shown]
	;;#ASMEND
	v_cmp_le_i32_e32 vcc, s48, v43
	v_add_u32_e32 v4, 0x400, v19
	ds_write2_b32 v4, v0, v1 offset1:32
	ds_write2_b32 v4, v2, v3 offset0:64 offset1:96
	v_add_u32_e32 v0, 1, v32
	ds_write_b32 v18, v0
	v_add_u32_e32 v18, s17, v12
	v_add_u32_e32 v0, 2, v32
	s_or_b64 s[26:27], vcc, s[26:27]
	v_cmp_lt_i32_e32 vcc, 0, v18
	v_lshl_add_u64 v[16:17], v[16:17], 0, s[24:25]
	s_nop 0
	v_cndmask_b32_e32 v32, v32, v0, vcc
	s_andn2_b64 exec, exec, s[26:27]
	s_cbranch_execz .LBB36_4
.LBB36_41:                              ;   Parent Loop BB36_7 Depth=1
                                        ; =>  This Loop Header: Depth=2
                                        ;       Child Loop BB36_43 Depth 3
	v_cmp_lt_i32_e32 vcc, 0, v18
	;;#ASMSTART
	global_load_dwordx4 v[4:7], v[16:17], off offset:0  
	global_load_dwordx4 v[0:3], v[16:17], off offset:128
	
	;;#ASMEND
	s_nop 1
	v_subbrev_co_u32_e32 v12, vcc, 0, v18, vcc
	v_lshlrev_b32_e32 v18, 2, v12
	ds_read_b32 v19, v18 offset:20480
	v_add_u32_e32 v18, 0x5000, v18
	s_waitcnt lgkmcnt(0)
	v_cmp_ne_u32_e32 vcc, v19, v32
	s_and_saveexec_b64 s[28:29], vcc
	s_cbranch_execz .LBB36_40
; %bb.42:                               ;   in Loop: Header=BB36_41 Depth=2
	s_mov_b64 s[30:31], 0
.LBB36_43:                              ;   Parent Loop BB36_7 Depth=1
                                        ;     Parent Loop BB36_41 Depth=2
                                        ; =>    This Inner Loop Header: Depth=3
	;;#ASMSTART
	s_sleep 0
	;;#ASMEND
	ds_read_b32 v19, v18
	s_waitcnt lgkmcnt(0)
	v_cmp_eq_u32_e32 vcc, v19, v32
	s_or_b64 s[30:31], vcc, s[30:31]
	s_andn2_b64 exec, exec, s[30:31]
	s_cbranch_execnz .LBB36_43
	s_branch .LBB36_40
.LBB36_44:
	s_endpgm
	.section	.rodata,"a",@progbits
	.p2align	6, 0x0
	.amdhsa_kernel _Z19_skinny_gemm_kernelILi1ELi2ELi1ELi8ELi8EEvPKhS1_P6__halfPKfiiiiiiii
		.amdhsa_group_segment_fixed_size 20492
		.amdhsa_private_segment_fixed_size 0
		.amdhsa_kernarg_size 64
		.amdhsa_user_sgpr_count 2
		.amdhsa_user_sgpr_dispatch_ptr 0
		.amdhsa_user_sgpr_queue_ptr 0
		.amdhsa_user_sgpr_kernarg_segment_ptr 1
		.amdhsa_user_sgpr_dispatch_id 0
		.amdhsa_user_sgpr_kernarg_preload_length 0
		.amdhsa_user_sgpr_kernarg_preload_offset 0
		.amdhsa_user_sgpr_private_segment_size 0
		.amdhsa_uses_dynamic_stack 0
		.amdhsa_enable_private_segment 0
		.amdhsa_system_sgpr_workgroup_id_x 1
		.amdhsa_system_sgpr_workgroup_id_y 0
		.amdhsa_system_sgpr_workgroup_id_z 0
		.amdhsa_system_sgpr_workgroup_info 0
		.amdhsa_system_vgpr_workitem_id 0
		.amdhsa_next_free_vgpr 56
		.amdhsa_next_free_sgpr 53
		.amdhsa_accum_offset 56
		.amdhsa_reserve_vcc 1
		.amdhsa_float_round_mode_32 0
		.amdhsa_float_round_mode_16_64 0
		.amdhsa_float_denorm_mode_32 3
		.amdhsa_float_denorm_mode_16_64 3
		.amdhsa_dx10_clamp 1
		.amdhsa_ieee_mode 1
		.amdhsa_fp16_overflow 0
		.amdhsa_tg_split 0
		.amdhsa_exception_fp_ieee_invalid_op 0
		.amdhsa_exception_fp_denorm_src 0
		.amdhsa_exception_fp_ieee_div_zero 0
		.amdhsa_exception_fp_ieee_overflow 0
		.amdhsa_exception_fp_ieee_underflow 0
		.amdhsa_exception_fp_ieee_inexact 0
		.amdhsa_exception_int_div_zero 0
	.end_amdhsa_kernel
	.section	.text._Z19_skinny_gemm_kernelILi1ELi2ELi1ELi8ELi8EEvPKhS1_P6__halfPKfiiiiiiii,"axG",@progbits,_Z19_skinny_gemm_kernelILi1ELi2ELi1ELi8ELi8EEvPKhS1_P6__halfPKfiiiiiiii,comdat
.Lfunc_end36:
	.size	_Z19_skinny_gemm_kernelILi1ELi2ELi1ELi8ELi8EEvPKhS1_P6__halfPKfiiiiiiii, .Lfunc_end36-_Z19_skinny_gemm_kernelILi1ELi2ELi1ELi8ELi8EEvPKhS1_P6__halfPKfiiiiiiii
                                        ; -- End function
	.set _Z19_skinny_gemm_kernelILi1ELi2ELi1ELi8ELi8EEvPKhS1_P6__halfPKfiiiiiiii.num_vgpr, 56
	.set _Z19_skinny_gemm_kernelILi1ELi2ELi1ELi8ELi8EEvPKhS1_P6__halfPKfiiiiiiii.num_agpr, 0
	.set _Z19_skinny_gemm_kernelILi1ELi2ELi1ELi8ELi8EEvPKhS1_P6__halfPKfiiiiiiii.numbered_sgpr, 53
	.set _Z19_skinny_gemm_kernelILi1ELi2ELi1ELi8ELi8EEvPKhS1_P6__halfPKfiiiiiiii.num_named_barrier, 0
	.set _Z19_skinny_gemm_kernelILi1ELi2ELi1ELi8ELi8EEvPKhS1_P6__halfPKfiiiiiiii.private_seg_size, 0
	.set _Z19_skinny_gemm_kernelILi1ELi2ELi1ELi8ELi8EEvPKhS1_P6__halfPKfiiiiiiii.uses_vcc, 1
	.set _Z19_skinny_gemm_kernelILi1ELi2ELi1ELi8ELi8EEvPKhS1_P6__halfPKfiiiiiiii.uses_flat_scratch, 0
	.set _Z19_skinny_gemm_kernelILi1ELi2ELi1ELi8ELi8EEvPKhS1_P6__halfPKfiiiiiiii.has_dyn_sized_stack, 0
	.set _Z19_skinny_gemm_kernelILi1ELi2ELi1ELi8ELi8EEvPKhS1_P6__halfPKfiiiiiiii.has_recursion, 0
	.set _Z19_skinny_gemm_kernelILi1ELi2ELi1ELi8ELi8EEvPKhS1_P6__halfPKfiiiiiiii.has_indirect_call, 0
	.section	.AMDGPU.csdata,"",@progbits
; Kernel info:
; codeLenInByte = 3384
; TotalNumSgprs: 59
; NumVgprs: 56
; NumAgprs: 0
; TotalNumVgprs: 56
; ScratchSize: 0
; MemoryBound: 0
; FloatMode: 240
; IeeeMode: 1
; LDSByteSize: 20492 bytes/workgroup (compile time only)
; SGPRBlocks: 7
; VGPRBlocks: 6
; NumSGPRsForWavesPerEU: 59
; NumVGPRsForWavesPerEU: 56
; AccumOffset: 56
; Occupancy: 8
; WaveLimiterHint : 0
; COMPUTE_PGM_RSRC2:SCRATCH_EN: 0
; COMPUTE_PGM_RSRC2:USER_SGPR: 2
; COMPUTE_PGM_RSRC2:TRAP_HANDLER: 0
; COMPUTE_PGM_RSRC2:TGID_X_EN: 1
; COMPUTE_PGM_RSRC2:TGID_Y_EN: 0
; COMPUTE_PGM_RSRC2:TGID_Z_EN: 0
; COMPUTE_PGM_RSRC2:TIDIG_COMP_CNT: 0
; COMPUTE_PGM_RSRC3_GFX90A:ACCUM_OFFSET: 13
; COMPUTE_PGM_RSRC3_GFX90A:TG_SPLIT: 0
	.section	.text._Z19_skinny_gemm_kernelILi1ELi2ELi1ELi16ELi4EEvPKhS1_P6__halfPKfiiiiiiii,"axG",@progbits,_Z19_skinny_gemm_kernelILi1ELi2ELi1ELi16ELi4EEvPKhS1_P6__halfPKfiiiiiiii,comdat
	.protected	_Z19_skinny_gemm_kernelILi1ELi2ELi1ELi16ELi4EEvPKhS1_P6__halfPKfiiiiiiii ; -- Begin function _Z19_skinny_gemm_kernelILi1ELi2ELi1ELi16ELi4EEvPKhS1_P6__halfPKfiiiiiiii
	.globl	_Z19_skinny_gemm_kernelILi1ELi2ELi1ELi16ELi4EEvPKhS1_P6__halfPKfiiiiiiii
	.p2align	8
	.type	_Z19_skinny_gemm_kernelILi1ELi2ELi1ELi16ELi4EEvPKhS1_P6__halfPKfiiiiiiii,@function
_Z19_skinny_gemm_kernelILi1ELi2ELi1ELi16ELi4EEvPKhS1_P6__halfPKfiiiiiiii: ; @_Z19_skinny_gemm_kernelILi1ELi2ELi1ELi16ELi4EEvPKhS1_P6__halfPKfiiiiiiii
; %bb.0:
	v_cmp_gt_u32_e32 vcc, 3, v0
	v_lshlrev_b32_e32 v1, 2, v0
	s_and_saveexec_b64 s[4:5], vcc
; %bb.1:
	v_mov_b32_e32 v2, 0
	ds_write_b32 v1, v2 offset:6144
; %bb.2:
	s_or_b64 exec, exec, s[4:5]
	s_load_dwordx8 s[24:31], s[0:1], 0x20
	s_waitcnt lgkmcnt(0)
	s_barrier
	s_add_i32 s3, s24, 15
	s_ashr_i32 s5, s3, 31
	s_add_i32 s4, s25, 31
	s_lshr_b32 s5, s5, 28
	s_ashr_i32 s6, s4, 31
	s_add_i32 s3, s3, s5
	s_ashr_i32 s33, s3, 4
	s_lshr_b32 s3, s6, 27
	s_add_i32 s4, s4, s3
	s_ashr_i32 s50, s4, 5
	s_mul_i32 s3, s50, s33
	s_mul_i32 s3, s3, s28
	s_add_i32 s4, s3, 0x12f
	s_mul_hi_i32 s4, s4, 0x6bca1af3
	s_lshr_b32 s5, s4, 31
	s_ashr_i32 s4, s4, 7
	s_add_i32 s4, s4, s5
	s_add_i32 s5, s2, 1
	s_mul_i32 s5, s4, s5
	v_cvt_f64_i32_e32 v[2:3], s3
	v_cvt_f64_u32_e32 v[4:5], s5
	v_min_f64 v[2:3], v[2:3], v[4:5]
	v_cvt_i32_f64_e32 v9, v[2:3]
	s_mul_i32 s51, s4, s2
	v_cmp_ge_i32_e32 vcc, s51, v9
	s_cbranch_vccnz .LBB37_45
; %bb.3:
	v_lshrrev_b32_e32 v2, 6, v0
	s_add_i32 s4, s30, s29
	s_load_dwordx8 s[36:43], s[0:1], 0x0
	v_cmp_le_i32_e64 s[0:1], s4, v2
	v_mov_b32_e32 v3, s29
	v_cmp_le_i32_e64 s[2:3], s29, v2
	v_mov_b32_e32 v4, s30
	v_cndmask_b32_e64 v4, 0, v4, s[0:1]
	v_cndmask_b32_e64 v3, 0, v3, s[2:3]
	s_abs_i32 s5, s28
	v_add_u32_e32 v3, v3, v4
	v_cvt_f32_u32_e32 v4, s5
	v_sub_u32_e32 v18, v2, v3
	s_ashr_i32 s6, s26, 31
	s_lshr_b32 s6, s6, 25
	v_rcp_iflag_f32_e32 v3, v4
	s_sub_i32 s9, 0, s5
	s_add_i32 s6, s26, s6
	s_ashr_i32 s6, s6, 7
	v_mul_f32_e32 v3, 0x4f7ffffe, v3
	v_cvt_u32_f32_e32 v3, v3
	s_abs_i32 s8, s6
	s_xor_b32 s7, s6, s28
	s_ashr_i32 s7, s7, 31
	v_readfirstlane_b32 s10, v3
	s_mul_i32 s9, s9, s10
	s_mul_hi_u32 s9, s10, s9
	s_add_i32 s10, s10, s9
	s_mul_hi_u32 s9, s8, s10
	s_mul_i32 s10, s9, s5
	s_sub_i32 s8, s8, s10
	s_add_i32 s10, s9, 1
	s_sub_i32 s11, s8, s5
	s_cmp_ge_u32 s8, s5
	s_cselect_b32 s9, s10, s9
	s_cselect_b32 s8, s11, s8
	s_add_i32 s10, s9, 1
	s_cmp_ge_u32 s8, s5
	s_cselect_b32 s5, s10, s9
	s_xor_b32 s5, s5, s7
	s_sub_i32 s52, s5, s7
	s_add_i32 s28, s28, -1
	s_mul_i32 s5, s52, s28
	s_add_i32 s4, s4, s31
	s_sub_i32 s53, s6, s5
	v_cmp_gt_i32_e64 s[4:5], s4, v2
	v_lshlrev_b32_e32 v2, 1, v0
	v_lshlrev_b32_e32 v3, 4, v0
	v_and_b32_e32 v1, 60, v1
	v_and_b32_e32 v2, 64, v2
	;; [unrolled: 1-line block ×3, first 2 shown]
	s_abs_i32 s54, s33
	v_or3_b32 v31, v1, v2, v4
	v_and_b32_e32 v1, 1, v0
	v_cvt_f32_u32_e32 v6, s54
	v_lshlrev_b32_e32 v2, 1, v1
	v_lshrrev_b32_e32 v4, 2, v0
	v_and_b32_e32 v8, 14, v0
	v_sub_u32_e32 v2, v0, v2
	v_and_or_b32 v33, v4, 12, v1
	v_bitop3_b32 v34, v0, 1, v0 bitop3:0xc
	v_bitop3_b32 v35, v0, 3, 1 bitop3:0x6c
	v_and_b32_e32 v12, 48, v3
	v_bfe_u32 v1, v0, 2, 4
	v_and_b32_e32 v3, 60, v0
	v_lshlrev_b32_e32 v5, 8, v0
	v_lshlrev_b32_e32 v0, 6, v0
	v_and_b32_e32 v5, 0x200, v5
	v_and_b32_e32 v0, 64, v0
	v_or3_b32 v37, v3, v5, v0
	v_rcp_iflag_f32_e32 v0, v6
	s_abs_i32 s56, s50
	v_mul_lo_u32 v14, s27, v1
	v_mul_lo_u32 v39, s26, v1
	v_cvt_f32_u32_e32 v1, s56
	v_mul_f32_e32 v0, 0x4f7ffffe, v0
	v_cvt_u32_f32_e32 v0, v0
	v_mad_u64_u32 v[10:11], s[6:7], s25, v33, v[8:9]
	v_rcp_iflag_f32_e32 v1, v1
	v_readfirstlane_b32 s7, v0
	s_sub_i32 s6, 0, s54
	s_mul_i32 s6, s6, s7
	v_mul_f32_e32 v0, 0x4f7ffffe, v1
	v_cvt_u32_f32_e32 v0, v0
	s_mul_hi_u32 s6, s7, s6
	v_add_u32_e32 v2, 1, v2
	s_add_i32 s58, s7, s6
	s_sub_i32 s6, 0, s56
	v_readfirstlane_b32 s7, v0
	v_mbcnt_lo_u32_b32 v0, -1, 0
	v_and_b32_e32 v2, 63, v2
	s_mul_i32 s6, s6, s7
	v_mbcnt_hi_u32_b32 v0, -1, v0
	s_mul_hi_u32 s6, s7, s6
	v_and_or_b32 v0, v0, 64, v2
	v_cndmask_b32_e64 v30, 0, 1, s[0:1]
	v_or_b32_e32 v32, 0x1000, v31
	v_or_b32_e32 v36, 16, v8
	v_ashrrev_i32_e32 v11, 31, v10
	s_ashr_i32 s23, s25, 31
	s_mov_b32 s22, s25
	v_ashrrev_i32_e32 v15, 31, v14
	v_mov_b32_e32 v13, 0
	s_lshl_b32 s55, s27, 4
	v_bitop3_b32 v38, v4, 15, v4 bitop3:0xc
	v_or_b32_e32 v40, 0x1000, v37
	s_ashr_i32 s57, s33, 31
	s_ashr_i32 s59, s50, 31
	s_add_i32 s60, s7, s6
	v_lshlrev_b32_e32 v41, 2, v0
	v_mov_b32_e32 v42, v18
	s_branch .LBB37_7
.LBB37_4:                               ;   in Loop: Header=BB37_7 Depth=1
	s_or_b64 exec, exec, s[10:11]
.LBB37_5:                               ;   in Loop: Header=BB37_7 Depth=1
	s_or_b64 exec, exec, s[8:9]
	v_subrev_u32_e32 v42, s61, v42
.LBB37_6:                               ;   in Loop: Header=BB37_7 Depth=1
	s_or_b64 exec, exec, s[6:7]
	s_add_i32 s51, s51, 1
	v_cmp_ge_i32_e32 vcc, s51, v9
	s_cbranch_vccnz .LBB37_45
.LBB37_7:                               ; =>This Loop Header: Depth=1
                                        ;     Child Loop BB37_13 Depth 2
                                        ;       Child Loop BB37_15 Depth 3
                                        ;       Child Loop BB37_18 Depth 3
	;; [unrolled: 1-line block ×3, first 2 shown]
                                        ;     Child Loop BB37_32 Depth 2
                                        ;       Child Loop BB37_34 Depth 3
                                        ;     Child Loop BB37_42 Depth 2
                                        ;       Child Loop BB37_44 Depth 3
	s_abs_i32 s7, s51
	s_mul_hi_u32 s8, s7, s58
	s_mul_i32 s9, s8, s54
	s_ashr_i32 s6, s51, 31
	s_sub_i32 s7, s7, s9
	s_xor_b32 s6, s6, s57
	s_add_i32 s9, s8, 1
	s_sub_i32 s10, s7, s54
	s_cmp_ge_u32 s7, s54
	s_cselect_b32 s8, s9, s8
	s_cselect_b32 s7, s10, s7
	s_add_i32 s9, s8, 1
	s_cmp_ge_u32 s7, s54
	s_cselect_b32 s7, s9, s8
	s_xor_b32 s7, s7, s6
	s_sub_i32 s6, s7, s6
	s_abs_i32 s8, s6
	s_mul_i32 s7, s6, s33
	s_mul_hi_u32 s9, s8, s60
	s_sub_i32 s7, s51, s7
	s_mul_i32 s10, s9, s56
	s_lshl_b32 s62, s7, 4
	s_ashr_i32 s7, s6, 31
	s_sub_i32 s8, s8, s10
	s_xor_b32 s7, s7, s59
	s_add_i32 s10, s9, 1
	s_sub_i32 s11, s8, s56
	s_cmp_ge_u32 s8, s56
	s_cselect_b32 s9, s10, s9
	s_cselect_b32 s8, s11, s8
	s_add_i32 s10, s9, 1
	s_cmp_ge_u32 s8, s56
	s_cselect_b32 s8, s10, s9
	s_xor_b32 s8, s8, s7
	s_sub_i32 s7, s8, s7
	s_mul_i32 s8, s7, s52
	s_lshl_b32 s63, s8, 7
	s_cmp_eq_u32 s7, s28
	s_cselect_b32 s61, s53, s52
	s_sub_i32 s64, s62, s24
	s_add_i32 s64, s64, 16
	s_and_saveexec_b64 s[8:9], s[2:3]
	s_xor_b64 s[34:35], exec, s[8:9]
	s_cbranch_execz .LBB37_38
; %bb.8:                                ;   in Loop: Header=BB37_7 Depth=1
	s_mul_i32 s7, s7, s50
	s_sub_i32 s6, s6, s7
	s_lshl_b32 s6, s6, 5
	s_sub_i32 s45, s6, s25
	s_add_i32 s45, s45, 32
	s_max_i32 s7, s45, 0
	s_sub_i32 s44, s6, s7
	s_and_saveexec_b64 s[6:7], s[0:1]
	s_xor_b64 s[46:47], exec, s[6:7]
	s_cbranch_execz .LBB37_28
; %bb.9:                                ;   in Loop: Header=BB37_7 Depth=1
	s_and_saveexec_b64 s[48:49], s[4:5]
	s_cbranch_execz .LBB37_27
; %bb.10:                               ;   in Loop: Header=BB37_7 Depth=1
	s_waitcnt lgkmcnt(0)
	global_load_dword v43, v13, s[42:43]
	v_cmp_gt_i32_e32 vcc, s61, v42
	v_mov_b32_e32 v3, 0
	v_mov_b32_e32 v2, 0
	;; [unrolled: 1-line block ×8, first 2 shown]
	s_and_saveexec_b64 s[6:7], vcc
	s_cbranch_execz .LBB37_23
; %bb.11:                               ;   in Loop: Header=BB37_7 Depth=1
	v_mov_b32_e32 v4, 0
	s_mov_b64 s[8:9], 0
	v_mov_b32_e32 v5, v4
	v_mov_b32_e32 v6, v4
	;; [unrolled: 1-line block ×7, first 2 shown]
	s_branch .LBB37_13
.LBB37_12:                              ;   in Loop: Header=BB37_13 Depth=2
	s_or_b64 exec, exec, s[10:11]
	v_add_u32_e32 v24, v31, v47
	v_add_u32_e32 v25, 0x800, v24
	ds_read2_b32 v[22:23], v25 offset1:32
	v_add_u32_e32 v24, 0xc00, v24
	v_add_u32_e32 v42, s31, v42
	v_cmp_le_i32_e32 vcc, s61, v42
	s_or_b64 s[8:9], vcc, s[8:9]
	s_waitcnt lgkmcnt(0)
	v_mfma_f32_16x16x32_fp8_fp8 v[0:3], v[18:19], v[22:23], v[0:3]
	ds_read2_b32 v[18:19], v25 offset0:128 offset1:160
	ds_read2_b32 v[22:23], v24 offset1:32
	s_waitcnt lgkmcnt(1)
	v_mfma_f32_16x16x32_fp8_fp8 v[0:3], v[16:17], v[18:19], v[0:3]
	ds_read2_b32 v[16:17], v24 offset0:128 offset1:160
	v_add_u32_e32 v18, s31, v45
	v_add_u32_e32 v19, 2, v30
	s_waitcnt lgkmcnt(1)
	v_mfma_f32_16x16x32_fp8_fp8 v[0:3], v[28:29], v[22:23], v[0:3]
	v_cmp_lt_i32_e32 vcc, 0, v18
	;;#ASMSTART
	s_waitcnt lgkmcnt(0)
	;;#ASMEND
	ds_write_b32 v44, v46 offset:6152
	s_waitcnt lgkmcnt(1)
	v_mfma_f32_16x16x32_fp8_fp8 v[0:3], v[20:21], v[16:17], v[0:3]
	v_cndmask_b32_e32 v30, v30, v19, vcc
	s_andn2_b64 exec, exec, s[8:9]
	s_cbranch_execz .LBB37_22
.LBB37_13:                              ;   Parent Loop BB37_7 Depth=1
                                        ; =>  This Loop Header: Depth=2
                                        ;       Child Loop BB37_15 Depth 3
                                        ;       Child Loop BB37_18 Depth 3
	;; [unrolled: 1-line block ×3, first 2 shown]
	v_cmp_lt_i32_e32 vcc, 0, v18
	s_nop 1
	v_subbrev_co_u32_e32 v45, vcc, 0, v18, vcc
	v_lshlrev_b32_e32 v44, 3, v45
	ds_read_b32 v16, v44 offset:6148
	s_waitcnt lgkmcnt(0)
	v_cmp_ne_u32_e32 vcc, v16, v30
	s_and_saveexec_b64 s[10:11], vcc
	s_cbranch_execz .LBB37_16
; %bb.14:                               ;   in Loop: Header=BB37_13 Depth=2
	s_mov_b64 s[12:13], 0
.LBB37_15:                              ;   Parent Loop BB37_7 Depth=1
                                        ;     Parent Loop BB37_13 Depth=2
                                        ; =>    This Inner Loop Header: Depth=3
	;;#ASMSTART
	s_sleep 0
	;;#ASMEND
	ds_read_b32 v16, v44 offset:6148
	s_waitcnt lgkmcnt(0)
	v_cmp_eq_u32_e32 vcc, v16, v30
	s_or_b64 s[12:13], vcc, s[12:13]
	s_andn2_b64 exec, exec, s[12:13]
	s_cbranch_execnz .LBB37_15
.LBB37_16:                              ;   in Loop: Header=BB37_13 Depth=2
	s_or_b64 exec, exec, s[10:11]
	v_lshlrev_b32_e32 v47, 12, v45
	v_or_b32_e32 v16, v31, v47
	ds_read2_b32 v[20:21], v16 offset1:32
	ds_read2_b32 v[22:23], v16 offset0:128 offset1:160
	v_add_u32_e32 v16, 0x400, v16
	v_add_u32_e32 v46, 1, v30
	ds_read2_b32 v[26:27], v16 offset1:32
	ds_read2_b32 v[24:25], v16 offset0:128 offset1:160
	;;#ASMSTART
	s_waitcnt lgkmcnt(0)
	;;#ASMEND
	ds_write_b32 v44, v46 offset:6148
	v_lshlrev_b32_e32 v16, 2, v45
	ds_read_b32 v17, v16 offset:6144
	v_add_u32_e32 v48, 0x1800, v16
	s_waitcnt lgkmcnt(0)
	v_cmp_ne_u32_e32 vcc, v17, v30
	s_and_saveexec_b64 s[10:11], vcc
	s_cbranch_execz .LBB37_19
; %bb.17:                               ;   in Loop: Header=BB37_13 Depth=2
	s_mov_b64 s[12:13], 0
.LBB37_18:                              ;   Parent Loop BB37_7 Depth=1
                                        ;     Parent Loop BB37_13 Depth=2
                                        ; =>    This Inner Loop Header: Depth=3
	;;#ASMSTART
	s_sleep 0
	;;#ASMEND
	ds_read_b32 v16, v48
	s_waitcnt lgkmcnt(0)
	v_cmp_eq_u32_e32 vcc, v16, v30
	s_or_b64 s[12:13], vcc, s[12:13]
	s_andn2_b64 exec, exec, s[12:13]
	s_cbranch_execnz .LBB37_18
.LBB37_19:                              ;   in Loop: Header=BB37_13 Depth=2
	s_or_b64 exec, exec, s[10:11]
	v_lshl_add_u32 v28, v45, 11, v32
	ds_read2_b32 v[18:19], v28 offset1:32
	ds_read2_b32 v[16:17], v28 offset0:128 offset1:160
	v_add_u32_e32 v49, 0x400, v28
	ds_read2_b32 v[28:29], v49 offset1:32
	ds_write_b32 v48, v46
	s_waitcnt lgkmcnt(3)
	v_mfma_f32_16x16x32_fp8_fp8 v[4:7], v[18:19], v[20:21], v[4:7]
	ds_read2_b32 v[20:21], v49 offset0:128 offset1:160
	s_waitcnt lgkmcnt(3)
	v_mfma_f32_16x16x32_fp8_fp8 v[4:7], v[16:17], v[22:23], v[4:7]
	ds_read_b32 v22, v44 offset:6152
	s_waitcnt lgkmcnt(0)
	v_cmp_ne_u32_e32 vcc, v22, v30
	v_mfma_f32_16x16x32_fp8_fp8 v[4:7], v[28:29], v[26:27], v[4:7]
	v_mfma_f32_16x16x32_fp8_fp8 v[4:7], v[20:21], v[24:25], v[4:7]
	s_and_saveexec_b64 s[10:11], vcc
	s_cbranch_execz .LBB37_12
; %bb.20:                               ;   in Loop: Header=BB37_13 Depth=2
	s_mov_b64 s[12:13], 0
.LBB37_21:                              ;   Parent Loop BB37_7 Depth=1
                                        ;     Parent Loop BB37_13 Depth=2
                                        ; =>    This Inner Loop Header: Depth=3
	;;#ASMSTART
	s_sleep 0
	;;#ASMEND
	ds_read_b32 v22, v44 offset:6152
	s_waitcnt lgkmcnt(0)
	v_cmp_eq_u32_e32 vcc, v22, v30
	s_or_b64 s[12:13], vcc, s[12:13]
	s_andn2_b64 exec, exec, s[12:13]
	s_cbranch_execnz .LBB37_21
	s_branch .LBB37_12
.LBB37_22:                              ;   in Loop: Header=BB37_7 Depth=1
	s_or_b64 exec, exec, s[8:9]
.LBB37_23:                              ;   in Loop: Header=BB37_7 Depth=1
	s_or_b64 exec, exec, s[6:7]
	v_cmp_le_i32_e32 vcc, s45, v8
	v_cmp_eq_u32_e64 s[6:7], 2, v34
	v_cmp_eq_u32_e64 s[8:9], 3, v34
	s_waitcnt vmcnt(0)
	v_cndmask_b32_e32 v16, 0, v43, vcc
	v_pk_mul_f32 v[20:21], v[16:17], v[4:5] op_sel_hi:[0,1]
	v_cmp_eq_u32_e32 vcc, 1, v34
	v_pk_mul_f32 v[6:7], v[16:17], v[6:7] op_sel_hi:[0,1]
	v_cmp_eq_u32_e64 s[10:11], 0, v34
	v_cndmask_b32_e32 v4, v20, v21, vcc
	v_cndmask_b32_e64 v4, v4, v6, s[6:7]
	v_cndmask_b32_e64 v4, v4, v7, s[8:9]
	ds_bpermute_b32 v17, v41, v4
	v_cmp_eq_u32_e64 s[12:13], 1, v35
	v_cmp_eq_u32_e64 s[18:19], 4, v35
	;; [unrolled: 1-line block ×4, first 2 shown]
	s_waitcnt lgkmcnt(0)
	v_cndmask_b32_e64 v4, v7, v17, s[8:9]
	v_cndmask_b32_e64 v5, v6, v17, s[6:7]
	v_cndmask_b32_e32 v16, v21, v17, vcc
	v_cndmask_b32_e64 v17, v20, v17, s[10:11]
	v_cndmask_b32_e64 v6, v17, v16, s[12:13]
	s_or_b64 s[20:21], s[20:21], s[18:19]
	v_cmp_eq_u32_e64 s[18:19], 6, v35
	v_cndmask_b32_e64 v6, v6, v5, s[14:15]
	v_cmp_eq_u32_e64 s[16:17], 3, v35
	s_or_b64 s[20:21], s[18:19], s[20:21]
	v_cmp_le_i32_e64 s[18:19], s45, v36
	v_cndmask_b32_e64 v7, v6, v4, s[16:17]
	s_nop 0
	v_cndmask_b32_e64 v6, 0, v43, s[18:19]
	v_pk_mul_f32 v[20:21], v[6:7], v[0:1] op_sel_hi:[0,1]
	v_pk_mul_f32 v[0:1], v[6:7], v[2:3] op_sel_hi:[0,1]
	v_cndmask_b32_e32 v2, v20, v21, vcc
	v_cndmask_b32_e64 v2, v2, v0, s[6:7]
	v_cndmask_b32_e64 v2, v2, v1, s[8:9]
	ds_bpermute_b32 v19, v41, v2
	v_cmp_eq_u32_e32 vcc, 7, v35
	s_or_b64 vcc, vcc, s[20:21]
	s_waitcnt lgkmcnt(0)
	v_cndmask_b32_e64 v3, v1, v19, s[8:9]
	v_cndmask_b32_e32 v2, v7, v0, vcc
	v_cmp_ne_u32_e32 vcc, 0, v34
	v_cndmask_b32_e64 v6, v0, v19, s[6:7]
	v_cndmask_b32_e64 v1, v20, v19, s[10:11]
	v_cndmask_b32_e32 v0, v21, v19, vcc
	v_cndmask_b32_e64 v7, v1, v0, s[12:13]
	v_cndmask_b32_e64 v7, v7, v6, s[14:15]
	;; [unrolled: 1-line block ×3, first 2 shown]
	ds_bpermute_b32 v2, v41, v2
	ds_bpermute_b32 v7, v41, v7
	s_max_i32 s6, s64, 0
	v_add_u32_e32 v19, s6, v33
	v_cmp_gt_u32_e32 vcc, 16, v19
	s_and_saveexec_b64 s[12:13], vcc
	s_cbranch_execz .LBB37_26
; %bb.24:                               ;   in Loop: Header=BB37_7 Depth=1
	v_cmp_eq_u32_e64 s[8:9], 1, v35
	v_cmp_eq_u32_e64 s[10:11], 0, v35
	v_cmp_eq_u32_e32 vcc, 3, v35
	s_waitcnt lgkmcnt(1)
	v_cndmask_b32_e64 v16, v16, v2, s[8:9]
	s_waitcnt lgkmcnt(0)
	v_cndmask_b32_e64 v20, v0, v7, s[8:9]
	s_mul_i32 s8, s62, s25
	s_ashr_i32 s9, s8, 31
	s_lshl_b64 s[8:9], s[8:9], 1
	v_cndmask_b32_e64 v17, v17, v2, s[10:11]
	v_cndmask_b32_e64 v21, v1, v7, s[10:11]
	s_add_u32 s10, s40, s8
	s_addc_u32 s11, s41, s9
	s_ashr_i32 s45, s44, 31
	v_cvt_f16_f32_e32 v17, v17
	v_cvt_f16_f32_sdwa v16, v16 dst_sel:WORD_1 dst_unused:UNUSED_PAD src0_sel:DWORD
	s_lshl_b64 s[8:9], s[44:45], 1
	v_cvt_f16_f32_e32 v21, v21
	v_cvt_f16_f32_sdwa v20, v20 dst_sel:WORD_1 dst_unused:UNUSED_PAD src0_sel:DWORD
	s_add_u32 s8, s10, s8
	s_addc_u32 s9, s11, s9
	v_cmp_eq_u32_e64 s[6:7], 2, v35
	v_lshl_add_u64 v[0:1], v[10:11], 1, s[8:9]
	v_or_b32_e32 v16, v16, v17
	v_cmp_gt_u32_e64 s[8:9], 14, v19
	;;#ASMSTART
	global_atomic_pk_add_f16 v[0:1], v16, off
	
	;;#ASMEND
	v_lshl_add_u64 v[16:17], v[0:1], 0, 32
	v_or_b32_e32 v20, v20, v21
	;;#ASMSTART
	global_atomic_pk_add_f16 v[16:17], v20, off
	
	;;#ASMEND
	s_and_b64 exec, exec, s[8:9]
	s_cbranch_execz .LBB37_26
; %bb.25:                               ;   in Loop: Header=BB37_7 Depth=1
	v_cndmask_b32_e32 v4, v4, v2, vcc
	v_cndmask_b32_e64 v2, v5, v2, s[6:7]
	v_cndmask_b32_e32 v3, v3, v7, vcc
	v_cndmask_b32_e64 v5, v6, v7, s[6:7]
	v_cvt_f16_f32_e32 v2, v2
	v_cvt_f16_f32_sdwa v4, v4 dst_sel:WORD_1 dst_unused:UNUSED_PAD src0_sel:DWORD
	v_cvt_f16_f32_e32 v5, v5
	v_cvt_f16_f32_sdwa v3, v3 dst_sel:WORD_1 dst_unused:UNUSED_PAD src0_sel:DWORD
	v_lshl_add_u64 v[0:1], s[22:23], 2, v[0:1]
	v_or_b32_e32 v2, v4, v2
	;;#ASMSTART
	global_atomic_pk_add_f16 v[0:1], v2, off
	
	;;#ASMEND
	v_lshl_add_u64 v[0:1], v[0:1], 0, 32
	v_or_b32_e32 v2, v3, v5
	;;#ASMSTART
	global_atomic_pk_add_f16 v[0:1], v2, off
	
	;;#ASMEND
.LBB37_26:                              ;   in Loop: Header=BB37_7 Depth=1
	s_or_b64 exec, exec, s[12:13]
	v_subrev_u32_e32 v42, s61, v42
.LBB37_27:                              ;   in Loop: Header=BB37_7 Depth=1
	s_or_b64 exec, exec, s[48:49]
.LBB37_28:                              ;   in Loop: Header=BB37_7 Depth=1
	s_andn2_saveexec_b64 s[6:7], s[46:47]
	s_cbranch_execz .LBB37_37
; %bb.29:                               ;   in Loop: Header=BB37_7 Depth=1
	s_lshl_b32 s16, s61, 1
	v_cmp_gt_i32_e32 vcc, s16, v42
	s_and_saveexec_b64 s[8:9], vcc
	s_cbranch_execz .LBB37_36
; %bb.30:                               ;   in Loop: Header=BB37_7 Depth=1
	s_mul_i32 s10, s44, s27
	s_ashr_i32 s11, s10, 31
	s_waitcnt lgkmcnt(0)
	s_add_u32 s10, s38, s10
	s_addc_u32 s11, s39, s11
	s_ashr_i32 s12, s63, 31
	s_add_u32 s10, s10, s63
	s_addc_u32 s11, s11, s12
	v_lshl_add_u64 v[0:1], s[10:11], 0, v[14:15]
	v_lshl_add_u64 v[16:17], v[0:1], 0, v[12:13]
	s_mov_b64 s[10:11], 0
	s_branch .LBB37_32
.LBB37_31:                              ;   in Loop: Header=BB37_32 Depth=2
	s_or_b64 exec, exec, s[12:13]
	v_lshl_or_b32 v20, v18, 11, v37
	;;#ASMSTART
	s_waitcnt vmcnt(1)
	;;#ASMEND
	ds_write2_b32 v20, v4, v5 offset1:32
	ds_write2_b32 v20, v6, v7 offset0:64 offset1:96
	v_add_u32_e32 v4, 0x400, v20
	v_add_u32_e32 v42, s30, v42
	;;#ASMSTART
	s_waitcnt vmcnt(0)
	;;#ASMEND
	ds_write2_b32 v4, v0, v1 offset1:32
	ds_write2_b32 v4, v2, v3 offset0:64 offset1:96
	v_add_u32_e32 v0, 1, v30
	v_add_u32_e32 v18, s30, v18
	v_cmp_le_i32_e32 vcc, s16, v42
	ds_write_b32 v19, v0 offset:4
	v_add_u32_e32 v0, 2, v30
	s_or_b64 s[10:11], vcc, s[10:11]
	v_cmp_lt_i32_e32 vcc, 1, v18
	s_nop 1
	v_cndmask_b32_e32 v30, v30, v0, vcc
	s_andn2_b64 exec, exec, s[10:11]
	s_cbranch_execz .LBB37_35
.LBB37_32:                              ;   Parent Loop BB37_7 Depth=1
                                        ; =>  This Loop Header: Depth=2
                                        ;       Child Loop BB37_34 Depth 3
	v_cmp_gt_i32_e32 vcc, 2, v18
	s_nop 1
	v_cndmask_b32_e64 v0, -2, 0, vcc
	v_add_u32_e32 v18, v0, v18
	v_lshrrev_b32_e32 v0, 31, v42
	v_add_u32_e32 v0, v42, v0
	v_and_b32_e32 v1, -2, v0
	v_lshlrev_b32_e32 v0, 6, v0
	v_sub_u32_e32 v2, v42, v1
	v_and_b32_e32 v0, 0xffffff80, v0
	v_ashrrev_i32_e32 v1, 31, v0
	v_mul_lo_u32 v2, s55, v2
	v_lshl_add_u64 v[0:1], v[16:17], 0, v[0:1]
	v_ashrrev_i32_e32 v3, 31, v2
	v_lshl_add_u64 v[0:1], v[0:1], 0, v[2:3]
	v_lshlrev_b32_e32 v19, 2, v18
	;;#ASMSTART
	global_load_dwordx4 v[4:7], v[0:1], off offset:0   sc0 sc1 nt  
	global_load_dwordx4 v[0:3], v[0:1], off offset:64  sc0 sc1 nt  
	
	;;#ASMEND
	ds_read_b32 v20, v19 offset:6148
	v_add_u32_e32 v19, 0x1800, v19
	s_waitcnt lgkmcnt(0)
	v_cmp_ne_u32_e32 vcc, v20, v30
	s_and_saveexec_b64 s[12:13], vcc
	s_cbranch_execz .LBB37_31
; %bb.33:                               ;   in Loop: Header=BB37_32 Depth=2
	s_mov_b64 s[14:15], 0
.LBB37_34:                              ;   Parent Loop BB37_7 Depth=1
                                        ;     Parent Loop BB37_32 Depth=2
                                        ; =>    This Inner Loop Header: Depth=3
	;;#ASMSTART
	s_sleep 0
	;;#ASMEND
	ds_read_b32 v20, v19 offset:4
	s_waitcnt lgkmcnt(0)
	v_cmp_eq_u32_e32 vcc, v20, v30
	s_or_b64 s[14:15], vcc, s[14:15]
	s_andn2_b64 exec, exec, s[14:15]
	s_cbranch_execnz .LBB37_34
	s_branch .LBB37_31
.LBB37_35:                              ;   in Loop: Header=BB37_7 Depth=1
	s_or_b64 exec, exec, s[10:11]
.LBB37_36:                              ;   in Loop: Header=BB37_7 Depth=1
	s_or_b64 exec, exec, s[8:9]
	v_subrev_u32_e32 v42, s16, v42
.LBB37_37:                              ;   in Loop: Header=BB37_7 Depth=1
	s_or_b64 exec, exec, s[6:7]
.LBB37_38:                              ;   in Loop: Header=BB37_7 Depth=1
	s_andn2_saveexec_b64 s[6:7], s[34:35]
	s_cbranch_execz .LBB37_6
; %bb.39:                               ;   in Loop: Header=BB37_7 Depth=1
	v_cmp_gt_i32_e32 vcc, s61, v42
	s_and_saveexec_b64 s[8:9], vcc
	s_cbranch_execz .LBB37_5
; %bb.40:                               ;   in Loop: Header=BB37_7 Depth=1
	s_mul_i32 s62, s62, s26
	s_ashr_i32 s10, s62, 31
	s_waitcnt lgkmcnt(0)
	s_add_u32 s11, s36, s62
	s_addc_u32 s12, s37, s10
	s_ashr_i32 s13, s63, 31
	v_cmp_le_i32_e32 vcc, s64, v38
	s_add_u32 s10, s11, s63
	s_addc_u32 s11, s12, s13
	v_cndmask_b32_e32 v0, 0, v39, vcc
	v_ashrrev_i32_e32 v1, 31, v0
	v_lshl_add_u64 v[0:1], s[10:11], 0, v[0:1]
	v_lshl_add_u64 v[16:17], v[0:1], 0, v[12:13]
	s_mov_b64 s[10:11], 0
	s_branch .LBB37_42
.LBB37_41:                              ;   in Loop: Header=BB37_42 Depth=2
	s_or_b64 exec, exec, s[12:13]
	v_lshl_add_u32 v20, v18, 11, v40
	;;#ASMSTART
	s_waitcnt vmcnt(1)
	;;#ASMEND
	ds_write2_b32 v20, v4, v5 offset1:32
	ds_write2_b32 v20, v6, v7 offset0:64 offset1:96
	v_add_u32_e32 v4, 0x400, v20
	v_add_u32_e32 v42, s29, v42
	;;#ASMSTART
	s_waitcnt vmcnt(0)
	;;#ASMEND
	ds_write2_b32 v4, v0, v1 offset1:32
	ds_write2_b32 v4, v2, v3 offset0:64 offset1:96
	v_add_u32_e32 v0, 1, v30
	v_add_u32_e32 v18, s29, v18
	v_cmp_le_i32_e32 vcc, s61, v42
	ds_write_b32 v19, v0
	v_add_u32_e32 v0, 2, v30
	s_or_b64 s[10:11], vcc, s[10:11]
	v_cmp_lt_i32_e32 vcc, 0, v18
	s_nop 1
	v_cndmask_b32_e32 v30, v30, v0, vcc
	s_andn2_b64 exec, exec, s[10:11]
	s_cbranch_execz .LBB37_4
.LBB37_42:                              ;   Parent Loop BB37_7 Depth=1
                                        ; =>  This Loop Header: Depth=2
                                        ;       Child Loop BB37_44 Depth 3
	v_cmp_lt_i32_e32 vcc, 0, v18
	v_lshlrev_b32_e32 v0, 7, v42
	v_ashrrev_i32_e32 v1, 31, v0
	v_subbrev_co_u32_e32 v18, vcc, 0, v18, vcc
	v_lshl_add_u64 v[0:1], v[16:17], 0, v[0:1]
	v_lshlrev_b32_e32 v19, 2, v18
	;;#ASMSTART
	global_load_dwordx4 v[4:7], v[0:1], off offset:0   
	global_load_dwordx4 v[0:3], v[0:1], off offset:64  
	
	;;#ASMEND
	ds_read_b32 v20, v19 offset:6144
	v_add_u32_e32 v19, 0x1800, v19
	s_waitcnt lgkmcnt(0)
	v_cmp_ne_u32_e32 vcc, v20, v30
	s_and_saveexec_b64 s[12:13], vcc
	s_cbranch_execz .LBB37_41
; %bb.43:                               ;   in Loop: Header=BB37_42 Depth=2
	s_mov_b64 s[14:15], 0
.LBB37_44:                              ;   Parent Loop BB37_7 Depth=1
                                        ;     Parent Loop BB37_42 Depth=2
                                        ; =>    This Inner Loop Header: Depth=3
	;;#ASMSTART
	s_sleep 0
	;;#ASMEND
	ds_read_b32 v20, v19
	s_waitcnt lgkmcnt(0)
	v_cmp_eq_u32_e32 vcc, v20, v30
	s_or_b64 s[14:15], vcc, s[14:15]
	s_andn2_b64 exec, exec, s[14:15]
	s_cbranch_execnz .LBB37_44
	s_branch .LBB37_41
.LBB37_45:
	s_endpgm
	.section	.rodata,"a",@progbits
	.p2align	6, 0x0
	.amdhsa_kernel _Z19_skinny_gemm_kernelILi1ELi2ELi1ELi16ELi4EEvPKhS1_P6__halfPKfiiiiiiii
		.amdhsa_group_segment_fixed_size 6156
		.amdhsa_private_segment_fixed_size 0
		.amdhsa_kernarg_size 64
		.amdhsa_user_sgpr_count 2
		.amdhsa_user_sgpr_dispatch_ptr 0
		.amdhsa_user_sgpr_queue_ptr 0
		.amdhsa_user_sgpr_kernarg_segment_ptr 1
		.amdhsa_user_sgpr_dispatch_id 0
		.amdhsa_user_sgpr_kernarg_preload_length 0
		.amdhsa_user_sgpr_kernarg_preload_offset 0
		.amdhsa_user_sgpr_private_segment_size 0
		.amdhsa_uses_dynamic_stack 0
		.amdhsa_enable_private_segment 0
		.amdhsa_system_sgpr_workgroup_id_x 1
		.amdhsa_system_sgpr_workgroup_id_y 0
		.amdhsa_system_sgpr_workgroup_id_z 0
		.amdhsa_system_sgpr_workgroup_info 0
		.amdhsa_system_vgpr_workitem_id 0
		.amdhsa_next_free_vgpr 50
		.amdhsa_next_free_sgpr 65
		.amdhsa_accum_offset 52
		.amdhsa_reserve_vcc 1
		.amdhsa_float_round_mode_32 0
		.amdhsa_float_round_mode_16_64 0
		.amdhsa_float_denorm_mode_32 3
		.amdhsa_float_denorm_mode_16_64 3
		.amdhsa_dx10_clamp 1
		.amdhsa_ieee_mode 1
		.amdhsa_fp16_overflow 0
		.amdhsa_tg_split 0
		.amdhsa_exception_fp_ieee_invalid_op 0
		.amdhsa_exception_fp_denorm_src 0
		.amdhsa_exception_fp_ieee_div_zero 0
		.amdhsa_exception_fp_ieee_overflow 0
		.amdhsa_exception_fp_ieee_underflow 0
		.amdhsa_exception_fp_ieee_inexact 0
		.amdhsa_exception_int_div_zero 0
	.end_amdhsa_kernel
	.section	.text._Z19_skinny_gemm_kernelILi1ELi2ELi1ELi16ELi4EEvPKhS1_P6__halfPKfiiiiiiii,"axG",@progbits,_Z19_skinny_gemm_kernelILi1ELi2ELi1ELi16ELi4EEvPKhS1_P6__halfPKfiiiiiiii,comdat
.Lfunc_end37:
	.size	_Z19_skinny_gemm_kernelILi1ELi2ELi1ELi16ELi4EEvPKhS1_P6__halfPKfiiiiiiii, .Lfunc_end37-_Z19_skinny_gemm_kernelILi1ELi2ELi1ELi16ELi4EEvPKhS1_P6__halfPKfiiiiiiii
                                        ; -- End function
	.set _Z19_skinny_gemm_kernelILi1ELi2ELi1ELi16ELi4EEvPKhS1_P6__halfPKfiiiiiiii.num_vgpr, 50
	.set _Z19_skinny_gemm_kernelILi1ELi2ELi1ELi16ELi4EEvPKhS1_P6__halfPKfiiiiiiii.num_agpr, 0
	.set _Z19_skinny_gemm_kernelILi1ELi2ELi1ELi16ELi4EEvPKhS1_P6__halfPKfiiiiiiii.numbered_sgpr, 65
	.set _Z19_skinny_gemm_kernelILi1ELi2ELi1ELi16ELi4EEvPKhS1_P6__halfPKfiiiiiiii.num_named_barrier, 0
	.set _Z19_skinny_gemm_kernelILi1ELi2ELi1ELi16ELi4EEvPKhS1_P6__halfPKfiiiiiiii.private_seg_size, 0
	.set _Z19_skinny_gemm_kernelILi1ELi2ELi1ELi16ELi4EEvPKhS1_P6__halfPKfiiiiiiii.uses_vcc, 1
	.set _Z19_skinny_gemm_kernelILi1ELi2ELi1ELi16ELi4EEvPKhS1_P6__halfPKfiiiiiiii.uses_flat_scratch, 0
	.set _Z19_skinny_gemm_kernelILi1ELi2ELi1ELi16ELi4EEvPKhS1_P6__halfPKfiiiiiiii.has_dyn_sized_stack, 0
	.set _Z19_skinny_gemm_kernelILi1ELi2ELi1ELi16ELi4EEvPKhS1_P6__halfPKfiiiiiiii.has_recursion, 0
	.set _Z19_skinny_gemm_kernelILi1ELi2ELi1ELi16ELi4EEvPKhS1_P6__halfPKfiiiiiiii.has_indirect_call, 0
	.section	.AMDGPU.csdata,"",@progbits
; Kernel info:
; codeLenInByte = 3152
; TotalNumSgprs: 71
; NumVgprs: 50
; NumAgprs: 0
; TotalNumVgprs: 50
; ScratchSize: 0
; MemoryBound: 0
; FloatMode: 240
; IeeeMode: 1
; LDSByteSize: 6156 bytes/workgroup (compile time only)
; SGPRBlocks: 8
; VGPRBlocks: 6
; NumSGPRsForWavesPerEU: 71
; NumVGPRsForWavesPerEU: 50
; AccumOffset: 52
; Occupancy: 8
; WaveLimiterHint : 0
; COMPUTE_PGM_RSRC2:SCRATCH_EN: 0
; COMPUTE_PGM_RSRC2:USER_SGPR: 2
; COMPUTE_PGM_RSRC2:TRAP_HANDLER: 0
; COMPUTE_PGM_RSRC2:TGID_X_EN: 1
; COMPUTE_PGM_RSRC2:TGID_Y_EN: 0
; COMPUTE_PGM_RSRC2:TGID_Z_EN: 0
; COMPUTE_PGM_RSRC2:TIDIG_COMP_CNT: 0
; COMPUTE_PGM_RSRC3_GFX90A:ACCUM_OFFSET: 12
; COMPUTE_PGM_RSRC3_GFX90A:TG_SPLIT: 0
	.section	.text._Z19_skinny_gemm_kernelILi1ELi2ELi1ELi16ELi8EEvPKhS1_P6__halfPKfiiiiiiii,"axG",@progbits,_Z19_skinny_gemm_kernelILi1ELi2ELi1ELi16ELi8EEvPKhS1_P6__halfPKfiiiiiiii,comdat
	.protected	_Z19_skinny_gemm_kernelILi1ELi2ELi1ELi16ELi8EEvPKhS1_P6__halfPKfiiiiiiii ; -- Begin function _Z19_skinny_gemm_kernelILi1ELi2ELi1ELi16ELi8EEvPKhS1_P6__halfPKfiiiiiiii
	.globl	_Z19_skinny_gemm_kernelILi1ELi2ELi1ELi16ELi8EEvPKhS1_P6__halfPKfiiiiiiii
	.p2align	8
	.type	_Z19_skinny_gemm_kernelILi1ELi2ELi1ELi16ELi8EEvPKhS1_P6__halfPKfiiiiiiii,@function
_Z19_skinny_gemm_kernelILi1ELi2ELi1ELi16ELi8EEvPKhS1_P6__halfPKfiiiiiiii: ; @_Z19_skinny_gemm_kernelILi1ELi2ELi1ELi16ELi8EEvPKhS1_P6__halfPKfiiiiiiii
; %bb.0:
	v_cmp_gt_u32_e32 vcc, 3, v0
	v_lshlrev_b32_e32 v1, 2, v0
	s_and_saveexec_b64 s[4:5], vcc
; %bb.1:
	v_mov_b32_e32 v2, 0
	ds_write_b32 v1, v2 offset:12288
; %bb.2:
	s_or_b64 exec, exec, s[4:5]
	s_load_dwordx8 s[16:23], s[0:1], 0x20
	s_waitcnt lgkmcnt(0)
	s_barrier
	s_add_i32 s3, s16, 15
	s_ashr_i32 s5, s3, 31
	s_add_i32 s4, s17, 31
	s_lshr_b32 s5, s5, 28
	s_ashr_i32 s6, s4, 31
	s_add_i32 s3, s3, s5
	s_ashr_i32 s33, s3, 4
	s_lshr_b32 s3, s6, 27
	s_add_i32 s4, s4, s3
	s_ashr_i32 s44, s4, 5
	s_mul_i32 s3, s44, s33
	s_mul_i32 s3, s3, s20
	s_add_i32 s4, s3, 0x12f
	s_mul_hi_i32 s4, s4, 0x6bca1af3
	s_lshr_b32 s5, s4, 31
	s_ashr_i32 s4, s4, 7
	s_add_i32 s4, s4, s5
	s_add_i32 s5, s2, 1
	s_mul_i32 s5, s4, s5
	v_cvt_f64_i32_e32 v[2:3], s3
	v_cvt_f64_u32_e32 v[4:5], s5
	v_min_f64 v[2:3], v[2:3], v[4:5]
	v_cvt_i32_f64_e32 v17, v[2:3]
	s_mul_i32 s45, s4, s2
	v_cmp_ge_i32_e32 vcc, s45, v17
	s_cbranch_vccnz .LBB38_45
; %bb.3:
	v_lshrrev_b32_e32 v2, 6, v0
	s_add_i32 s4, s22, s21
	s_load_dwordx8 s[24:31], s[0:1], 0x0
	v_cmp_le_i32_e64 s[0:1], s4, v2
	v_mov_b32_e32 v3, s21
	v_cmp_le_i32_e64 s[2:3], s21, v2
	v_mov_b32_e32 v4, s22
	v_cndmask_b32_e64 v4, 0, v4, s[0:1]
	v_cndmask_b32_e64 v3, 0, v3, s[2:3]
	s_abs_i32 s5, s20
	v_add_u32_e32 v3, v3, v4
	v_cvt_f32_u32_e32 v4, s5
	v_sub_u32_e32 v8, v2, v3
	s_ashr_i32 s6, s18, 31
	s_lshr_b32 s6, s6, 24
	v_rcp_iflag_f32_e32 v3, v4
	s_sub_i32 s9, 0, s5
	s_add_i32 s6, s18, s6
	s_ashr_i32 s6, s6, 8
	v_mul_f32_e32 v3, 0x4f7ffffe, v3
	v_cvt_u32_f32_e32 v3, v3
	s_abs_i32 s8, s6
	s_xor_b32 s7, s6, s20
	s_ashr_i32 s7, s7, 31
	v_readfirstlane_b32 s10, v3
	s_mul_i32 s9, s9, s10
	s_mul_hi_u32 s9, s10, s9
	s_add_i32 s10, s10, s9
	s_mul_hi_u32 s9, s8, s10
	s_mul_i32 s10, s9, s5
	s_sub_i32 s8, s8, s10
	s_add_i32 s10, s9, 1
	s_sub_i32 s11, s8, s5
	s_cmp_ge_u32 s8, s5
	s_cselect_b32 s9, s10, s9
	s_cselect_b32 s8, s11, s8
	s_add_i32 s10, s9, 1
	s_cmp_ge_u32 s8, s5
	s_cselect_b32 s5, s10, s9
	s_xor_b32 s5, s5, s7
	s_sub_i32 s46, s5, s7
	s_add_i32 s20, s20, -1
	s_mul_i32 s5, s46, s20
	s_add_i32 s4, s4, s23
	s_sub_i32 s47, s6, s5
	v_cmp_gt_i32_e64 s[4:5], s4, v2
	v_lshlrev_b32_e32 v2, 1, v0
	v_lshlrev_b32_e32 v3, 4, v0
	v_and_b32_e32 v1, 60, v1
	v_and_b32_e32 v2, 64, v2
	;; [unrolled: 1-line block ×3, first 2 shown]
	s_abs_i32 s48, s33
	v_or3_b32 v43, v1, v2, v4
	v_and_b32_e32 v1, 1, v0
	v_cvt_f32_u32_e32 v6, s48
	v_lshlrev_b32_e32 v2, 1, v1
	v_lshrrev_b32_e32 v4, 2, v0
	v_and_b32_e32 v16, 14, v0
	v_sub_u32_e32 v2, v0, v2
	v_and_or_b32 v45, v4, 12, v1
	v_bitop3_b32 v46, v0, 1, v0 bitop3:0xc
	v_bitop3_b32 v47, v0, 3, 1 bitop3:0x6c
	v_and_b32_e32 v20, 48, v3
	v_bfe_u32 v1, v0, 2, 4
	v_and_b32_e32 v3, 60, v0
	v_lshlrev_b32_e32 v5, 8, v0
	v_lshlrev_b32_e32 v0, 6, v0
	v_and_b32_e32 v5, 0x200, v5
	v_and_b32_e32 v0, 64, v0
	v_or3_b32 v49, v3, v5, v0
	v_rcp_iflag_f32_e32 v0, v6
	s_abs_i32 s50, s44
	v_mul_lo_u32 v22, s19, v1
	v_mul_lo_u32 v51, s18, v1
	v_cvt_f32_u32_e32 v1, s50
	v_mul_f32_e32 v0, 0x4f7ffffe, v0
	v_cvt_u32_f32_e32 v0, v0
	v_mad_u64_u32 v[18:19], s[6:7], s17, v45, v[16:17]
	v_rcp_iflag_f32_e32 v1, v1
	v_readfirstlane_b32 s7, v0
	s_sub_i32 s6, 0, s48
	s_mul_i32 s6, s6, s7
	v_mul_f32_e32 v0, 0x4f7ffffe, v1
	v_cvt_u32_f32_e32 v0, v0
	s_mul_hi_u32 s6, s7, s6
	v_add_u32_e32 v2, 1, v2
	s_add_i32 s52, s7, s6
	s_sub_i32 s6, 0, s50
	v_readfirstlane_b32 s7, v0
	v_mbcnt_lo_u32_b32 v0, -1, 0
	v_and_b32_e32 v2, 63, v2
	s_mul_i32 s6, s6, s7
	v_mbcnt_hi_u32_b32 v0, -1, v0
	s_mul_hi_u32 s6, s7, s6
	v_and_or_b32 v0, v0, 64, v2
	v_cndmask_b32_e64 v42, 0, 1, s[0:1]
	v_or_b32_e32 v44, 0x2000, v43
	v_or_b32_e32 v48, 16, v16
	v_ashrrev_i32_e32 v19, 31, v18
	s_ashr_i32 s35, s17, 31
	s_mov_b32 s34, s17
	v_ashrrev_i32_e32 v23, 31, v22
	v_mov_b32_e32 v21, 0
	s_lshl_b32 s49, s19, 4
	v_bitop3_b32 v50, v4, 15, v4 bitop3:0xc
	v_or_b32_e32 v52, 0x2000, v49
	s_ashr_i32 s51, s33, 31
	s_ashr_i32 s53, s44, 31
	s_add_i32 s54, s7, s6
	v_lshlrev_b32_e32 v53, 2, v0
	v_mov_b32_e32 v54, v8
	s_branch .LBB38_7
.LBB38_4:                               ;   in Loop: Header=BB38_7 Depth=1
	s_or_b64 exec, exec, s[10:11]
.LBB38_5:                               ;   in Loop: Header=BB38_7 Depth=1
	s_or_b64 exec, exec, s[8:9]
	v_subrev_u32_e32 v54, s55, v54
.LBB38_6:                               ;   in Loop: Header=BB38_7 Depth=1
	s_or_b64 exec, exec, s[6:7]
	s_add_i32 s45, s45, 1
	v_cmp_ge_i32_e32 vcc, s45, v17
	s_cbranch_vccnz .LBB38_45
.LBB38_7:                               ; =>This Loop Header: Depth=1
                                        ;     Child Loop BB38_13 Depth 2
                                        ;       Child Loop BB38_15 Depth 3
                                        ;       Child Loop BB38_18 Depth 3
	;; [unrolled: 1-line block ×3, first 2 shown]
                                        ;     Child Loop BB38_32 Depth 2
                                        ;       Child Loop BB38_34 Depth 3
                                        ;     Child Loop BB38_42 Depth 2
                                        ;       Child Loop BB38_44 Depth 3
	s_abs_i32 s7, s45
	s_mul_hi_u32 s8, s7, s52
	s_mul_i32 s9, s8, s48
	s_ashr_i32 s6, s45, 31
	s_sub_i32 s7, s7, s9
	s_xor_b32 s6, s6, s51
	s_add_i32 s9, s8, 1
	s_sub_i32 s10, s7, s48
	s_cmp_ge_u32 s7, s48
	s_cselect_b32 s8, s9, s8
	s_cselect_b32 s7, s10, s7
	s_add_i32 s9, s8, 1
	s_cmp_ge_u32 s7, s48
	s_cselect_b32 s7, s9, s8
	s_xor_b32 s7, s7, s6
	s_sub_i32 s6, s7, s6
	s_abs_i32 s8, s6
	s_mul_i32 s7, s6, s33
	s_mul_hi_u32 s9, s8, s54
	s_sub_i32 s7, s45, s7
	s_mul_i32 s10, s9, s50
	s_lshl_b32 s56, s7, 4
	s_ashr_i32 s7, s6, 31
	s_sub_i32 s8, s8, s10
	s_xor_b32 s7, s7, s53
	s_add_i32 s10, s9, 1
	s_sub_i32 s11, s8, s50
	s_cmp_ge_u32 s8, s50
	s_cselect_b32 s9, s10, s9
	s_cselect_b32 s8, s11, s8
	s_add_i32 s10, s9, 1
	s_cmp_ge_u32 s8, s50
	s_cselect_b32 s8, s10, s9
	s_xor_b32 s8, s8, s7
	s_sub_i32 s7, s8, s7
	s_mul_i32 s8, s7, s46
	s_lshl_b32 s57, s8, 8
	s_cmp_eq_u32 s7, s20
	s_cselect_b32 s55, s47, s46
	s_sub_i32 s58, s56, s16
	s_add_i32 s58, s58, 16
	s_and_saveexec_b64 s[8:9], s[2:3]
	s_xor_b64 s[36:37], exec, s[8:9]
	s_cbranch_execz .LBB38_38
; %bb.8:                                ;   in Loop: Header=BB38_7 Depth=1
	s_mul_i32 s7, s7, s44
	s_sub_i32 s6, s6, s7
	s_lshl_b32 s6, s6, 5
	s_sub_i32 s14, s6, s17
	s_add_i32 s14, s14, 32
	s_max_i32 s7, s14, 0
	s_sub_i32 s38, s6, s7
	s_and_saveexec_b64 s[6:7], s[0:1]
	s_xor_b64 s[40:41], exec, s[6:7]
	s_cbranch_execz .LBB38_28
; %bb.9:                                ;   in Loop: Header=BB38_7 Depth=1
	s_and_saveexec_b64 s[42:43], s[4:5]
	s_cbranch_execz .LBB38_27
; %bb.10:                               ;   in Loop: Header=BB38_7 Depth=1
	s_waitcnt lgkmcnt(0)
	global_load_dword v55, v21, s[30:31]
	v_mov_b32_e32 v7, 0
	v_cmp_gt_i32_e32 vcc, s55, v54
	v_mov_b32_e32 v6, v7
	v_mov_b32_e32 v5, v7
	;; [unrolled: 1-line block ×7, first 2 shown]
	s_and_saveexec_b64 s[6:7], vcc
	s_cbranch_execz .LBB38_23
; %bb.11:                               ;   in Loop: Header=BB38_7 Depth=1
	v_mov_b32_e32 v0, 0
	s_mov_b64 s[8:9], 0
	v_mov_b32_e32 v1, v0
	v_mov_b32_e32 v2, v0
	;; [unrolled: 1-line block ×7, first 2 shown]
	s_branch .LBB38_13
.LBB38_12:                              ;   in Loop: Header=BB38_13 Depth=2
	s_or_b64 exec, exec, s[10:11]
	v_add_u32_e32 v28, v43, v59
	v_add_u32_e32 v29, 0x1000, v28
	ds_read2_b32 v[26:27], v29 offset1:32
	v_add_u32_e32 v54, s23, v54
	v_cmp_le_i32_e32 vcc, s55, v54
	s_or_b64 s[8:9], vcc, s[8:9]
	s_waitcnt lgkmcnt(0)
	v_mfma_f32_16x16x32_fp8_fp8 v[0:3], v[8:9], v[26:27], v[0:3]
	ds_read2_b32 v[8:9], v29 offset0:128 offset1:160
	v_add_u32_e32 v26, 0x1400, v28
	s_waitcnt lgkmcnt(0)
	v_mfma_f32_16x16x32_fp8_fp8 v[0:3], v[10:11], v[8:9], v[0:3]
	ds_read2_b32 v[8:9], v26 offset1:32
	v_add_u32_e32 v10, 0x1800, v28
	s_waitcnt lgkmcnt(0)
	v_mfma_f32_16x16x32_fp8_fp8 v[0:3], v[38:39], v[8:9], v[0:3]
	ds_read2_b32 v[8:9], v26 offset0:128 offset1:160
	v_add_u32_e32 v26, 0x1c00, v28
	s_waitcnt lgkmcnt(0)
	v_mfma_f32_16x16x32_fp8_fp8 v[0:3], v[36:37], v[8:9], v[0:3]
	ds_read2_b32 v[8:9], v10 offset1:32
	s_waitcnt lgkmcnt(0)
	v_mfma_f32_16x16x32_fp8_fp8 v[0:3], v[40:41], v[8:9], v[0:3]
	ds_read2_b32 v[8:9], v10 offset0:128 offset1:160
	ds_read2_b32 v[10:11], v26 offset1:32
	s_waitcnt lgkmcnt(1)
	v_mfma_f32_16x16x32_fp8_fp8 v[0:3], v[24:25], v[8:9], v[0:3]
	ds_read2_b32 v[24:25], v26 offset0:128 offset1:160
	v_add_u32_e32 v8, s23, v57
	v_add_u32_e32 v9, 2, v42
	s_waitcnt lgkmcnt(1)
	v_mfma_f32_16x16x32_fp8_fp8 v[0:3], v[14:15], v[10:11], v[0:3]
	v_cmp_lt_i32_e32 vcc, 0, v8
	;;#ASMSTART
	s_waitcnt lgkmcnt(0)
	;;#ASMEND
	ds_write_b32 v56, v58 offset:12296
	s_waitcnt lgkmcnt(1)
	v_mfma_f32_16x16x32_fp8_fp8 v[0:3], v[12:13], v[24:25], v[0:3]
	v_cndmask_b32_e32 v42, v42, v9, vcc
	s_andn2_b64 exec, exec, s[8:9]
	s_cbranch_execz .LBB38_22
.LBB38_13:                              ;   Parent Loop BB38_7 Depth=1
                                        ; =>  This Loop Header: Depth=2
                                        ;       Child Loop BB38_15 Depth 3
                                        ;       Child Loop BB38_18 Depth 3
	;; [unrolled: 1-line block ×3, first 2 shown]
	v_cmp_lt_i32_e32 vcc, 0, v8
	s_nop 1
	v_subbrev_co_u32_e32 v57, vcc, 0, v8, vcc
	v_lshlrev_b32_e32 v56, 3, v57
	ds_read_b32 v8, v56 offset:12292
	s_waitcnt lgkmcnt(0)
	v_cmp_ne_u32_e32 vcc, v8, v42
	s_and_saveexec_b64 s[10:11], vcc
	s_cbranch_execz .LBB38_16
; %bb.14:                               ;   in Loop: Header=BB38_13 Depth=2
	s_mov_b64 s[12:13], 0
.LBB38_15:                              ;   Parent Loop BB38_7 Depth=1
                                        ;     Parent Loop BB38_13 Depth=2
                                        ; =>    This Inner Loop Header: Depth=3
	;;#ASMSTART
	s_sleep 0
	;;#ASMEND
	ds_read_b32 v8, v56 offset:12292
	s_waitcnt lgkmcnt(0)
	v_cmp_eq_u32_e32 vcc, v8, v42
	s_or_b64 s[12:13], vcc, s[12:13]
	s_andn2_b64 exec, exec, s[12:13]
	s_cbranch_execnz .LBB38_15
.LBB38_16:                              ;   in Loop: Header=BB38_13 Depth=2
	s_or_b64 exec, exec, s[10:11]
	v_lshlrev_b32_e32 v59, 13, v57
	v_or_b32_e32 v8, v43, v59
	v_add_u32_e32 v9, 0x400, v8
	ds_read2_b32 v[12:13], v8 offset1:32
	ds_read2_b32 v[14:15], v8 offset0:128 offset1:160
	ds_read2_b32 v[24:25], v9 offset1:32
	ds_read2_b32 v[26:27], v9 offset0:128 offset1:160
	v_add_u32_e32 v9, 0x800, v8
	v_add_u32_e32 v8, 0xc00, v8
	;; [unrolled: 1-line block ×3, first 2 shown]
	ds_read2_b32 v[28:29], v9 offset1:32
	ds_read2_b32 v[30:31], v9 offset0:128 offset1:160
	ds_read2_b32 v[34:35], v8 offset1:32
	ds_read2_b32 v[32:33], v8 offset0:128 offset1:160
	;;#ASMSTART
	s_waitcnt lgkmcnt(0)
	;;#ASMEND
	ds_write_b32 v56, v58 offset:12292
	v_lshlrev_b32_e32 v8, 2, v57
	ds_read_b32 v9, v8 offset:12288
	v_add_u32_e32 v60, 0x3000, v8
	s_waitcnt lgkmcnt(0)
	v_cmp_ne_u32_e32 vcc, v9, v42
	s_and_saveexec_b64 s[10:11], vcc
	s_cbranch_execz .LBB38_19
; %bb.17:                               ;   in Loop: Header=BB38_13 Depth=2
	s_mov_b64 s[12:13], 0
.LBB38_18:                              ;   Parent Loop BB38_7 Depth=1
                                        ;     Parent Loop BB38_13 Depth=2
                                        ; =>    This Inner Loop Header: Depth=3
	;;#ASMSTART
	s_sleep 0
	;;#ASMEND
	ds_read_b32 v8, v60
	s_waitcnt lgkmcnt(0)
	v_cmp_eq_u32_e32 vcc, v8, v42
	s_or_b64 s[12:13], vcc, s[12:13]
	s_andn2_b64 exec, exec, s[12:13]
	s_cbranch_execnz .LBB38_18
.LBB38_19:                              ;   in Loop: Header=BB38_13 Depth=2
	s_or_b64 exec, exec, s[10:11]
	v_lshl_add_u32 v61, v57, 12, v44
	ds_read2_b32 v[8:9], v61 offset1:32
	ds_read2_b32 v[10:11], v61 offset0:128 offset1:160
	v_add_u32_e32 v36, 0x400, v61
	ds_read2_b32 v[38:39], v36 offset1:32
	ds_read2_b32 v[36:37], v36 offset0:128 offset1:160
	s_waitcnt lgkmcnt(3)
	v_mfma_f32_16x16x32_fp8_fp8 v[4:7], v[8:9], v[12:13], v[4:7]
	v_add_u32_e32 v12, 0x800, v61
	ds_read2_b32 v[40:41], v12 offset1:32
	ds_write_b32 v60, v58
	s_waitcnt lgkmcnt(4)
	v_mfma_f32_16x16x32_fp8_fp8 v[4:7], v[10:11], v[14:15], v[4:7]
	s_waitcnt lgkmcnt(3)
	v_mfma_f32_16x16x32_fp8_fp8 v[4:7], v[38:39], v[24:25], v[4:7]
	ds_read2_b32 v[24:25], v12 offset0:128 offset1:160
	v_add_u32_e32 v12, 0xc00, v61
	ds_read2_b32 v[14:15], v12 offset1:32
	s_waitcnt lgkmcnt(4)
	v_mfma_f32_16x16x32_fp8_fp8 v[4:7], v[36:37], v[26:27], v[4:7]
	ds_read2_b32 v[12:13], v12 offset0:128 offset1:160
	ds_read_b32 v26, v56 offset:12296
	s_waitcnt lgkmcnt(0)
	v_cmp_ne_u32_e32 vcc, v26, v42
	v_mfma_f32_16x16x32_fp8_fp8 v[4:7], v[40:41], v[28:29], v[4:7]
	v_mfma_f32_16x16x32_fp8_fp8 v[4:7], v[24:25], v[30:31], v[4:7]
	;; [unrolled: 1-line block ×4, first 2 shown]
	s_and_saveexec_b64 s[10:11], vcc
	s_cbranch_execz .LBB38_12
; %bb.20:                               ;   in Loop: Header=BB38_13 Depth=2
	s_mov_b64 s[12:13], 0
.LBB38_21:                              ;   Parent Loop BB38_7 Depth=1
                                        ;     Parent Loop BB38_13 Depth=2
                                        ; =>    This Inner Loop Header: Depth=3
	;;#ASMSTART
	s_sleep 0
	;;#ASMEND
	ds_read_b32 v26, v56 offset:12296
	s_waitcnt lgkmcnt(0)
	v_cmp_eq_u32_e32 vcc, v26, v42
	s_or_b64 s[12:13], vcc, s[12:13]
	s_andn2_b64 exec, exec, s[12:13]
	s_cbranch_execnz .LBB38_21
	s_branch .LBB38_12
.LBB38_22:                              ;   in Loop: Header=BB38_7 Depth=1
	s_or_b64 exec, exec, s[8:9]
.LBB38_23:                              ;   in Loop: Header=BB38_7 Depth=1
	s_or_b64 exec, exec, s[6:7]
	v_cmp_le_i32_e32 vcc, s14, v16
	v_cmp_eq_u32_e64 s[6:7], 2, v46
	v_cmp_eq_u32_e64 s[8:9], 3, v46
	s_waitcnt vmcnt(0)
	v_cndmask_b32_e32 v10, 0, v55, vcc
	v_pk_mul_f32 v[6:7], v[10:11], v[6:7] op_sel_hi:[0,1]
	v_pk_mul_f32 v[10:11], v[10:11], v[4:5] op_sel_hi:[0,1]
	v_cmp_eq_u32_e32 vcc, 1, v46
	v_cmp_eq_u32_e64 s[10:11], 0, v46
	v_cmp_eq_u32_e64 s[12:13], 1, v47
	v_cndmask_b32_e32 v4, v10, v11, vcc
	v_cndmask_b32_e64 v4, v4, v6, s[6:7]
	v_cndmask_b32_e64 v4, v4, v7, s[8:9]
	ds_bpermute_b32 v12, v53, v4
	v_cmp_le_i32_e64 s[14:15], s14, v48
	s_waitcnt lgkmcnt(0)
	v_cndmask_b32_e32 v9, v11, v12, vcc
	v_cndmask_b32_e64 v10, v10, v12, s[10:11]
	v_cndmask_b32_e64 v4, v7, v12, s[8:9]
	;; [unrolled: 1-line block ×5, first 2 shown]
	v_pk_mul_f32 v[14:15], v[6:7], v[0:1] op_sel_hi:[0,1]
	v_pk_mul_f32 v[12:13], v[6:7], v[2:3] op_sel_hi:[0,1]
	v_cndmask_b32_e32 v0, v14, v15, vcc
	v_cndmask_b32_e64 v0, v0, v12, s[6:7]
	v_cndmask_b32_e64 v0, v0, v13, s[8:9]
	ds_bpermute_b32 v1, v53, v0
	v_cmp_eq_u32_e32 vcc, 2, v47
	v_cmp_eq_u32_e64 s[14:15], 3, v47
	s_waitcnt lgkmcnt(0)
	v_cndmask_b32_e64 v6, v12, v1, s[6:7]
	v_cndmask_b32_e32 v0, v7, v5, vcc
	v_cndmask_b32_e64 v0, v0, v4, s[14:15]
	v_cmp_ne_u32_e64 s[6:7], 0, v46
	ds_bpermute_b32 v2, v53, v0
	v_cndmask_b32_e64 v3, v13, v1, s[8:9]
	v_cndmask_b32_e64 v0, v15, v1, s[6:7]
	;; [unrolled: 1-line block ×4, first 2 shown]
	v_cndmask_b32_e32 v7, v7, v6, vcc
	v_cndmask_b32_e64 v7, v7, v3, s[14:15]
	ds_bpermute_b32 v7, v53, v7
	s_max_i32 s6, s58, 0
	v_add_u32_e32 v11, s6, v45
	v_cmp_gt_u32_e32 vcc, 16, v11
	s_and_saveexec_b64 s[12:13], vcc
	s_cbranch_execz .LBB38_26
; %bb.24:                               ;   in Loop: Header=BB38_7 Depth=1
	v_cmp_eq_u32_e64 s[8:9], 1, v47
	v_cmp_eq_u32_e64 s[10:11], 0, v47
	v_cmp_eq_u32_e32 vcc, 3, v47
	s_waitcnt lgkmcnt(1)
	v_cndmask_b32_e64 v9, v9, v2, s[8:9]
	s_waitcnt lgkmcnt(0)
	v_cndmask_b32_e64 v12, v0, v7, s[8:9]
	s_mul_i32 s8, s56, s17
	s_ashr_i32 s9, s8, 31
	s_lshl_b64 s[8:9], s[8:9], 1
	v_cndmask_b32_e64 v10, v10, v2, s[10:11]
	v_cndmask_b32_e64 v13, v1, v7, s[10:11]
	s_add_u32 s10, s28, s8
	s_addc_u32 s11, s29, s9
	s_ashr_i32 s39, s38, 31
	v_cvt_f16_f32_e32 v10, v10
	v_cvt_f16_f32_sdwa v9, v9 dst_sel:WORD_1 dst_unused:UNUSED_PAD src0_sel:DWORD
	s_lshl_b64 s[8:9], s[38:39], 1
	v_cvt_f16_f32_e32 v14, v13
	v_cvt_f16_f32_sdwa v15, v12 dst_sel:WORD_1 dst_unused:UNUSED_PAD src0_sel:DWORD
	s_add_u32 s8, s10, s8
	s_addc_u32 s9, s11, s9
	v_cmp_eq_u32_e64 s[6:7], 2, v47
	v_lshl_add_u64 v[0:1], v[18:19], 1, s[8:9]
	v_or_b32_e32 v9, v9, v10
	v_cmp_gt_u32_e64 s[8:9], 14, v11
	;;#ASMSTART
	global_atomic_pk_add_f16 v[0:1], v9, off
	
	;;#ASMEND
	v_lshl_add_u64 v[12:13], v[0:1], 0, 32
	v_or_b32_e32 v9, v15, v14
	;;#ASMSTART
	global_atomic_pk_add_f16 v[12:13], v9, off
	
	;;#ASMEND
	s_and_b64 exec, exec, s[8:9]
	s_cbranch_execz .LBB38_26
; %bb.25:                               ;   in Loop: Header=BB38_7 Depth=1
	v_cndmask_b32_e32 v4, v4, v2, vcc
	v_cndmask_b32_e64 v2, v5, v2, s[6:7]
	v_cndmask_b32_e32 v3, v3, v7, vcc
	v_cndmask_b32_e64 v5, v6, v7, s[6:7]
	v_cvt_f16_f32_e32 v2, v2
	v_cvt_f16_f32_sdwa v4, v4 dst_sel:WORD_1 dst_unused:UNUSED_PAD src0_sel:DWORD
	v_cvt_f16_f32_e32 v5, v5
	v_cvt_f16_f32_sdwa v3, v3 dst_sel:WORD_1 dst_unused:UNUSED_PAD src0_sel:DWORD
	v_lshl_add_u64 v[0:1], s[34:35], 2, v[0:1]
	v_or_b32_e32 v2, v4, v2
	;;#ASMSTART
	global_atomic_pk_add_f16 v[0:1], v2, off
	
	;;#ASMEND
	v_lshl_add_u64 v[0:1], v[0:1], 0, 32
	v_or_b32_e32 v2, v3, v5
	;;#ASMSTART
	global_atomic_pk_add_f16 v[0:1], v2, off
	
	;;#ASMEND
.LBB38_26:                              ;   in Loop: Header=BB38_7 Depth=1
	s_or_b64 exec, exec, s[12:13]
	v_subrev_u32_e32 v54, s55, v54
.LBB38_27:                              ;   in Loop: Header=BB38_7 Depth=1
	s_or_b64 exec, exec, s[42:43]
.LBB38_28:                              ;   in Loop: Header=BB38_7 Depth=1
	s_andn2_saveexec_b64 s[6:7], s[40:41]
	s_cbranch_execz .LBB38_37
; %bb.29:                               ;   in Loop: Header=BB38_7 Depth=1
	s_lshl_b32 s39, s55, 1
	v_cmp_gt_i32_e32 vcc, s39, v54
	s_and_saveexec_b64 s[8:9], vcc
	s_cbranch_execz .LBB38_36
; %bb.30:                               ;   in Loop: Header=BB38_7 Depth=1
	s_mul_i32 s10, s38, s19
	s_ashr_i32 s11, s10, 31
	s_waitcnt lgkmcnt(0)
	s_add_u32 s10, s26, s10
	s_addc_u32 s11, s27, s11
	s_ashr_i32 s12, s57, 31
	s_add_u32 s10, s10, s57
	s_addc_u32 s11, s11, s12
	v_lshl_add_u64 v[0:1], s[10:11], 0, v[22:23]
	v_lshl_add_u64 v[24:25], v[0:1], 0, v[20:21]
	s_mov_b64 s[10:11], 0
	s_branch .LBB38_32
.LBB38_31:                              ;   in Loop: Header=BB38_32 Depth=2
	s_or_b64 exec, exec, s[12:13]
	v_lshl_or_b32 v28, v26, 12, v49
	;;#ASMSTART
	s_waitcnt vmcnt(3)
	;;#ASMEND
	ds_write2_b32 v28, v12, v13 offset1:32
	ds_write2_b32 v28, v14, v15 offset0:64 offset1:96
	v_add_u32_e32 v12, 0x400, v28
	;;#ASMSTART
	s_waitcnt vmcnt(2)
	;;#ASMEND
	ds_write2_b32 v12, v8, v9 offset1:32
	ds_write2_b32 v12, v10, v11 offset0:64 offset1:96
	v_add_u32_e32 v8, 0x800, v28
	;;#ASMSTART
	s_waitcnt vmcnt(1)
	;;#ASMEND
	ds_write2_b32 v8, v4, v5 offset1:32
	ds_write2_b32 v8, v6, v7 offset0:64 offset1:96
	v_add_u32_e32 v4, 0xc00, v28
	v_add_u32_e32 v54, s22, v54
	;;#ASMSTART
	s_waitcnt vmcnt(0)
	;;#ASMEND
	ds_write2_b32 v4, v0, v1 offset1:32
	ds_write2_b32 v4, v2, v3 offset0:64 offset1:96
	v_add_u32_e32 v0, 1, v42
	v_add_u32_e32 v8, s22, v26
	v_cmp_le_i32_e32 vcc, s39, v54
	ds_write_b32 v27, v0 offset:4
	v_add_u32_e32 v0, 2, v42
	s_or_b64 s[10:11], vcc, s[10:11]
	v_cmp_lt_i32_e32 vcc, 1, v8
	s_nop 1
	v_cndmask_b32_e32 v42, v42, v0, vcc
	s_andn2_b64 exec, exec, s[10:11]
	s_cbranch_execz .LBB38_35
.LBB38_32:                              ;   Parent Loop BB38_7 Depth=1
                                        ; =>  This Loop Header: Depth=2
                                        ;       Child Loop BB38_34 Depth 3
	v_cmp_gt_i32_e32 vcc, 2, v8
	s_nop 1
	v_cndmask_b32_e64 v0, -2, 0, vcc
	v_add_u32_e32 v26, v0, v8
	v_lshrrev_b32_e32 v0, 31, v54
	v_add_u32_e32 v0, v54, v0
	v_and_b32_e32 v1, -2, v0
	v_lshlrev_b32_e32 v0, 7, v0
	v_sub_u32_e32 v2, v54, v1
	v_and_b32_e32 v0, 0xffffff00, v0
	v_ashrrev_i32_e32 v1, 31, v0
	v_mul_lo_u32 v2, s49, v2
	v_lshl_add_u64 v[0:1], v[24:25], 0, v[0:1]
	v_ashrrev_i32_e32 v3, 31, v2
	v_lshl_add_u64 v[0:1], v[0:1], 0, v[2:3]
	v_lshlrev_b32_e32 v27, 2, v26
	;;#ASMSTART
	global_load_dwordx4 v[12:15], v[0:1], off offset:0    sc0 sc1 nt  
	global_load_dwordx4 v[8:11], v[0:1], off offset:64   sc0 sc1 nt  
	global_load_dwordx4 v[4:7], v[0:1], off offset:128  sc0 sc1 nt  
	global_load_dwordx4 v[0:3], v[0:1], off offset:192  sc0 sc1 nt  
	
	;;#ASMEND
	ds_read_b32 v28, v27 offset:12292
	v_add_u32_e32 v27, 0x3000, v27
	s_waitcnt lgkmcnt(0)
	v_cmp_ne_u32_e32 vcc, v28, v42
	s_and_saveexec_b64 s[12:13], vcc
	s_cbranch_execz .LBB38_31
; %bb.33:                               ;   in Loop: Header=BB38_32 Depth=2
	s_mov_b64 s[14:15], 0
.LBB38_34:                              ;   Parent Loop BB38_7 Depth=1
                                        ;     Parent Loop BB38_32 Depth=2
                                        ; =>    This Inner Loop Header: Depth=3
	;;#ASMSTART
	s_sleep 0
	;;#ASMEND
	ds_read_b32 v28, v27 offset:4
	s_waitcnt lgkmcnt(0)
	v_cmp_eq_u32_e32 vcc, v28, v42
	s_or_b64 s[14:15], vcc, s[14:15]
	s_andn2_b64 exec, exec, s[14:15]
	s_cbranch_execnz .LBB38_34
	s_branch .LBB38_31
.LBB38_35:                              ;   in Loop: Header=BB38_7 Depth=1
	s_or_b64 exec, exec, s[10:11]
.LBB38_36:                              ;   in Loop: Header=BB38_7 Depth=1
	s_or_b64 exec, exec, s[8:9]
	v_subrev_u32_e32 v54, s39, v54
.LBB38_37:                              ;   in Loop: Header=BB38_7 Depth=1
	s_or_b64 exec, exec, s[6:7]
.LBB38_38:                              ;   in Loop: Header=BB38_7 Depth=1
	s_andn2_saveexec_b64 s[6:7], s[36:37]
	s_cbranch_execz .LBB38_6
; %bb.39:                               ;   in Loop: Header=BB38_7 Depth=1
	v_cmp_gt_i32_e32 vcc, s55, v54
	s_and_saveexec_b64 s[8:9], vcc
	s_cbranch_execz .LBB38_5
; %bb.40:                               ;   in Loop: Header=BB38_7 Depth=1
	s_mul_i32 s56, s56, s18
	s_ashr_i32 s10, s56, 31
	s_waitcnt lgkmcnt(0)
	s_add_u32 s11, s24, s56
	s_addc_u32 s12, s25, s10
	s_ashr_i32 s13, s57, 31
	v_cmp_le_i32_e32 vcc, s58, v50
	s_add_u32 s10, s11, s57
	s_addc_u32 s11, s12, s13
	v_cndmask_b32_e32 v0, 0, v51, vcc
	v_ashrrev_i32_e32 v1, 31, v0
	v_lshl_add_u64 v[0:1], s[10:11], 0, v[0:1]
	v_lshl_add_u64 v[24:25], v[0:1], 0, v[20:21]
	s_mov_b64 s[10:11], 0
	s_branch .LBB38_42
.LBB38_41:                              ;   in Loop: Header=BB38_42 Depth=2
	s_or_b64 exec, exec, s[12:13]
	v_lshl_add_u32 v28, v26, 12, v52
	;;#ASMSTART
	s_waitcnt vmcnt(3)
	;;#ASMEND
	ds_write2_b32 v28, v12, v13 offset1:32
	ds_write2_b32 v28, v14, v15 offset0:64 offset1:96
	v_add_u32_e32 v12, 0x400, v28
	;;#ASMSTART
	s_waitcnt vmcnt(2)
	;;#ASMEND
	ds_write2_b32 v12, v8, v9 offset1:32
	ds_write2_b32 v12, v10, v11 offset0:64 offset1:96
	v_add_u32_e32 v8, 0x800, v28
	;;#ASMSTART
	s_waitcnt vmcnt(1)
	;;#ASMEND
	ds_write2_b32 v8, v4, v5 offset1:32
	ds_write2_b32 v8, v6, v7 offset0:64 offset1:96
	v_add_u32_e32 v4, 0xc00, v28
	v_add_u32_e32 v54, s21, v54
	;;#ASMSTART
	s_waitcnt vmcnt(0)
	;;#ASMEND
	ds_write2_b32 v4, v0, v1 offset1:32
	ds_write2_b32 v4, v2, v3 offset0:64 offset1:96
	v_add_u32_e32 v0, 1, v42
	v_add_u32_e32 v8, s21, v26
	v_cmp_le_i32_e32 vcc, s55, v54
	ds_write_b32 v27, v0
	v_add_u32_e32 v0, 2, v42
	s_or_b64 s[10:11], vcc, s[10:11]
	v_cmp_lt_i32_e32 vcc, 0, v8
	s_nop 1
	v_cndmask_b32_e32 v42, v42, v0, vcc
	s_andn2_b64 exec, exec, s[10:11]
	s_cbranch_execz .LBB38_4
.LBB38_42:                              ;   Parent Loop BB38_7 Depth=1
                                        ; =>  This Loop Header: Depth=2
                                        ;       Child Loop BB38_44 Depth 3
	v_cmp_lt_i32_e32 vcc, 0, v8
	v_lshlrev_b32_e32 v0, 8, v54
	v_ashrrev_i32_e32 v1, 31, v0
	v_subbrev_co_u32_e32 v26, vcc, 0, v8, vcc
	v_lshl_add_u64 v[0:1], v[24:25], 0, v[0:1]
	v_lshlrev_b32_e32 v27, 2, v26
	;;#ASMSTART
	global_load_dwordx4 v[12:15], v[0:1], off offset:0    
	global_load_dwordx4 v[8:11], v[0:1], off offset:64   
	;; [unrolled: 1-line block ×4, first 2 shown]
	
	;;#ASMEND
	ds_read_b32 v28, v27 offset:12288
	v_add_u32_e32 v27, 0x3000, v27
	s_waitcnt lgkmcnt(0)
	v_cmp_ne_u32_e32 vcc, v28, v42
	s_and_saveexec_b64 s[12:13], vcc
	s_cbranch_execz .LBB38_41
; %bb.43:                               ;   in Loop: Header=BB38_42 Depth=2
	s_mov_b64 s[14:15], 0
.LBB38_44:                              ;   Parent Loop BB38_7 Depth=1
                                        ;     Parent Loop BB38_42 Depth=2
                                        ; =>    This Inner Loop Header: Depth=3
	;;#ASMSTART
	s_sleep 0
	;;#ASMEND
	ds_read_b32 v28, v27
	s_waitcnt lgkmcnt(0)
	v_cmp_eq_u32_e32 vcc, v28, v42
	s_or_b64 s[14:15], vcc, s[14:15]
	s_andn2_b64 exec, exec, s[14:15]
	s_cbranch_execnz .LBB38_44
	s_branch .LBB38_41
.LBB38_45:
	s_endpgm
	.section	.rodata,"a",@progbits
	.p2align	6, 0x0
	.amdhsa_kernel _Z19_skinny_gemm_kernelILi1ELi2ELi1ELi16ELi8EEvPKhS1_P6__halfPKfiiiiiiii
		.amdhsa_group_segment_fixed_size 12300
		.amdhsa_private_segment_fixed_size 0
		.amdhsa_kernarg_size 64
		.amdhsa_user_sgpr_count 2
		.amdhsa_user_sgpr_dispatch_ptr 0
		.amdhsa_user_sgpr_queue_ptr 0
		.amdhsa_user_sgpr_kernarg_segment_ptr 1
		.amdhsa_user_sgpr_dispatch_id 0
		.amdhsa_user_sgpr_kernarg_preload_length 0
		.amdhsa_user_sgpr_kernarg_preload_offset 0
		.amdhsa_user_sgpr_private_segment_size 0
		.amdhsa_uses_dynamic_stack 0
		.amdhsa_enable_private_segment 0
		.amdhsa_system_sgpr_workgroup_id_x 1
		.amdhsa_system_sgpr_workgroup_id_y 0
		.amdhsa_system_sgpr_workgroup_id_z 0
		.amdhsa_system_sgpr_workgroup_info 0
		.amdhsa_system_vgpr_workitem_id 0
		.amdhsa_next_free_vgpr 62
		.amdhsa_next_free_sgpr 59
		.amdhsa_accum_offset 64
		.amdhsa_reserve_vcc 1
		.amdhsa_float_round_mode_32 0
		.amdhsa_float_round_mode_16_64 0
		.amdhsa_float_denorm_mode_32 3
		.amdhsa_float_denorm_mode_16_64 3
		.amdhsa_dx10_clamp 1
		.amdhsa_ieee_mode 1
		.amdhsa_fp16_overflow 0
		.amdhsa_tg_split 0
		.amdhsa_exception_fp_ieee_invalid_op 0
		.amdhsa_exception_fp_denorm_src 0
		.amdhsa_exception_fp_ieee_div_zero 0
		.amdhsa_exception_fp_ieee_overflow 0
		.amdhsa_exception_fp_ieee_underflow 0
		.amdhsa_exception_fp_ieee_inexact 0
		.amdhsa_exception_int_div_zero 0
	.end_amdhsa_kernel
	.section	.text._Z19_skinny_gemm_kernelILi1ELi2ELi1ELi16ELi8EEvPKhS1_P6__halfPKfiiiiiiii,"axG",@progbits,_Z19_skinny_gemm_kernelILi1ELi2ELi1ELi16ELi8EEvPKhS1_P6__halfPKfiiiiiiii,comdat
.Lfunc_end38:
	.size	_Z19_skinny_gemm_kernelILi1ELi2ELi1ELi16ELi8EEvPKhS1_P6__halfPKfiiiiiiii, .Lfunc_end38-_Z19_skinny_gemm_kernelILi1ELi2ELi1ELi16ELi8EEvPKhS1_P6__halfPKfiiiiiiii
                                        ; -- End function
	.set _Z19_skinny_gemm_kernelILi1ELi2ELi1ELi16ELi8EEvPKhS1_P6__halfPKfiiiiiiii.num_vgpr, 62
	.set _Z19_skinny_gemm_kernelILi1ELi2ELi1ELi16ELi8EEvPKhS1_P6__halfPKfiiiiiiii.num_agpr, 0
	.set _Z19_skinny_gemm_kernelILi1ELi2ELi1ELi16ELi8EEvPKhS1_P6__halfPKfiiiiiiii.numbered_sgpr, 59
	.set _Z19_skinny_gemm_kernelILi1ELi2ELi1ELi16ELi8EEvPKhS1_P6__halfPKfiiiiiiii.num_named_barrier, 0
	.set _Z19_skinny_gemm_kernelILi1ELi2ELi1ELi16ELi8EEvPKhS1_P6__halfPKfiiiiiiii.private_seg_size, 0
	.set _Z19_skinny_gemm_kernelILi1ELi2ELi1ELi16ELi8EEvPKhS1_P6__halfPKfiiiiiiii.uses_vcc, 1
	.set _Z19_skinny_gemm_kernelILi1ELi2ELi1ELi16ELi8EEvPKhS1_P6__halfPKfiiiiiiii.uses_flat_scratch, 0
	.set _Z19_skinny_gemm_kernelILi1ELi2ELi1ELi16ELi8EEvPKhS1_P6__halfPKfiiiiiiii.has_dyn_sized_stack, 0
	.set _Z19_skinny_gemm_kernelILi1ELi2ELi1ELi16ELi8EEvPKhS1_P6__halfPKfiiiiiiii.has_recursion, 0
	.set _Z19_skinny_gemm_kernelILi1ELi2ELi1ELi16ELi8EEvPKhS1_P6__halfPKfiiiiiiii.has_indirect_call, 0
	.section	.AMDGPU.csdata,"",@progbits
; Kernel info:
; codeLenInByte = 3556
; TotalNumSgprs: 65
; NumVgprs: 62
; NumAgprs: 0
; TotalNumVgprs: 62
; ScratchSize: 0
; MemoryBound: 0
; FloatMode: 240
; IeeeMode: 1
; LDSByteSize: 12300 bytes/workgroup (compile time only)
; SGPRBlocks: 8
; VGPRBlocks: 7
; NumSGPRsForWavesPerEU: 65
; NumVGPRsForWavesPerEU: 62
; AccumOffset: 64
; Occupancy: 8
; WaveLimiterHint : 0
; COMPUTE_PGM_RSRC2:SCRATCH_EN: 0
; COMPUTE_PGM_RSRC2:USER_SGPR: 2
; COMPUTE_PGM_RSRC2:TRAP_HANDLER: 0
; COMPUTE_PGM_RSRC2:TGID_X_EN: 1
; COMPUTE_PGM_RSRC2:TGID_Y_EN: 0
; COMPUTE_PGM_RSRC2:TGID_Z_EN: 0
; COMPUTE_PGM_RSRC2:TIDIG_COMP_CNT: 0
; COMPUTE_PGM_RSRC3_GFX90A:ACCUM_OFFSET: 15
; COMPUTE_PGM_RSRC3_GFX90A:TG_SPLIT: 0
	.section	.text._Z19_skinny_gemm_kernelILi1ELi2ELi1ELi32ELi4EEvPKhS1_P6__halfPKfiiiiiiii,"axG",@progbits,_Z19_skinny_gemm_kernelILi1ELi2ELi1ELi32ELi4EEvPKhS1_P6__halfPKfiiiiiiii,comdat
	.protected	_Z19_skinny_gemm_kernelILi1ELi2ELi1ELi32ELi4EEvPKhS1_P6__halfPKfiiiiiiii ; -- Begin function _Z19_skinny_gemm_kernelILi1ELi2ELi1ELi32ELi4EEvPKhS1_P6__halfPKfiiiiiiii
	.globl	_Z19_skinny_gemm_kernelILi1ELi2ELi1ELi32ELi4EEvPKhS1_P6__halfPKfiiiiiiii
	.p2align	8
	.type	_Z19_skinny_gemm_kernelILi1ELi2ELi1ELi32ELi4EEvPKhS1_P6__halfPKfiiiiiiii,@function
_Z19_skinny_gemm_kernelILi1ELi2ELi1ELi32ELi4EEvPKhS1_P6__halfPKfiiiiiiii: ; @_Z19_skinny_gemm_kernelILi1ELi2ELi1ELi32ELi4EEvPKhS1_P6__halfPKfiiiiiiii
; %bb.0:
	v_cmp_gt_u32_e32 vcc, 3, v0
	s_and_saveexec_b64 s[4:5], vcc
; %bb.1:
	v_lshlrev_b32_e32 v1, 2, v0
	v_mov_b32_e32 v2, 0
	ds_write_b32 v1, v2 offset:6144
; %bb.2:
	s_or_b64 exec, exec, s[4:5]
	s_load_dwordx8 s[16:23], s[0:1], 0x20
	s_waitcnt lgkmcnt(0)
	s_barrier
	s_add_i32 s3, s16, 31
	s_ashr_i32 s5, s3, 31
	s_add_i32 s4, s17, 63
	s_lshr_b32 s5, s5, 27
	s_ashr_i32 s6, s4, 31
	s_add_i32 s3, s3, s5
	s_ashr_i32 s11, s3, 5
	s_lshr_b32 s3, s6, 26
	s_add_i32 s4, s4, s3
	s_ashr_i32 s12, s4, 6
	s_mul_i32 s3, s12, s11
	s_mul_i32 s3, s3, s20
	s_add_i32 s4, s3, 0x12f
	s_mul_hi_i32 s4, s4, 0x6bca1af3
	s_lshr_b32 s5, s4, 31
	s_ashr_i32 s4, s4, 7
	s_add_i32 s4, s4, s5
	s_add_i32 s5, s2, 1
	s_mul_i32 s5, s4, s5
	v_cvt_f64_i32_e32 v[2:3], s3
	v_cvt_f64_u32_e32 v[4:5], s5
	v_min_f64 v[2:3], v[2:3], v[4:5]
	v_cvt_i32_f64_e32 v62, v[2:3]
	s_mul_i32 s33, s4, s2
	v_cmp_ge_i32_e32 vcc, s33, v62
	s_cbranch_vccnz .LBB39_51
; %bb.3:
	s_load_dwordx8 s[44:51], s[0:1], 0x0
	v_lshrrev_b32_e32 v1, 6, v0
	s_add_i32 s0, s22, s21
	v_cmp_le_i32_e64 s[14:15], s0, v1
	v_mov_b32_e32 v2, s21
	v_cmp_le_i32_e64 s[24:25], s21, v1
	v_mov_b32_e32 v3, s22
	v_cndmask_b32_e64 v3, 0, v3, s[14:15]
	v_cndmask_b32_e64 v2, 0, v2, s[24:25]
	s_abs_i32 s1, s20
	v_add_u32_e32 v2, v2, v3
	v_cvt_f32_u32_e32 v3, s1
	v_sub_u32_e32 v54, v1, v2
	s_ashr_i32 s2, s18, 31
	s_lshr_b32 s2, s2, 26
	v_rcp_iflag_f32_e32 v2, v3
	s_sub_i32 s5, 0, s1
	s_add_i32 s2, s18, s2
	s_ashr_i32 s2, s2, 6
	v_mul_f32_e32 v2, 0x4f7ffffe, v2
	v_cvt_u32_f32_e32 v2, v2
	s_abs_i32 s4, s2
	s_xor_b32 s3, s2, s20
	s_ashr_i32 s3, s3, 31
	v_readfirstlane_b32 s6, v2
	s_mul_i32 s5, s5, s6
	s_mul_hi_u32 s5, s6, s5
	s_add_i32 s6, s6, s5
	s_mul_hi_u32 s5, s4, s6
	s_mul_i32 s6, s5, s1
	s_sub_i32 s4, s4, s6
	s_add_i32 s6, s5, 1
	s_sub_i32 s7, s4, s1
	s_cmp_ge_u32 s4, s1
	s_cselect_b32 s5, s6, s5
	s_cselect_b32 s4, s7, s4
	s_add_i32 s6, s5, 1
	s_cmp_ge_u32 s4, s1
	s_cselect_b32 s1, s6, s5
	s_add_i32 s0, s0, s23
	v_and_b32_e32 v64, 31, v0
	v_lshrrev_b32_e32 v2, 3, v0
	v_cmp_gt_i32_e64 s[28:29], s0, v1
	v_lshlrev_b32_e32 v1, 2, v64
	v_and_b32_e32 v3, 4, v2
	v_and_b32_e32 v5, 1, v0
	v_lshlrev_b32_e32 v2, 6, v3
	v_or_b32_e32 v4, 0x1000, v1
	v_or_b32_e32 v3, v3, v5
	;; [unrolled: 1-line block ×4, first 2 shown]
	v_lshlrev_b32_e32 v2, 1, v5
	v_or_b32_e32 v5, 2, v3
	v_sub_u32_e32 v77, 32, v5
	v_or_b32_e32 v5, 8, v3
	v_sub_u32_e32 v78, 32, v5
	;; [unrolled: 2-line block ×4, first 2 shown]
	v_or_b32_e32 v5, 18, v3
	s_add_i32 s26, s20, -1
	v_sub_u32_e32 v81, 32, v5
	v_or_b32_e32 v5, 24, v3
	s_abs_i32 s20, s11
	v_sub_u32_e32 v76, 32, v3
	v_mul_lo_u32 v34, s17, v3
	v_sub_u32_e32 v82, 32, v5
	v_or_b32_e32 v3, 26, v3
	v_cvt_f32_u32_e32 v5, s20
	v_sub_u32_e32 v83, 32, v3
	v_lshrrev_b32_e32 v3, 1, v0
                                        ; implicit-def: $vgpr100 : SGPR spill to VGPR lane
	v_and_b32_e32 v50, 16, v3
	v_lshlrev_b32_e32 v3, 4, v0
	v_writelane_b32 v100, s11, 0
	v_and_b32_e32 v3, 0x200, v3
	v_writelane_b32 v100, s12, 1
	v_or_b32_e32 v84, v1, v3
	v_rcp_iflag_f32_e32 v1, v5
	s_waitcnt lgkmcnt(0)
	v_writelane_b32 v100, s44, 2
	v_sub_u32_e32 v2, v0, v2
	v_add_u32_e32 v2, 1, v2
	v_writelane_b32 v100, s45, 3
	v_writelane_b32 v100, s46, 4
	s_abs_i32 s98, s12
	v_writelane_b32 v100, s47, 5
	s_xor_b32 s1, s1, s3
	v_and_b32_e32 v6, 63, v2
	v_bitop3_b32 v67, v0, 1, v0 bitop3:0xc
	v_bitop3_b32 v68, v0, 3, 1 bitop3:0x6c
	;; [unrolled: 1-line block ×8, first 2 shown]
	v_and_b32_e32 v2, 30, v0
	v_bitop3_b32 v85, v0, 31, v0 bitop3:0xc
	v_mul_f32_e32 v0, 0x4f7ffffe, v1
	v_cvt_f32_u32_e32 v1, s98
	v_writelane_b32 v100, s48, 6
	s_sub_i32 s13, s1, s3
	v_writelane_b32 v100, s49, 7
	s_mul_i32 s1, s13, s26
	s_lshl_b32 s0, s17, 1
	v_writelane_b32 v100, s50, 8
	s_sub_i32 s27, s2, s1
	v_add_u32_e32 v36, s0, v34
	s_mul_i32 s1, s17, 6
	v_writelane_b32 v100, s51, 9
	v_cndmask_b32_e64 v63, 0, 1, s[14:15]
	v_add_u32_e32 v38, s1, v36
	v_cvt_u32_f32_e32 v0, v0
	v_rcp_iflag_f32_e32 v1, v1
	v_writelane_b32 v100, s14, 10
	v_add_u32_e32 v40, s0, v38
	v_add_u32_e32 v42, s1, v40
	v_writelane_b32 v100, s15, 11
	v_writelane_b32 v100, s24, 12
	v_add_u32_e32 v44, s0, v42
	v_add_u32_e32 v46, s1, v44
	v_writelane_b32 v100, s25, 13
	v_readfirstlane_b32 s1, v0
	v_mul_f32_e32 v0, 0x4f7ffffe, v1
	v_writelane_b32 v100, s13, 14
	v_cvt_u32_f32_e32 v0, v0
	v_writelane_b32 v100, s26, 15
	v_add_u32_e32 v48, s0, v46
	s_sub_i32 s0, 0, s20
	v_writelane_b32 v100, s27, 16
	s_mul_i32 s0, s0, s1
	v_writelane_b32 v100, s28, 17
	s_lshl_b32 s30, s19, 5
	s_mul_hi_u32 s0, s1, s0
	v_writelane_b32 v100, s29, 18
	s_ashr_i32 s31, s11, 31
	s_add_i32 s34, s1, s0
	s_sub_i32 s0, 0, s98
	v_readfirstlane_b32 s1, v0
	v_mbcnt_lo_u32_b32 v0, -1, 0
	v_writelane_b32 v100, s30, 19
	s_mul_i32 s0, s0, s1
	v_mbcnt_hi_u32_b32 v0, -1, v0
	v_writelane_b32 v100, s31, 20
	v_mov_b32_e32 v33, 0
	v_mul_lo_u32 v52, s19, v64
	s_ashr_i32 s35, s12, 31
	s_mul_hi_u32 s0, s1, s0
	v_and_or_b32 v0, v0, 64, v6
	v_writelane_b32 v100, s34, 21
	v_or_b32_e32 v75, 32, v64
	v_ashrrev_i32_e32 v35, 31, v34
	v_ashrrev_i32_e32 v37, 31, v36
	;; [unrolled: 1-line block ×9, first 2 shown]
	v_mov_b32_e32 v51, v33
	v_mul_lo_u32 v86, s18, v64
	v_or_b32_e32 v87, v4, v3
	s_add_i32 s36, s1, s0
	v_lshlrev_b32_e32 v32, 1, v2
	v_lshlrev_b32_e32 v88, 2, v0
	v_mov_b32_e32 v89, v54
	v_writelane_b32 v100, s35, 22
	v_writelane_b32 v100, s36, 23
	s_branch .LBB39_7
.LBB39_4:                               ;   in Loop: Header=BB39_7 Depth=1
	s_or_b64 exec, exec, s[4:5]
.LBB39_5:                               ;   in Loop: Header=BB39_7 Depth=1
	s_or_b64 exec, exec, s[2:3]
	v_subrev_u32_e32 v89, s99, v89
.LBB39_6:                               ;   in Loop: Header=BB39_7 Depth=1
	s_or_b64 exec, exec, s[0:1]
	s_add_i32 s33, s33, 1
	v_cmp_ge_i32_e32 vcc, s33, v62
	s_cbranch_vccnz .LBB39_51
.LBB39_7:                               ; =>This Loop Header: Depth=1
                                        ;     Child Loop BB39_13 Depth 2
                                        ;       Child Loop BB39_15 Depth 3
                                        ;       Child Loop BB39_18 Depth 3
	;; [unrolled: 1-line block ×3, first 2 shown]
                                        ;     Child Loop BB39_38 Depth 2
                                        ;       Child Loop BB39_40 Depth 3
                                        ;     Child Loop BB39_48 Depth 2
                                        ;       Child Loop BB39_50 Depth 3
	s_abs_i32 s1, s33
	s_mul_hi_u32 s2, s1, s34
	s_mul_i32 s3, s2, s20
	s_ashr_i32 s0, s33, 31
	s_sub_i32 s1, s1, s3
	s_xor_b32 s0, s0, s31
	s_add_i32 s3, s2, 1
	s_sub_i32 s4, s1, s20
	s_cmp_ge_u32 s1, s20
	s_cselect_b32 s2, s3, s2
	s_cselect_b32 s1, s4, s1
	s_add_i32 s3, s2, 1
	s_cmp_ge_u32 s1, s20
	s_cselect_b32 s1, s3, s2
	s_xor_b32 s1, s1, s0
	s_sub_i32 s0, s1, s0
	s_abs_i32 s2, s0
	s_mul_i32 s1, s0, s11
	s_mul_hi_u32 s3, s2, s36
	s_sub_i32 s1, s33, s1
	s_mul_i32 s4, s3, s98
	s_lshl_b32 s52, s1, 5
	s_ashr_i32 s1, s0, 31
	s_sub_i32 s2, s2, s4
	s_xor_b32 s1, s1, s35
	s_add_i32 s4, s3, 1
	s_sub_i32 s5, s2, s98
	s_cmp_ge_u32 s2, s98
	s_cselect_b32 s3, s4, s3
	s_cselect_b32 s2, s5, s2
	s_add_i32 s4, s3, 1
	s_cmp_ge_u32 s2, s98
	s_cselect_b32 s2, s4, s3
	s_xor_b32 s2, s2, s1
	s_sub_i32 s1, s2, s1
	s_mul_i32 s2, s1, s13
	s_lshl_b32 s37, s2, 6
	s_cmp_eq_u32 s1, s26
	s_cselect_b32 s99, s27, s13
	s_sub_i32 s2, s52, s16
	s_add_i32 s53, s2, 32
	s_and_saveexec_b64 s[2:3], s[24:25]
	s_xor_b64 s[38:39], exec, s[2:3]
	s_cbranch_execz .LBB39_44
; %bb.8:                                ;   in Loop: Header=BB39_7 Depth=1
	s_mul_i32 s1, s1, s12
	s_sub_i32 s0, s0, s1
	s_lshl_b32 s0, s0, 6
	s_sub_i32 s90, s0, s17
	s_add_i32 s90, s90, 64
	s_max_i32 s1, s90, 0
	s_sub_i32 s54, s0, s1
	s_and_saveexec_b64 s[0:1], s[14:15]
	s_xor_b64 s[4:5], exec, s[0:1]
	s_cbranch_execz .LBB39_34
; %bb.9:                                ;   in Loop: Header=BB39_7 Depth=1
	s_and_saveexec_b64 s[2:3], s[28:29]
	s_cbranch_execz .LBB39_33
; %bb.10:                               ;   in Loop: Header=BB39_7 Depth=1
	global_load_dword v90, v33, s[50:51]
	v_writelane_b32 v100, s2, 24
	v_mov_b32_e32 v31, 0
	v_cmp_gt_i32_e32 vcc, s99, v89
	v_writelane_b32 v100, s3, 25
	v_writelane_b32 v100, s4, 26
	v_mov_b32_e32 v30, v31
	v_mov_b32_e32 v29, v31
	;; [unrolled: 1-line block ×12, first 2 shown]
	s_waitcnt lgkmcnt(1)
	v_mov_b32_e32 v18, v31
	v_mov_b32_e32 v17, v31
	;; [unrolled: 1-line block ×19, first 2 shown]
	v_writelane_b32 v100, s5, 27
	s_and_saveexec_b64 s[0:1], vcc
	s_cbranch_execz .LBB39_23
; %bb.11:                               ;   in Loop: Header=BB39_7 Depth=1
	v_mov_b32_e32 v0, 0
	s_mov_b64 s[2:3], 0
	v_mov_b32_e32 v1, v0
	v_mov_b32_e32 v2, v0
	;; [unrolled: 1-line block ×31, first 2 shown]
	s_branch .LBB39_13
.LBB39_12:                              ;   in Loop: Header=BB39_13 Depth=2
	s_or_b64 exec, exec, s[4:5]
	v_add_u32_e32 v96, v66, v94
	v_add_u32_e32 v97, 0x800, v96
	ds_read2_b32 v[94:95], v97 offset1:32
	v_add_u32_e32 v89, s23, v89
	v_cmp_le_i32_e32 vcc, s99, v89
	s_or_b64 s[2:3], vcc, s[2:3]
	ds_write_b32 v92, v93 offset:6156
	s_waitcnt lgkmcnt(1)
	v_mfma_f32_32x32x16_fp8_fp8 v[0:15], v[58:59], v[94:95], v[0:15]
	ds_read2_b32 v[58:59], v97 offset0:128 offset1:160
	s_waitcnt lgkmcnt(0)
	v_mfma_f32_32x32x16_fp8_fp8 v[0:15], v[56:57], v[58:59], v[0:15]
	v_add_u32_e32 v58, 0xc00, v96
	ds_read2_b32 v[56:57], v58 offset1:32
	s_waitcnt lgkmcnt(0)
	v_mfma_f32_32x32x16_fp8_fp8 v[0:15], v[54:55], v[56:57], v[0:15]
	ds_read2_b32 v[54:55], v58 offset0:128 offset1:160
	s_waitcnt lgkmcnt(0)
	v_mfma_f32_32x32x16_fp8_fp8 v[0:15], v[60:61], v[54:55], v[0:15]
	v_add_u32_e32 v54, s23, v91
	v_add_u32_e32 v55, 2, v63
	v_cmp_lt_i32_e32 vcc, 0, v54
	s_nop 1
	v_cndmask_b32_e32 v63, v63, v55, vcc
	s_andn2_b64 exec, exec, s[2:3]
	s_cbranch_execz .LBB39_22
.LBB39_13:                              ;   Parent Loop BB39_7 Depth=1
                                        ; =>  This Loop Header: Depth=2
                                        ;       Child Loop BB39_15 Depth 3
                                        ;       Child Loop BB39_18 Depth 3
	;; [unrolled: 1-line block ×3, first 2 shown]
	v_cmp_lt_i32_e32 vcc, 0, v54
	s_nop 1
	v_subbrev_co_u32_e32 v91, vcc, 0, v54, vcc
	v_lshlrev_b32_e32 v92, 4, v91
	ds_read_b32 v54, v92 offset:6144
	s_waitcnt lgkmcnt(0)
	v_cmp_ne_u32_e32 vcc, v54, v63
	s_and_saveexec_b64 s[4:5], vcc
	s_cbranch_execz .LBB39_16
; %bb.14:                               ;   in Loop: Header=BB39_13 Depth=2
	s_mov_b64 s[6:7], 0
.LBB39_15:                              ;   Parent Loop BB39_7 Depth=1
                                        ;     Parent Loop BB39_13 Depth=2
                                        ; =>    This Inner Loop Header: Depth=3
	;;#ASMSTART
	s_sleep 0
	;;#ASMEND
	ds_read_b32 v54, v92 offset:6144
	s_waitcnt lgkmcnt(0)
	v_cmp_eq_u32_e32 vcc, v54, v63
	s_or_b64 s[6:7], vcc, s[6:7]
	s_andn2_b64 exec, exec, s[6:7]
	s_cbranch_execnz .LBB39_15
.LBB39_16:                              ;   in Loop: Header=BB39_13 Depth=2
	s_or_b64 exec, exec, s[4:5]
	v_lshl_add_u32 v54, v91, 11, v65
	v_add_u32_e32 v60, 0x400, v54
	ds_read2_b32 v[58:59], v54 offset1:32
	ds_read2_b32 v[56:57], v54 offset0:128 offset1:160
	ds_read2_b32 v[54:55], v60 offset1:32
	ds_read_b32 v94, v92 offset:6148
	ds_read2_b32 v[60:61], v60 offset0:128 offset1:160
	v_add_u32_e32 v93, 1, v63
	ds_write_b32 v92, v93 offset:6144
	s_waitcnt lgkmcnt(2)
	v_cmp_ne_u32_e32 vcc, v94, v63
	s_and_saveexec_b64 s[4:5], vcc
	s_cbranch_execz .LBB39_19
; %bb.17:                               ;   in Loop: Header=BB39_13 Depth=2
	s_mov_b64 s[6:7], 0
.LBB39_18:                              ;   Parent Loop BB39_7 Depth=1
                                        ;     Parent Loop BB39_13 Depth=2
                                        ; =>    This Inner Loop Header: Depth=3
	;;#ASMSTART
	s_sleep 0
	;;#ASMEND
	ds_read_b32 v94, v92 offset:6148
	s_waitcnt lgkmcnt(0)
	v_cmp_eq_u32_e32 vcc, v94, v63
	s_or_b64 s[6:7], vcc, s[6:7]
	s_andn2_b64 exec, exec, s[6:7]
	s_cbranch_execnz .LBB39_18
.LBB39_19:                              ;   in Loop: Header=BB39_13 Depth=2
	s_or_b64 exec, exec, s[4:5]
	v_lshlrev_b32_e32 v94, 12, v91
	v_or_b32_e32 v95, v66, v94
	ds_read2_b32 v[96:97], v95 offset1:32
	ds_write_b32 v92, v93 offset:6148
	s_waitcnt lgkmcnt(1)
	v_mfma_f32_32x32x16_fp8_fp8 v[16:31], v[58:59], v[96:97], v[16:31]
	ds_read2_b32 v[96:97], v95 offset0:128 offset1:160
	v_add_u32_e32 v95, 0x400, v95
	s_waitcnt lgkmcnt(0)
	v_mfma_f32_32x32x16_fp8_fp8 v[16:31], v[56:57], v[96:97], v[16:31]
	ds_read2_b32 v[96:97], v95 offset1:32
	s_waitcnt lgkmcnt(0)
	v_mfma_f32_32x32x16_fp8_fp8 v[16:31], v[54:55], v[96:97], v[16:31]
	ds_read2_b32 v[96:97], v95 offset0:128 offset1:160
	ds_read_b32 v95, v92 offset:6156
	s_waitcnt lgkmcnt(0)
	v_cmp_ne_u32_e32 vcc, v95, v63
	v_mfma_f32_32x32x16_fp8_fp8 v[16:31], v[60:61], v[96:97], v[16:31]
	s_and_saveexec_b64 s[4:5], vcc
	s_cbranch_execz .LBB39_12
; %bb.20:                               ;   in Loop: Header=BB39_13 Depth=2
	s_mov_b64 s[6:7], 0
.LBB39_21:                              ;   Parent Loop BB39_7 Depth=1
                                        ;     Parent Loop BB39_13 Depth=2
                                        ; =>    This Inner Loop Header: Depth=3
	;;#ASMSTART
	s_sleep 0
	;;#ASMEND
	ds_read_b32 v95, v92 offset:6156
	s_waitcnt lgkmcnt(0)
	v_cmp_eq_u32_e32 vcc, v95, v63
	s_or_b64 s[6:7], vcc, s[6:7]
	s_andn2_b64 exec, exec, s[6:7]
	s_cbranch_execnz .LBB39_21
	s_branch .LBB39_12
.LBB39_22:                              ;   in Loop: Header=BB39_7 Depth=1
	s_or_b64 exec, exec, s[2:3]
.LBB39_23:                              ;   in Loop: Header=BB39_7 Depth=1
	v_writelane_b32 v100, s54, 28
	s_nop 1
	v_writelane_b32 v100, s55, 29
	v_writelane_b32 v100, s38, 30
	s_nop 1
	v_writelane_b32 v100, s39, 31
	v_writelane_b32 v100, s53, 32
	;; [unrolled: 1-line block ×4, first 2 shown]
	s_or_b64 exec, exec, s[0:1]
	v_cmp_le_i32_e32 vcc, s90, v64
	v_cmp_eq_u32_e64 s[86:87], 1, v67
	v_cmp_eq_u32_e64 s[50:51], 2, v67
	s_waitcnt vmcnt(0)
	v_cndmask_b32_e32 v56, 0, v90, vcc
	v_pk_mul_f32 v[16:17], v[56:57], v[16:17] op_sel_hi:[0,1]
	v_pk_mul_f32 v[18:19], v[56:57], v[18:19] op_sel_hi:[0,1]
	v_cndmask_b32_e64 v55, v16, v17, s[86:87]
	v_cndmask_b32_e64 v55, v55, v18, s[50:51]
	v_cmp_eq_u32_e64 s[52:53], 3, v67
	v_pk_mul_f32 v[20:21], v[56:57], v[20:21] op_sel_hi:[0,1]
	v_cmp_eq_u32_e64 s[56:57], 4, v67
	v_cndmask_b32_e64 v55, v55, v19, s[52:53]
	v_cmp_eq_u32_e64 s[60:61], 5, v67
	v_cndmask_b32_e64 v55, v55, v20, s[56:57]
	v_pk_mul_f32 v[22:23], v[56:57], v[22:23] op_sel_hi:[0,1]
	v_cndmask_b32_e64 v55, v55, v21, s[60:61]
	v_cmp_eq_u32_e64 s[64:65], 6, v67
	v_cmp_eq_u32_e64 s[68:69], 7, v67
	v_pk_mul_f32 v[24:25], v[56:57], v[24:25] op_sel_hi:[0,1]
	v_cndmask_b32_e64 v55, v55, v22, s[64:65]
	v_cndmask_b32_e64 v55, v55, v23, s[68:69]
	v_cmp_eq_u32_e64 s[72:73], 8, v67
	v_cmp_eq_u32_e64 s[74:75], 9, v67
	v_pk_mul_f32 v[26:27], v[56:57], v[26:27] op_sel_hi:[0,1]
	v_cndmask_b32_e64 v55, v55, v24, s[72:73]
	;; [unrolled: 5-line block ×4, first 2 shown]
	v_cndmask_b32_e64 v55, v55, v29, s[82:83]
	v_cmp_eq_u32_e64 s[84:85], 14, v67
	v_cmp_eq_u32_e64 s[88:89], 15, v67
	;; [unrolled: 1-line block ×3, first 2 shown]
	v_cndmask_b32_e64 v55, v55, v30, s[84:85]
	v_cndmask_b32_e64 v55, v55, v31, s[88:89]
	ds_bpermute_b32 v55, v88, v55
	v_cmp_eq_u32_e64 s[24:25], 1, v68
	v_cmp_eq_u32_e64 s[26:27], 2, v68
	;; [unrolled: 1-line block ×4, first 2 shown]
	s_waitcnt lgkmcnt(0)
	v_cndmask_b32_e64 v17, v17, v55, s[86:87]
	v_cndmask_b32_e64 v16, v16, v55, s[70:71]
	;; [unrolled: 1-line block ×10, first 2 shown]
	v_cmp_eq_u32_e64 s[34:35], 5, v68
	v_cndmask_b32_e64 v58, v22, v55, s[64:65]
	v_cmp_eq_u32_e64 s[36:37], 6, v68
	v_cndmask_b32_e64 v18, v18, v59, s[34:35]
	v_cndmask_b32_e64 v57, v23, v55, s[68:69]
	v_cndmask_b32_e64 v18, v18, v58, s[36:37]
	v_cmp_eq_u32_e64 s[38:39], 7, v68
	v_cndmask_b32_e64 v56, v24, v55, s[72:73]
	v_cmp_eq_u32_e64 s[42:43], 8, v68
	v_cndmask_b32_e64 v18, v18, v57, s[38:39]
	v_cndmask_b32_e64 v25, v25, v55, s[74:75]
	v_cndmask_b32_e64 v18, v18, v56, s[42:43]
	;; [unrolled: 6-line block ×5, first 2 shown]
	v_cmp_eq_u32_e64 s[66:67], 15, v68
	v_cmp_le_i32_e64 s[90:91], s90, v75
	v_cmp_eq_u32_e64 s[40:41], 0, v68
	v_cndmask_b32_e64 v18, v18, v31, s[66:67]
	ds_bpermute_b32 v55, v88, v18
	v_cmp_eq_u32_e64 s[2:3], 1, v69
	v_cmp_eq_u32_e64 s[6:7], 2, v69
	;; [unrolled: 1-line block ×4, first 2 shown]
	s_waitcnt lgkmcnt(0)
	v_cndmask_b32_e64 v24, v25, v55, s[44:45]
	v_cndmask_b32_e64 v25, v56, v55, s[42:43]
	;; [unrolled: 1-line block ×3, first 2 shown]
	v_pk_mul_f32 v[0:1], v[56:57], v[0:1] op_sel_hi:[0,1]
	v_pk_mul_f32 v[14:15], v[56:57], v[14:15] op_sel_hi:[0,1]
	;; [unrolled: 1-line block ×8, first 2 shown]
	v_cndmask_b32_e64 v56, v0, v1, s[86:87]
	v_cndmask_b32_e64 v56, v56, v2, s[50:51]
	;; [unrolled: 1-line block ×32, first 2 shown]
	v_cmp_eq_u32_e64 s[12:13], 5, v69
	v_cndmask_b32_e64 v56, v56, v15, s[88:89]
	v_cmp_eq_u32_e64 s[14:15], 6, v69
	v_cndmask_b32_e64 v55, v55, v28, s[12:13]
	ds_bpermute_b32 v56, v88, v56
	v_cndmask_b32_e64 v55, v55, v27, s[14:15]
	v_cmp_eq_u32_e64 s[96:97], 7, v69
	v_cmp_eq_u32_e64 s[4:5], 8, v69
	v_cmp_eq_u32_e32 vcc, 9, v69
	v_cndmask_b32_e64 v55, v55, v26, s[96:97]
	v_cndmask_b32_e64 v55, v55, v25, s[4:5]
	v_cndmask_b32_e32 v55, v55, v24, vcc
	v_cmp_eq_u32_e64 s[0:1], 10, v69
	v_cmp_eq_u32_e64 s[86:87], 11, v69
	s_waitcnt lgkmcnt(0)
	v_cndmask_b32_e64 v2, v2, v56, s[50:51]
	v_cndmask_b32_e64 v55, v55, v23, s[0:1]
	v_cmp_ne_u32_e64 s[50:51], 0, v67
	v_cndmask_b32_e64 v55, v55, v22, s[86:87]
	v_cmp_eq_u32_e64 s[90:91], 12, v69
	v_cndmask_b32_e64 v1, v1, v56, s[50:51]
	v_cndmask_b32_e64 v0, v0, v56, s[70:71]
	;; [unrolled: 1-line block ×4, first 2 shown]
	v_cmp_eq_u32_e64 s[88:89], 13, v69
	v_cndmask_b32_e64 v14, v14, v56, s[84:85]
	v_cndmask_b32_e64 v13, v13, v56, s[82:83]
	;; [unrolled: 1-line block ×14, first 2 shown]
	v_cmp_eq_u32_e64 s[84:85], 14, v69
	v_cndmask_b32_e64 v56, v56, v2, s[26:27]
	v_cmp_eq_u32_e64 s[82:83], 15, v69
	v_cndmask_b32_e64 v55, v55, v19, s[84:85]
	v_cndmask_b32_e64 v56, v56, v3, s[28:29]
	;; [unrolled: 1-line block ×4, first 2 shown]
	ds_bpermute_b32 v55, v88, v55
	v_cndmask_b32_e64 v56, v56, v5, s[34:35]
	v_cndmask_b32_e64 v56, v56, v6, s[36:37]
	v_cndmask_b32_e64 v56, v56, v7, s[38:39]
	v_cndmask_b32_e64 v56, v56, v8, s[42:43]
	v_cmp_eq_u32_e64 s[80:81], 0, v69
	v_cndmask_b32_e64 v56, v56, v9, s[44:45]
	s_waitcnt lgkmcnt(0)
	v_cndmask_b32_e64 v17, v17, v55, s[2:3]
	v_cndmask_b32_e64 v16, v16, v55, s[80:81]
	v_cmp_eq_u32_e64 s[78:79], 1, v70
	v_cndmask_b32_e64 v56, v56, v10, s[46:47]
	v_cndmask_b32_e64 v18, v18, v55, s[82:83]
	;; [unrolled: 1-line block ×7, first 2 shown]
	v_cndmask_b32_e32 v24, v24, v55, vcc
	v_cndmask_b32_e64 v25, v25, v55, s[4:5]
	v_cndmask_b32_e64 v26, v26, v55, s[96:97]
	;; [unrolled: 1-line block ×8, first 2 shown]
	v_cmp_eq_u32_e64 s[76:77], 2, v70
	v_cndmask_b32_e64 v56, v56, v11, s[48:49]
	v_cmp_eq_u32_e64 s[74:75], 3, v70
	v_cndmask_b32_e64 v55, v55, v31, s[76:77]
	v_cndmask_b32_e64 v56, v56, v12, s[54:55]
	;; [unrolled: 1-line block ×3, first 2 shown]
	v_cmp_eq_u32_e64 s[72:73], 4, v70
	v_cndmask_b32_e64 v56, v56, v13, s[58:59]
	v_cmp_eq_u32_e64 s[68:69], 5, v70
	v_cndmask_b32_e64 v55, v55, v29, s[72:73]
	v_cndmask_b32_e64 v56, v56, v14, s[62:63]
	;; [unrolled: 1-line block ×3, first 2 shown]
	v_cmp_eq_u32_e64 s[64:65], 6, v70
	v_cndmask_b32_e64 v56, v56, v15, s[66:67]
	v_cmp_eq_u32_e64 s[60:61], 7, v70
	v_cndmask_b32_e64 v55, v55, v27, s[64:65]
	ds_bpermute_b32 v56, v88, v56
	v_cndmask_b32_e64 v55, v55, v26, s[60:61]
	v_cmp_eq_u32_e64 s[56:57], 8, v70
	v_cmp_eq_u32_e64 s[52:53], 9, v70
	;; [unrolled: 1-line block ×3, first 2 shown]
	v_cndmask_b32_e64 v55, v55, v25, s[56:57]
	v_cndmask_b32_e64 v55, v55, v24, s[52:53]
	;; [unrolled: 1-line block ×3, first 2 shown]
	v_cmp_eq_u32_e64 s[70:71], 11, v70
	s_waitcnt lgkmcnt(0)
	v_cndmask_b32_e64 v15, v15, v56, s[66:67]
	v_cmp_eq_u32_e64 s[66:67], 12, v70
	v_cndmask_b32_e64 v55, v55, v22, s[70:71]
	v_cndmask_b32_e64 v14, v14, v56, s[62:63]
	;; [unrolled: 1-line block ×3, first 2 shown]
	v_cmp_eq_u32_e64 s[62:63], 13, v70
	v_cndmask_b32_e64 v1, v1, v56, s[24:25]
	v_cndmask_b32_e64 v0, v0, v56, s[40:41]
	;; [unrolled: 1-line block ×4, first 2 shown]
	v_cmp_eq_u32_e64 s[92:93], 14, v70
	v_cndmask_b32_e64 v12, v12, v56, s[54:55]
	v_cndmask_b32_e64 v11, v11, v56, s[48:49]
	;; [unrolled: 1-line block ×13, first 2 shown]
	v_cmp_eq_u32_e64 s[94:95], 15, v70
	v_cndmask_b32_e64 v56, v56, v2, s[6:7]
	v_cndmask_b32_e64 v56, v56, v3, s[8:9]
	;; [unrolled: 1-line block ×3, first 2 shown]
	ds_bpermute_b32 v55, v88, v55
	v_cndmask_b32_e64 v56, v56, v4, s[10:11]
	v_cndmask_b32_e64 v56, v56, v5, s[12:13]
	;; [unrolled: 1-line block ×4, first 2 shown]
	v_cmp_eq_u32_e64 s[48:49], 0, v70
	v_cndmask_b32_e64 v56, v56, v8, s[4:5]
	s_waitcnt lgkmcnt(0)
	v_cndmask_b32_e64 v17, v17, v55, s[78:79]
	v_cndmask_b32_e64 v16, v16, v55, s[48:49]
	v_cmp_eq_u32_e64 s[46:47], 1, v71
	v_cndmask_b32_e32 v56, v56, v9, vcc
	v_cndmask_b32_e64 v18, v18, v55, s[94:95]
	v_cndmask_b32_e64 v19, v19, v55, s[92:93]
	;; [unrolled: 1-line block ×15, first 2 shown]
	v_cmp_eq_u32_e64 s[44:45], 2, v71
	v_cndmask_b32_e64 v56, v56, v10, s[0:1]
	v_cmp_eq_u32_e64 s[42:43], 3, v71
	v_cndmask_b32_e64 v55, v55, v31, s[44:45]
	v_cndmask_b32_e64 v56, v56, v11, s[86:87]
	v_cndmask_b32_e64 v55, v55, v30, s[42:43]
	v_cmp_eq_u32_e64 s[38:39], 4, v71
	v_cndmask_b32_e64 v56, v56, v12, s[90:91]
	v_cmp_eq_u32_e64 s[36:37], 5, v71
	v_cndmask_b32_e64 v55, v55, v29, s[38:39]
	v_cndmask_b32_e64 v56, v56, v13, s[88:89]
	v_cndmask_b32_e64 v55, v55, v28, s[36:37]
	;; [unrolled: 6-line block ×3, first 2 shown]
	v_cmp_eq_u32_e64 s[28:29], 8, v71
	ds_bpermute_b32 v56, v88, v56
	v_cmp_eq_u32_e64 s[26:27], 9, v71
	v_cndmask_b32_e64 v55, v55, v25, s[28:29]
	v_cmp_eq_u32_e64 s[24:25], 10, v71
	v_cndmask_b32_e64 v55, v55, v24, s[26:27]
	;; [unrolled: 2-line block ×4, first 2 shown]
	s_waitcnt lgkmcnt(0)
	v_cndmask_b32_e64 v15, v15, v56, s[82:83]
	v_cndmask_b32_e64 v55, v55, v21, s[58:59]
	v_cmp_eq_u32_e64 s[82:83], 13, v71
	v_cndmask_b32_e64 v14, v14, v56, s[84:85]
	v_cmp_eq_u32_e64 s[84:85], 14, v71
	v_cndmask_b32_e64 v55, v55, v20, s[82:83]
	v_cndmask_b32_e64 v1, v1, v56, s[2:3]
	v_cndmask_b32_e64 v0, v0, v56, s[80:81]
	v_cndmask_b32_e64 v13, v13, v56, s[88:89]
	v_cndmask_b32_e64 v55, v55, v19, s[84:85]
	v_cndmask_b32_e64 v12, v12, v56, s[90:91]
	v_cmp_eq_u32_e64 s[90:91], 15, v71
	v_cndmask_b32_e64 v11, v11, v56, s[86:87]
	v_cndmask_b32_e64 v10, v10, v56, s[0:1]
	v_cndmask_b32_e32 v9, v9, v56, vcc
	v_cndmask_b32_e64 v8, v8, v56, s[4:5]
	v_cndmask_b32_e64 v7, v7, v56, s[96:97]
	;; [unrolled: 1-line block ×10, first 2 shown]
	ds_bpermute_b32 v55, v88, v55
	v_cndmask_b32_e64 v56, v56, v3, s[74:75]
	v_cndmask_b32_e64 v56, v56, v4, s[72:73]
	;; [unrolled: 1-line block ×3, first 2 shown]
	v_cmp_eq_u32_e64 s[54:55], 0, v71
	v_cndmask_b32_e64 v56, v56, v6, s[64:65]
	v_cndmask_b32_e64 v56, v56, v7, s[60:61]
	v_writelane_b32 v100, s54, 35
	s_waitcnt lgkmcnt(0)
	v_cndmask_b32_e64 v17, v17, v55, s[46:47]
	v_cndmask_b32_e64 v56, v56, v8, s[56:57]
	v_writelane_b32 v100, s55, 36
	v_cndmask_b32_e64 v16, v16, v55, s[54:55]
	v_cmp_eq_u32_e64 s[54:55], 1, v72
	v_cndmask_b32_e64 v18, v18, v55, s[90:91]
	v_cndmask_b32_e64 v19, v19, v55, s[84:85]
	;; [unrolled: 1-line block ×15, first 2 shown]
	v_cmp_eq_u32_e64 s[0:1], 2, v72
	v_cndmask_b32_e64 v56, v56, v9, s[52:53]
	v_cmp_eq_u32_e64 s[4:5], 3, v72
	v_cndmask_b32_e64 v55, v55, v31, s[0:1]
	v_cndmask_b32_e64 v56, v56, v10, s[50:51]
	v_cndmask_b32_e64 v55, v55, v30, s[4:5]
	v_cmp_eq_u32_e64 s[96:97], 4, v72
	v_cndmask_b32_e64 v56, v56, v11, s[70:71]
	v_cmp_eq_u32_e64 s[14:15], 5, v72
	v_cndmask_b32_e64 v55, v55, v29, s[96:97]
	v_cndmask_b32_e64 v56, v56, v12, s[66:67]
	v_cndmask_b32_e64 v55, v55, v28, s[14:15]
	;; [unrolled: 6-line block ×3, first 2 shown]
	v_cmp_eq_u32_e64 s[8:9], 8, v72
	v_cndmask_b32_e64 v56, v56, v15, s[94:95]
	v_cmp_eq_u32_e64 s[6:7], 9, v72
	v_cndmask_b32_e64 v55, v55, v25, s[8:9]
	ds_bpermute_b32 v56, v88, v56
	v_cndmask_b32_e64 v55, v55, v24, s[6:7]
	v_cmp_eq_u32_e32 vcc, 10, v72
	v_cmp_eq_u32_e64 s[80:81], 11, v72
	v_cmp_eq_u32_e64 s[86:87], 12, v72
	v_cndmask_b32_e32 v55, v55, v23, vcc
	v_cndmask_b32_e64 v55, v55, v22, s[80:81]
	v_cndmask_b32_e64 v55, v55, v21, s[86:87]
	v_cmp_eq_u32_e64 s[88:89], 13, v72
	s_waitcnt lgkmcnt(0)
	v_cndmask_b32_e64 v13, v13, v56, s[62:63]
	v_cmp_eq_u32_e64 s[62:63], 14, v72
	v_cndmask_b32_e64 v55, v55, v20, s[88:89]
	v_cndmask_b32_e64 v12, v12, v56, s[66:67]
	;; [unrolled: 1-line block ×3, first 2 shown]
	v_cmp_eq_u32_e64 s[66:67], 15, v72
	v_cndmask_b32_e64 v57, v11, v56, s[70:71]
	v_cmp_eq_u32_e64 s[70:71], 0, v72
	v_cndmask_b32_e64 v55, v55, v18, s[66:67]
	ds_bpermute_b32 v55, v88, v55
	v_cndmask_b32_e64 v15, v15, v56, s[94:95]
	v_cndmask_b32_e64 v14, v14, v56, s[92:93]
	;; [unrolled: 1-line block ×4, first 2 shown]
	s_waitcnt lgkmcnt(0)
	v_cndmask_b32_e64 v18, v18, v55, s[66:67]
	v_cndmask_b32_e64 v19, v19, v55, s[62:63]
	;; [unrolled: 1-line block ×5, first 2 shown]
	v_cndmask_b32_e32 v23, v23, v55, vcc
	v_cndmask_b32_e64 v24, v24, v55, s[6:7]
	v_cndmask_b32_e64 v25, v25, v55, s[8:9]
	;; [unrolled: 1-line block ×28, first 2 shown]
	v_cmp_eq_u32_e64 s[50:51], 1, v73
	v_cndmask_b32_e64 v0, v0, v55, s[24:25]
	v_cmp_eq_u32_e64 s[52:53], 2, v73
	v_cndmask_b32_e64 v10, v16, v17, s[50:51]
	v_cndmask_b32_e64 v0, v0, v57, s[40:41]
	v_cndmask_b32_e64 v9, v10, v31, s[52:53]
	v_cmp_eq_u32_e64 s[56:57], 3, v73
	v_cndmask_b32_e64 v0, v0, v12, s[58:59]
	v_cmp_eq_u32_e64 s[60:61], 4, v73
	v_cndmask_b32_e64 v8, v9, v30, s[56:57]
	v_cndmask_b32_e64 v0, v0, v13, s[82:83]
	v_cndmask_b32_e64 v7, v8, v29, s[60:61]
	;; [unrolled: 6-line block ×3, first 2 shown]
	v_cmp_eq_u32_e64 s[72:73], 7, v73
	ds_bpermute_b32 v95, v88, v0
	v_cmp_eq_u32_e64 s[74:75], 8, v73
	v_cndmask_b32_e64 v4, v5, v26, s[72:73]
	v_cmp_eq_u32_e64 s[76:77], 9, v73
	v_cndmask_b32_e64 v3, v4, v25, s[74:75]
	;; [unrolled: 2-line block ×4, first 2 shown]
	s_waitcnt lgkmcnt(0)
	v_cndmask_b32_e64 v96, v15, v95, s[90:91]
	v_cndmask_b32_e64 v0, v0, v22, s[78:79]
	v_cmp_eq_u32_e64 s[90:91], 12, v73
	v_cndmask_b32_e64 v97, v14, v95, s[84:85]
	v_cmp_eq_u32_e64 s[84:85], 13, v73
	v_cndmask_b32_e64 v0, v0, v21, s[90:91]
	v_cndmask_b32_e64 v98, v13, v95, s[82:83]
	v_cndmask_b32_e64 v0, v0, v20, s[84:85]
	v_cmp_eq_u32_e64 s[82:83], 14, v73
	v_cndmask_b32_e64 v99, v12, v95, s[58:59]
	v_cmp_eq_u32_e64 s[58:59], 15, v73
	v_cndmask_b32_e64 v0, v0, v19, s[82:83]
	v_readlane_b32 s2, v100, 35
	v_cndmask_b32_e64 v0, v0, v18, s[58:59]
	ds_bpermute_b32 v1, v88, v0
	v_readlane_b32 s3, v100, 36
	s_waitcnt lgkmcnt(0)
	v_cndmask_b32_e64 v11, v27, v1, s[68:69]
	v_cndmask_b32_e64 v12, v28, v1, s[64:65]
	;; [unrolled: 1-line block ×4, first 2 shown]
	s_mov_b64 s[2:3], s[54:55]
	v_cndmask_b32_e64 v10, v26, v1, s[72:73]
	v_cndmask_b32_e64 v13, v29, v1, s[60:61]
	;; [unrolled: 1-line block ×25, first 2 shown]
	v_cmp_eq_u32_e64 s[40:41], 0, v73
	v_cndmask_b32_e64 v19, v58, v95, s[26:27]
	v_cndmask_b32_e64 v29, v29, v20, s[8:9]
	;; [unrolled: 1-line block ×8, first 2 shown]
	v_cndmask_b32_e32 v29, v29, v16, vcc
	v_cndmask_b32_e64 v29, v29, v17, s[80:81]
	v_cndmask_b32_e64 v29, v29, v99, s[86:87]
	;; [unrolled: 1-line block ×5, first 2 shown]
	ds_bpermute_b32 v29, v88, v29
	v_cmp_eq_u32_e64 s[24:25], 1, v74
	v_cmp_eq_u32_e64 s[26:27], 2, v74
	;; [unrolled: 1-line block ×3, first 2 shown]
	v_cndmask_b32_e64 v18, v1, v0, s[24:25]
	s_waitcnt lgkmcnt(0)
	v_cndmask_b32_e64 v93, v27, v29, s[2:3]
	v_cndmask_b32_e64 v94, v28, v29, s[70:71]
	v_cndmask_b32_e64 v57, v19, v29, s[6:7]
	v_cndmask_b32_e64 v92, v26, v29, s[0:1]
	v_cndmask_b32_e64 v19, v94, v93, s[50:51]
	v_cndmask_b32_e64 v91, v25, v29, s[4:5]
	v_cndmask_b32_e64 v19, v19, v92, s[52:53]
	v_cndmask_b32_e64 v90, v24, v29, s[96:97]
	v_cndmask_b32_e64 v19, v19, v91, s[56:57]
	v_cndmask_b32_e64 v61, v23, v29, s[14:15]
	v_cndmask_b32_e64 v19, v19, v90, s[60:61]
	v_cndmask_b32_e64 v60, v22, v29, s[12:13]
	v_cndmask_b32_e64 v19, v19, v61, s[64:65]
	v_cndmask_b32_e64 v59, v21, v29, s[10:11]
	v_cndmask_b32_e64 v19, v19, v60, s[68:69]
	v_cndmask_b32_e64 v58, v20, v29, s[8:9]
	v_cndmask_b32_e64 v19, v19, v59, s[72:73]
	v_cndmask_b32_e64 v19, v19, v58, s[74:75]
	v_cndmask_b32_e32 v16, v16, v29, vcc
	v_cndmask_b32_e64 v19, v19, v57, s[76:77]
	v_cndmask_b32_e64 v17, v17, v29, s[80:81]
	;; [unrolled: 1-line block ×12, first 2 shown]
	ds_bpermute_b32 v95, v88, v19
	v_cndmask_b32_e64 v18, v18, v15, s[26:27]
	v_cndmask_b32_e64 v18, v18, v14, s[28:29]
	v_cmp_eq_u32_e64 s[30:31], 4, v74
	v_cmp_eq_u32_e64 s[34:35], 5, v74
	s_waitcnt lgkmcnt(0)
	v_cndmask_b32_e64 v23, v17, v95, s[78:79]
	v_cndmask_b32_e64 v24, v16, v95, s[48:49]
	v_cndmask_b32_e64 v16, v93, v95, s[50:51]
	v_cndmask_b32_e64 v17, v94, v95, s[40:41]
	v_cndmask_b32_e64 v21, v55, v95, s[84:85]
	v_cndmask_b32_e64 v22, v56, v95, s[90:91]
	v_cndmask_b32_e64 v55, v92, v95, s[52:53]
	v_cndmask_b32_e64 v56, v17, v16, s[24:25]
	v_cndmask_b32_e64 v20, v31, v95, s[82:83]
	v_cndmask_b32_e64 v31, v91, v95, s[56:57]
	v_cndmask_b32_e64 v56, v56, v55, s[26:27]
	v_cndmask_b32_e64 v19, v30, v95, s[58:59]
	v_cndmask_b32_e64 v30, v90, v95, s[60:61]
	v_cndmask_b32_e64 v56, v56, v31, s[28:29]
	v_cndmask_b32_e64 v18, v18, v13, s[30:31]
	v_cndmask_b32_e64 v29, v61, v95, s[64:65]
	v_cndmask_b32_e64 v56, v56, v30, s[30:31]
	v_cndmask_b32_e64 v18, v18, v12, s[34:35]
	v_cmp_eq_u32_e64 s[36:37], 6, v74
	v_cndmask_b32_e64 v28, v60, v95, s[68:69]
	v_cndmask_b32_e64 v56, v56, v29, s[34:35]
	v_cndmask_b32_e64 v18, v18, v11, s[36:37]
	v_cmp_eq_u32_e64 s[38:39], 7, v74
	v_cndmask_b32_e64 v27, v59, v95, s[72:73]
	v_cndmask_b32_e64 v56, v56, v28, s[36:37]
	v_cndmask_b32_e64 v18, v18, v10, s[38:39]
	;; [unrolled: 4-line block ×4, first 2 shown]
	v_cmp_eq_u32_e64 s[46:47], 10, v74
	v_cndmask_b32_e64 v56, v56, v25, s[44:45]
	v_cmp_eq_u32_e64 s[54:55], 11, v74
	v_cndmask_b32_e64 v18, v18, v7, s[46:47]
	v_cndmask_b32_e64 v56, v56, v24, s[46:47]
	;; [unrolled: 1-line block ×3, first 2 shown]
	v_cmp_eq_u32_e64 s[66:67], 12, v74
	v_cndmask_b32_e64 v56, v56, v23, s[54:55]
	v_cmp_eq_u32_e64 s[62:63], 13, v74
	v_cndmask_b32_e64 v18, v18, v5, s[66:67]
	v_cndmask_b32_e64 v56, v56, v22, s[66:67]
	;; [unrolled: 1-line block ×3, first 2 shown]
	v_cmp_eq_u32_e32 vcc, 14, v74
	v_cndmask_b32_e64 v56, v56, v21, s[62:63]
	v_cmp_eq_u32_e64 s[6:7], 15, v74
	v_cndmask_b32_e32 v18, v18, v3, vcc
	v_cndmask_b32_e32 v56, v56, v20, vcc
	v_cndmask_b32_e64 v18, v18, v2, s[6:7]
	v_cndmask_b32_e64 v56, v56, v19, s[6:7]
	ds_bpermute_b32 v18, v88, v18
	ds_bpermute_b32 v58, v88, v56
	v_readlane_b32 s53, v100, 32
	s_nop 1
	v_cmp_lt_i32_e32 vcc, s53, v76
	s_and_saveexec_b64 s[40:41], vcc
	v_readlane_b32 s44, v100, 2
	v_readlane_b32 s45, v100, 3
	;; [unrolled: 1-line block ×11, first 2 shown]
	s_cbranch_execz .LBB39_32
; %bb.24:                               ;   in Loop: Header=BB39_7 Depth=1
	s_mul_i32 s0, s52, s17
	s_ashr_i32 s1, s0, 31
	s_lshl_b64 s[0:1], s[0:1], 1
	s_add_u32 s2, s48, s0
	v_cmp_eq_u32_e64 s[34:35], 1, v74
	v_cmp_eq_u32_e64 s[36:37], 0, v74
	s_addc_u32 s3, s49, s1
	s_ashr_i32 s55, s54, 31
	s_waitcnt lgkmcnt(1)
	v_cndmask_b32_e64 v56, v0, v18, s[34:35]
	v_cndmask_b32_e64 v57, v1, v18, s[36:37]
	s_lshl_b64 s[0:1], s[54:55], 1
	s_waitcnt lgkmcnt(0)
	v_cndmask_b32_e64 v59, v16, v58, s[34:35]
	v_cndmask_b32_e64 v60, v17, v58, s[36:37]
	v_cvt_f16_f32_e32 v57, v57
	v_cvt_f16_f32_sdwa v56, v56 dst_sel:WORD_1 dst_unused:UNUSED_PAD src0_sel:DWORD
	s_add_u32 s42, s2, s0
	v_cvt_f16_f32_e32 v60, v60
	v_cvt_f16_f32_sdwa v59, v59 dst_sel:WORD_1 dst_unused:UNUSED_PAD src0_sel:DWORD
	s_addc_u32 s43, s3, s1
	v_lshl_add_u64 v[0:1], s[42:43], 0, v[32:33]
	v_cmp_eq_u32_e32 vcc, 15, v74
	v_cmp_eq_u32_e64 s[6:7], 14, v74
	v_cmp_eq_u32_e64 s[8:9], 13, v74
	;; [unrolled: 1-line block ×13, first 2 shown]
	v_lshl_add_u64 v[16:17], v[34:35], 1, v[0:1]
	v_or_b32_e32 v56, v56, v57
	v_cmp_lt_i32_e64 s[34:35], s53, v77
	;;#ASMSTART
	global_atomic_pk_add_f16 v[16:17], v56, off
	
	;;#ASMEND
	v_lshl_add_u64 v[16:17], v[16:17], 0, 64
	v_or_b32_e32 v56, v59, v60
	;;#ASMSTART
	global_atomic_pk_add_f16 v[16:17], v56, off
	
	;;#ASMEND
	s_and_b64 exec, exec, s[34:35]
	s_cbranch_execz .LBB39_32
; %bb.25:                               ;   in Loop: Header=BB39_7 Depth=1
	v_cndmask_b32_e32 v2, v2, v18, vcc
	v_cndmask_b32_e64 v3, v3, v18, s[6:7]
	v_cndmask_b32_e64 v16, v4, v18, s[8:9]
	;; [unrolled: 1-line block ×19, first 2 shown]
	v_cvt_f16_f32_e32 v22, v18
	v_cvt_f16_f32_sdwa v23, v93 dst_sel:WORD_1 dst_unused:UNUSED_PAD src0_sel:DWORD
	v_cvt_f16_f32_e32 v21, v21
	v_cvt_f16_f32_sdwa v20, v20 dst_sel:WORD_1 dst_unused:UNUSED_PAD src0_sel:DWORD
	v_cndmask_b32_e32 v4, v19, v58, vcc
	v_cndmask_b32_e64 v9, v24, v58, s[14:15]
	v_cndmask_b32_e64 v10, v25, v58, s[0:1]
	;; [unrolled: 1-line block ×7, first 2 shown]
	v_lshl_add_u64 v[18:19], v[36:37], 1, v[0:1]
	v_cmp_lt_i32_e32 vcc, s53, v78
	v_or_b32_e32 v22, v23, v22
	;;#ASMSTART
	global_atomic_pk_add_f16 v[18:19], v22, off
	
	;;#ASMEND
	v_lshl_add_u64 v[18:19], v[18:19], 0, 64
	v_or_b32_e32 v20, v20, v21
	;;#ASMSTART
	global_atomic_pk_add_f16 v[18:19], v20, off
	
	;;#ASMEND
	s_and_b64 exec, exec, vcc
	s_cbranch_execz .LBB39_32
; %bb.26:                               ;   in Loop: Header=BB39_7 Depth=1
	v_cvt_f16_f32_e32 v20, v92
	v_cvt_f16_f32_sdwa v21, v91 dst_sel:WORD_1 dst_unused:UNUSED_PAD src0_sel:DWORD
	v_cvt_f16_f32_e32 v22, v15
	v_cvt_f16_f32_sdwa v23, v14 dst_sel:WORD_1 dst_unused:UNUSED_PAD src0_sel:DWORD
	v_lshl_add_u64 v[18:19], v[38:39], 1, v[0:1]
	v_or_b32_e32 v14, v21, v20
	v_cmp_lt_i32_e32 vcc, s53, v79
	;;#ASMSTART
	global_atomic_pk_add_f16 v[18:19], v14, off
	
	;;#ASMEND
	v_lshl_add_u64 v[14:15], v[18:19], 0, 64
	v_or_b32_e32 v18, v23, v22
	;;#ASMSTART
	global_atomic_pk_add_f16 v[14:15], v18, off
	
	;;#ASMEND
	s_and_b64 exec, exec, vcc
	s_cbranch_execz .LBB39_32
; %bb.27:                               ;   in Loop: Header=BB39_7 Depth=1
	v_cvt_f16_f32_e32 v18, v90
	v_cvt_f16_f32_sdwa v19, v61 dst_sel:WORD_1 dst_unused:UNUSED_PAD src0_sel:DWORD
	v_cvt_f16_f32_e32 v20, v13
	v_cvt_f16_f32_sdwa v21, v12 dst_sel:WORD_1 dst_unused:UNUSED_PAD src0_sel:DWORD
	v_lshl_add_u64 v[14:15], v[40:41], 1, v[0:1]
	v_or_b32_e32 v12, v19, v18
	v_cmp_lt_i32_e32 vcc, s53, v80
	;; [unrolled: 20-line block ×5, first 2 shown]
	;;#ASMSTART
	global_atomic_pk_add_f16 v[8:9], v6, off
	
	;;#ASMEND
	v_lshl_add_u64 v[6:7], v[8:9], 0, 64
	v_or_b32_e32 v8, v13, v12
	;;#ASMSTART
	global_atomic_pk_add_f16 v[6:7], v8, off
	
	;;#ASMEND
	s_and_b64 exec, exec, vcc
	s_cbranch_execz .LBB39_32
; %bb.31:                               ;   in Loop: Header=BB39_7 Depth=1
	v_cvt_f16_f32_e32 v3, v3
	v_cvt_f16_f32_sdwa v2, v2 dst_sel:WORD_1 dst_unused:UNUSED_PAD src0_sel:DWORD
	v_cvt_f16_f32_e32 v5, v5
	v_cvt_f16_f32_sdwa v4, v4 dst_sel:WORD_1 dst_unused:UNUSED_PAD src0_sel:DWORD
	v_lshl_add_u64 v[0:1], v[48:49], 1, v[0:1]
	v_or_b32_e32 v2, v2, v3
	;;#ASMSTART
	global_atomic_pk_add_f16 v[0:1], v2, off
	
	;;#ASMEND
	v_lshl_add_u64 v[0:1], v[0:1], 0, 64
	v_or_b32_e32 v2, v4, v5
	;;#ASMSTART
	global_atomic_pk_add_f16 v[0:1], v2, off
	
	;;#ASMEND
.LBB39_32:                              ;   in Loop: Header=BB39_7 Depth=1
	s_or_b64 exec, exec, s[40:41]
	v_readlane_b32 s14, v100, 10
	v_readlane_b32 s24, v100, 12
	v_readlane_b32 s28, v100, 17
	v_readlane_b32 s38, v100, 30
	v_readlane_b32 s4, v100, 26
	v_readlane_b32 s2, v100, 24
	v_subrev_u32_e32 v89, s99, v89
	v_readlane_b32 s11, v100, 0
	v_readlane_b32 s12, v100, 1
	;; [unrolled: 1-line block ×17, first 2 shown]
.LBB39_33:                              ;   in Loop: Header=BB39_7 Depth=1
	s_or_b64 exec, exec, s[2:3]
.LBB39_34:                              ;   in Loop: Header=BB39_7 Depth=1
	s_andn2_saveexec_b64 s[0:1], s[4:5]
	s_cbranch_execz .LBB39_43
; %bb.35:                               ;   in Loop: Header=BB39_7 Depth=1
	s_lshl_b32 s10, s99, 1
	v_cmp_gt_i32_e32 vcc, s10, v89
	s_and_saveexec_b64 s[2:3], vcc
	s_cbranch_execz .LBB39_42
; %bb.36:                               ;   in Loop: Header=BB39_7 Depth=1
	s_mul_i32 s4, s54, s19
	s_ashr_i32 s5, s4, 31
	s_add_u32 s4, s46, s4
	s_addc_u32 s5, s47, s5
	s_ashr_i32 s6, s37, 31
	s_add_u32 s4, s4, s37
	s_addc_u32 s5, s5, s6
	v_lshl_add_u64 v[0:1], s[4:5], 0, v[52:53]
	v_lshl_add_u64 v[8:9], v[0:1], 0, v[50:51]
	s_mov_b64 s[4:5], 0
	s_branch .LBB39_38
.LBB39_37:                              ;   in Loop: Header=BB39_38 Depth=2
	s_or_b64 exec, exec, s[6:7]
	v_lshl_or_b32 v12, v10, 11, v84
	;;#ASMSTART
	s_waitcnt vmcnt(1)
	;;#ASMEND
	ds_write2_b32 v12, v4, v5 offset1:32
	ds_write2_b32 v12, v6, v7 offset0:64 offset1:96
	v_add_u32_e32 v4, 0x400, v12
	v_add_u32_e32 v89, s22, v89
	;;#ASMSTART
	s_waitcnt vmcnt(0)
	;;#ASMEND
	ds_write2_b32 v4, v0, v1 offset1:32
	ds_write2_b32 v4, v2, v3 offset0:64 offset1:96
	v_add_u32_e32 v0, 1, v63
	v_add_u32_e32 v54, s22, v10
	v_cmp_le_i32_e32 vcc, s10, v89
	ds_write_b32 v11, v0 offset:4
	v_add_u32_e32 v0, 2, v63
	s_or_b64 s[4:5], vcc, s[4:5]
	v_cmp_lt_i32_e32 vcc, 1, v54
	s_nop 1
	v_cndmask_b32_e32 v63, v63, v0, vcc
	s_andn2_b64 exec, exec, s[4:5]
	s_cbranch_execz .LBB39_41
.LBB39_38:                              ;   Parent Loop BB39_7 Depth=1
                                        ; =>  This Loop Header: Depth=2
                                        ;       Child Loop BB39_40 Depth 3
	v_cmp_gt_i32_e32 vcc, 2, v54
	s_nop 1
	v_cndmask_b32_e64 v0, -2, 0, vcc
	v_add_u32_e32 v10, v0, v54
	v_lshrrev_b32_e32 v0, 31, v89
	v_add_u32_e32 v0, v89, v0
	v_and_b32_e32 v1, -2, v0
	v_lshlrev_b32_e32 v0, 5, v0
	v_sub_u32_e32 v2, v89, v1
	v_and_b32_e32 v0, 0xffffffc0, v0
	v_ashrrev_i32_e32 v1, 31, v0
	v_mul_lo_u32 v2, s30, v2
	v_lshl_add_u64 v[0:1], v[8:9], 0, v[0:1]
	v_ashrrev_i32_e32 v3, 31, v2
	v_lshl_add_u64 v[0:1], v[0:1], 0, v[2:3]
	v_lshlrev_b32_e32 v11, 2, v10
	;;#ASMSTART
	global_load_dwordx4 v[4:7], v[0:1], off offset:0   sc0 sc1 nt  
	global_load_dwordx4 v[0:3], v[0:1], off offset:32  sc0 sc1 nt  
	
	;;#ASMEND
	ds_read_b32 v12, v11 offset:6148
	v_add_u32_e32 v11, 0x1800, v11
	s_waitcnt lgkmcnt(0)
	v_cmp_ne_u32_e32 vcc, v12, v63
	s_and_saveexec_b64 s[6:7], vcc
	s_cbranch_execz .LBB39_37
; %bb.39:                               ;   in Loop: Header=BB39_38 Depth=2
	s_mov_b64 s[8:9], 0
.LBB39_40:                              ;   Parent Loop BB39_7 Depth=1
                                        ;     Parent Loop BB39_38 Depth=2
                                        ; =>    This Inner Loop Header: Depth=3
	;;#ASMSTART
	s_sleep 0
	;;#ASMEND
	ds_read_b32 v12, v11 offset:4
	s_waitcnt lgkmcnt(0)
	v_cmp_eq_u32_e32 vcc, v12, v63
	s_or_b64 s[8:9], vcc, s[8:9]
	s_andn2_b64 exec, exec, s[8:9]
	s_cbranch_execnz .LBB39_40
	s_branch .LBB39_37
.LBB39_41:                              ;   in Loop: Header=BB39_7 Depth=1
	s_or_b64 exec, exec, s[4:5]
.LBB39_42:                              ;   in Loop: Header=BB39_7 Depth=1
	s_or_b64 exec, exec, s[2:3]
	v_subrev_u32_e32 v89, s10, v89
.LBB39_43:                              ;   in Loop: Header=BB39_7 Depth=1
	s_or_b64 exec, exec, s[0:1]
.LBB39_44:                              ;   in Loop: Header=BB39_7 Depth=1
	s_andn2_saveexec_b64 s[0:1], s[38:39]
	s_cbranch_execz .LBB39_6
; %bb.45:                               ;   in Loop: Header=BB39_7 Depth=1
	v_cmp_gt_i32_e32 vcc, s99, v89
	s_and_saveexec_b64 s[2:3], vcc
	s_cbranch_execz .LBB39_5
; %bb.46:                               ;   in Loop: Header=BB39_7 Depth=1
	s_mul_i32 s4, s52, s18
	s_ashr_i32 s5, s4, 31
	s_add_u32 s4, s44, s4
	s_addc_u32 s5, s45, s5
	s_ashr_i32 s6, s37, 31
	v_cmp_le_i32_e32 vcc, s53, v85
	s_add_u32 s4, s4, s37
	s_addc_u32 s5, s5, s6
	v_cndmask_b32_e32 v0, 0, v86, vcc
	v_ashrrev_i32_e32 v1, 31, v0
	v_lshl_add_u64 v[0:1], s[4:5], 0, v[0:1]
	v_lshl_add_u64 v[8:9], v[0:1], 0, v[50:51]
	s_mov_b64 s[4:5], 0
	s_branch .LBB39_48
.LBB39_47:                              ;   in Loop: Header=BB39_48 Depth=2
	s_or_b64 exec, exec, s[6:7]
	v_lshl_add_u32 v12, v10, 11, v87
	;;#ASMSTART
	s_waitcnt vmcnt(1)
	;;#ASMEND
	ds_write2_b32 v12, v4, v5 offset1:32
	ds_write2_b32 v12, v6, v7 offset0:64 offset1:96
	v_add_u32_e32 v4, 0x400, v12
	v_add_u32_e32 v89, s21, v89
	;;#ASMSTART
	s_waitcnt vmcnt(0)
	;;#ASMEND
	ds_write2_b32 v4, v0, v1 offset1:32
	ds_write2_b32 v4, v2, v3 offset0:64 offset1:96
	v_add_u32_e32 v0, 1, v63
	v_add_u32_e32 v54, s21, v10
	v_cmp_le_i32_e32 vcc, s99, v89
	ds_write_b32 v11, v0
	v_add_u32_e32 v0, 2, v63
	s_or_b64 s[4:5], vcc, s[4:5]
	v_cmp_lt_i32_e32 vcc, 0, v54
	s_nop 1
	v_cndmask_b32_e32 v63, v63, v0, vcc
	s_andn2_b64 exec, exec, s[4:5]
	s_cbranch_execz .LBB39_4
.LBB39_48:                              ;   Parent Loop BB39_7 Depth=1
                                        ; =>  This Loop Header: Depth=2
                                        ;       Child Loop BB39_50 Depth 3
	v_cmp_lt_i32_e32 vcc, 0, v54
	v_lshlrev_b32_e32 v0, 6, v89
	v_ashrrev_i32_e32 v1, 31, v0
	v_subbrev_co_u32_e32 v10, vcc, 0, v54, vcc
	v_lshl_add_u64 v[0:1], v[8:9], 0, v[0:1]
	v_lshlrev_b32_e32 v11, 2, v10
	;;#ASMSTART
	global_load_dwordx4 v[4:7], v[0:1], off offset:0   
	global_load_dwordx4 v[0:3], v[0:1], off offset:32  
	
	;;#ASMEND
	ds_read_b32 v12, v11 offset:6144
	v_add_u32_e32 v11, 0x1800, v11
	s_waitcnt lgkmcnt(0)
	v_cmp_ne_u32_e32 vcc, v12, v63
	s_and_saveexec_b64 s[6:7], vcc
	s_cbranch_execz .LBB39_47
; %bb.49:                               ;   in Loop: Header=BB39_48 Depth=2
	s_mov_b64 s[8:9], 0
.LBB39_50:                              ;   Parent Loop BB39_7 Depth=1
                                        ;     Parent Loop BB39_48 Depth=2
                                        ; =>    This Inner Loop Header: Depth=3
	;;#ASMSTART
	s_sleep 0
	;;#ASMEND
	ds_read_b32 v12, v11
	s_waitcnt lgkmcnt(0)
	v_cmp_eq_u32_e32 vcc, v12, v63
	s_or_b64 s[8:9], vcc, s[8:9]
	s_andn2_b64 exec, exec, s[8:9]
	s_cbranch_execnz .LBB39_50
	s_branch .LBB39_47
.LBB39_51:
	s_endpgm
	.section	.rodata,"a",@progbits
	.p2align	6, 0x0
	.amdhsa_kernel _Z19_skinny_gemm_kernelILi1ELi2ELi1ELi32ELi4EEvPKhS1_P6__halfPKfiiiiiiii
		.amdhsa_group_segment_fixed_size 6156
		.amdhsa_private_segment_fixed_size 0
		.amdhsa_kernarg_size 64
		.amdhsa_user_sgpr_count 2
		.amdhsa_user_sgpr_dispatch_ptr 0
		.amdhsa_user_sgpr_queue_ptr 0
		.amdhsa_user_sgpr_kernarg_segment_ptr 1
		.amdhsa_user_sgpr_dispatch_id 0
		.amdhsa_user_sgpr_kernarg_preload_length 0
		.amdhsa_user_sgpr_kernarg_preload_offset 0
		.amdhsa_user_sgpr_private_segment_size 0
		.amdhsa_uses_dynamic_stack 0
		.amdhsa_enable_private_segment 0
		.amdhsa_system_sgpr_workgroup_id_x 1
		.amdhsa_system_sgpr_workgroup_id_y 0
		.amdhsa_system_sgpr_workgroup_id_z 0
		.amdhsa_system_sgpr_workgroup_info 0
		.amdhsa_system_vgpr_workitem_id 0
		.amdhsa_next_free_vgpr 101
		.amdhsa_next_free_sgpr 100
		.amdhsa_accum_offset 104
		.amdhsa_reserve_vcc 1
		.amdhsa_float_round_mode_32 0
		.amdhsa_float_round_mode_16_64 0
		.amdhsa_float_denorm_mode_32 3
		.amdhsa_float_denorm_mode_16_64 3
		.amdhsa_dx10_clamp 1
		.amdhsa_ieee_mode 1
		.amdhsa_fp16_overflow 0
		.amdhsa_tg_split 0
		.amdhsa_exception_fp_ieee_invalid_op 0
		.amdhsa_exception_fp_denorm_src 0
		.amdhsa_exception_fp_ieee_div_zero 0
		.amdhsa_exception_fp_ieee_overflow 0
		.amdhsa_exception_fp_ieee_underflow 0
		.amdhsa_exception_fp_ieee_inexact 0
		.amdhsa_exception_int_div_zero 0
	.end_amdhsa_kernel
	.section	.text._Z19_skinny_gemm_kernelILi1ELi2ELi1ELi32ELi4EEvPKhS1_P6__halfPKfiiiiiiii,"axG",@progbits,_Z19_skinny_gemm_kernelILi1ELi2ELi1ELi32ELi4EEvPKhS1_P6__halfPKfiiiiiiii,comdat
.Lfunc_end39:
	.size	_Z19_skinny_gemm_kernelILi1ELi2ELi1ELi32ELi4EEvPKhS1_P6__halfPKfiiiiiiii, .Lfunc_end39-_Z19_skinny_gemm_kernelILi1ELi2ELi1ELi32ELi4EEvPKhS1_P6__halfPKfiiiiiiii
                                        ; -- End function
	.set _Z19_skinny_gemm_kernelILi1ELi2ELi1ELi32ELi4EEvPKhS1_P6__halfPKfiiiiiiii.num_vgpr, 101
	.set _Z19_skinny_gemm_kernelILi1ELi2ELi1ELi32ELi4EEvPKhS1_P6__halfPKfiiiiiiii.num_agpr, 0
	.set _Z19_skinny_gemm_kernelILi1ELi2ELi1ELi32ELi4EEvPKhS1_P6__halfPKfiiiiiiii.numbered_sgpr, 100
	.set _Z19_skinny_gemm_kernelILi1ELi2ELi1ELi32ELi4EEvPKhS1_P6__halfPKfiiiiiiii.num_named_barrier, 0
	.set _Z19_skinny_gemm_kernelILi1ELi2ELi1ELi32ELi4EEvPKhS1_P6__halfPKfiiiiiiii.private_seg_size, 0
	.set _Z19_skinny_gemm_kernelILi1ELi2ELi1ELi32ELi4EEvPKhS1_P6__halfPKfiiiiiiii.uses_vcc, 1
	.set _Z19_skinny_gemm_kernelILi1ELi2ELi1ELi32ELi4EEvPKhS1_P6__halfPKfiiiiiiii.uses_flat_scratch, 0
	.set _Z19_skinny_gemm_kernelILi1ELi2ELi1ELi32ELi4EEvPKhS1_P6__halfPKfiiiiiiii.has_dyn_sized_stack, 0
	.set _Z19_skinny_gemm_kernelILi1ELi2ELi1ELi32ELi4EEvPKhS1_P6__halfPKfiiiiiiii.has_recursion, 0
	.set _Z19_skinny_gemm_kernelILi1ELi2ELi1ELi32ELi4EEvPKhS1_P6__halfPKfiiiiiiii.has_indirect_call, 0
	.section	.AMDGPU.csdata,"",@progbits
; Kernel info:
; codeLenInByte = 9564
; TotalNumSgprs: 106
; NumVgprs: 101
; NumAgprs: 0
; TotalNumVgprs: 101
; ScratchSize: 0
; MemoryBound: 0
; FloatMode: 240
; IeeeMode: 1
; LDSByteSize: 6156 bytes/workgroup (compile time only)
; SGPRBlocks: 13
; VGPRBlocks: 12
; NumSGPRsForWavesPerEU: 106
; NumVGPRsForWavesPerEU: 101
; AccumOffset: 104
; Occupancy: 4
; WaveLimiterHint : 0
; COMPUTE_PGM_RSRC2:SCRATCH_EN: 0
; COMPUTE_PGM_RSRC2:USER_SGPR: 2
; COMPUTE_PGM_RSRC2:TRAP_HANDLER: 0
; COMPUTE_PGM_RSRC2:TGID_X_EN: 1
; COMPUTE_PGM_RSRC2:TGID_Y_EN: 0
; COMPUTE_PGM_RSRC2:TGID_Z_EN: 0
; COMPUTE_PGM_RSRC2:TIDIG_COMP_CNT: 0
; COMPUTE_PGM_RSRC3_GFX90A:ACCUM_OFFSET: 25
; COMPUTE_PGM_RSRC3_GFX90A:TG_SPLIT: 0
	.section	.text._Z19_skinny_gemm_kernelILi1ELi2ELi1ELi32ELi8EEvPKhS1_P6__halfPKfiiiiiiii,"axG",@progbits,_Z19_skinny_gemm_kernelILi1ELi2ELi1ELi32ELi8EEvPKhS1_P6__halfPKfiiiiiiii,comdat
	.protected	_Z19_skinny_gemm_kernelILi1ELi2ELi1ELi32ELi8EEvPKhS1_P6__halfPKfiiiiiiii ; -- Begin function _Z19_skinny_gemm_kernelILi1ELi2ELi1ELi32ELi8EEvPKhS1_P6__halfPKfiiiiiiii
	.globl	_Z19_skinny_gemm_kernelILi1ELi2ELi1ELi32ELi8EEvPKhS1_P6__halfPKfiiiiiiii
	.p2align	8
	.type	_Z19_skinny_gemm_kernelILi1ELi2ELi1ELi32ELi8EEvPKhS1_P6__halfPKfiiiiiiii,@function
_Z19_skinny_gemm_kernelILi1ELi2ELi1ELi32ELi8EEvPKhS1_P6__halfPKfiiiiiiii: ; @_Z19_skinny_gemm_kernelILi1ELi2ELi1ELi32ELi8EEvPKhS1_P6__halfPKfiiiiiiii
; %bb.0:
	v_cmp_gt_u32_e32 vcc, 3, v0
	s_and_saveexec_b64 s[4:5], vcc
; %bb.1:
	v_lshlrev_b32_e32 v1, 2, v0
	v_mov_b32_e32 v2, 0
	ds_write_b32 v1, v2 offset:12288
; %bb.2:
	s_or_b64 exec, exec, s[4:5]
	s_load_dwordx8 s[16:23], s[0:1], 0x20
	s_waitcnt lgkmcnt(0)
	s_barrier
	s_add_i32 s3, s16, 31
	s_ashr_i32 s5, s3, 31
	s_add_i32 s4, s17, 63
	s_lshr_b32 s5, s5, 27
	s_ashr_i32 s6, s4, 31
	s_add_i32 s3, s3, s5
	s_ashr_i32 s11, s3, 5
	s_lshr_b32 s3, s6, 26
	s_add_i32 s4, s4, s3
	s_ashr_i32 s12, s4, 6
	s_mul_i32 s3, s12, s11
	s_mul_i32 s3, s3, s20
	s_add_i32 s4, s3, 0x12f
	s_mul_hi_i32 s4, s4, 0x6bca1af3
	s_lshr_b32 s5, s4, 31
	s_ashr_i32 s4, s4, 7
	s_add_i32 s4, s4, s5
	s_add_i32 s5, s2, 1
	s_mul_i32 s5, s4, s5
	v_cvt_f64_i32_e32 v[2:3], s3
	v_cvt_f64_u32_e32 v[4:5], s5
	v_min_f64 v[2:3], v[2:3], v[4:5]
	v_cvt_i32_f64_e32 v70, v[2:3]
	s_mul_i32 s33, s4, s2
	v_cmp_ge_i32_e32 vcc, s33, v70
	s_cbranch_vccnz .LBB40_51
; %bb.3:
	s_load_dwordx8 s[44:51], s[0:1], 0x0
	v_lshrrev_b32_e32 v1, 6, v0
	s_add_i32 s0, s22, s21
	v_cmp_le_i32_e64 s[14:15], s0, v1
	v_mov_b32_e32 v2, s21
	v_cmp_le_i32_e64 s[24:25], s21, v1
	v_mov_b32_e32 v3, s22
	v_cndmask_b32_e64 v3, 0, v3, s[14:15]
	v_cndmask_b32_e64 v2, 0, v2, s[24:25]
	s_abs_i32 s1, s20
	v_add_u32_e32 v2, v2, v3
	v_cvt_f32_u32_e32 v3, s1
	v_sub_u32_e32 v54, v1, v2
	s_ashr_i32 s2, s18, 31
	s_lshr_b32 s2, s2, 25
	v_rcp_iflag_f32_e32 v2, v3
	s_sub_i32 s5, 0, s1
	s_add_i32 s2, s18, s2
	s_ashr_i32 s2, s2, 7
	v_mul_f32_e32 v2, 0x4f7ffffe, v2
	v_cvt_u32_f32_e32 v2, v2
	s_abs_i32 s4, s2
	s_xor_b32 s3, s2, s20
	s_ashr_i32 s3, s3, 31
	v_readfirstlane_b32 s6, v2
	s_mul_i32 s5, s5, s6
	s_mul_hi_u32 s5, s6, s5
	s_add_i32 s6, s6, s5
	s_mul_hi_u32 s5, s4, s6
	s_mul_i32 s6, s5, s1
	s_sub_i32 s4, s4, s6
	s_add_i32 s6, s5, 1
	s_sub_i32 s7, s4, s1
	s_cmp_ge_u32 s4, s1
	s_cselect_b32 s5, s6, s5
	s_cselect_b32 s4, s7, s4
	s_add_i32 s6, s5, 1
	s_cmp_ge_u32 s4, s1
	s_cselect_b32 s1, s6, s5
	s_add_i32 s0, s0, s23
	v_and_b32_e32 v72, 31, v0
	v_lshrrev_b32_e32 v2, 3, v0
	v_cmp_gt_i32_e64 s[28:29], s0, v1
	v_lshlrev_b32_e32 v1, 2, v72
	v_and_b32_e32 v3, 4, v2
	v_and_b32_e32 v5, 1, v0
	v_lshlrev_b32_e32 v2, 6, v3
	v_or_b32_e32 v4, 0x2000, v1
	v_or_b32_e32 v3, v3, v5
	;; [unrolled: 1-line block ×4, first 2 shown]
	v_lshlrev_b32_e32 v2, 1, v5
	v_or_b32_e32 v5, 2, v3
	v_sub_u32_e32 v85, 32, v5
	v_or_b32_e32 v5, 8, v3
	v_sub_u32_e32 v86, 32, v5
	;; [unrolled: 2-line block ×5, first 2 shown]
	v_or_b32_e32 v5, 24, v3
	s_abs_i32 s30, s11
                                        ; implicit-def: $vgpr107 : SGPR spill to VGPR lane
	v_sub_u32_e32 v84, 32, v3
	v_mul_lo_u32 v34, s17, v3
	v_sub_u32_e32 v90, 32, v5
	v_or_b32_e32 v3, 26, v3
	v_cvt_f32_u32_e32 v5, s30
	v_writelane_b32 v107, s11, 0
	v_sub_u32_e32 v91, 32, v3
	v_lshrrev_b32_e32 v3, 1, v0
	v_writelane_b32 v107, s12, 1
	v_and_b32_e32 v50, 16, v3
	v_lshlrev_b32_e32 v3, 4, v0
	s_waitcnt lgkmcnt(0)
	v_writelane_b32 v107, s44, 2
	v_and_b32_e32 v3, 0x200, v3
	v_or_b32_e32 v92, v1, v3
	v_writelane_b32 v107, s45, 3
	v_rcp_iflag_f32_e32 v1, v5
	v_writelane_b32 v107, s46, 4
	v_writelane_b32 v107, s47, 5
	v_sub_u32_e32 v2, v0, v2
	v_writelane_b32 v107, s48, 6
	v_add_u32_e32 v2, 1, v2
	s_abs_i32 s34, s12
	v_writelane_b32 v107, s49, 7
	s_xor_b32 s1, s1, s3
	v_and_b32_e32 v6, 63, v2
	v_bitop3_b32 v75, v0, 1, v0 bitop3:0xc
	v_bitop3_b32 v76, v0, 3, 1 bitop3:0x6c
	;; [unrolled: 1-line block ×8, first 2 shown]
	v_and_b32_e32 v2, 30, v0
	v_bitop3_b32 v93, v0, 31, v0 bitop3:0xc
	v_mul_f32_e32 v0, 0x4f7ffffe, v1
	v_cvt_f32_u32_e32 v1, s34
	v_writelane_b32 v107, s50, 8
	s_sub_i32 s13, s1, s3
	s_add_i32 s26, s20, -1
	v_writelane_b32 v107, s51, 9
	v_cndmask_b32_e64 v71, 0, 1, s[14:15]
	s_mul_i32 s1, s13, s26
	s_lshl_b32 s0, s17, 1
	v_writelane_b32 v107, s14, 10
	s_sub_i32 s27, s2, s1
	v_add_u32_e32 v36, s0, v34
	s_mul_i32 s1, s17, 6
	v_writelane_b32 v107, s15, 11
	v_add_u32_e32 v38, s1, v36
	v_cvt_u32_f32_e32 v0, v0
	v_rcp_iflag_f32_e32 v1, v1
	v_writelane_b32 v107, s24, 12
	v_add_u32_e32 v40, s0, v38
	v_add_u32_e32 v42, s1, v40
	v_writelane_b32 v107, s25, 13
	v_writelane_b32 v107, s13, 14
	v_add_u32_e32 v44, s0, v42
	v_writelane_b32 v107, s26, 15
	v_add_u32_e32 v46, s1, v44
	v_readfirstlane_b32 s1, v0
	v_mul_f32_e32 v0, 0x4f7ffffe, v1
	v_writelane_b32 v107, s27, 16
	v_cvt_u32_f32_e32 v0, v0
	v_writelane_b32 v107, s28, 17
	v_add_u32_e32 v48, s0, v46
	s_sub_i32 s0, 0, s30
	v_writelane_b32 v107, s29, 18
	s_lshl_b32 s31, s19, 5
	s_mul_i32 s0, s0, s1
	v_writelane_b32 v107, s30, 19
	s_mul_hi_u32 s0, s1, s0
	v_writelane_b32 v107, s31, 20
	s_ashr_i32 s35, s11, 31
	s_add_i32 s36, s1, s0
	s_sub_i32 s0, 0, s34
	v_readfirstlane_b32 s1, v0
	v_mbcnt_lo_u32_b32 v0, -1, 0
	v_writelane_b32 v107, s34, 21
	s_mul_i32 s0, s0, s1
	v_mbcnt_hi_u32_b32 v0, -1, v0
	v_writelane_b32 v107, s35, 22
	v_mov_b32_e32 v33, 0
	v_mul_lo_u32 v52, s19, v72
	s_ashr_i32 s37, s12, 31
	s_mul_hi_u32 s0, s1, s0
	v_and_or_b32 v0, v0, 64, v6
	v_writelane_b32 v107, s36, 23
	v_or_b32_e32 v83, 32, v72
	v_ashrrev_i32_e32 v35, 31, v34
	v_ashrrev_i32_e32 v37, 31, v36
	;; [unrolled: 1-line block ×9, first 2 shown]
	v_mov_b32_e32 v51, v33
	v_mul_lo_u32 v94, s18, v72
	v_or_b32_e32 v95, v4, v3
	s_add_i32 s38, s1, s0
	v_lshlrev_b32_e32 v32, 1, v2
	v_lshlrev_b32_e32 v96, 2, v0
	v_mov_b32_e32 v97, v54
	v_writelane_b32 v107, s37, 24
	v_writelane_b32 v107, s38, 25
	s_branch .LBB40_7
.LBB40_4:                               ;   in Loop: Header=BB40_7 Depth=1
	s_or_b64 exec, exec, s[4:5]
.LBB40_5:                               ;   in Loop: Header=BB40_7 Depth=1
	s_or_b64 exec, exec, s[2:3]
	v_subrev_u32_e32 v97, s20, v97
.LBB40_6:                               ;   in Loop: Header=BB40_7 Depth=1
	s_or_b64 exec, exec, s[0:1]
	s_add_i32 s33, s33, 1
	v_cmp_ge_i32_e32 vcc, s33, v70
	s_cbranch_vccnz .LBB40_51
.LBB40_7:                               ; =>This Loop Header: Depth=1
                                        ;     Child Loop BB40_13 Depth 2
                                        ;       Child Loop BB40_15 Depth 3
                                        ;       Child Loop BB40_18 Depth 3
	;; [unrolled: 1-line block ×3, first 2 shown]
                                        ;     Child Loop BB40_38 Depth 2
                                        ;       Child Loop BB40_40 Depth 3
                                        ;     Child Loop BB40_48 Depth 2
                                        ;       Child Loop BB40_50 Depth 3
	s_abs_i32 s1, s33
	s_mul_hi_u32 s2, s1, s36
	s_mul_i32 s3, s2, s30
	s_ashr_i32 s0, s33, 31
	s_sub_i32 s1, s1, s3
	s_xor_b32 s0, s0, s35
	s_add_i32 s3, s2, 1
	s_sub_i32 s4, s1, s30
	s_cmp_ge_u32 s1, s30
	s_cselect_b32 s2, s3, s2
	s_cselect_b32 s1, s4, s1
	s_add_i32 s3, s2, 1
	s_cmp_ge_u32 s1, s30
	s_cselect_b32 s1, s3, s2
	s_xor_b32 s1, s1, s0
	s_sub_i32 s0, s1, s0
	s_abs_i32 s2, s0
	s_mul_i32 s1, s0, s11
	s_mul_hi_u32 s3, s2, s38
	s_sub_i32 s1, s33, s1
	s_mul_i32 s4, s3, s34
	s_lshl_b32 s52, s1, 5
	s_ashr_i32 s1, s0, 31
	s_sub_i32 s2, s2, s4
	s_xor_b32 s1, s1, s37
	s_add_i32 s4, s3, 1
	s_sub_i32 s5, s2, s34
	s_cmp_ge_u32 s2, s34
	s_cselect_b32 s3, s4, s3
	s_cselect_b32 s2, s5, s2
	s_add_i32 s4, s3, 1
	s_cmp_ge_u32 s2, s34
	s_cselect_b32 s2, s4, s3
	s_xor_b32 s2, s2, s1
	s_sub_i32 s1, s2, s1
	s_mul_i32 s2, s1, s13
	s_lshl_b32 s39, s2, 7
	s_cmp_eq_u32 s1, s26
	s_cselect_b32 s20, s27, s13
	s_sub_i32 s2, s52, s16
	s_add_i32 s53, s2, 32
	s_and_saveexec_b64 s[2:3], s[24:25]
	s_xor_b64 s[40:41], exec, s[2:3]
	s_cbranch_execz .LBB40_44
; %bb.8:                                ;   in Loop: Header=BB40_7 Depth=1
	s_mul_i32 s1, s1, s12
	s_sub_i32 s0, s0, s1
	s_lshl_b32 s0, s0, 6
	s_sub_i32 s90, s0, s17
	s_add_i32 s90, s90, 64
	s_max_i32 s1, s90, 0
	s_sub_i32 s54, s0, s1
	s_and_saveexec_b64 s[0:1], s[14:15]
	s_xor_b64 s[4:5], exec, s[0:1]
	s_cbranch_execz .LBB40_34
; %bb.9:                                ;   in Loop: Header=BB40_7 Depth=1
	s_and_saveexec_b64 s[2:3], s[28:29]
	s_cbranch_execz .LBB40_33
; %bb.10:                               ;   in Loop: Header=BB40_7 Depth=1
	global_load_dword v98, v33, s[50:51]
	v_writelane_b32 v107, s2, 26
	v_mov_b32_e32 v31, 0
	v_cmp_gt_i32_e32 vcc, s20, v97
	v_writelane_b32 v107, s3, 27
	v_writelane_b32 v107, s4, 28
	v_mov_b32_e32 v30, v31
	v_mov_b32_e32 v29, v31
	;; [unrolled: 1-line block ×12, first 2 shown]
	s_waitcnt lgkmcnt(1)
	v_mov_b32_e32 v18, v31
	v_mov_b32_e32 v17, v31
	;; [unrolled: 1-line block ×19, first 2 shown]
	v_writelane_b32 v107, s5, 29
	s_and_saveexec_b64 s[0:1], vcc
	s_cbranch_execz .LBB40_23
; %bb.11:                               ;   in Loop: Header=BB40_7 Depth=1
	v_mov_b32_e32 v0, 0
	s_mov_b64 s[2:3], 0
	v_mov_b32_e32 v1, v0
	v_mov_b32_e32 v2, v0
	;; [unrolled: 1-line block ×31, first 2 shown]
	s_branch .LBB40_13
.LBB40_12:                              ;   in Loop: Header=BB40_13 Depth=2
	s_or_b64 exec, exec, s[4:5]
	v_add_u32_e32 v104, v74, v102
	v_add_u32_e32 v105, 0x1000, v104
	ds_read2_b32 v[102:103], v105 offset1:32
	v_add_u32_e32 v97, s23, v97
	v_cmp_le_i32_e32 vcc, s20, v97
	s_or_b64 s[2:3], vcc, s[2:3]
	ds_write_b32 v100, v101 offset:12300
	s_waitcnt lgkmcnt(1)
	v_mfma_f32_32x32x16_fp8_fp8 v[0:15], v[66:67], v[102:103], v[0:15]
	ds_read2_b32 v[66:67], v105 offset0:128 offset1:160
	s_waitcnt lgkmcnt(0)
	v_mfma_f32_32x32x16_fp8_fp8 v[0:15], v[64:65], v[66:67], v[0:15]
	v_add_u32_e32 v66, 0x1400, v104
	ds_read2_b32 v[64:65], v66 offset1:32
	s_waitcnt lgkmcnt(0)
	v_mfma_f32_32x32x16_fp8_fp8 v[0:15], v[62:63], v[64:65], v[0:15]
	ds_read2_b32 v[62:63], v66 offset0:128 offset1:160
	s_waitcnt lgkmcnt(0)
	v_mfma_f32_32x32x16_fp8_fp8 v[0:15], v[60:61], v[62:63], v[0:15]
	v_add_u32_e32 v62, 0x1800, v104
	ds_read2_b32 v[60:61], v62 offset1:32
	;; [unrolled: 7-line block ×3, first 2 shown]
	s_waitcnt lgkmcnt(0)
	v_mfma_f32_32x32x16_fp8_fp8 v[0:15], v[54:55], v[56:57], v[0:15]
	ds_read2_b32 v[54:55], v58 offset0:128 offset1:160
	s_waitcnt lgkmcnt(0)
	v_mfma_f32_32x32x16_fp8_fp8 v[0:15], v[68:69], v[54:55], v[0:15]
	v_add_u32_e32 v54, s23, v99
	v_add_u32_e32 v55, 2, v71
	v_cmp_lt_i32_e32 vcc, 0, v54
	s_nop 1
	v_cndmask_b32_e32 v71, v71, v55, vcc
	s_andn2_b64 exec, exec, s[2:3]
	s_cbranch_execz .LBB40_22
.LBB40_13:                              ;   Parent Loop BB40_7 Depth=1
                                        ; =>  This Loop Header: Depth=2
                                        ;       Child Loop BB40_15 Depth 3
                                        ;       Child Loop BB40_18 Depth 3
	;; [unrolled: 1-line block ×3, first 2 shown]
	v_cmp_lt_i32_e32 vcc, 0, v54
	s_nop 1
	v_subbrev_co_u32_e32 v99, vcc, 0, v54, vcc
	v_lshlrev_b32_e32 v100, 4, v99
	ds_read_b32 v54, v100 offset:12288
	s_waitcnt lgkmcnt(0)
	v_cmp_ne_u32_e32 vcc, v54, v71
	s_and_saveexec_b64 s[4:5], vcc
	s_cbranch_execz .LBB40_16
; %bb.14:                               ;   in Loop: Header=BB40_13 Depth=2
	s_mov_b64 s[6:7], 0
.LBB40_15:                              ;   Parent Loop BB40_7 Depth=1
                                        ;     Parent Loop BB40_13 Depth=2
                                        ; =>    This Inner Loop Header: Depth=3
	;;#ASMSTART
	s_sleep 0
	;;#ASMEND
	ds_read_b32 v54, v100 offset:12288
	s_waitcnt lgkmcnt(0)
	v_cmp_eq_u32_e32 vcc, v54, v71
	s_or_b64 s[6:7], vcc, s[6:7]
	s_andn2_b64 exec, exec, s[6:7]
	s_cbranch_execnz .LBB40_15
.LBB40_16:                              ;   in Loop: Header=BB40_13 Depth=2
	s_or_b64 exec, exec, s[4:5]
	v_lshl_add_u32 v54, v99, 12, v73
	v_add_u32_e32 v55, 0x400, v54
	ds_read2_b32 v[66:67], v54 offset1:32
	ds_read2_b32 v[64:65], v54 offset0:128 offset1:160
	ds_read2_b32 v[62:63], v55 offset1:32
	ds_read2_b32 v[60:61], v55 offset0:128 offset1:160
	v_add_u32_e32 v55, 0x800, v54
	v_add_u32_e32 v68, 0xc00, v54
	ds_read2_b32 v[58:59], v55 offset1:32
	ds_read2_b32 v[56:57], v55 offset0:128 offset1:160
	ds_read2_b32 v[54:55], v68 offset1:32
	ds_read_b32 v102, v100 offset:12292
	ds_read2_b32 v[68:69], v68 offset0:128 offset1:160
	v_add_u32_e32 v101, 1, v71
	ds_write_b32 v100, v101 offset:12288
	s_waitcnt lgkmcnt(2)
	v_cmp_ne_u32_e32 vcc, v102, v71
	s_and_saveexec_b64 s[4:5], vcc
	s_cbranch_execz .LBB40_19
; %bb.17:                               ;   in Loop: Header=BB40_13 Depth=2
	s_mov_b64 s[6:7], 0
.LBB40_18:                              ;   Parent Loop BB40_7 Depth=1
                                        ;     Parent Loop BB40_13 Depth=2
                                        ; =>    This Inner Loop Header: Depth=3
	;;#ASMSTART
	s_sleep 0
	;;#ASMEND
	ds_read_b32 v102, v100 offset:12292
	s_waitcnt lgkmcnt(0)
	v_cmp_eq_u32_e32 vcc, v102, v71
	s_or_b64 s[6:7], vcc, s[6:7]
	s_andn2_b64 exec, exec, s[6:7]
	s_cbranch_execnz .LBB40_18
.LBB40_19:                              ;   in Loop: Header=BB40_13 Depth=2
	s_or_b64 exec, exec, s[4:5]
	v_lshlrev_b32_e32 v102, 13, v99
	v_or_b32_e32 v103, v74, v102
	ds_read2_b32 v[104:105], v103 offset1:32
	v_add_u32_e32 v106, 0x400, v103
	ds_write_b32 v100, v101 offset:12292
	s_waitcnt lgkmcnt(1)
	v_mfma_f32_32x32x16_fp8_fp8 v[16:31], v[66:67], v[104:105], v[16:31]
	ds_read2_b32 v[104:105], v103 offset0:128 offset1:160
	s_waitcnt lgkmcnt(0)
	v_mfma_f32_32x32x16_fp8_fp8 v[16:31], v[64:65], v[104:105], v[16:31]
	ds_read2_b32 v[104:105], v106 offset1:32
	s_waitcnt lgkmcnt(0)
	v_mfma_f32_32x32x16_fp8_fp8 v[16:31], v[62:63], v[104:105], v[16:31]
	ds_read2_b32 v[104:105], v106 offset0:128 offset1:160
	v_add_u32_e32 v106, 0x800, v103
	v_add_u32_e32 v103, 0xc00, v103
	s_waitcnt lgkmcnt(0)
	v_mfma_f32_32x32x16_fp8_fp8 v[16:31], v[60:61], v[104:105], v[16:31]
	ds_read2_b32 v[104:105], v106 offset1:32
	s_waitcnt lgkmcnt(0)
	v_mfma_f32_32x32x16_fp8_fp8 v[16:31], v[58:59], v[104:105], v[16:31]
	ds_read2_b32 v[104:105], v106 offset0:128 offset1:160
	s_waitcnt lgkmcnt(0)
	v_mfma_f32_32x32x16_fp8_fp8 v[16:31], v[56:57], v[104:105], v[16:31]
	ds_read2_b32 v[104:105], v103 offset1:32
	s_waitcnt lgkmcnt(0)
	v_mfma_f32_32x32x16_fp8_fp8 v[16:31], v[54:55], v[104:105], v[16:31]
	ds_read2_b32 v[104:105], v103 offset0:128 offset1:160
	ds_read_b32 v103, v100 offset:12300
	s_waitcnt lgkmcnt(0)
	v_cmp_ne_u32_e32 vcc, v103, v71
	v_mfma_f32_32x32x16_fp8_fp8 v[16:31], v[68:69], v[104:105], v[16:31]
	s_and_saveexec_b64 s[4:5], vcc
	s_cbranch_execz .LBB40_12
; %bb.20:                               ;   in Loop: Header=BB40_13 Depth=2
	s_mov_b64 s[6:7], 0
.LBB40_21:                              ;   Parent Loop BB40_7 Depth=1
                                        ;     Parent Loop BB40_13 Depth=2
                                        ; =>    This Inner Loop Header: Depth=3
	;;#ASMSTART
	s_sleep 0
	;;#ASMEND
	ds_read_b32 v103, v100 offset:12300
	s_waitcnt lgkmcnt(0)
	v_cmp_eq_u32_e32 vcc, v103, v71
	s_or_b64 s[6:7], vcc, s[6:7]
	s_andn2_b64 exec, exec, s[6:7]
	s_cbranch_execnz .LBB40_21
	s_branch .LBB40_12
.LBB40_22:                              ;   in Loop: Header=BB40_7 Depth=1
	s_or_b64 exec, exec, s[2:3]
.LBB40_23:                              ;   in Loop: Header=BB40_7 Depth=1
	v_writelane_b32 v107, s54, 30
	s_nop 1
	v_writelane_b32 v107, s55, 31
	v_writelane_b32 v107, s40, 32
	s_nop 1
	v_writelane_b32 v107, s41, 33
	v_writelane_b32 v107, s53, 34
	;; [unrolled: 1-line block ×4, first 2 shown]
	s_or_b64 exec, exec, s[0:1]
	v_cmp_le_i32_e32 vcc, s90, v72
	v_cmp_eq_u32_e64 s[86:87], 1, v75
	v_cmp_eq_u32_e64 s[50:51], 2, v75
	s_waitcnt vmcnt(0)
	v_cndmask_b32_e32 v56, 0, v98, vcc
	v_pk_mul_f32 v[16:17], v[56:57], v[16:17] op_sel_hi:[0,1]
	v_pk_mul_f32 v[18:19], v[56:57], v[18:19] op_sel_hi:[0,1]
	v_cndmask_b32_e64 v55, v16, v17, s[86:87]
	v_cndmask_b32_e64 v55, v55, v18, s[50:51]
	v_cmp_eq_u32_e64 s[52:53], 3, v75
	v_pk_mul_f32 v[20:21], v[56:57], v[20:21] op_sel_hi:[0,1]
	v_cmp_eq_u32_e64 s[56:57], 4, v75
	v_cndmask_b32_e64 v55, v55, v19, s[52:53]
	v_cmp_eq_u32_e64 s[60:61], 5, v75
	v_cndmask_b32_e64 v55, v55, v20, s[56:57]
	v_pk_mul_f32 v[22:23], v[56:57], v[22:23] op_sel_hi:[0,1]
	v_cndmask_b32_e64 v55, v55, v21, s[60:61]
	v_cmp_eq_u32_e64 s[64:65], 6, v75
	v_cmp_eq_u32_e64 s[68:69], 7, v75
	v_pk_mul_f32 v[24:25], v[56:57], v[24:25] op_sel_hi:[0,1]
	v_cndmask_b32_e64 v55, v55, v22, s[64:65]
	v_cndmask_b32_e64 v55, v55, v23, s[68:69]
	v_cmp_eq_u32_e64 s[72:73], 8, v75
	v_cmp_eq_u32_e64 s[74:75], 9, v75
	v_pk_mul_f32 v[26:27], v[56:57], v[26:27] op_sel_hi:[0,1]
	v_cndmask_b32_e64 v55, v55, v24, s[72:73]
	;; [unrolled: 5-line block ×4, first 2 shown]
	v_cndmask_b32_e64 v55, v55, v29, s[82:83]
	v_cmp_eq_u32_e64 s[84:85], 14, v75
	v_cmp_eq_u32_e64 s[88:89], 15, v75
	;; [unrolled: 1-line block ×3, first 2 shown]
	v_cndmask_b32_e64 v55, v55, v30, s[84:85]
	v_cndmask_b32_e64 v55, v55, v31, s[88:89]
	ds_bpermute_b32 v55, v96, v55
	v_cmp_eq_u32_e64 s[24:25], 1, v76
	v_cmp_eq_u32_e64 s[26:27], 2, v76
	;; [unrolled: 1-line block ×4, first 2 shown]
	s_waitcnt lgkmcnt(0)
	v_cndmask_b32_e64 v62, v17, v55, s[86:87]
	v_cndmask_b32_e64 v16, v16, v55, s[70:71]
	;; [unrolled: 1-line block ×10, first 2 shown]
	v_cmp_eq_u32_e64 s[34:35], 5, v76
	v_cndmask_b32_e64 v57, v22, v55, s[64:65]
	v_cmp_eq_u32_e64 s[36:37], 6, v76
	v_cndmask_b32_e64 v17, v17, v58, s[34:35]
	v_cndmask_b32_e64 v56, v23, v55, s[68:69]
	v_cndmask_b32_e64 v17, v17, v57, s[36:37]
	v_cmp_eq_u32_e64 s[38:39], 7, v76
	v_cndmask_b32_e64 v24, v24, v55, s[72:73]
	v_cmp_eq_u32_e64 s[42:43], 8, v76
	v_cndmask_b32_e64 v17, v17, v56, s[38:39]
	v_cndmask_b32_e64 v25, v25, v55, s[74:75]
	v_cndmask_b32_e64 v17, v17, v24, s[42:43]
	;; [unrolled: 6-line block ×5, first 2 shown]
	v_cmp_eq_u32_e64 s[66:67], 15, v76
	v_cmp_le_i32_e64 s[90:91], s90, v83
	v_cmp_eq_u32_e64 s[40:41], 0, v76
	v_cndmask_b32_e64 v17, v17, v31, s[66:67]
	ds_bpermute_b32 v55, v96, v17
	v_cmp_eq_u32_e64 s[4:5], 1, v77
	v_cmp_eq_u32_e64 s[6:7], 2, v77
	;; [unrolled: 1-line block ×4, first 2 shown]
	s_waitcnt lgkmcnt(0)
	v_cndmask_b32_e64 v23, v25, v55, s[44:45]
	v_cndmask_b32_e64 v25, v56, v55, s[38:39]
	;; [unrolled: 1-line block ×3, first 2 shown]
	v_pk_mul_f32 v[0:1], v[56:57], v[0:1] op_sel_hi:[0,1]
	v_pk_mul_f32 v[14:15], v[56:57], v[14:15] op_sel_hi:[0,1]
	;; [unrolled: 1-line block ×8, first 2 shown]
	v_cndmask_b32_e64 v56, v0, v1, s[86:87]
	v_cndmask_b32_e64 v56, v56, v2, s[50:51]
	;; [unrolled: 1-line block ×32, first 2 shown]
	v_cmp_eq_u32_e64 s[12:13], 5, v77
	v_cndmask_b32_e64 v56, v56, v15, s[88:89]
	v_cmp_eq_u32_e64 s[14:15], 6, v77
	v_cndmask_b32_e64 v55, v55, v27, s[12:13]
	ds_bpermute_b32 v56, v96, v56
	v_cndmask_b32_e64 v55, v55, v26, s[14:15]
	v_cmp_eq_u32_e64 s[96:97], 7, v77
	v_cmp_eq_u32_e64 s[98:99], 8, v77
	v_cmp_eq_u32_e32 vcc, 9, v77
	v_cndmask_b32_e64 v55, v55, v25, s[96:97]
	v_cndmask_b32_e64 v55, v55, v24, s[98:99]
	v_cndmask_b32_e32 v55, v55, v23, vcc
	v_cmp_eq_u32_e64 s[0:1], 10, v77
	v_cmp_eq_u32_e64 s[86:87], 11, v77
	s_waitcnt lgkmcnt(0)
	v_cndmask_b32_e64 v2, v2, v56, s[50:51]
	v_cndmask_b32_e64 v55, v55, v22, s[0:1]
	v_cmp_ne_u32_e64 s[50:51], 0, v75
	v_cndmask_b32_e64 v55, v55, v21, s[86:87]
	v_cmp_eq_u32_e64 s[90:91], 12, v77
	v_cndmask_b32_e64 v1, v1, v56, s[50:51]
	v_cndmask_b32_e64 v0, v0, v56, s[70:71]
	v_cndmask_b32_e64 v55, v55, v20, s[90:91]
	v_cndmask_b32_e64 v15, v15, v56, s[88:89]
	v_cmp_eq_u32_e64 s[88:89], 13, v77
	v_cndmask_b32_e64 v14, v14, v56, s[84:85]
	v_cndmask_b32_e64 v13, v13, v56, s[82:83]
	;; [unrolled: 1-line block ×14, first 2 shown]
	v_cmp_eq_u32_e64 s[84:85], 14, v77
	v_cndmask_b32_e64 v56, v56, v2, s[26:27]
	v_cmp_eq_u32_e64 s[82:83], 15, v77
	v_cndmask_b32_e64 v55, v55, v18, s[84:85]
	v_cndmask_b32_e64 v56, v56, v3, s[28:29]
	;; [unrolled: 1-line block ×4, first 2 shown]
	ds_bpermute_b32 v55, v96, v55
	v_cndmask_b32_e64 v56, v56, v5, s[34:35]
	v_cndmask_b32_e64 v56, v56, v6, s[36:37]
	;; [unrolled: 1-line block ×4, first 2 shown]
	v_cmp_eq_u32_e64 s[80:81], 0, v77
	v_cndmask_b32_e64 v56, v56, v9, s[44:45]
	s_waitcnt lgkmcnt(0)
	v_cndmask_b32_e64 v31, v31, v55, s[4:5]
	v_cndmask_b32_e64 v16, v16, v55, s[80:81]
	v_cmp_eq_u32_e64 s[78:79], 1, v78
	v_cndmask_b32_e64 v56, v56, v10, s[46:47]
	v_cndmask_b32_e64 v17, v17, v55, s[82:83]
	;; [unrolled: 1-line block ×7, first 2 shown]
	v_cndmask_b32_e32 v23, v23, v55, vcc
	v_cndmask_b32_e64 v24, v24, v55, s[98:99]
	v_cndmask_b32_e64 v25, v25, v55, s[96:97]
	;; [unrolled: 1-line block ×8, first 2 shown]
	v_cmp_eq_u32_e64 s[76:77], 2, v78
	v_cndmask_b32_e64 v56, v56, v11, s[48:49]
	v_cmp_eq_u32_e64 s[74:75], 3, v78
	v_cndmask_b32_e64 v55, v55, v30, s[76:77]
	v_cndmask_b32_e64 v56, v56, v12, s[54:55]
	;; [unrolled: 1-line block ×3, first 2 shown]
	v_cmp_eq_u32_e64 s[72:73], 4, v78
	v_cndmask_b32_e64 v56, v56, v13, s[58:59]
	v_cmp_eq_u32_e64 s[68:69], 5, v78
	v_cndmask_b32_e64 v55, v55, v28, s[72:73]
	v_cndmask_b32_e64 v56, v56, v14, s[62:63]
	;; [unrolled: 1-line block ×3, first 2 shown]
	v_cmp_eq_u32_e64 s[64:65], 6, v78
	v_cndmask_b32_e64 v56, v56, v15, s[66:67]
	v_cmp_eq_u32_e64 s[60:61], 7, v78
	v_cndmask_b32_e64 v55, v55, v26, s[64:65]
	ds_bpermute_b32 v56, v96, v56
	v_cndmask_b32_e64 v55, v55, v25, s[60:61]
	v_cmp_eq_u32_e64 s[56:57], 8, v78
	v_cmp_eq_u32_e64 s[52:53], 9, v78
	;; [unrolled: 1-line block ×3, first 2 shown]
	v_cndmask_b32_e64 v55, v55, v24, s[56:57]
	v_cndmask_b32_e64 v55, v55, v23, s[52:53]
	;; [unrolled: 1-line block ×3, first 2 shown]
	v_cmp_eq_u32_e64 s[70:71], 11, v78
	s_waitcnt lgkmcnt(0)
	v_cndmask_b32_e64 v15, v15, v56, s[66:67]
	v_cmp_eq_u32_e64 s[66:67], 12, v78
	v_cndmask_b32_e64 v55, v55, v21, s[70:71]
	v_cndmask_b32_e64 v14, v14, v56, s[62:63]
	;; [unrolled: 1-line block ×3, first 2 shown]
	v_cmp_eq_u32_e64 s[62:63], 13, v78
	v_cndmask_b32_e64 v1, v1, v56, s[24:25]
	v_cndmask_b32_e64 v0, v0, v56, s[40:41]
	;; [unrolled: 1-line block ×4, first 2 shown]
	v_cmp_eq_u32_e64 s[92:93], 14, v78
	v_cndmask_b32_e64 v12, v12, v56, s[54:55]
	v_cndmask_b32_e64 v11, v11, v56, s[48:49]
	;; [unrolled: 1-line block ×13, first 2 shown]
	v_cmp_eq_u32_e64 s[94:95], 15, v78
	v_cndmask_b32_e64 v56, v56, v2, s[6:7]
	v_cndmask_b32_e64 v56, v56, v3, s[8:9]
	;; [unrolled: 1-line block ×3, first 2 shown]
	ds_bpermute_b32 v55, v96, v55
	v_cndmask_b32_e64 v56, v56, v4, s[10:11]
	v_cndmask_b32_e64 v56, v56, v5, s[12:13]
	;; [unrolled: 1-line block ×4, first 2 shown]
	v_cmp_eq_u32_e64 s[48:49], 0, v78
	v_cndmask_b32_e64 v56, v56, v8, s[98:99]
	s_waitcnt lgkmcnt(0)
	v_cndmask_b32_e64 v31, v31, v55, s[78:79]
	v_cndmask_b32_e64 v16, v16, v55, s[48:49]
	v_cmp_eq_u32_e64 s[46:47], 1, v79
	v_cndmask_b32_e32 v56, v56, v9, vcc
	v_cndmask_b32_e64 v17, v17, v55, s[94:95]
	v_cndmask_b32_e64 v18, v18, v55, s[92:93]
	v_cndmask_b32_e64 v19, v19, v55, s[62:63]
	v_cndmask_b32_e64 v20, v20, v55, s[66:67]
	v_cndmask_b32_e64 v21, v21, v55, s[70:71]
	v_cndmask_b32_e64 v22, v22, v55, s[50:51]
	v_cndmask_b32_e64 v23, v23, v55, s[52:53]
	v_cndmask_b32_e64 v24, v24, v55, s[56:57]
	v_cndmask_b32_e64 v25, v25, v55, s[60:61]
	v_cndmask_b32_e64 v26, v26, v55, s[64:65]
	v_cndmask_b32_e64 v27, v27, v55, s[68:69]
	v_cndmask_b32_e64 v28, v28, v55, s[72:73]
	v_cndmask_b32_e64 v29, v29, v55, s[74:75]
	v_cndmask_b32_e64 v30, v30, v55, s[76:77]
	v_cndmask_b32_e64 v55, v16, v31, s[46:47]
	v_cmp_eq_u32_e64 s[44:45], 2, v79
	v_cndmask_b32_e64 v56, v56, v10, s[0:1]
	v_cmp_eq_u32_e64 s[42:43], 3, v79
	v_cndmask_b32_e64 v55, v55, v30, s[44:45]
	v_cndmask_b32_e64 v56, v56, v11, s[86:87]
	v_cndmask_b32_e64 v55, v55, v29, s[42:43]
	v_cmp_eq_u32_e64 s[38:39], 4, v79
	v_cndmask_b32_e64 v56, v56, v12, s[90:91]
	v_cmp_eq_u32_e64 s[36:37], 5, v79
	v_cndmask_b32_e64 v55, v55, v28, s[38:39]
	v_cndmask_b32_e64 v56, v56, v13, s[88:89]
	v_cndmask_b32_e64 v55, v55, v27, s[36:37]
	;; [unrolled: 6-line block ×3, first 2 shown]
	v_cmp_eq_u32_e64 s[28:29], 8, v79
	ds_bpermute_b32 v56, v96, v56
	v_cmp_eq_u32_e64 s[26:27], 9, v79
	v_cndmask_b32_e64 v55, v55, v24, s[28:29]
	v_cmp_eq_u32_e64 s[24:25], 10, v79
	v_cndmask_b32_e64 v55, v55, v23, s[26:27]
	;; [unrolled: 2-line block ×4, first 2 shown]
	s_waitcnt lgkmcnt(0)
	v_cndmask_b32_e64 v15, v15, v56, s[82:83]
	v_cndmask_b32_e64 v55, v55, v20, s[58:59]
	v_cmp_eq_u32_e64 s[82:83], 13, v79
	v_cndmask_b32_e64 v14, v14, v56, s[84:85]
	v_cmp_eq_u32_e64 s[84:85], 14, v79
	v_cndmask_b32_e64 v55, v55, v19, s[82:83]
	v_cndmask_b32_e64 v1, v1, v56, s[4:5]
	;; [unrolled: 1-line block ×6, first 2 shown]
	v_cmp_eq_u32_e64 s[90:91], 15, v79
	v_cndmask_b32_e64 v11, v11, v56, s[86:87]
	v_cndmask_b32_e64 v10, v10, v56, s[0:1]
	v_cndmask_b32_e32 v9, v9, v56, vcc
	v_cndmask_b32_e64 v8, v8, v56, s[98:99]
	v_cndmask_b32_e64 v7, v7, v56, s[96:97]
	;; [unrolled: 1-line block ×10, first 2 shown]
	ds_bpermute_b32 v55, v96, v55
	v_cndmask_b32_e64 v56, v56, v3, s[74:75]
	v_cndmask_b32_e64 v56, v56, v4, s[72:73]
	v_cndmask_b32_e64 v56, v56, v5, s[68:69]
	v_cndmask_b32_e64 v56, v56, v6, s[64:65]
	v_cmp_eq_u32_e64 s[54:55], 0, v79
	v_cndmask_b32_e64 v56, v56, v7, s[60:61]
	s_waitcnt lgkmcnt(0)
	v_cndmask_b32_e64 v31, v31, v55, s[46:47]
	v_cndmask_b32_e64 v16, v16, v55, s[54:55]
	v_cmp_eq_u32_e64 s[0:1], 1, v80
	v_cndmask_b32_e64 v56, v56, v8, s[56:57]
	v_cndmask_b32_e64 v17, v17, v55, s[90:91]
	;; [unrolled: 1-line block ×16, first 2 shown]
	v_cmp_eq_u32_e64 s[2:3], 2, v80
	v_cndmask_b32_e64 v56, v56, v9, s[52:53]
	v_cmp_eq_u32_e64 s[98:99], 3, v80
	v_cndmask_b32_e64 v55, v55, v30, s[2:3]
	v_cndmask_b32_e64 v56, v56, v10, s[50:51]
	v_cndmask_b32_e64 v55, v55, v29, s[98:99]
	v_cmp_eq_u32_e64 s[96:97], 4, v80
	v_cndmask_b32_e64 v56, v56, v11, s[70:71]
	v_cmp_eq_u32_e64 s[14:15], 5, v80
	v_cndmask_b32_e64 v55, v55, v28, s[96:97]
	v_cndmask_b32_e64 v56, v56, v12, s[66:67]
	v_cndmask_b32_e64 v55, v55, v27, s[14:15]
	;; [unrolled: 6-line block ×3, first 2 shown]
	v_cmp_eq_u32_e64 s[8:9], 8, v80
	v_cndmask_b32_e64 v56, v56, v15, s[94:95]
	v_cmp_eq_u32_e64 s[6:7], 9, v80
	v_cndmask_b32_e64 v55, v55, v24, s[8:9]
	ds_bpermute_b32 v56, v96, v56
	v_cndmask_b32_e64 v55, v55, v23, s[6:7]
	v_cmp_eq_u32_e32 vcc, 10, v80
	v_cmp_eq_u32_e64 s[80:81], 11, v80
	v_cmp_eq_u32_e64 s[86:87], 12, v80
	v_cndmask_b32_e32 v55, v55, v22, vcc
	v_cndmask_b32_e64 v55, v55, v21, s[80:81]
	v_cndmask_b32_e64 v55, v55, v20, s[86:87]
	v_cmp_eq_u32_e64 s[88:89], 13, v80
	s_waitcnt lgkmcnt(0)
	v_cndmask_b32_e64 v13, v13, v56, s[62:63]
	v_cmp_eq_u32_e64 s[62:63], 14, v80
	v_cndmask_b32_e64 v55, v55, v19, s[88:89]
	v_cndmask_b32_e64 v12, v12, v56, s[66:67]
	;; [unrolled: 1-line block ×3, first 2 shown]
	v_cmp_eq_u32_e64 s[66:67], 15, v80
	v_cndmask_b32_e64 v57, v11, v56, s[70:71]
	v_cmp_eq_u32_e64 s[70:71], 0, v80
	v_cndmask_b32_e64 v55, v55, v17, s[66:67]
	ds_bpermute_b32 v55, v96, v55
	v_cndmask_b32_e64 v15, v15, v56, s[94:95]
	v_cndmask_b32_e64 v14, v14, v56, s[92:93]
	v_cndmask_b32_e64 v58, v9, v56, s[52:53]
	v_cndmask_b32_e64 v59, v8, v56, s[56:57]
	s_waitcnt lgkmcnt(0)
	v_cndmask_b32_e64 v17, v17, v55, s[66:67]
	v_cndmask_b32_e64 v18, v18, v55, s[62:63]
	;; [unrolled: 1-line block ×5, first 2 shown]
	v_cndmask_b32_e32 v22, v22, v55, vcc
	v_cndmask_b32_e64 v23, v23, v55, s[6:7]
	v_cndmask_b32_e64 v24, v24, v55, s[8:9]
	;; [unrolled: 1-line block ×28, first 2 shown]
	v_cmp_eq_u32_e64 s[50:51], 1, v81
	v_cndmask_b32_e64 v0, v0, v55, s[24:25]
	v_cmp_eq_u32_e64 s[52:53], 2, v81
	v_cndmask_b32_e64 v10, v16, v31, s[50:51]
	v_cndmask_b32_e64 v0, v0, v57, s[40:41]
	v_cndmask_b32_e64 v9, v10, v30, s[52:53]
	v_cmp_eq_u32_e64 s[56:57], 3, v81
	v_cndmask_b32_e64 v0, v0, v12, s[58:59]
	v_cmp_eq_u32_e64 s[60:61], 4, v81
	v_cndmask_b32_e64 v8, v9, v29, s[56:57]
	v_cndmask_b32_e64 v0, v0, v13, s[82:83]
	v_cndmask_b32_e64 v7, v8, v28, s[60:61]
	;; [unrolled: 6-line block ×3, first 2 shown]
	v_cmp_eq_u32_e64 s[72:73], 7, v81
	ds_bpermute_b32 v67, v96, v0
	v_cmp_eq_u32_e64 s[74:75], 8, v81
	v_cndmask_b32_e64 v4, v5, v25, s[72:73]
	v_cmp_eq_u32_e64 s[76:77], 9, v81
	v_cndmask_b32_e64 v3, v4, v24, s[74:75]
	v_cmp_eq_u32_e64 s[48:49], 10, v81
	v_cndmask_b32_e64 v2, v3, v23, s[76:77]
	v_cmp_eq_u32_e64 s[78:79], 11, v81
	v_cndmask_b32_e64 v0, v2, v22, s[48:49]
	s_waitcnt lgkmcnt(0)
	v_cndmask_b32_e64 v68, v15, v67, s[90:91]
	v_cndmask_b32_e64 v0, v0, v21, s[78:79]
	v_cmp_eq_u32_e64 s[90:91], 12, v81
	v_cndmask_b32_e64 v69, v14, v67, s[84:85]
	v_cmp_eq_u32_e64 s[84:85], 13, v81
	v_cndmask_b32_e64 v0, v0, v20, s[90:91]
	v_cndmask_b32_e64 v98, v13, v67, s[82:83]
	v_cndmask_b32_e64 v0, v0, v19, s[84:85]
	v_cmp_eq_u32_e64 s[82:83], 14, v81
	v_cndmask_b32_e64 v99, v12, v67, s[58:59]
	v_cmp_eq_u32_e64 s[58:59], 15, v81
	v_cndmask_b32_e64 v0, v0, v18, s[82:83]
	s_nop 0
	v_cndmask_b32_e64 v0, v0, v17, s[58:59]
	ds_bpermute_b32 v1, v96, v0
	s_waitcnt lgkmcnt(0)
	v_cndmask_b32_e64 v12, v27, v1, s[64:65]
	v_cndmask_b32_e64 v13, v28, v1, s[60:61]
	;; [unrolled: 1-line block ×29, first 2 shown]
	v_cmp_eq_u32_e64 s[40:41], 0, v81
	v_cndmask_b32_e64 v19, v58, v67, s[26:27]
	v_cndmask_b32_e64 v29, v29, v20, s[8:9]
	;; [unrolled: 1-line block ×8, first 2 shown]
	v_cndmask_b32_e32 v29, v29, v16, vcc
	v_cndmask_b32_e64 v29, v29, v17, s[80:81]
	v_cndmask_b32_e64 v29, v29, v99, s[86:87]
	v_cndmask_b32_e64 v29, v29, v98, s[88:89]
	v_cndmask_b32_e64 v29, v29, v69, s[62:63]
	v_cndmask_b32_e64 v29, v29, v68, s[66:67]
	ds_bpermute_b32 v29, v96, v29
	v_cmp_eq_u32_e64 s[24:25], 1, v82
	v_cmp_eq_u32_e64 s[26:27], 2, v82
	;; [unrolled: 1-line block ×3, first 2 shown]
	v_cndmask_b32_e64 v18, v1, v0, s[24:25]
	s_waitcnt lgkmcnt(0)
	v_cndmask_b32_e64 v65, v27, v29, s[0:1]
	v_cndmask_b32_e64 v66, v28, v29, s[70:71]
	;; [unrolled: 1-line block ×18, first 2 shown]
	v_cndmask_b32_e32 v16, v16, v29, vcc
	v_cndmask_b32_e64 v19, v19, v57, s[76:77]
	v_cndmask_b32_e64 v17, v17, v29, s[80:81]
	;; [unrolled: 1-line block ×12, first 2 shown]
	ds_bpermute_b32 v67, v96, v19
	v_cndmask_b32_e64 v18, v18, v15, s[26:27]
	v_cndmask_b32_e64 v18, v18, v14, s[28:29]
	v_cmp_eq_u32_e64 s[30:31], 4, v82
	v_cmp_eq_u32_e64 s[34:35], 5, v82
	s_waitcnt lgkmcnt(0)
	v_cndmask_b32_e64 v23, v17, v67, s[78:79]
	v_cndmask_b32_e64 v24, v16, v67, s[48:49]
	;; [unrolled: 1-line block ×18, first 2 shown]
	v_cmp_eq_u32_e64 s[36:37], 6, v82
	v_cndmask_b32_e64 v28, v60, v67, s[68:69]
	v_cndmask_b32_e64 v56, v56, v29, s[34:35]
	v_cndmask_b32_e64 v18, v18, v11, s[36:37]
	v_cmp_eq_u32_e64 s[38:39], 7, v82
	v_cndmask_b32_e64 v27, v59, v67, s[72:73]
	v_cndmask_b32_e64 v56, v56, v28, s[36:37]
	v_cndmask_b32_e64 v18, v18, v10, s[38:39]
	;; [unrolled: 4-line block ×4, first 2 shown]
	v_cmp_eq_u32_e64 s[46:47], 10, v82
	v_cndmask_b32_e64 v56, v56, v25, s[44:45]
	v_cmp_eq_u32_e64 s[54:55], 11, v82
	v_cndmask_b32_e64 v18, v18, v7, s[46:47]
	v_cndmask_b32_e64 v56, v56, v24, s[46:47]
	;; [unrolled: 1-line block ×3, first 2 shown]
	v_cmp_eq_u32_e64 s[66:67], 12, v82
	v_cndmask_b32_e64 v56, v56, v23, s[54:55]
	v_cmp_eq_u32_e64 s[62:63], 13, v82
	v_cndmask_b32_e64 v18, v18, v5, s[66:67]
	v_cndmask_b32_e64 v56, v56, v22, s[66:67]
	;; [unrolled: 1-line block ×3, first 2 shown]
	v_cmp_eq_u32_e32 vcc, 14, v82
	v_cndmask_b32_e64 v56, v56, v21, s[62:63]
	v_cmp_eq_u32_e64 s[6:7], 15, v82
	v_cndmask_b32_e32 v18, v18, v3, vcc
	v_cndmask_b32_e32 v56, v56, v20, vcc
	v_cndmask_b32_e64 v18, v18, v2, s[6:7]
	v_cndmask_b32_e64 v56, v56, v19, s[6:7]
	ds_bpermute_b32 v18, v96, v18
	ds_bpermute_b32 v58, v96, v56
	v_readlane_b32 s53, v107, 34
	s_nop 1
	v_cmp_lt_i32_e32 vcc, s53, v84
	s_and_saveexec_b64 s[40:41], vcc
	v_readlane_b32 s44, v107, 2
	v_readlane_b32 s45, v107, 3
	;; [unrolled: 1-line block ×11, first 2 shown]
	s_cbranch_execz .LBB40_32
; %bb.24:                               ;   in Loop: Header=BB40_7 Depth=1
	s_mul_i32 s0, s52, s17
	s_ashr_i32 s1, s0, 31
	s_lshl_b64 s[0:1], s[0:1], 1
	s_add_u32 s2, s48, s0
	v_cmp_eq_u32_e64 s[34:35], 1, v82
	v_cmp_eq_u32_e64 s[36:37], 0, v82
	s_addc_u32 s3, s49, s1
	s_ashr_i32 s55, s54, 31
	s_waitcnt lgkmcnt(1)
	v_cndmask_b32_e64 v56, v0, v18, s[34:35]
	v_cndmask_b32_e64 v57, v1, v18, s[36:37]
	s_lshl_b64 s[0:1], s[54:55], 1
	s_waitcnt lgkmcnt(0)
	v_cndmask_b32_e64 v59, v16, v58, s[34:35]
	v_cndmask_b32_e64 v60, v17, v58, s[36:37]
	v_cvt_f16_f32_e32 v57, v57
	v_cvt_f16_f32_sdwa v56, v56 dst_sel:WORD_1 dst_unused:UNUSED_PAD src0_sel:DWORD
	s_add_u32 s42, s2, s0
	v_cvt_f16_f32_e32 v60, v60
	v_cvt_f16_f32_sdwa v59, v59 dst_sel:WORD_1 dst_unused:UNUSED_PAD src0_sel:DWORD
	s_addc_u32 s43, s3, s1
	v_lshl_add_u64 v[0:1], s[42:43], 0, v[32:33]
	v_cmp_eq_u32_e32 vcc, 15, v82
	v_cmp_eq_u32_e64 s[6:7], 14, v82
	v_cmp_eq_u32_e64 s[8:9], 13, v82
	;; [unrolled: 1-line block ×13, first 2 shown]
	v_lshl_add_u64 v[16:17], v[34:35], 1, v[0:1]
	v_or_b32_e32 v56, v56, v57
	v_cmp_lt_i32_e64 s[34:35], s53, v85
	;;#ASMSTART
	global_atomic_pk_add_f16 v[16:17], v56, off
	
	;;#ASMEND
	v_lshl_add_u64 v[16:17], v[16:17], 0, 64
	v_or_b32_e32 v56, v59, v60
	;;#ASMSTART
	global_atomic_pk_add_f16 v[16:17], v56, off
	
	;;#ASMEND
	s_and_b64 exec, exec, s[34:35]
	s_cbranch_execz .LBB40_32
; %bb.25:                               ;   in Loop: Header=BB40_7 Depth=1
	v_cndmask_b32_e32 v2, v2, v18, vcc
	v_cndmask_b32_e64 v3, v3, v18, s[6:7]
	v_cndmask_b32_e64 v16, v4, v18, s[8:9]
	;; [unrolled: 1-line block ×19, first 2 shown]
	v_cvt_f16_f32_e32 v22, v18
	v_cvt_f16_f32_sdwa v23, v65 dst_sel:WORD_1 dst_unused:UNUSED_PAD src0_sel:DWORD
	v_cvt_f16_f32_e32 v21, v21
	v_cvt_f16_f32_sdwa v20, v20 dst_sel:WORD_1 dst_unused:UNUSED_PAD src0_sel:DWORD
	v_cndmask_b32_e32 v4, v19, v58, vcc
	v_cndmask_b32_e64 v9, v24, v58, s[14:15]
	v_cndmask_b32_e64 v10, v25, v58, s[0:1]
	;; [unrolled: 1-line block ×7, first 2 shown]
	v_lshl_add_u64 v[18:19], v[36:37], 1, v[0:1]
	v_cmp_lt_i32_e32 vcc, s53, v86
	v_or_b32_e32 v22, v23, v22
	;;#ASMSTART
	global_atomic_pk_add_f16 v[18:19], v22, off
	
	;;#ASMEND
	v_lshl_add_u64 v[18:19], v[18:19], 0, 64
	v_or_b32_e32 v20, v20, v21
	;;#ASMSTART
	global_atomic_pk_add_f16 v[18:19], v20, off
	
	;;#ASMEND
	s_and_b64 exec, exec, vcc
	s_cbranch_execz .LBB40_32
; %bb.26:                               ;   in Loop: Header=BB40_7 Depth=1
	v_cvt_f16_f32_e32 v20, v64
	v_cvt_f16_f32_sdwa v21, v63 dst_sel:WORD_1 dst_unused:UNUSED_PAD src0_sel:DWORD
	v_cvt_f16_f32_e32 v22, v15
	v_cvt_f16_f32_sdwa v23, v14 dst_sel:WORD_1 dst_unused:UNUSED_PAD src0_sel:DWORD
	v_lshl_add_u64 v[18:19], v[38:39], 1, v[0:1]
	v_or_b32_e32 v14, v21, v20
	v_cmp_lt_i32_e32 vcc, s53, v87
	;;#ASMSTART
	global_atomic_pk_add_f16 v[18:19], v14, off
	
	;;#ASMEND
	v_lshl_add_u64 v[14:15], v[18:19], 0, 64
	v_or_b32_e32 v18, v23, v22
	;;#ASMSTART
	global_atomic_pk_add_f16 v[14:15], v18, off
	
	;;#ASMEND
	s_and_b64 exec, exec, vcc
	s_cbranch_execz .LBB40_32
; %bb.27:                               ;   in Loop: Header=BB40_7 Depth=1
	v_cvt_f16_f32_e32 v18, v62
	v_cvt_f16_f32_sdwa v19, v61 dst_sel:WORD_1 dst_unused:UNUSED_PAD src0_sel:DWORD
	v_cvt_f16_f32_e32 v20, v13
	v_cvt_f16_f32_sdwa v21, v12 dst_sel:WORD_1 dst_unused:UNUSED_PAD src0_sel:DWORD
	v_lshl_add_u64 v[14:15], v[40:41], 1, v[0:1]
	v_or_b32_e32 v12, v19, v18
	v_cmp_lt_i32_e32 vcc, s53, v88
	;; [unrolled: 20-line block ×5, first 2 shown]
	;;#ASMSTART
	global_atomic_pk_add_f16 v[8:9], v6, off
	
	;;#ASMEND
	v_lshl_add_u64 v[6:7], v[8:9], 0, 64
	v_or_b32_e32 v8, v13, v12
	;;#ASMSTART
	global_atomic_pk_add_f16 v[6:7], v8, off
	
	;;#ASMEND
	s_and_b64 exec, exec, vcc
	s_cbranch_execz .LBB40_32
; %bb.31:                               ;   in Loop: Header=BB40_7 Depth=1
	v_cvt_f16_f32_e32 v3, v3
	v_cvt_f16_f32_sdwa v2, v2 dst_sel:WORD_1 dst_unused:UNUSED_PAD src0_sel:DWORD
	v_cvt_f16_f32_e32 v5, v5
	v_cvt_f16_f32_sdwa v4, v4 dst_sel:WORD_1 dst_unused:UNUSED_PAD src0_sel:DWORD
	v_lshl_add_u64 v[0:1], v[48:49], 1, v[0:1]
	v_or_b32_e32 v2, v2, v3
	;;#ASMSTART
	global_atomic_pk_add_f16 v[0:1], v2, off
	
	;;#ASMEND
	v_lshl_add_u64 v[0:1], v[0:1], 0, 64
	v_or_b32_e32 v2, v4, v5
	;;#ASMSTART
	global_atomic_pk_add_f16 v[0:1], v2, off
	
	;;#ASMEND
.LBB40_32:                              ;   in Loop: Header=BB40_7 Depth=1
	s_or_b64 exec, exec, s[40:41]
	v_readlane_b32 s14, v107, 10
	v_readlane_b32 s24, v107, 12
	;; [unrolled: 1-line block ×6, first 2 shown]
	v_subrev_u32_e32 v97, s20, v97
	v_readlane_b32 s11, v107, 0
	v_readlane_b32 s12, v107, 1
	;; [unrolled: 1-line block ×19, first 2 shown]
.LBB40_33:                              ;   in Loop: Header=BB40_7 Depth=1
	s_or_b64 exec, exec, s[2:3]
.LBB40_34:                              ;   in Loop: Header=BB40_7 Depth=1
	s_andn2_saveexec_b64 s[0:1], s[4:5]
	s_cbranch_execz .LBB40_43
; %bb.35:                               ;   in Loop: Header=BB40_7 Depth=1
	s_lshl_b32 s10, s20, 1
	v_cmp_gt_i32_e32 vcc, s10, v97
	s_and_saveexec_b64 s[2:3], vcc
	s_cbranch_execz .LBB40_42
; %bb.36:                               ;   in Loop: Header=BB40_7 Depth=1
	s_mul_i32 s4, s54, s19
	s_ashr_i32 s5, s4, 31
	s_add_u32 s4, s46, s4
	s_addc_u32 s5, s47, s5
	s_ashr_i32 s6, s39, 31
	s_add_u32 s4, s4, s39
	s_addc_u32 s5, s5, s6
	v_lshl_add_u64 v[0:1], s[4:5], 0, v[52:53]
	v_lshl_add_u64 v[16:17], v[0:1], 0, v[50:51]
	s_mov_b64 s[4:5], 0
	s_branch .LBB40_38
.LBB40_37:                              ;   in Loop: Header=BB40_38 Depth=2
	s_or_b64 exec, exec, s[6:7]
	v_lshl_or_b32 v20, v18, 12, v92
	;;#ASMSTART
	s_waitcnt vmcnt(3)
	;;#ASMEND
	ds_write2_b32 v20, v12, v13 offset1:32
	ds_write2_b32 v20, v14, v15 offset0:64 offset1:96
	v_add_u32_e32 v12, 0x400, v20
	;;#ASMSTART
	s_waitcnt vmcnt(2)
	;;#ASMEND
	ds_write2_b32 v12, v8, v9 offset1:32
	ds_write2_b32 v12, v10, v11 offset0:64 offset1:96
	v_add_u32_e32 v8, 0x800, v20
	;; [unrolled: 6-line block ×3, first 2 shown]
	v_add_u32_e32 v97, s22, v97
	;;#ASMSTART
	s_waitcnt vmcnt(0)
	;;#ASMEND
	ds_write2_b32 v4, v0, v1 offset1:32
	ds_write2_b32 v4, v2, v3 offset0:64 offset1:96
	v_add_u32_e32 v0, 1, v71
	v_add_u32_e32 v54, s22, v18
	v_cmp_le_i32_e32 vcc, s10, v97
	ds_write_b32 v19, v0 offset:4
	v_add_u32_e32 v0, 2, v71
	s_or_b64 s[4:5], vcc, s[4:5]
	v_cmp_lt_i32_e32 vcc, 1, v54
	s_nop 1
	v_cndmask_b32_e32 v71, v71, v0, vcc
	s_andn2_b64 exec, exec, s[4:5]
	s_cbranch_execz .LBB40_41
.LBB40_38:                              ;   Parent Loop BB40_7 Depth=1
                                        ; =>  This Loop Header: Depth=2
                                        ;       Child Loop BB40_40 Depth 3
	v_cmp_gt_i32_e32 vcc, 2, v54
	s_nop 1
	v_cndmask_b32_e64 v0, -2, 0, vcc
	s_waitcnt lgkmcnt(1)
	v_add_u32_e32 v18, v0, v54
	v_lshrrev_b32_e32 v0, 31, v97
	v_add_u32_e32 v0, v97, v0
	v_and_b32_e32 v1, -2, v0
	v_lshlrev_b32_e32 v0, 6, v0
	v_sub_u32_e32 v2, v97, v1
	v_and_b32_e32 v0, 0xffffff80, v0
	v_ashrrev_i32_e32 v1, 31, v0
	v_mul_lo_u32 v2, s31, v2
	v_lshl_add_u64 v[0:1], v[16:17], 0, v[0:1]
	v_ashrrev_i32_e32 v3, 31, v2
	v_lshl_add_u64 v[0:1], v[0:1], 0, v[2:3]
	v_lshlrev_b32_e32 v19, 2, v18
	;;#ASMSTART
	global_load_dwordx4 v[12:15], v[0:1], off offset:0   sc0 sc1 nt  
	global_load_dwordx4 v[8:11], v[0:1], off offset:32  sc0 sc1 nt  
	global_load_dwordx4 v[4:7], v[0:1], off offset:64  sc0 sc1 nt  
	;; [unrolled: 1-line block ×3, first 2 shown]
	
	;;#ASMEND
	ds_read_b32 v20, v19 offset:12292
	v_add_u32_e32 v19, 0x3000, v19
	s_waitcnt lgkmcnt(0)
	v_cmp_ne_u32_e32 vcc, v20, v71
	s_and_saveexec_b64 s[6:7], vcc
	s_cbranch_execz .LBB40_37
; %bb.39:                               ;   in Loop: Header=BB40_38 Depth=2
	s_mov_b64 s[8:9], 0
.LBB40_40:                              ;   Parent Loop BB40_7 Depth=1
                                        ;     Parent Loop BB40_38 Depth=2
                                        ; =>    This Inner Loop Header: Depth=3
	;;#ASMSTART
	s_sleep 0
	;;#ASMEND
	ds_read_b32 v20, v19 offset:4
	s_waitcnt lgkmcnt(0)
	v_cmp_eq_u32_e32 vcc, v20, v71
	s_or_b64 s[8:9], vcc, s[8:9]
	s_andn2_b64 exec, exec, s[8:9]
	s_cbranch_execnz .LBB40_40
	s_branch .LBB40_37
.LBB40_41:                              ;   in Loop: Header=BB40_7 Depth=1
	s_or_b64 exec, exec, s[4:5]
.LBB40_42:                              ;   in Loop: Header=BB40_7 Depth=1
	s_or_b64 exec, exec, s[2:3]
	v_subrev_u32_e32 v97, s10, v97
.LBB40_43:                              ;   in Loop: Header=BB40_7 Depth=1
	s_or_b64 exec, exec, s[0:1]
.LBB40_44:                              ;   in Loop: Header=BB40_7 Depth=1
	s_andn2_saveexec_b64 s[0:1], s[40:41]
	s_cbranch_execz .LBB40_6
; %bb.45:                               ;   in Loop: Header=BB40_7 Depth=1
	v_cmp_gt_i32_e32 vcc, s20, v97
	s_and_saveexec_b64 s[2:3], vcc
	s_cbranch_execz .LBB40_5
; %bb.46:                               ;   in Loop: Header=BB40_7 Depth=1
	s_mul_i32 s4, s52, s18
	s_ashr_i32 s5, s4, 31
	s_add_u32 s4, s44, s4
	s_addc_u32 s5, s45, s5
	s_ashr_i32 s6, s39, 31
	v_cmp_le_i32_e32 vcc, s53, v93
	s_add_u32 s4, s4, s39
	s_addc_u32 s5, s5, s6
	v_cndmask_b32_e32 v0, 0, v94, vcc
	v_ashrrev_i32_e32 v1, 31, v0
	v_lshl_add_u64 v[0:1], s[4:5], 0, v[0:1]
	v_lshl_add_u64 v[16:17], v[0:1], 0, v[50:51]
	s_mov_b64 s[4:5], 0
	s_branch .LBB40_48
.LBB40_47:                              ;   in Loop: Header=BB40_48 Depth=2
	s_or_b64 exec, exec, s[6:7]
	v_lshl_add_u32 v20, v18, 12, v95
	;;#ASMSTART
	s_waitcnt vmcnt(3)
	;;#ASMEND
	ds_write2_b32 v20, v12, v13 offset1:32
	ds_write2_b32 v20, v14, v15 offset0:64 offset1:96
	v_add_u32_e32 v12, 0x400, v20
	;;#ASMSTART
	s_waitcnt vmcnt(2)
	;;#ASMEND
	ds_write2_b32 v12, v8, v9 offset1:32
	ds_write2_b32 v12, v10, v11 offset0:64 offset1:96
	v_add_u32_e32 v8, 0x800, v20
	;;#ASMSTART
	s_waitcnt vmcnt(1)
	;;#ASMEND
	ds_write2_b32 v8, v4, v5 offset1:32
	ds_write2_b32 v8, v6, v7 offset0:64 offset1:96
	v_add_u32_e32 v4, 0xc00, v20
	v_add_u32_e32 v97, s21, v97
	;;#ASMSTART
	s_waitcnt vmcnt(0)
	;;#ASMEND
	ds_write2_b32 v4, v0, v1 offset1:32
	ds_write2_b32 v4, v2, v3 offset0:64 offset1:96
	v_add_u32_e32 v0, 1, v71
	v_add_u32_e32 v54, s21, v18
	v_cmp_le_i32_e32 vcc, s20, v97
	ds_write_b32 v19, v0
	v_add_u32_e32 v0, 2, v71
	s_or_b64 s[4:5], vcc, s[4:5]
	v_cmp_lt_i32_e32 vcc, 0, v54
	s_nop 1
	v_cndmask_b32_e32 v71, v71, v0, vcc
	s_andn2_b64 exec, exec, s[4:5]
	s_cbranch_execz .LBB40_4
.LBB40_48:                              ;   Parent Loop BB40_7 Depth=1
                                        ; =>  This Loop Header: Depth=2
                                        ;       Child Loop BB40_50 Depth 3
	v_cmp_lt_i32_e32 vcc, 0, v54
	v_lshlrev_b32_e32 v0, 7, v97
	v_ashrrev_i32_e32 v1, 31, v0
	s_waitcnt lgkmcnt(1)
	v_subbrev_co_u32_e32 v18, vcc, 0, v54, vcc
	v_lshl_add_u64 v[0:1], v[16:17], 0, v[0:1]
	v_lshlrev_b32_e32 v19, 2, v18
	;;#ASMSTART
	global_load_dwordx4 v[12:15], v[0:1], off offset:0   
	global_load_dwordx4 v[8:11], v[0:1], off offset:32  
	global_load_dwordx4 v[4:7], v[0:1], off offset:64  
	global_load_dwordx4 v[0:3], v[0:1], off offset:96  
	
	;;#ASMEND
	ds_read_b32 v20, v19 offset:12288
	v_add_u32_e32 v19, 0x3000, v19
	s_waitcnt lgkmcnt(0)
	v_cmp_ne_u32_e32 vcc, v20, v71
	s_and_saveexec_b64 s[6:7], vcc
	s_cbranch_execz .LBB40_47
; %bb.49:                               ;   in Loop: Header=BB40_48 Depth=2
	s_mov_b64 s[8:9], 0
.LBB40_50:                              ;   Parent Loop BB40_7 Depth=1
                                        ;     Parent Loop BB40_48 Depth=2
                                        ; =>    This Inner Loop Header: Depth=3
	;;#ASMSTART
	s_sleep 0
	;;#ASMEND
	ds_read_b32 v20, v19
	s_waitcnt lgkmcnt(0)
	v_cmp_eq_u32_e32 vcc, v20, v71
	s_or_b64 s[8:9], vcc, s[8:9]
	s_andn2_b64 exec, exec, s[8:9]
	s_cbranch_execnz .LBB40_50
	s_branch .LBB40_47
.LBB40_51:
	s_endpgm
	.section	.rodata,"a",@progbits
	.p2align	6, 0x0
	.amdhsa_kernel _Z19_skinny_gemm_kernelILi1ELi2ELi1ELi32ELi8EEvPKhS1_P6__halfPKfiiiiiiii
		.amdhsa_group_segment_fixed_size 12300
		.amdhsa_private_segment_fixed_size 0
		.amdhsa_kernarg_size 64
		.amdhsa_user_sgpr_count 2
		.amdhsa_user_sgpr_dispatch_ptr 0
		.amdhsa_user_sgpr_queue_ptr 0
		.amdhsa_user_sgpr_kernarg_segment_ptr 1
		.amdhsa_user_sgpr_dispatch_id 0
		.amdhsa_user_sgpr_kernarg_preload_length 0
		.amdhsa_user_sgpr_kernarg_preload_offset 0
		.amdhsa_user_sgpr_private_segment_size 0
		.amdhsa_uses_dynamic_stack 0
		.amdhsa_enable_private_segment 0
		.amdhsa_system_sgpr_workgroup_id_x 1
		.amdhsa_system_sgpr_workgroup_id_y 0
		.amdhsa_system_sgpr_workgroup_id_z 0
		.amdhsa_system_sgpr_workgroup_info 0
		.amdhsa_system_vgpr_workitem_id 0
		.amdhsa_next_free_vgpr 108
		.amdhsa_next_free_sgpr 100
		.amdhsa_accum_offset 108
		.amdhsa_reserve_vcc 1
		.amdhsa_float_round_mode_32 0
		.amdhsa_float_round_mode_16_64 0
		.amdhsa_float_denorm_mode_32 3
		.amdhsa_float_denorm_mode_16_64 3
		.amdhsa_dx10_clamp 1
		.amdhsa_ieee_mode 1
		.amdhsa_fp16_overflow 0
		.amdhsa_tg_split 0
		.amdhsa_exception_fp_ieee_invalid_op 0
		.amdhsa_exception_fp_denorm_src 0
		.amdhsa_exception_fp_ieee_div_zero 0
		.amdhsa_exception_fp_ieee_overflow 0
		.amdhsa_exception_fp_ieee_underflow 0
		.amdhsa_exception_fp_ieee_inexact 0
		.amdhsa_exception_int_div_zero 0
	.end_amdhsa_kernel
	.section	.text._Z19_skinny_gemm_kernelILi1ELi2ELi1ELi32ELi8EEvPKhS1_P6__halfPKfiiiiiiii,"axG",@progbits,_Z19_skinny_gemm_kernelILi1ELi2ELi1ELi32ELi8EEvPKhS1_P6__halfPKfiiiiiiii,comdat
.Lfunc_end40:
	.size	_Z19_skinny_gemm_kernelILi1ELi2ELi1ELi32ELi8EEvPKhS1_P6__halfPKfiiiiiiii, .Lfunc_end40-_Z19_skinny_gemm_kernelILi1ELi2ELi1ELi32ELi8EEvPKhS1_P6__halfPKfiiiiiiii
                                        ; -- End function
	.set _Z19_skinny_gemm_kernelILi1ELi2ELi1ELi32ELi8EEvPKhS1_P6__halfPKfiiiiiiii.num_vgpr, 108
	.set _Z19_skinny_gemm_kernelILi1ELi2ELi1ELi32ELi8EEvPKhS1_P6__halfPKfiiiiiiii.num_agpr, 0
	.set _Z19_skinny_gemm_kernelILi1ELi2ELi1ELi32ELi8EEvPKhS1_P6__halfPKfiiiiiiii.numbered_sgpr, 100
	.set _Z19_skinny_gemm_kernelILi1ELi2ELi1ELi32ELi8EEvPKhS1_P6__halfPKfiiiiiiii.num_named_barrier, 0
	.set _Z19_skinny_gemm_kernelILi1ELi2ELi1ELi32ELi8EEvPKhS1_P6__halfPKfiiiiiiii.private_seg_size, 0
	.set _Z19_skinny_gemm_kernelILi1ELi2ELi1ELi32ELi8EEvPKhS1_P6__halfPKfiiiiiiii.uses_vcc, 1
	.set _Z19_skinny_gemm_kernelILi1ELi2ELi1ELi32ELi8EEvPKhS1_P6__halfPKfiiiiiiii.uses_flat_scratch, 0
	.set _Z19_skinny_gemm_kernelILi1ELi2ELi1ELi32ELi8EEvPKhS1_P6__halfPKfiiiiiiii.has_dyn_sized_stack, 0
	.set _Z19_skinny_gemm_kernelILi1ELi2ELi1ELi32ELi8EEvPKhS1_P6__halfPKfiiiiiiii.has_recursion, 0
	.set _Z19_skinny_gemm_kernelILi1ELi2ELi1ELi32ELi8EEvPKhS1_P6__halfPKfiiiiiiii.has_indirect_call, 0
	.section	.AMDGPU.csdata,"",@progbits
; Kernel info:
; codeLenInByte = 10036
; TotalNumSgprs: 106
; NumVgprs: 108
; NumAgprs: 0
; TotalNumVgprs: 108
; ScratchSize: 0
; MemoryBound: 0
; FloatMode: 240
; IeeeMode: 1
; LDSByteSize: 12300 bytes/workgroup (compile time only)
; SGPRBlocks: 13
; VGPRBlocks: 13
; NumSGPRsForWavesPerEU: 106
; NumVGPRsForWavesPerEU: 108
; AccumOffset: 108
; Occupancy: 4
; WaveLimiterHint : 0
; COMPUTE_PGM_RSRC2:SCRATCH_EN: 0
; COMPUTE_PGM_RSRC2:USER_SGPR: 2
; COMPUTE_PGM_RSRC2:TRAP_HANDLER: 0
; COMPUTE_PGM_RSRC2:TGID_X_EN: 1
; COMPUTE_PGM_RSRC2:TGID_Y_EN: 0
; COMPUTE_PGM_RSRC2:TGID_Z_EN: 0
; COMPUTE_PGM_RSRC2:TIDIG_COMP_CNT: 0
; COMPUTE_PGM_RSRC3_GFX90A:ACCUM_OFFSET: 26
; COMPUTE_PGM_RSRC3_GFX90A:TG_SPLIT: 0
	.section	.text._Z19_skinny_gemm_kernelILi1ELi2ELi2ELi8ELi4EEvPKhS1_P6__halfPKfiiiiiiii,"axG",@progbits,_Z19_skinny_gemm_kernelILi1ELi2ELi2ELi8ELi4EEvPKhS1_P6__halfPKfiiiiiiii,comdat
	.protected	_Z19_skinny_gemm_kernelILi1ELi2ELi2ELi8ELi4EEvPKhS1_P6__halfPKfiiiiiiii ; -- Begin function _Z19_skinny_gemm_kernelILi1ELi2ELi2ELi8ELi4EEvPKhS1_P6__halfPKfiiiiiiii
	.globl	_Z19_skinny_gemm_kernelILi1ELi2ELi2ELi8ELi4EEvPKhS1_P6__halfPKfiiiiiiii
	.p2align	8
	.type	_Z19_skinny_gemm_kernelILi1ELi2ELi2ELi8ELi4EEvPKhS1_P6__halfPKfiiiiiiii,@function
_Z19_skinny_gemm_kernelILi1ELi2ELi2ELi8ELi4EEvPKhS1_P6__halfPKfiiiiiiii: ; @_Z19_skinny_gemm_kernelILi1ELi2ELi2ELi8ELi4EEvPKhS1_P6__halfPKfiiiiiiii
; %bb.0:
	v_cmp_gt_u32_e32 vcc, 6, v0
	v_lshlrev_b32_e32 v1, 2, v0
	s_and_saveexec_b64 s[4:5], vcc
; %bb.1:
	v_mov_b32_e32 v2, 0
	ds_write_b32 v1, v2 offset:20480
; %bb.2:
	s_or_b64 exec, exec, s[4:5]
	s_load_dwordx8 s[12:19], s[0:1], 0x20
	s_waitcnt lgkmcnt(0)
	s_barrier
	s_add_i32 s3, s12, 7
	s_ashr_i32 s5, s3, 31
	s_add_i32 s4, s13, 31
	s_lshr_b32 s5, s5, 29
	s_ashr_i32 s6, s4, 31
	s_add_i32 s3, s3, s5
	s_ashr_i32 s33, s3, 3
	s_lshr_b32 s3, s6, 27
	s_add_i32 s4, s4, s3
	s_ashr_i32 s42, s4, 5
	s_mul_i32 s3, s42, s33
	s_mul_i32 s3, s3, s16
	s_add_i32 s4, s3, 0x12f
	s_mul_hi_i32 s4, s4, 0x6bca1af3
	s_lshr_b32 s5, s4, 31
	s_ashr_i32 s4, s4, 7
	s_add_i32 s4, s4, s5
	s_add_i32 s5, s2, 1
	s_mul_i32 s5, s4, s5
	v_cvt_f64_i32_e32 v[2:3], s3
	v_cvt_f64_u32_e32 v[4:5], s5
	v_min_f64 v[2:3], v[2:3], v[4:5]
	v_cvt_i32_f64_e32 v17, v[2:3]
	s_mul_i32 s43, s4, s2
	v_cmp_ge_i32_e32 vcc, s43, v17
	s_cbranch_vccnz .LBB41_44
; %bb.3:
	v_lshrrev_b32_e32 v2, 6, v0
	s_add_i32 s4, s18, s17
	s_load_dwordx8 s[20:27], s[0:1], 0x0
	v_cmp_le_i32_e64 s[0:1], s4, v2
	v_mov_b32_e32 v3, s17
	v_cmp_le_i32_e64 s[2:3], s17, v2
	v_mov_b32_e32 v4, s18
	v_cndmask_b32_e64 v4, 0, v4, s[0:1]
	v_cndmask_b32_e64 v3, 0, v3, s[2:3]
	s_abs_i32 s5, s16
	v_add_u32_e32 v3, v3, v4
	v_cvt_f32_u32_e32 v4, s5
	v_sub_u32_e32 v10, v2, v3
	s_ashr_i32 s6, s14, 31
	s_lshr_b32 s6, s6, 24
	v_rcp_iflag_f32_e32 v3, v4
	s_sub_i32 s9, 0, s5
	s_add_i32 s6, s14, s6
	s_ashr_i32 s6, s6, 8
	v_mul_f32_e32 v3, 0x4f7ffffe, v3
	v_cvt_u32_f32_e32 v3, v3
	s_abs_i32 s8, s6
	s_xor_b32 s7, s6, s16
	s_ashr_i32 s7, s7, 31
	v_readfirstlane_b32 s10, v3
	s_mul_i32 s9, s9, s10
	s_mul_hi_u32 s9, s10, s9
	s_add_i32 s10, s10, s9
	s_mul_hi_u32 s9, s8, s10
	s_mul_i32 s10, s9, s5
	s_sub_i32 s8, s8, s10
	s_add_i32 s10, s9, 1
	s_sub_i32 s28, s8, s5
	s_cmp_ge_u32 s8, s5
	s_cselect_b32 s9, s10, s9
	s_cselect_b32 s8, s28, s8
	s_add_i32 s10, s9, 1
	s_cmp_ge_u32 s8, s5
	s_cselect_b32 s5, s10, s9
	s_xor_b32 s5, s5, s7
	s_sub_i32 s44, s5, s7
	s_add_i32 s16, s16, -1
	s_mul_i32 s5, s44, s16
	s_add_i32 s4, s4, s19
	s_sub_i32 s45, s6, s5
	v_cmp_gt_i32_e64 s[4:5], s4, v2
	v_and_b32_e32 v2, 1, v0
	v_lshlrev_b32_e32 v3, 1, v0
	v_and_b32_e32 v3, 0x7c, v3
	v_lshlrev_b32_e32 v4, 8, v2
	v_lshlrev_b32_e32 v5, 4, v0
	s_movk_i32 s7, 0x4000
	s_movk_i32 s6, 0x7c
	v_and_b32_e32 v6, 0x200, v5
	v_or3_b32 v32, v3, v4, s7
	v_lshrrev_b32_e32 v3, 3, v0
	v_cmp_eq_u32_e32 vcc, 0, v2
	v_and_or_b32 v33, v1, s6, v6
	v_lshlrev_b32_e32 v1, 1, v2
	v_and_or_b32 v2, v3, 6, v2
	v_sub_u32_e32 v36, 8, v2
	v_mul_lo_u32 v18, s13, v2
	v_bfe_u32 v2, v0, 2, 4
	v_lshlrev_b32_e32 v4, 8, v0
	v_lshlrev_b32_e32 v6, 6, v0
	v_mul_lo_u32 v24, s15, v2
	v_and_b32_e32 v2, 60, v0
	v_and_b32_e32 v4, 0x200, v4
	;; [unrolled: 1-line block ×3, first 2 shown]
	s_abs_i32 s47, s33
	v_or3_b32 v37, v2, v4, v6
	v_cvt_f32_u32_e32 v6, s47
	v_lshlrev_b32_e32 v4, 7, v0
	v_and_b32_e32 v16, 14, v0
	v_bitop3_b32 v34, v0, 1, v0 bitop3:0xc
	v_sub_u32_e32 v1, v0, v1
	v_bfe_u32 v2, v0, 3, 3
	v_and_b32_e32 v4, 0x200, v4
	v_lshlrev_b32_e32 v0, 5, v0
	v_lshl_or_b32 v4, v2, 2, v4
	v_and_b32_e32 v0, 0x60, v0
	v_or3_b32 v38, v4, v0, s7
	v_rcp_iflag_f32_e32 v0, v6
	s_abs_i32 s48, s42
	v_mul_lo_u32 v40, s14, v2
	v_cvt_f32_u32_e32 v2, s48
	v_mul_f32_e32 v0, 0x4f7ffffe, v0
	v_cvt_u32_f32_e32 v0, v0
	s_sub_i32 s6, 0, s47
	v_rcp_iflag_f32_e32 v2, v2
	v_add_u32_e32 v1, 1, v1
	v_readfirstlane_b32 s7, v0
	s_mul_i32 s6, s6, s7
	v_mul_f32_e32 v0, 0x4f7ffffe, v2
	v_cvt_u32_f32_e32 v0, v0
	s_mul_hi_u32 s6, s7, s6
	s_add_i32 s50, s7, s6
	s_sub_i32 s6, 0, s48
	v_readfirstlane_b32 s7, v0
	v_mbcnt_lo_u32_b32 v0, -1, 0
	v_and_b32_e32 v1, 63, v1
	s_mul_i32 s6, s6, s7
	v_mbcnt_hi_u32_b32 v0, -1, v0
	v_mov_b32_e32 v7, 0xeeee
	v_mov_b32_e32 v8, 0x4444
	;; [unrolled: 1-line block ×3, first 2 shown]
	s_mul_hi_u32 s6, s7, s6
	v_and_or_b32 v0, v0, 64, v1
	v_cndmask_b32_e64 v30, 0, 1, s[0:1]
	s_mov_b32 s11, 0
	v_cndmask_b32_e32 v31, v7, v8, vcc
	v_or_b32_e32 v35, 16, v16
	v_ashrrev_i32_e32 v19, 31, v18
	v_and_b32_e32 v22, 48, v5
	v_ashrrev_i32_e32 v25, 31, v24
	v_mov_b32_e32 v23, v21
	s_lshl_b32 s46, s15, 4
	v_bitop3_b32 v39, v3, 7, v3 bitop3:0xc
	v_and_b32_e32 v26, 0x70, v5
	v_mov_b32_e32 v27, v21
	s_lshl_b32 s10, s17, 8
	s_ashr_i32 s49, s33, 31
	s_ashr_i32 s51, s42, 31
	s_add_i32 s52, s7, s6
	v_lshlrev_b32_e32 v41, 2, v0
	v_lshlrev_b32_e32 v20, 1, v16
	v_mov_b32_e32 v42, v10
	s_branch .LBB41_7
.LBB41_4:                               ;   in Loop: Header=BB41_7 Depth=1
	s_or_b64 exec, exec, s[28:29]
.LBB41_5:                               ;   in Loop: Header=BB41_7 Depth=1
	s_or_b64 exec, exec, s[8:9]
	v_subrev_u32_e32 v42, s53, v42
.LBB41_6:                               ;   in Loop: Header=BB41_7 Depth=1
	s_or_b64 exec, exec, s[6:7]
	s_add_i32 s43, s43, 1
	v_cmp_ge_i32_e32 vcc, s43, v17
	s_cbranch_vccnz .LBB41_44
.LBB41_7:                               ; =>This Loop Header: Depth=1
                                        ;     Child Loop BB41_13 Depth 2
                                        ;       Child Loop BB41_15 Depth 3
                                        ;       Child Loop BB41_18 Depth 3
	;; [unrolled: 1-line block ×3, first 2 shown]
                                        ;     Child Loop BB41_31 Depth 2
                                        ;       Child Loop BB41_33 Depth 3
                                        ;     Child Loop BB41_41 Depth 2
                                        ;       Child Loop BB41_43 Depth 3
	s_abs_i32 s7, s43
	s_mul_hi_u32 s8, s7, s50
	s_mul_i32 s9, s8, s47
	s_ashr_i32 s6, s43, 31
	s_sub_i32 s7, s7, s9
	s_xor_b32 s6, s6, s49
	s_add_i32 s9, s8, 1
	s_sub_i32 s28, s7, s47
	s_cmp_ge_u32 s7, s47
	s_cselect_b32 s8, s9, s8
	s_cselect_b32 s7, s28, s7
	s_add_i32 s9, s8, 1
	s_cmp_ge_u32 s7, s47
	s_cselect_b32 s7, s9, s8
	s_xor_b32 s7, s7, s6
	s_sub_i32 s6, s7, s6
	s_abs_i32 s8, s6
	s_mul_i32 s7, s6, s33
	s_mul_hi_u32 s9, s8, s52
	s_sub_i32 s7, s43, s7
	s_mul_i32 s28, s9, s48
	s_lshl_b32 s54, s7, 3
	s_ashr_i32 s7, s6, 31
	s_sub_i32 s8, s8, s28
	s_xor_b32 s7, s7, s51
	s_add_i32 s28, s9, 1
	s_sub_i32 s29, s8, s48
	s_cmp_ge_u32 s8, s48
	s_cselect_b32 s9, s28, s9
	s_cselect_b32 s8, s29, s8
	s_add_i32 s28, s9, 1
	s_cmp_ge_u32 s8, s48
	s_cselect_b32 s8, s28, s9
	s_xor_b32 s8, s8, s7
	s_sub_i32 s7, s8, s7
	s_mul_i32 s8, s7, s44
	s_lshl_b32 s55, s8, 8
	s_cmp_eq_u32 s7, s16
	s_cselect_b32 s53, s45, s44
	s_sub_i32 s56, s54, s12
	s_add_i32 s56, s56, 8
	s_and_saveexec_b64 s[8:9], s[2:3]
	s_xor_b64 s[28:29], exec, s[8:9]
	s_cbranch_execz .LBB41_37
; %bb.8:                                ;   in Loop: Header=BB41_7 Depth=1
	s_mul_i32 s7, s7, s42
	s_sub_i32 s6, s6, s7
	s_lshl_b32 s6, s6, 5
	s_sub_i32 s31, s6, s13
	s_add_i32 s31, s31, 32
	s_max_i32 s7, s31, 0
	s_sub_i32 s30, s6, s7
	s_and_saveexec_b64 s[6:7], s[0:1]
	s_xor_b64 s[34:35], exec, s[6:7]
	s_cbranch_execz .LBB41_27
; %bb.9:                                ;   in Loop: Header=BB41_7 Depth=1
	s_and_saveexec_b64 s[36:37], s[4:5]
	s_cbranch_execz .LBB41_26
; %bb.10:                               ;   in Loop: Header=BB41_7 Depth=1
	s_waitcnt lgkmcnt(0)
	global_load_dword v28, v21, s[26:27]
	v_mov_b32_e32 v7, 0
	v_cmp_gt_i32_e32 vcc, s53, v42
	v_mov_b32_e32 v6, v7
	v_mov_b32_e32 v5, v7
	;; [unrolled: 1-line block ×7, first 2 shown]
	s_and_saveexec_b64 s[6:7], vcc
	s_cbranch_execz .LBB41_23
; %bb.11:                               ;   in Loop: Header=BB41_7 Depth=1
	v_mov_b32_e32 v0, 0
	s_mov_b64 s[8:9], 0
	v_mov_b32_e32 v1, v0
	v_mov_b32_e32 v2, v0
	;; [unrolled: 1-line block ×7, first 2 shown]
	s_branch .LBB41_13
.LBB41_12:                              ;   in Loop: Header=BB41_13 Depth=2
	s_or_b64 exec, exec, s[38:39]
	v_add_u32_e32 v45, v33, v45
	v_add_u32_e32 v48, 0x1000, v45
	ds_read2_b32 v[46:47], v48 offset1:32
	ds_read2_b32 v[48:49], v48 offset0:64 offset1:96
	v_add_u32_e32 v52, 0x1400, v45
	ds_read2_b32 v[50:51], v52 offset1:32
	ds_read2_b32 v[52:53], v52 offset0:64 offset1:96
	v_add_u32_e32 v42, s19, v42
	v_cmp_le_i32_e32 vcc, s53, v42
	s_waitcnt lgkmcnt(2)
	v_smfmac_f32_16x16x64_fp8_fp8 v[0:3], v[14:15], v[46:49], v31 cbsz:7 abid:1
	v_add_u32_e32 v14, 0x1800, v45
	ds_read2_b32 v[46:47], v14 offset1:32
	ds_read2_b32 v[48:49], v14 offset0:64 offset1:96
	v_add_u32_e32 v14, 0x1c00, v45
	s_waitcnt lgkmcnt(2)
	v_smfmac_f32_16x16x64_fp8_fp8 v[0:3], v[12:13], v[50:53], v31 cbsz:7 abid:1
	ds_read2_b32 v[12:13], v14 offset1:32
	ds_read2_b32 v[14:15], v14 offset0:64 offset1:96
	s_or_b64 s[8:9], vcc, s[8:9]
	ds_write_b32 v44, v43 offset:20492
	s_waitcnt lgkmcnt(3)
	v_smfmac_f32_16x16x64_fp8_fp8 v[0:3], v[10:11], v[46:49], v31 cbsz:7 abid:1
	v_add_u32_e32 v10, s19, v29
	v_add_u32_e32 v11, 2, v30
	v_cmp_lt_i32_e32 vcc, 1, v10
	s_waitcnt lgkmcnt(1)
	v_smfmac_f32_16x16x64_fp8_fp8 v[0:3], v[8:9], v[12:15], v31 cbsz:7 abid:1
	v_cndmask_b32_e32 v30, v30, v11, vcc
	s_andn2_b64 exec, exec, s[8:9]
	s_cbranch_execz .LBB41_22
.LBB41_13:                              ;   Parent Loop BB41_7 Depth=1
                                        ; =>  This Loop Header: Depth=2
                                        ;       Child Loop BB41_15 Depth 3
                                        ;       Child Loop BB41_18 Depth 3
	;; [unrolled: 1-line block ×3, first 2 shown]
	v_cmp_gt_i32_e32 vcc, 2, v10
	s_nop 1
	v_cndmask_b32_e64 v8, -2, 0, vcc
	v_add_u32_e32 v29, v8, v10
	v_lshlrev_b32_e32 v8, 2, v29
	ds_read_b32 v9, v8 offset:20480
	v_add_u32_e32 v44, 0x5000, v8
	s_waitcnt lgkmcnt(0)
	v_cmp_ne_u32_e32 vcc, v9, v30
	s_and_saveexec_b64 s[38:39], vcc
	s_cbranch_execz .LBB41_16
; %bb.14:                               ;   in Loop: Header=BB41_13 Depth=2
	s_mov_b64 s[40:41], 0
.LBB41_15:                              ;   Parent Loop BB41_7 Depth=1
                                        ;     Parent Loop BB41_13 Depth=2
                                        ; =>    This Inner Loop Header: Depth=3
	;;#ASMSTART
	s_sleep 0
	;;#ASMEND
	ds_read_b32 v8, v44
	s_waitcnt lgkmcnt(0)
	v_cmp_eq_u32_e32 vcc, v8, v30
	s_or_b64 s[40:41], vcc, s[40:41]
	s_andn2_b64 exec, exec, s[40:41]
	s_cbranch_execnz .LBB41_15
.LBB41_16:                              ;   in Loop: Header=BB41_13 Depth=2
	s_or_b64 exec, exec, s[38:39]
	v_lshl_add_u32 v8, v29, 11, v32
	ds_read2_b32 v[14:15], v8 offset1:32
	ds_read2_b32 v[12:13], v8 offset0:128 offset1:160
	v_add_u32_e32 v8, 0x400, v8
	v_add_u32_e32 v43, 1, v30
	ds_read2_b32 v[10:11], v8 offset1:32
	ds_read2_b32 v[8:9], v8 offset0:128 offset1:160
	;;#ASMSTART
	s_waitcnt lgkmcnt(0)
	;;#ASMEND
	ds_write_b32 v44, v43
	v_lshlrev_b32_e32 v44, 3, v29
	ds_read_b32 v45, v44 offset:20488
	s_waitcnt lgkmcnt(0)
	v_cmp_ne_u32_e32 vcc, v45, v30
	s_and_saveexec_b64 s[38:39], vcc
	s_cbranch_execz .LBB41_19
; %bb.17:                               ;   in Loop: Header=BB41_13 Depth=2
	s_mov_b64 s[40:41], 0
.LBB41_18:                              ;   Parent Loop BB41_7 Depth=1
                                        ;     Parent Loop BB41_13 Depth=2
                                        ; =>    This Inner Loop Header: Depth=3
	;;#ASMSTART
	s_sleep 0
	;;#ASMEND
	ds_read_b32 v45, v44 offset:20488
	s_waitcnt lgkmcnt(0)
	v_cmp_eq_u32_e32 vcc, v45, v30
	s_or_b64 s[40:41], vcc, s[40:41]
	s_andn2_b64 exec, exec, s[40:41]
	s_cbranch_execnz .LBB41_18
.LBB41_19:                              ;   in Loop: Header=BB41_13 Depth=2
	s_or_b64 exec, exec, s[38:39]
	v_lshlrev_b32_e32 v45, 13, v29
	v_or_b32_e32 v54, v33, v45
	ds_read2_b32 v[46:47], v54 offset1:32
	ds_read2_b32 v[48:49], v54 offset0:64 offset1:96
	v_add_u32_e32 v52, 0x400, v54
	ds_read2_b32 v[50:51], v52 offset1:32
	ds_read2_b32 v[52:53], v52 offset0:64 offset1:96
	s_waitcnt lgkmcnt(2)
	v_smfmac_f32_16x16x64_fp8_fp8 v[4:7], v[14:15], v[46:49], v31 cbsz:7 abid:1
	v_add_u32_e32 v48, 0x800, v54
	ds_read2_b32 v[46:47], v48 offset1:32
	ds_read2_b32 v[48:49], v48 offset0:64 offset1:96
	s_waitcnt lgkmcnt(2)
	v_smfmac_f32_16x16x64_fp8_fp8 v[4:7], v[12:13], v[50:53], v31 cbsz:7 abid:1
	v_add_u32_e32 v52, 0xc00, v54
	ds_read2_b32 v[50:51], v52 offset1:32
	s_waitcnt lgkmcnt(1)
	v_smfmac_f32_16x16x64_fp8_fp8 v[4:7], v[10:11], v[46:49], v31 cbsz:7 abid:1
	ds_read2_b32 v[52:53], v52 offset0:64 offset1:96
	ds_read_b32 v46, v44 offset:20492
	ds_write_b32 v44, v43 offset:20488
	s_waitcnt lgkmcnt(1)
	v_cmp_ne_u32_e32 vcc, v46, v30
	v_smfmac_f32_16x16x64_fp8_fp8 v[4:7], v[8:9], v[50:53], v31 cbsz:7 abid:1
	s_and_saveexec_b64 s[38:39], vcc
	s_cbranch_execz .LBB41_12
; %bb.20:                               ;   in Loop: Header=BB41_13 Depth=2
	s_mov_b64 s[40:41], 0
.LBB41_21:                              ;   Parent Loop BB41_7 Depth=1
                                        ;     Parent Loop BB41_13 Depth=2
                                        ; =>    This Inner Loop Header: Depth=3
	;;#ASMSTART
	s_sleep 0
	;;#ASMEND
	ds_read_b32 v46, v44 offset:20492
	s_waitcnt lgkmcnt(0)
	v_cmp_eq_u32_e32 vcc, v46, v30
	s_or_b64 s[40:41], vcc, s[40:41]
	s_andn2_b64 exec, exec, s[40:41]
	s_cbranch_execnz .LBB41_21
	s_branch .LBB41_12
.LBB41_22:                              ;   in Loop: Header=BB41_7 Depth=1
	s_or_b64 exec, exec, s[8:9]
.LBB41_23:                              ;   in Loop: Header=BB41_7 Depth=1
	s_or_b64 exec, exec, s[6:7]
	v_cmp_le_i32_e32 vcc, s31, v16
	v_mov_b32_e32 v12, v5
	v_mov_b32_e32 v13, v6
	;; [unrolled: 1-line block ×3, first 2 shown]
	s_waitcnt vmcnt(0)
	v_cndmask_b32_e32 v8, 0, v28, vcc
	v_pk_add_f32 v[4:5], v[12:13], v[4:5]
	v_cmp_eq_u32_e32 vcc, 1, v34
	v_pk_mul_f32 v[4:5], v[8:9], v[4:5] op_sel_hi:[0,1]
	v_cmp_le_i32_e64 s[8:9], s31, v35
	v_cndmask_b32_e32 v8, v4, v5, vcc
	v_cmp_eq_u32_e32 vcc, 2, v34
	v_mov_b32_e32 v12, v1
	v_mov_b32_e32 v13, v2
	;; [unrolled: 1-line block ×3, first 2 shown]
	v_cndmask_b32_e32 v6, v8, v6, vcc
	v_cndmask_b32_e64 v8, 0, v28, s[8:9]
	v_pk_add_f32 v[0:1], v[12:13], v[0:1]
	v_cmp_eq_u32_e64 s[6:7], 3, v34
	v_pk_mul_f32 v[0:1], v[8:9], v[0:1] op_sel_hi:[0,1]
	v_cmp_ne_u32_e64 s[8:9], 0, v34
	v_cndmask_b32_e64 v6, v6, v7, s[6:7]
	ds_bpermute_b32 v6, v41, v6
	v_cndmask_b32_e64 v7, v0, v1, s[8:9]
	v_cndmask_b32_e32 v2, v7, v2, vcc
	v_cndmask_b32_e64 v2, v2, v3, s[6:7]
	ds_bpermute_b32 v2, v41, v2
	v_cmp_lt_i32_e32 vcc, s56, v36
	s_and_saveexec_b64 s[8:9], vcc
	s_cbranch_execz .LBB41_25
; %bb.24:                               ;   in Loop: Header=BB41_7 Depth=1
	s_mul_i32 s6, s54, s13
	s_ashr_i32 s7, s6, 31
	s_lshl_b64 s[6:7], s[6:7], 1
	s_add_u32 s38, s24, s6
	s_addc_u32 s39, s25, s7
	s_ashr_i32 s31, s30, 31
	s_lshl_b64 s[6:7], s[30:31], 1
	s_add_u32 s38, s38, s6
	s_addc_u32 s39, s39, s7
	v_cmp_ne_u32_e32 vcc, 0, v34
	v_cmp_eq_u32_e64 s[6:7], 0, v34
	s_waitcnt lgkmcnt(0)
	v_cndmask_b32_e32 v3, v1, v2, vcc
	v_cndmask_b32_e64 v2, v0, v2, s[6:7]
	v_cndmask_b32_e32 v5, v5, v6, vcc
	v_cndmask_b32_e64 v4, v4, v6, s[6:7]
	v_cvt_f16_f32_e32 v4, v4
	v_cvt_f16_f32_sdwa v5, v5 dst_sel:WORD_1 dst_unused:UNUSED_PAD src0_sel:DWORD
	v_cvt_f16_f32_e32 v2, v2
	v_cvt_f16_f32_sdwa v3, v3 dst_sel:WORD_1 dst_unused:UNUSED_PAD src0_sel:DWORD
	v_lshl_add_u64 v[0:1], v[18:19], 1, s[38:39]
	v_lshl_add_u64 v[0:1], v[0:1], 0, v[20:21]
	v_or_b32_e32 v4, v5, v4
	;;#ASMSTART
	global_atomic_pk_add_f16 v[0:1], v4, off
	
	;;#ASMEND
	v_lshl_add_u64 v[0:1], v[0:1], 0, 32
	v_or_b32_e32 v2, v3, v2
	;;#ASMSTART
	global_atomic_pk_add_f16 v[0:1], v2, off
	
	;;#ASMEND
.LBB41_25:                              ;   in Loop: Header=BB41_7 Depth=1
	s_or_b64 exec, exec, s[8:9]
	v_subrev_u32_e32 v42, s53, v42
.LBB41_26:                              ;   in Loop: Header=BB41_7 Depth=1
	s_or_b64 exec, exec, s[36:37]
.LBB41_27:                              ;   in Loop: Header=BB41_7 Depth=1
	s_andn2_saveexec_b64 s[6:7], s[34:35]
	s_cbranch_execz .LBB41_36
; %bb.28:                               ;   in Loop: Header=BB41_7 Depth=1
	s_lshl_b32 s38, s53, 1
	v_cmp_gt_i32_e32 vcc, s38, v42
	s_and_saveexec_b64 s[8:9], vcc
	s_cbranch_execz .LBB41_35
; %bb.29:                               ;   in Loop: Header=BB41_7 Depth=1
	s_mul_i32 s30, s30, s15
	s_ashr_i32 s31, s30, 31
	s_waitcnt lgkmcnt(0)
	s_add_u32 s30, s22, s30
	s_addc_u32 s31, s23, s31
	s_ashr_i32 s34, s55, 31
	s_add_u32 s30, s30, s55
	s_addc_u32 s31, s31, s34
	v_lshl_add_u64 v[0:1], s[30:31], 0, v[24:25]
	v_lshl_add_u64 v[28:29], v[0:1], 0, v[22:23]
	s_mov_b64 s[30:31], 0
	s_branch .LBB41_31
.LBB41_30:                              ;   in Loop: Header=BB41_31 Depth=2
	s_or_b64 exec, exec, s[34:35]
	v_lshl_or_b32 v45, v43, 12, v37
	;;#ASMSTART
	s_waitcnt vmcnt(3)
	;;#ASMEND
	ds_write2_b32 v45, v12, v13 offset1:32
	ds_write2_b32 v45, v14, v15 offset0:64 offset1:96
	v_add_u32_e32 v12, 0x400, v45
	;;#ASMSTART
	s_waitcnt vmcnt(2)
	;;#ASMEND
	ds_write2_b32 v12, v8, v9 offset1:32
	ds_write2_b32 v12, v10, v11 offset0:64 offset1:96
	v_add_u32_e32 v8, 0x800, v45
	;; [unrolled: 6-line block ×3, first 2 shown]
	v_add_u32_e32 v42, s18, v42
	;;#ASMSTART
	s_waitcnt vmcnt(0)
	;;#ASMEND
	ds_write2_b32 v4, v0, v1 offset1:32
	ds_write2_b32 v4, v2, v3 offset0:64 offset1:96
	v_add_u32_e32 v0, 1, v30
	v_add_u32_e32 v10, s18, v43
	v_cmp_le_i32_e32 vcc, s38, v42
	ds_write_b32 v44, v0 offset:8
	v_add_u32_e32 v0, 2, v30
	s_or_b64 s[30:31], vcc, s[30:31]
	v_cmp_lt_i32_e32 vcc, 3, v10
	s_nop 1
	v_cndmask_b32_e32 v30, v30, v0, vcc
	s_andn2_b64 exec, exec, s[30:31]
	s_cbranch_execz .LBB41_34
.LBB41_31:                              ;   Parent Loop BB41_7 Depth=1
                                        ; =>  This Loop Header: Depth=2
                                        ;       Child Loop BB41_33 Depth 3
	v_cmp_gt_i32_e32 vcc, 4, v10
	s_nop 1
	v_cndmask_b32_e64 v0, -4, 0, vcc
	v_add_u32_e32 v43, v0, v10
	v_lshrrev_b32_e32 v0, 31, v42
	v_add_u32_e32 v0, v42, v0
	v_and_b32_e32 v1, -2, v0
	v_lshlrev_b32_e32 v0, 7, v0
	v_sub_u32_e32 v2, v42, v1
	v_and_b32_e32 v0, 0xffffff00, v0
	v_ashrrev_i32_e32 v1, 31, v0
	v_mul_lo_u32 v2, s46, v2
	v_lshl_add_u64 v[0:1], v[28:29], 0, v[0:1]
	v_ashrrev_i32_e32 v3, 31, v2
	v_lshl_add_u64 v[0:1], v[0:1], 0, v[2:3]
	v_lshlrev_b32_e32 v44, 2, v43
	;;#ASMSTART
	global_load_dwordx4 v[12:15], v[0:1], off offset:0    sc0 sc1 nt  
	global_load_dwordx4 v[8:11], v[0:1], off offset:64   sc0 sc1 nt  
	global_load_dwordx4 v[4:7], v[0:1], off offset:128  sc0 sc1 nt  
	global_load_dwordx4 v[0:3], v[0:1], off offset:192  sc0 sc1 nt  
	
	;;#ASMEND
	ds_read_b32 v45, v44 offset:20488
	v_add_u32_e32 v44, 0x5000, v44
	s_waitcnt lgkmcnt(0)
	v_cmp_ne_u32_e32 vcc, v45, v30
	s_and_saveexec_b64 s[34:35], vcc
	s_cbranch_execz .LBB41_30
; %bb.32:                               ;   in Loop: Header=BB41_31 Depth=2
	s_mov_b64 s[36:37], 0
.LBB41_33:                              ;   Parent Loop BB41_7 Depth=1
                                        ;     Parent Loop BB41_31 Depth=2
                                        ; =>    This Inner Loop Header: Depth=3
	;;#ASMSTART
	s_sleep 0
	;;#ASMEND
	ds_read_b32 v45, v44 offset:8
	s_waitcnt lgkmcnt(0)
	v_cmp_eq_u32_e32 vcc, v45, v30
	s_or_b64 s[36:37], vcc, s[36:37]
	s_andn2_b64 exec, exec, s[36:37]
	s_cbranch_execnz .LBB41_33
	s_branch .LBB41_30
.LBB41_34:                              ;   in Loop: Header=BB41_7 Depth=1
	s_or_b64 exec, exec, s[30:31]
.LBB41_35:                              ;   in Loop: Header=BB41_7 Depth=1
	s_or_b64 exec, exec, s[8:9]
	v_subrev_u32_e32 v42, s38, v42
.LBB41_36:                              ;   in Loop: Header=BB41_7 Depth=1
	s_or_b64 exec, exec, s[6:7]
.LBB41_37:                              ;   in Loop: Header=BB41_7 Depth=1
	s_andn2_saveexec_b64 s[6:7], s[28:29]
	s_cbranch_execz .LBB41_6
; %bb.38:                               ;   in Loop: Header=BB41_7 Depth=1
	v_cmp_gt_i32_e32 vcc, s53, v42
	s_and_saveexec_b64 s[8:9], vcc
	s_cbranch_execz .LBB41_5
; %bb.39:                               ;   in Loop: Header=BB41_7 Depth=1
	s_mul_i32 s54, s54, s14
	s_ashr_i32 s28, s54, 31
	s_waitcnt lgkmcnt(0)
	s_add_u32 s29, s20, s54
	s_addc_u32 s30, s21, s28
	s_ashr_i32 s31, s55, 31
	v_cmp_le_i32_e32 vcc, s56, v39
	s_add_u32 s28, s29, s55
	s_addc_u32 s29, s30, s31
	v_cndmask_b32_e32 v0, 0, v40, vcc
	v_ashrrev_i32_e32 v1, 31, v0
	v_lshl_add_u64 v[0:1], s[28:29], 0, v[0:1]
	v_lshlrev_b32_e32 v2, 8, v42
	v_lshl_add_u64 v[0:1], v[0:1], 0, v[26:27]
	v_ashrrev_i32_e32 v3, 31, v2
	v_lshl_add_u64 v[8:9], v[0:1], 0, v[2:3]
	s_mov_b64 s[28:29], 0
	s_branch .LBB41_41
.LBB41_40:                              ;   in Loop: Header=BB41_41 Depth=2
	s_or_b64 exec, exec, s[30:31]
	;;#ASMSTART
	s_waitcnt vmcnt(1)
	v_pack_b32_f16 v12, v4, v5, op_sel:[0,0]
	v_pack_b32_f16 v13, v4, v5, op_sel:[1,1]
	;; [unrolled: 1-line block ×4, first 2 shown]
	v_swap_b32 v12, v4
	v_swap_b32 v13, v6
	;; [unrolled: 1-line block ×4, first 2 shown]
	;;#ASMEND
	v_add_u32_e32 v42, s17, v42
	v_lshl_add_u32 v12, v10, 11, v38
	ds_write2_b32 v12, v4, v5 offset1:32
	ds_write2_b32 v12, v6, v7 offset0:64 offset1:96
	;;#ASMSTART
	s_waitcnt vmcnt(0)
	v_pack_b32_f16 v4, v0, v1, op_sel:[0,0]
	v_pack_b32_f16 v5, v0, v1, op_sel:[1,1]
	;; [unrolled: 1-line block ×4, first 2 shown]
	v_swap_b32 v4, v0
	v_swap_b32 v5, v2
	v_swap_b32 v6, v1
	v_swap_b32 v7, v3
	;;#ASMEND
	v_add_u32_e32 v10, s17, v10
	v_add_u32_e32 v4, 0x400, v12
	ds_write2_b32 v4, v0, v1 offset1:32
	ds_write2_b32 v4, v2, v3 offset0:64 offset1:96
	v_add_u32_e32 v0, 1, v30
	v_cmp_le_i32_e32 vcc, s53, v42
	ds_write_b32 v11, v0
	v_add_u32_e32 v0, 2, v30
	s_or_b64 s[28:29], vcc, s[28:29]
	v_cmp_lt_i32_e32 vcc, 1, v10
	v_lshl_add_u64 v[8:9], v[8:9], 0, s[10:11]
	s_nop 0
	v_cndmask_b32_e32 v30, v30, v0, vcc
	s_andn2_b64 exec, exec, s[28:29]
	s_cbranch_execz .LBB41_4
.LBB41_41:                              ;   Parent Loop BB41_7 Depth=1
                                        ; =>  This Loop Header: Depth=2
                                        ;       Child Loop BB41_43 Depth 3
	v_cmp_gt_i32_e32 vcc, 2, v10
	s_nop 1
	v_cndmask_b32_e64 v0, -2, 0, vcc
	v_add_u32_e32 v10, v0, v10
	v_lshlrev_b32_e32 v11, 2, v10
	;;#ASMSTART
	global_load_dwordx4 v[4:7], v[8:9], off offset:0  
	global_load_dwordx4 v[0:3], v[8:9], off offset:128
	
	;;#ASMEND
	ds_read_b32 v12, v11 offset:20480
	v_add_u32_e32 v11, 0x5000, v11
	s_waitcnt lgkmcnt(0)
	v_cmp_ne_u32_e32 vcc, v12, v30
	s_and_saveexec_b64 s[30:31], vcc
	s_cbranch_execz .LBB41_40
; %bb.42:                               ;   in Loop: Header=BB41_41 Depth=2
	s_mov_b64 s[34:35], 0
.LBB41_43:                              ;   Parent Loop BB41_7 Depth=1
                                        ;     Parent Loop BB41_41 Depth=2
                                        ; =>    This Inner Loop Header: Depth=3
	;;#ASMSTART
	s_sleep 0
	;;#ASMEND
	ds_read_b32 v12, v11
	s_waitcnt lgkmcnt(0)
	v_cmp_eq_u32_e32 vcc, v12, v30
	s_or_b64 s[34:35], vcc, s[34:35]
	s_andn2_b64 exec, exec, s[34:35]
	s_cbranch_execnz .LBB41_43
	s_branch .LBB41_40
.LBB41_44:
	s_endpgm
	.section	.rodata,"a",@progbits
	.p2align	6, 0x0
	.amdhsa_kernel _Z19_skinny_gemm_kernelILi1ELi2ELi2ELi8ELi4EEvPKhS1_P6__halfPKfiiiiiiii
		.amdhsa_group_segment_fixed_size 20504
		.amdhsa_private_segment_fixed_size 0
		.amdhsa_kernarg_size 64
		.amdhsa_user_sgpr_count 2
		.amdhsa_user_sgpr_dispatch_ptr 0
		.amdhsa_user_sgpr_queue_ptr 0
		.amdhsa_user_sgpr_kernarg_segment_ptr 1
		.amdhsa_user_sgpr_dispatch_id 0
		.amdhsa_user_sgpr_kernarg_preload_length 0
		.amdhsa_user_sgpr_kernarg_preload_offset 0
		.amdhsa_user_sgpr_private_segment_size 0
		.amdhsa_uses_dynamic_stack 0
		.amdhsa_enable_private_segment 0
		.amdhsa_system_sgpr_workgroup_id_x 1
		.amdhsa_system_sgpr_workgroup_id_y 0
		.amdhsa_system_sgpr_workgroup_id_z 0
		.amdhsa_system_sgpr_workgroup_info 0
		.amdhsa_system_vgpr_workitem_id 0
		.amdhsa_next_free_vgpr 55
		.amdhsa_next_free_sgpr 57
		.amdhsa_accum_offset 56
		.amdhsa_reserve_vcc 1
		.amdhsa_float_round_mode_32 0
		.amdhsa_float_round_mode_16_64 0
		.amdhsa_float_denorm_mode_32 3
		.amdhsa_float_denorm_mode_16_64 3
		.amdhsa_dx10_clamp 1
		.amdhsa_ieee_mode 1
		.amdhsa_fp16_overflow 0
		.amdhsa_tg_split 0
		.amdhsa_exception_fp_ieee_invalid_op 0
		.amdhsa_exception_fp_denorm_src 0
		.amdhsa_exception_fp_ieee_div_zero 0
		.amdhsa_exception_fp_ieee_overflow 0
		.amdhsa_exception_fp_ieee_underflow 0
		.amdhsa_exception_fp_ieee_inexact 0
		.amdhsa_exception_int_div_zero 0
	.end_amdhsa_kernel
	.section	.text._Z19_skinny_gemm_kernelILi1ELi2ELi2ELi8ELi4EEvPKhS1_P6__halfPKfiiiiiiii,"axG",@progbits,_Z19_skinny_gemm_kernelILi1ELi2ELi2ELi8ELi4EEvPKhS1_P6__halfPKfiiiiiiii,comdat
.Lfunc_end41:
	.size	_Z19_skinny_gemm_kernelILi1ELi2ELi2ELi8ELi4EEvPKhS1_P6__halfPKfiiiiiiii, .Lfunc_end41-_Z19_skinny_gemm_kernelILi1ELi2ELi2ELi8ELi4EEvPKhS1_P6__halfPKfiiiiiiii
                                        ; -- End function
	.set _Z19_skinny_gemm_kernelILi1ELi2ELi2ELi8ELi4EEvPKhS1_P6__halfPKfiiiiiiii.num_vgpr, 55
	.set _Z19_skinny_gemm_kernelILi1ELi2ELi2ELi8ELi4EEvPKhS1_P6__halfPKfiiiiiiii.num_agpr, 0
	.set _Z19_skinny_gemm_kernelILi1ELi2ELi2ELi8ELi4EEvPKhS1_P6__halfPKfiiiiiiii.numbered_sgpr, 57
	.set _Z19_skinny_gemm_kernelILi1ELi2ELi2ELi8ELi4EEvPKhS1_P6__halfPKfiiiiiiii.num_named_barrier, 0
	.set _Z19_skinny_gemm_kernelILi1ELi2ELi2ELi8ELi4EEvPKhS1_P6__halfPKfiiiiiiii.private_seg_size, 0
	.set _Z19_skinny_gemm_kernelILi1ELi2ELi2ELi8ELi4EEvPKhS1_P6__halfPKfiiiiiiii.uses_vcc, 1
	.set _Z19_skinny_gemm_kernelILi1ELi2ELi2ELi8ELi4EEvPKhS1_P6__halfPKfiiiiiiii.uses_flat_scratch, 0
	.set _Z19_skinny_gemm_kernelILi1ELi2ELi2ELi8ELi4EEvPKhS1_P6__halfPKfiiiiiiii.has_dyn_sized_stack, 0
	.set _Z19_skinny_gemm_kernelILi1ELi2ELi2ELi8ELi4EEvPKhS1_P6__halfPKfiiiiiiii.has_recursion, 0
	.set _Z19_skinny_gemm_kernelILi1ELi2ELi2ELi8ELi4EEvPKhS1_P6__halfPKfiiiiiiii.has_indirect_call, 0
	.section	.AMDGPU.csdata,"",@progbits
; Kernel info:
; codeLenInByte = 3388
; TotalNumSgprs: 63
; NumVgprs: 55
; NumAgprs: 0
; TotalNumVgprs: 55
; ScratchSize: 0
; MemoryBound: 0
; FloatMode: 240
; IeeeMode: 1
; LDSByteSize: 20504 bytes/workgroup (compile time only)
; SGPRBlocks: 7
; VGPRBlocks: 6
; NumSGPRsForWavesPerEU: 63
; NumVGPRsForWavesPerEU: 55
; AccumOffset: 56
; Occupancy: 8
; WaveLimiterHint : 0
; COMPUTE_PGM_RSRC2:SCRATCH_EN: 0
; COMPUTE_PGM_RSRC2:USER_SGPR: 2
; COMPUTE_PGM_RSRC2:TRAP_HANDLER: 0
; COMPUTE_PGM_RSRC2:TGID_X_EN: 1
; COMPUTE_PGM_RSRC2:TGID_Y_EN: 0
; COMPUTE_PGM_RSRC2:TGID_Z_EN: 0
; COMPUTE_PGM_RSRC2:TIDIG_COMP_CNT: 0
; COMPUTE_PGM_RSRC3_GFX90A:ACCUM_OFFSET: 13
; COMPUTE_PGM_RSRC3_GFX90A:TG_SPLIT: 0
	.section	.text._Z19_skinny_gemm_kernelILi1ELi2ELi2ELi8ELi8EEvPKhS1_P6__halfPKfiiiiiiii,"axG",@progbits,_Z19_skinny_gemm_kernelILi1ELi2ELi2ELi8ELi8EEvPKhS1_P6__halfPKfiiiiiiii,comdat
	.protected	_Z19_skinny_gemm_kernelILi1ELi2ELi2ELi8ELi8EEvPKhS1_P6__halfPKfiiiiiiii ; -- Begin function _Z19_skinny_gemm_kernelILi1ELi2ELi2ELi8ELi8EEvPKhS1_P6__halfPKfiiiiiiii
	.globl	_Z19_skinny_gemm_kernelILi1ELi2ELi2ELi8ELi8EEvPKhS1_P6__halfPKfiiiiiiii
	.p2align	8
	.type	_Z19_skinny_gemm_kernelILi1ELi2ELi2ELi8ELi8EEvPKhS1_P6__halfPKfiiiiiiii,@function
_Z19_skinny_gemm_kernelILi1ELi2ELi2ELi8ELi8EEvPKhS1_P6__halfPKfiiiiiiii: ; @_Z19_skinny_gemm_kernelILi1ELi2ELi2ELi8ELi8EEvPKhS1_P6__halfPKfiiiiiiii
; %bb.0:
	v_cmp_gt_u32_e32 vcc, 6, v0
	v_lshlrev_b32_e32 v1, 2, v0
	s_and_saveexec_b64 s[4:5], vcc
; %bb.1:
	v_mov_b32_e32 v2, 0
	ds_write_b32 v1, v2 offset:40960
; %bb.2:
	s_or_b64 exec, exec, s[4:5]
	s_load_dwordx8 s[12:19], s[0:1], 0x20
	s_waitcnt lgkmcnt(0)
	s_barrier
	s_add_i32 s3, s12, 7
	s_ashr_i32 s5, s3, 31
	s_add_i32 s4, s13, 31
	s_lshr_b32 s5, s5, 29
	s_ashr_i32 s6, s4, 31
	s_add_i32 s3, s3, s5
	s_ashr_i32 s15, s3, 3
	s_lshr_b32 s3, s6, 27
	s_add_i32 s4, s4, s3
	s_ashr_i32 s33, s4, 5
	s_mul_i32 s3, s33, s15
	s_mul_i32 s3, s3, s16
	s_add_i32 s4, s3, 0x12f
	s_mul_hi_i32 s4, s4, 0x6bca1af3
	s_lshr_b32 s5, s4, 31
	s_ashr_i32 s4, s4, 7
	s_add_i32 s4, s4, s5
	s_add_i32 s5, s2, 1
	s_mul_i32 s5, s4, s5
	v_cvt_f64_i32_e32 v[2:3], s3
	v_cvt_f64_u32_e32 v[4:5], s5
	v_min_f64 v[2:3], v[2:3], v[4:5]
	v_cvt_i32_f64_e32 v9, v[2:3]
	s_mul_i32 s38, s4, s2
	v_cmp_ge_i32_e32 vcc, s38, v9
	s_cbranch_vccnz .LBB42_44
; %bb.3:
	v_lshrrev_b32_e32 v2, 6, v0
	s_add_i32 s4, s18, s17
	s_load_dwordx2 s[10:11], s[0:1], 0x0
	s_load_dwordx4 s[20:23], s[0:1], 0x10
	v_cmp_le_i32_e64 s[0:1], s4, v2
	v_mov_b32_e32 v3, s17
	v_cmp_le_i32_e64 s[2:3], s17, v2
	v_mov_b32_e32 v4, s18
	v_cndmask_b32_e64 v4, 0, v4, s[0:1]
	v_cndmask_b32_e64 v3, 0, v3, s[2:3]
	s_abs_i32 s5, s16
	v_add_u32_e32 v3, v3, v4
	v_cvt_f32_u32_e32 v4, s5
	v_sub_u32_e32 v18, v2, v3
	s_ashr_i32 s6, s14, 31
	s_lshr_b32 s6, s6, 23
	v_rcp_iflag_f32_e32 v3, v4
	s_sub_i32 s9, 0, s5
	s_add_i32 s6, s14, s6
	s_ashr_i32 s6, s6, 9
	v_mul_f32_e32 v3, 0x4f7ffffe, v3
	v_cvt_u32_f32_e32 v3, v3
	s_abs_i32 s8, s6
	s_xor_b32 s7, s6, s16
	s_ashr_i32 s7, s7, 31
	v_readfirstlane_b32 s24, v3
	s_mul_i32 s9, s9, s24
	s_mul_hi_u32 s9, s24, s9
	s_add_i32 s24, s24, s9
	s_mul_hi_u32 s9, s8, s24
	s_mul_i32 s24, s9, s5
	s_sub_i32 s8, s8, s24
	s_add_i32 s24, s9, 1
	s_sub_i32 s26, s8, s5
	s_cmp_ge_u32 s8, s5
	s_cselect_b32 s9, s24, s9
	s_cselect_b32 s8, s26, s8
	s_add_i32 s24, s9, 1
	s_cmp_ge_u32 s8, s5
	s_cselect_b32 s5, s24, s9
	s_xor_b32 s5, s5, s7
	s_sub_i32 s39, s5, s7
	s_add_i32 s16, s16, -1
	s_mul_i32 s5, s39, s16
	s_add_i32 s4, s4, s19
	s_sub_i32 s40, s6, s5
	v_cmp_gt_i32_e64 s[4:5], s4, v2
	v_and_b32_e32 v2, 1, v0
	v_lshlrev_b32_e32 v3, 1, v0
	v_and_b32_e32 v3, 0x7c, v3
	v_lshlrev_b32_e32 v4, 8, v2
	v_lshlrev_b32_e32 v5, 4, v0
	s_mov_b32 s7, 0x8000
	s_movk_i32 s6, 0x7c
	v_and_b32_e32 v6, 0x200, v5
	v_or3_b32 v34, v3, v4, s7
	v_lshrrev_b32_e32 v3, 3, v0
	v_mov_b32_e32 v7, 0xeeee
	v_mov_b32_e32 v8, 0x4444
	v_cmp_eq_u32_e32 vcc, 0, v2
	v_and_or_b32 v35, v1, s6, v6
	v_lshlrev_b32_e32 v1, 1, v2
	v_and_or_b32 v2, v3, 6, v2
	v_lshlrev_b32_e32 v4, 7, v0
	v_cndmask_b32_e32 v33, v7, v8, vcc
	v_and_b32_e32 v8, 14, v0
	v_bitop3_b32 v36, v0, 1, v0 bitop3:0xc
	v_sub_u32_e32 v1, v0, v1
	v_sub_u32_e32 v38, 8, v2
	v_mul_lo_u32 v10, s13, v2
	v_bfe_u32 v2, v0, 3, 3
	v_and_b32_e32 v4, 0x200, v4
	v_lshlrev_b32_e32 v0, 5, v0
	v_lshl_or_b32 v4, v2, 2, v4
	v_and_b32_e32 v0, 0x60, v0
	s_abs_i32 s41, s15
	v_or3_b32 v39, v4, v0, s7
	v_cvt_f32_u32_e32 v0, s41
	s_abs_i32 s43, s33
	v_mul_lo_u32 v41, s14, v2
	v_cvt_f32_u32_e32 v2, s43
	v_rcp_iflag_f32_e32 v0, v0
	s_sub_i32 s6, 0, s41
	v_add_u32_e32 v1, 1, v1
	v_rcp_iflag_f32_e32 v2, v2
	v_mul_f32_e32 v0, 0x4f7ffffe, v0
	v_cvt_u32_f32_e32 v0, v0
	v_and_b32_e32 v1, 63, v1
	v_mov_b32_e32 v13, 0
	v_cndmask_b32_e64 v32, 0, 1, s[0:1]
	v_readfirstlane_b32 s7, v0
	v_mul_f32_e32 v0, 0x4f7ffffe, v2
	v_cvt_u32_f32_e32 v0, v0
	s_mul_i32 s6, s6, s7
	s_mul_hi_u32 s6, s7, s6
	s_add_i32 s45, s7, s6
	s_sub_i32 s6, 0, s43
	v_readfirstlane_b32 s7, v0
	v_mbcnt_lo_u32_b32 v0, -1, 0
	s_mul_i32 s6, s6, s7
	v_mbcnt_hi_u32_b32 v0, -1, v0
	s_mul_hi_u32 s6, s7, s6
	v_and_or_b32 v0, v0, 64, v1
	s_mov_b32 s25, 0
	v_or_b32_e32 v37, 16, v8
	v_ashrrev_i32_e32 v11, 31, v10
	s_lshl_b32 s42, s39, 9
	v_bitop3_b32 v40, v3, 7, v3 bitop3:0xc
	v_and_b32_e32 v14, 0x70, v5
	v_mov_b32_e32 v15, v13
	s_lshl_b32 s24, s17, 9
	s_ashr_i32 s44, s15, 31
	s_ashr_i32 s46, s33, 31
	s_add_i32 s47, s7, s6
	v_lshlrev_b32_e32 v42, 2, v0
	v_mov_b32_e32 v43, v18
	s_branch .LBB42_7
.LBB42_4:                               ;   in Loop: Header=BB42_7 Depth=1
	s_or_b64 exec, exec, s[26:27]
.LBB42_5:                               ;   in Loop: Header=BB42_7 Depth=1
	s_or_b64 exec, exec, s[8:9]
	v_subrev_u32_e32 v43, s48, v43
.LBB42_6:                               ;   in Loop: Header=BB42_7 Depth=1
	s_or_b64 exec, exec, s[6:7]
	s_add_i32 s38, s38, 1
	v_cmp_ge_i32_e32 vcc, s38, v9
	s_cbranch_vccnz .LBB42_44
.LBB42_7:                               ; =>This Loop Header: Depth=1
                                        ;     Child Loop BB42_13 Depth 2
                                        ;       Child Loop BB42_15 Depth 3
                                        ;       Child Loop BB42_18 Depth 3
	;; [unrolled: 1-line block ×3, first 2 shown]
                                        ;     Child Loop BB42_31 Depth 2
                                        ;       Child Loop BB42_33 Depth 3
                                        ;     Child Loop BB42_41 Depth 2
                                        ;       Child Loop BB42_43 Depth 3
	s_abs_i32 s7, s38
	s_mul_hi_u32 s8, s7, s45
	s_mul_i32 s9, s8, s41
	s_ashr_i32 s6, s38, 31
	s_sub_i32 s7, s7, s9
	s_xor_b32 s6, s6, s44
	s_add_i32 s9, s8, 1
	s_sub_i32 s26, s7, s41
	s_cmp_ge_u32 s7, s41
	s_cselect_b32 s8, s9, s8
	s_cselect_b32 s7, s26, s7
	s_add_i32 s9, s8, 1
	s_cmp_ge_u32 s7, s41
	s_cselect_b32 s7, s9, s8
	s_xor_b32 s7, s7, s6
	s_sub_i32 s52, s7, s6
	s_abs_i32 s7, s52
	s_mul_i32 s6, s52, s15
	s_mul_hi_u32 s8, s7, s47
	s_sub_i32 s6, s38, s6
	s_mul_i32 s9, s8, s43
	s_lshl_b32 s49, s6, 3
	s_ashr_i32 s6, s52, 31
	s_sub_i32 s7, s7, s9
	s_xor_b32 s6, s6, s46
	s_add_i32 s9, s8, 1
	s_sub_i32 s26, s7, s43
	s_cmp_ge_u32 s7, s43
	s_cselect_b32 s8, s9, s8
	s_cselect_b32 s7, s26, s7
	s_add_i32 s9, s8, 1
	s_cmp_ge_u32 s7, s43
	s_cselect_b32 s7, s9, s8
	s_xor_b32 s7, s7, s6
	s_sub_i32 s51, s7, s6
	s_cmp_eq_u32 s51, s16
	s_cselect_b32 s48, s40, s39
	s_sub_i32 s50, s49, s12
	s_add_i32 s50, s50, 8
	s_and_saveexec_b64 s[6:7], s[2:3]
	s_xor_b64 s[26:27], exec, s[6:7]
	s_cbranch_execz .LBB42_37
; %bb.8:                                ;   in Loop: Header=BB42_7 Depth=1
	s_and_saveexec_b64 s[6:7], s[0:1]
	s_xor_b64 s[28:29], exec, s[6:7]
	s_cbranch_execz .LBB42_27
; %bb.9:                                ;   in Loop: Header=BB42_7 Depth=1
	s_and_saveexec_b64 s[30:31], s[4:5]
	s_cbranch_execz .LBB42_26
; %bb.10:                               ;   in Loop: Header=BB42_7 Depth=1
	s_waitcnt lgkmcnt(0)
	global_load_dword v12, v13, s[22:23]
	v_mov_b32_e32 v7, 0
	v_cmp_gt_i32_e32 vcc, s48, v43
	v_mov_b32_e32 v6, v7
	v_mov_b32_e32 v5, v7
	;; [unrolled: 1-line block ×7, first 2 shown]
	s_and_saveexec_b64 s[6:7], vcc
	s_cbranch_execz .LBB42_23
; %bb.11:                               ;   in Loop: Header=BB42_7 Depth=1
	v_mov_b32_e32 v0, 0
	s_mov_b64 s[8:9], 0
	v_mov_b32_e32 v1, v0
	v_mov_b32_e32 v2, v0
	;; [unrolled: 1-line block ×7, first 2 shown]
	s_branch .LBB42_13
.LBB42_12:                              ;   in Loop: Header=BB42_13 Depth=2
	s_or_b64 exec, exec, s[34:35]
	v_add_u32_e32 v50, 0x2000, v47
	ds_read2_b32 v[48:49], v50 offset1:32
	ds_read2_b32 v[50:51], v50 offset0:64 offset1:96
	v_add_u32_e32 v54, 0x2400, v47
	ds_read2_b32 v[52:53], v54 offset1:32
	ds_read2_b32 v[54:55], v54 offset0:64 offset1:96
	v_add_u32_e32 v43, s19, v43
	v_cmp_le_i32_e32 vcc, s48, v43
	s_waitcnt lgkmcnt(2)
	v_smfmac_f32_16x16x64_fp8_fp8 v[0:3], v[30:31], v[48:51], v33 cbsz:7 abid:1
	v_add_u32_e32 v30, 0x2800, v47
	ds_read2_b32 v[48:49], v30 offset1:32
	ds_read2_b32 v[50:51], v30 offset0:64 offset1:96
	v_add_u32_e32 v30, 0x2c00, v47
	s_waitcnt lgkmcnt(2)
	v_smfmac_f32_16x16x64_fp8_fp8 v[0:3], v[28:29], v[52:55], v33 cbsz:7 abid:1
	ds_read2_b32 v[28:29], v30 offset1:32
	ds_read2_b32 v[30:31], v30 offset0:64 offset1:96
	s_or_b64 s[8:9], vcc, s[8:9]
	s_waitcnt lgkmcnt(2)
	v_smfmac_f32_16x16x64_fp8_fp8 v[0:3], v[26:27], v[48:51], v33 cbsz:7 abid:1
	v_add_u32_e32 v26, 0x3000, v47
	ds_read2_b32 v[48:49], v26 offset1:32
	ds_read2_b32 v[50:51], v26 offset0:64 offset1:96
	v_add_u32_e32 v26, 0x3400, v47
	s_waitcnt lgkmcnt(2)
	v_smfmac_f32_16x16x64_fp8_fp8 v[0:3], v[24:25], v[28:31], v33 cbsz:7 abid:1
	ds_read2_b32 v[24:25], v26 offset1:32
	ds_read2_b32 v[26:27], v26 offset0:64 offset1:96
	s_waitcnt lgkmcnt(2)
	v_smfmac_f32_16x16x64_fp8_fp8 v[0:3], v[22:23], v[48:51], v33 cbsz:7 abid:1
	v_add_u32_e32 v22, 0x3800, v47
	ds_read2_b32 v[28:29], v22 offset1:32
	ds_read2_b32 v[30:31], v22 offset0:64 offset1:96
	v_add_u32_e32 v22, 0x3c00, v47
	s_waitcnt lgkmcnt(2)
	v_smfmac_f32_16x16x64_fp8_fp8 v[0:3], v[20:21], v[24:27], v33 cbsz:7 abid:1
	ds_read2_b32 v[20:21], v22 offset1:32
	ds_read2_b32 v[22:23], v22 offset0:64 offset1:96
	ds_write_b32 v46, v45 offset:40972
	s_waitcnt lgkmcnt(3)
	v_smfmac_f32_16x16x64_fp8_fp8 v[0:3], v[18:19], v[28:31], v33 cbsz:7 abid:1
	v_add_u32_e32 v18, s19, v44
	v_add_u32_e32 v19, 2, v32
	v_cmp_lt_i32_e32 vcc, 1, v18
	s_waitcnt lgkmcnt(1)
	v_smfmac_f32_16x16x64_fp8_fp8 v[0:3], v[16:17], v[20:23], v33 cbsz:7 abid:1
	v_cndmask_b32_e32 v32, v32, v19, vcc
	s_andn2_b64 exec, exec, s[8:9]
	s_cbranch_execz .LBB42_22
.LBB42_13:                              ;   Parent Loop BB42_7 Depth=1
                                        ; =>  This Loop Header: Depth=2
                                        ;       Child Loop BB42_15 Depth 3
                                        ;       Child Loop BB42_18 Depth 3
	;; [unrolled: 1-line block ×3, first 2 shown]
	v_cmp_gt_i32_e32 vcc, 2, v18
	s_nop 1
	v_cndmask_b32_e64 v16, -2, 0, vcc
	v_add_u32_e32 v44, v16, v18
	v_lshlrev_b32_e32 v16, 2, v44
	ds_read_b32 v17, v16 offset:40960
	v_add_u32_e32 v46, 0xa000, v16
	s_waitcnt lgkmcnt(0)
	v_cmp_ne_u32_e32 vcc, v17, v32
	s_and_saveexec_b64 s[34:35], vcc
	s_cbranch_execz .LBB42_16
; %bb.14:                               ;   in Loop: Header=BB42_13 Depth=2
	s_mov_b64 s[36:37], 0
.LBB42_15:                              ;   Parent Loop BB42_7 Depth=1
                                        ;     Parent Loop BB42_13 Depth=2
                                        ; =>    This Inner Loop Header: Depth=3
	;;#ASMSTART
	s_sleep 0
	;;#ASMEND
	ds_read_b32 v16, v46
	s_waitcnt lgkmcnt(0)
	v_cmp_eq_u32_e32 vcc, v16, v32
	s_or_b64 s[36:37], vcc, s[36:37]
	s_andn2_b64 exec, exec, s[36:37]
	s_cbranch_execnz .LBB42_15
.LBB42_16:                              ;   in Loop: Header=BB42_13 Depth=2
	s_or_b64 exec, exec, s[34:35]
	v_lshl_add_u32 v16, v44, 12, v34
	v_add_u32_e32 v17, 0x400, v16
	ds_read2_b32 v[30:31], v16 offset1:32
	ds_read2_b32 v[28:29], v16 offset0:128 offset1:160
	ds_read2_b32 v[26:27], v17 offset1:32
	ds_read2_b32 v[24:25], v17 offset0:128 offset1:160
	v_add_u32_e32 v17, 0x800, v16
	v_add_u32_e32 v16, 0xc00, v16
	;; [unrolled: 1-line block ×3, first 2 shown]
	ds_read2_b32 v[22:23], v17 offset1:32
	ds_read2_b32 v[20:21], v17 offset0:128 offset1:160
	ds_read2_b32 v[18:19], v16 offset1:32
	ds_read2_b32 v[16:17], v16 offset0:128 offset1:160
	;;#ASMSTART
	s_waitcnt lgkmcnt(0)
	;;#ASMEND
	ds_write_b32 v46, v45
	v_lshlrev_b32_e32 v46, 3, v44
	ds_read_b32 v47, v46 offset:40968
	s_waitcnt lgkmcnt(0)
	v_cmp_ne_u32_e32 vcc, v47, v32
	s_and_saveexec_b64 s[34:35], vcc
	s_cbranch_execz .LBB42_19
; %bb.17:                               ;   in Loop: Header=BB42_13 Depth=2
	s_mov_b64 s[36:37], 0
.LBB42_18:                              ;   Parent Loop BB42_7 Depth=1
                                        ;     Parent Loop BB42_13 Depth=2
                                        ; =>    This Inner Loop Header: Depth=3
	;;#ASMSTART
	s_sleep 0
	;;#ASMEND
	ds_read_b32 v47, v46 offset:40968
	s_waitcnt lgkmcnt(0)
	v_cmp_eq_u32_e32 vcc, v47, v32
	s_or_b64 s[36:37], vcc, s[36:37]
	s_andn2_b64 exec, exec, s[36:37]
	s_cbranch_execnz .LBB42_18
.LBB42_19:                              ;   in Loop: Header=BB42_13 Depth=2
	s_or_b64 exec, exec, s[34:35]
	v_lshl_or_b32 v47, v44, 14, v35
	ds_read2_b32 v[48:49], v47 offset1:32
	ds_read2_b32 v[50:51], v47 offset0:64 offset1:96
	v_add_u32_e32 v54, 0x400, v47
	ds_read2_b32 v[52:53], v54 offset1:32
	ds_read2_b32 v[54:55], v54 offset0:64 offset1:96
	s_waitcnt lgkmcnt(2)
	v_smfmac_f32_16x16x64_fp8_fp8 v[4:7], v[30:31], v[48:51], v33 cbsz:7 abid:1
	v_add_u32_e32 v50, 0x800, v47
	ds_read2_b32 v[48:49], v50 offset1:32
	ds_read2_b32 v[50:51], v50 offset0:64 offset1:96
	s_waitcnt lgkmcnt(2)
	v_smfmac_f32_16x16x64_fp8_fp8 v[4:7], v[28:29], v[52:55], v33 cbsz:7 abid:1
	;; [unrolled: 5-line block ×6, first 2 shown]
	v_add_u32_e32 v54, 0x1c00, v47
	ds_read2_b32 v[52:53], v54 offset1:32
	s_waitcnt lgkmcnt(1)
	v_smfmac_f32_16x16x64_fp8_fp8 v[4:7], v[18:19], v[48:51], v33 cbsz:7 abid:1
	ds_read2_b32 v[54:55], v54 offset0:64 offset1:96
	ds_read_b32 v48, v46 offset:40972
	ds_write_b32 v46, v45 offset:40968
	s_waitcnt lgkmcnt(1)
	v_cmp_ne_u32_e32 vcc, v48, v32
	v_smfmac_f32_16x16x64_fp8_fp8 v[4:7], v[16:17], v[52:55], v33 cbsz:7 abid:1
	s_and_saveexec_b64 s[34:35], vcc
	s_cbranch_execz .LBB42_12
; %bb.20:                               ;   in Loop: Header=BB42_13 Depth=2
	s_mov_b64 s[36:37], 0
.LBB42_21:                              ;   Parent Loop BB42_7 Depth=1
                                        ;     Parent Loop BB42_13 Depth=2
                                        ; =>    This Inner Loop Header: Depth=3
	;;#ASMSTART
	s_sleep 0
	;;#ASMEND
	ds_read_b32 v48, v46 offset:40972
	s_waitcnt lgkmcnt(0)
	v_cmp_eq_u32_e32 vcc, v48, v32
	s_or_b64 s[36:37], vcc, s[36:37]
	s_andn2_b64 exec, exec, s[36:37]
	s_cbranch_execnz .LBB42_21
	s_branch .LBB42_12
.LBB42_22:                              ;   in Loop: Header=BB42_7 Depth=1
	s_or_b64 exec, exec, s[8:9]
.LBB42_23:                              ;   in Loop: Header=BB42_7 Depth=1
	s_or_b64 exec, exec, s[6:7]
	s_mul_i32 s6, s51, s33
	s_sub_i32 s6, s52, s6
	s_lshl_b32 s34, s6, 5
	s_sub_i32 s35, s34, s13
	s_add_i32 s35, s35, 32
	v_cmp_le_i32_e32 vcc, s35, v8
	v_mov_b32_e32 v20, v5
	v_mov_b32_e32 v21, v6
	;; [unrolled: 1-line block ×3, first 2 shown]
	s_waitcnt vmcnt(0)
	v_cndmask_b32_e32 v16, 0, v12, vcc
	v_pk_add_f32 v[4:5], v[20:21], v[4:5]
	v_cmp_eq_u32_e32 vcc, 1, v36
	v_pk_mul_f32 v[4:5], v[16:17], v[4:5] op_sel_hi:[0,1]
	v_cmp_le_i32_e64 s[8:9], s35, v37
	v_cndmask_b32_e32 v16, v4, v5, vcc
	v_cmp_eq_u32_e32 vcc, 2, v36
	v_mov_b32_e32 v17, v2
	v_cndmask_b32_e64 v12, 0, v12, s[8:9]
	v_cndmask_b32_e32 v6, v16, v6, vcc
	v_mov_b32_e32 v16, v1
	v_mov_b32_e32 v1, v3
	v_pk_add_f32 v[0:1], v[16:17], v[0:1]
	v_cmp_eq_u32_e64 s[6:7], 3, v36
	v_pk_mul_f32 v[0:1], v[12:13], v[0:1] op_sel_hi:[0,1]
	v_cmp_ne_u32_e64 s[8:9], 0, v36
	v_cndmask_b32_e64 v6, v6, v7, s[6:7]
	ds_bpermute_b32 v6, v42, v6
	v_cndmask_b32_e64 v7, v0, v1, s[8:9]
	v_cndmask_b32_e32 v2, v7, v2, vcc
	v_cndmask_b32_e64 v2, v2, v3, s[6:7]
	ds_bpermute_b32 v2, v42, v2
	v_cmp_lt_i32_e32 vcc, s50, v38
	s_and_saveexec_b64 s[8:9], vcc
	s_cbranch_execz .LBB42_25
; %bb.24:                               ;   in Loop: Header=BB42_7 Depth=1
	s_max_i32 s6, s35, 0
	s_sub_i32 s6, s34, s6
	s_mul_i32 s34, s49, s13
	s_ashr_i32 s35, s34, 31
	s_lshl_b64 s[34:35], s[34:35], 1
	s_add_u32 s34, s20, s34
	s_addc_u32 s35, s21, s35
	s_ashr_i32 s7, s6, 31
	s_lshl_b64 s[6:7], s[6:7], 1
	s_add_u32 s34, s34, s6
	s_addc_u32 s35, s35, s7
	v_cmp_ne_u32_e32 vcc, 0, v36
	v_cmp_eq_u32_e64 s[6:7], 0, v36
	v_lshlrev_b32_e32 v12, 1, v8
	s_waitcnt lgkmcnt(0)
	v_cndmask_b32_e32 v3, v1, v2, vcc
	v_cndmask_b32_e64 v2, v0, v2, s[6:7]
	v_cndmask_b32_e32 v5, v5, v6, vcc
	v_cndmask_b32_e64 v4, v4, v6, s[6:7]
	v_cvt_f16_f32_e32 v4, v4
	v_cvt_f16_f32_sdwa v5, v5 dst_sel:WORD_1 dst_unused:UNUSED_PAD src0_sel:DWORD
	v_cvt_f16_f32_e32 v2, v2
	v_cvt_f16_f32_sdwa v3, v3 dst_sel:WORD_1 dst_unused:UNUSED_PAD src0_sel:DWORD
	v_lshl_add_u64 v[0:1], v[10:11], 1, s[34:35]
	v_lshl_add_u64 v[0:1], v[0:1], 0, v[12:13]
	v_or_b32_e32 v4, v5, v4
	;;#ASMSTART
	global_atomic_pk_add_f16 v[0:1], v4, off
	
	;;#ASMEND
	v_lshl_add_u64 v[0:1], v[0:1], 0, 32
	v_or_b32_e32 v2, v3, v2
	;;#ASMSTART
	global_atomic_pk_add_f16 v[0:1], v2, off
	
	;;#ASMEND
.LBB42_25:                              ;   in Loop: Header=BB42_7 Depth=1
	s_or_b64 exec, exec, s[8:9]
	v_subrev_u32_e32 v43, s48, v43
.LBB42_26:                              ;   in Loop: Header=BB42_7 Depth=1
	s_or_b64 exec, exec, s[30:31]
.LBB42_27:                              ;   in Loop: Header=BB42_7 Depth=1
	s_andn2_saveexec_b64 s[6:7], s[28:29]
	s_cbranch_execz .LBB42_36
; %bb.28:                               ;   in Loop: Header=BB42_7 Depth=1
	s_lshl_b32 s36, s48, 1
	v_cmp_gt_i32_e32 vcc, s36, v43
	s_and_saveexec_b64 s[8:9], vcc
	s_cbranch_execz .LBB42_35
; %bb.29:                               ;   in Loop: Header=BB42_7 Depth=1
	s_mov_b64 s[28:29], 0
	s_branch .LBB42_31
.LBB42_30:                              ;   in Loop: Header=BB42_31 Depth=2
	s_or_b64 exec, exec, s[30:31]
	v_add_u32_e32 v43, s18, v43
	v_add_u32_e32 v18, s18, v0
	v_cmp_le_i32_e32 vcc, s36, v43
	v_add_u32_e32 v0, 2, v32
	s_or_b64 s[28:29], vcc, s[28:29]
	v_cmp_lt_i32_e32 vcc, 3, v18
	v_add_u32_e32 v2, 1, v32
	;;#ASMSTART
	s_waitcnt vmcnt(3)
	;;#ASMEND
	;;#ASMSTART
	s_waitcnt vmcnt(2)
	;;#ASMEND
	;; [unrolled: 3-line block ×4, first 2 shown]
	s_nop 0
	v_cndmask_b32_e32 v32, v32, v0, vcc
	ds_write_b32 v1, v2 offset:8
	s_andn2_b64 exec, exec, s[28:29]
	s_cbranch_execz .LBB42_34
.LBB42_31:                              ;   Parent Loop BB42_7 Depth=1
                                        ; =>  This Loop Header: Depth=2
                                        ;       Child Loop BB42_33 Depth 3
	v_cmp_gt_i32_e32 vcc, 4, v18
	s_nop 1
	v_cndmask_b32_e64 v0, -4, 0, vcc
	v_add_u32_e32 v0, v0, v18
	v_lshlrev_b32_e32 v1, 2, v0
	s_waitcnt lgkmcnt(0)
	ds_read_b32 v2, v1 offset:40968
	v_add_u32_e32 v1, 0xa000, v1
	s_waitcnt lgkmcnt(0)
	v_cmp_ne_u32_e32 vcc, v2, v32
	s_and_saveexec_b64 s[30:31], vcc
	s_cbranch_execz .LBB42_30
; %bb.32:                               ;   in Loop: Header=BB42_31 Depth=2
	s_mov_b64 s[34:35], 0
.LBB42_33:                              ;   Parent Loop BB42_7 Depth=1
                                        ;     Parent Loop BB42_31 Depth=2
                                        ; =>    This Inner Loop Header: Depth=3
	;;#ASMSTART
	s_sleep 0
	;;#ASMEND
	ds_read_b32 v2, v1 offset:8
	s_waitcnt lgkmcnt(0)
	v_cmp_eq_u32_e32 vcc, v2, v32
	s_or_b64 s[34:35], vcc, s[34:35]
	s_andn2_b64 exec, exec, s[34:35]
	s_cbranch_execnz .LBB42_33
	s_branch .LBB42_30
.LBB42_34:                              ;   in Loop: Header=BB42_7 Depth=1
	s_or_b64 exec, exec, s[28:29]
.LBB42_35:                              ;   in Loop: Header=BB42_7 Depth=1
	s_or_b64 exec, exec, s[8:9]
	v_subrev_u32_e32 v43, s36, v43
.LBB42_36:                              ;   in Loop: Header=BB42_7 Depth=1
	s_or_b64 exec, exec, s[6:7]
.LBB42_37:                              ;   in Loop: Header=BB42_7 Depth=1
	s_andn2_saveexec_b64 s[6:7], s[26:27]
	s_cbranch_execz .LBB42_6
; %bb.38:                               ;   in Loop: Header=BB42_7 Depth=1
	v_cmp_gt_i32_e32 vcc, s48, v43
	s_and_saveexec_b64 s[8:9], vcc
	s_cbranch_execz .LBB42_5
; %bb.39:                               ;   in Loop: Header=BB42_7 Depth=1
	s_mul_i32 s49, s49, s14
	s_ashr_i32 s26, s49, 31
	s_waitcnt lgkmcnt(0)
	s_add_u32 s27, s10, s49
	s_mul_i32 s51, s51, s42
	s_addc_u32 s28, s11, s26
	s_ashr_i32 s29, s51, 31
	v_cmp_le_i32_e32 vcc, s50, v40
	s_add_u32 s26, s27, s51
	s_addc_u32 s27, s28, s29
	v_cndmask_b32_e32 v0, 0, v41, vcc
	v_ashrrev_i32_e32 v1, 31, v0
	v_lshl_add_u64 v[0:1], s[26:27], 0, v[0:1]
	v_lshlrev_b32_e32 v2, 9, v43
	v_lshl_add_u64 v[0:1], v[0:1], 0, v[14:15]
	v_ashrrev_i32_e32 v3, 31, v2
	v_lshl_add_u64 v[16:17], v[0:1], 0, v[2:3]
	s_mov_b64 s[26:27], 0
	s_branch .LBB42_41
.LBB42_40:                              ;   in Loop: Header=BB42_41 Depth=2
	s_or_b64 exec, exec, s[28:29]
	;;#ASMSTART
	s_waitcnt vmcnt(1)
	v_pack_b32_f16 v19, v4, v5, op_sel:[0,0]
	v_pack_b32_f16 v20, v4, v5, op_sel:[1,1]
	;; [unrolled: 1-line block ×4, first 2 shown]
	v_swap_b32 v19, v4
	v_swap_b32 v20, v6
	;; [unrolled: 1-line block ×4, first 2 shown]
	;;#ASMEND
	v_add_u32_e32 v43, s17, v43
	v_lshl_add_u32 v19, v12, 12, v39
	ds_write2_b32 v19, v4, v5 offset1:32
	ds_write2_b32 v19, v6, v7 offset0:64 offset1:96
	;;#ASMSTART
	s_waitcnt vmcnt(0)
	v_pack_b32_f16 v4, v0, v1, op_sel:[0,0]
	v_pack_b32_f16 v5, v0, v1, op_sel:[1,1]
	;; [unrolled: 1-line block ×4, first 2 shown]
	v_swap_b32 v4, v0
	v_swap_b32 v5, v2
	;; [unrolled: 1-line block ×4, first 2 shown]
	;;#ASMEND
	v_cmp_le_i32_e32 vcc, s48, v43
	v_add_u32_e32 v4, 0x400, v19
	ds_write2_b32 v4, v0, v1 offset1:32
	ds_write2_b32 v4, v2, v3 offset0:64 offset1:96
	v_add_u32_e32 v0, 1, v32
	ds_write_b32 v18, v0
	v_add_u32_e32 v18, s17, v12
	v_add_u32_e32 v0, 2, v32
	s_or_b64 s[26:27], vcc, s[26:27]
	v_cmp_lt_i32_e32 vcc, 1, v18
	v_lshl_add_u64 v[16:17], v[16:17], 0, s[24:25]
	s_nop 0
	v_cndmask_b32_e32 v32, v32, v0, vcc
	s_andn2_b64 exec, exec, s[26:27]
	s_cbranch_execz .LBB42_4
.LBB42_41:                              ;   Parent Loop BB42_7 Depth=1
                                        ; =>  This Loop Header: Depth=2
                                        ;       Child Loop BB42_43 Depth 3
	v_cmp_gt_i32_e32 vcc, 2, v18
	s_nop 1
	v_cndmask_b32_e64 v0, -2, 0, vcc
	v_add_u32_e32 v12, v0, v18
	v_lshlrev_b32_e32 v18, 2, v12
	;;#ASMSTART
	global_load_dwordx4 v[4:7], v[16:17], off offset:0  
	global_load_dwordx4 v[0:3], v[16:17], off offset:128
	
	;;#ASMEND
	ds_read_b32 v19, v18 offset:40960
	v_add_u32_e32 v18, 0xa000, v18
	s_waitcnt lgkmcnt(0)
	v_cmp_ne_u32_e32 vcc, v19, v32
	s_and_saveexec_b64 s[28:29], vcc
	s_cbranch_execz .LBB42_40
; %bb.42:                               ;   in Loop: Header=BB42_41 Depth=2
	s_mov_b64 s[30:31], 0
.LBB42_43:                              ;   Parent Loop BB42_7 Depth=1
                                        ;     Parent Loop BB42_41 Depth=2
                                        ; =>    This Inner Loop Header: Depth=3
	;;#ASMSTART
	s_sleep 0
	;;#ASMEND
	ds_read_b32 v19, v18
	s_waitcnt lgkmcnt(0)
	v_cmp_eq_u32_e32 vcc, v19, v32
	s_or_b64 s[30:31], vcc, s[30:31]
	s_andn2_b64 exec, exec, s[30:31]
	s_cbranch_execnz .LBB42_43
	s_branch .LBB42_40
.LBB42_44:
	s_endpgm
	.section	.rodata,"a",@progbits
	.p2align	6, 0x0
	.amdhsa_kernel _Z19_skinny_gemm_kernelILi1ELi2ELi2ELi8ELi8EEvPKhS1_P6__halfPKfiiiiiiii
		.amdhsa_group_segment_fixed_size 40984
		.amdhsa_private_segment_fixed_size 0
		.amdhsa_kernarg_size 64
		.amdhsa_user_sgpr_count 2
		.amdhsa_user_sgpr_dispatch_ptr 0
		.amdhsa_user_sgpr_queue_ptr 0
		.amdhsa_user_sgpr_kernarg_segment_ptr 1
		.amdhsa_user_sgpr_dispatch_id 0
		.amdhsa_user_sgpr_kernarg_preload_length 0
		.amdhsa_user_sgpr_kernarg_preload_offset 0
		.amdhsa_user_sgpr_private_segment_size 0
		.amdhsa_uses_dynamic_stack 0
		.amdhsa_enable_private_segment 0
		.amdhsa_system_sgpr_workgroup_id_x 1
		.amdhsa_system_sgpr_workgroup_id_y 0
		.amdhsa_system_sgpr_workgroup_id_z 0
		.amdhsa_system_sgpr_workgroup_info 0
		.amdhsa_system_vgpr_workitem_id 0
		.amdhsa_next_free_vgpr 56
		.amdhsa_next_free_sgpr 53
		.amdhsa_accum_offset 56
		.amdhsa_reserve_vcc 1
		.amdhsa_float_round_mode_32 0
		.amdhsa_float_round_mode_16_64 0
		.amdhsa_float_denorm_mode_32 3
		.amdhsa_float_denorm_mode_16_64 3
		.amdhsa_dx10_clamp 1
		.amdhsa_ieee_mode 1
		.amdhsa_fp16_overflow 0
		.amdhsa_tg_split 0
		.amdhsa_exception_fp_ieee_invalid_op 0
		.amdhsa_exception_fp_denorm_src 0
		.amdhsa_exception_fp_ieee_div_zero 0
		.amdhsa_exception_fp_ieee_overflow 0
		.amdhsa_exception_fp_ieee_underflow 0
		.amdhsa_exception_fp_ieee_inexact 0
		.amdhsa_exception_int_div_zero 0
	.end_amdhsa_kernel
	.section	.text._Z19_skinny_gemm_kernelILi1ELi2ELi2ELi8ELi8EEvPKhS1_P6__halfPKfiiiiiiii,"axG",@progbits,_Z19_skinny_gemm_kernelILi1ELi2ELi2ELi8ELi8EEvPKhS1_P6__halfPKfiiiiiiii,comdat
.Lfunc_end42:
	.size	_Z19_skinny_gemm_kernelILi1ELi2ELi2ELi8ELi8EEvPKhS1_P6__halfPKfiiiiiiii, .Lfunc_end42-_Z19_skinny_gemm_kernelILi1ELi2ELi2ELi8ELi8EEvPKhS1_P6__halfPKfiiiiiiii
                                        ; -- End function
	.set _Z19_skinny_gemm_kernelILi1ELi2ELi2ELi8ELi8EEvPKhS1_P6__halfPKfiiiiiiii.num_vgpr, 56
	.set _Z19_skinny_gemm_kernelILi1ELi2ELi2ELi8ELi8EEvPKhS1_P6__halfPKfiiiiiiii.num_agpr, 0
	.set _Z19_skinny_gemm_kernelILi1ELi2ELi2ELi8ELi8EEvPKhS1_P6__halfPKfiiiiiiii.numbered_sgpr, 53
	.set _Z19_skinny_gemm_kernelILi1ELi2ELi2ELi8ELi8EEvPKhS1_P6__halfPKfiiiiiiii.num_named_barrier, 0
	.set _Z19_skinny_gemm_kernelILi1ELi2ELi2ELi8ELi8EEvPKhS1_P6__halfPKfiiiiiiii.private_seg_size, 0
	.set _Z19_skinny_gemm_kernelILi1ELi2ELi2ELi8ELi8EEvPKhS1_P6__halfPKfiiiiiiii.uses_vcc, 1
	.set _Z19_skinny_gemm_kernelILi1ELi2ELi2ELi8ELi8EEvPKhS1_P6__halfPKfiiiiiiii.uses_flat_scratch, 0
	.set _Z19_skinny_gemm_kernelILi1ELi2ELi2ELi8ELi8EEvPKhS1_P6__halfPKfiiiiiiii.has_dyn_sized_stack, 0
	.set _Z19_skinny_gemm_kernelILi1ELi2ELi2ELi8ELi8EEvPKhS1_P6__halfPKfiiiiiiii.has_recursion, 0
	.set _Z19_skinny_gemm_kernelILi1ELi2ELi2ELi8ELi8EEvPKhS1_P6__halfPKfiiiiiiii.has_indirect_call, 0
	.section	.AMDGPU.csdata,"",@progbits
; Kernel info:
; codeLenInByte = 3404
; TotalNumSgprs: 59
; NumVgprs: 56
; NumAgprs: 0
; TotalNumVgprs: 56
; ScratchSize: 0
; MemoryBound: 0
; FloatMode: 240
; IeeeMode: 1
; LDSByteSize: 40984 bytes/workgroup (compile time only)
; SGPRBlocks: 7
; VGPRBlocks: 6
; NumSGPRsForWavesPerEU: 59
; NumVGPRsForWavesPerEU: 56
; AccumOffset: 56
; Occupancy: 8
; WaveLimiterHint : 0
; COMPUTE_PGM_RSRC2:SCRATCH_EN: 0
; COMPUTE_PGM_RSRC2:USER_SGPR: 2
; COMPUTE_PGM_RSRC2:TRAP_HANDLER: 0
; COMPUTE_PGM_RSRC2:TGID_X_EN: 1
; COMPUTE_PGM_RSRC2:TGID_Y_EN: 0
; COMPUTE_PGM_RSRC2:TGID_Z_EN: 0
; COMPUTE_PGM_RSRC2:TIDIG_COMP_CNT: 0
; COMPUTE_PGM_RSRC3_GFX90A:ACCUM_OFFSET: 13
; COMPUTE_PGM_RSRC3_GFX90A:TG_SPLIT: 0
	.section	.text._Z19_skinny_gemm_kernelILi1ELi2ELi2ELi16ELi4EEvPKhS1_P6__halfPKfiiiiiiii,"axG",@progbits,_Z19_skinny_gemm_kernelILi1ELi2ELi2ELi16ELi4EEvPKhS1_P6__halfPKfiiiiiiii,comdat
	.protected	_Z19_skinny_gemm_kernelILi1ELi2ELi2ELi16ELi4EEvPKhS1_P6__halfPKfiiiiiiii ; -- Begin function _Z19_skinny_gemm_kernelILi1ELi2ELi2ELi16ELi4EEvPKhS1_P6__halfPKfiiiiiiii
	.globl	_Z19_skinny_gemm_kernelILi1ELi2ELi2ELi16ELi4EEvPKhS1_P6__halfPKfiiiiiiii
	.p2align	8
	.type	_Z19_skinny_gemm_kernelILi1ELi2ELi2ELi16ELi4EEvPKhS1_P6__halfPKfiiiiiiii,@function
_Z19_skinny_gemm_kernelILi1ELi2ELi2ELi16ELi4EEvPKhS1_P6__halfPKfiiiiiiii: ; @_Z19_skinny_gemm_kernelILi1ELi2ELi2ELi16ELi4EEvPKhS1_P6__halfPKfiiiiiiii
; %bb.0:
	v_cmp_gt_u32_e32 vcc, 6, v0
	v_lshlrev_b32_e32 v1, 2, v0
	s_and_saveexec_b64 s[4:5], vcc
; %bb.1:
	v_mov_b32_e32 v2, 0
	ds_write_b32 v1, v2 offset:12288
; %bb.2:
	s_or_b64 exec, exec, s[4:5]
	s_load_dwordx8 s[24:31], s[0:1], 0x20
	s_waitcnt lgkmcnt(0)
	s_barrier
	s_add_i32 s3, s24, 15
	s_ashr_i32 s5, s3, 31
	s_add_i32 s4, s25, 31
	s_lshr_b32 s5, s5, 28
	s_ashr_i32 s6, s4, 31
	s_add_i32 s3, s3, s5
	s_ashr_i32 s33, s3, 4
	s_lshr_b32 s3, s6, 27
	s_add_i32 s4, s4, s3
	s_ashr_i32 s50, s4, 5
	s_mul_i32 s3, s50, s33
	s_mul_i32 s3, s3, s28
	s_add_i32 s4, s3, 0x12f
	s_mul_hi_i32 s4, s4, 0x6bca1af3
	s_lshr_b32 s5, s4, 31
	s_ashr_i32 s4, s4, 7
	s_add_i32 s4, s4, s5
	s_add_i32 s5, s2, 1
	s_mul_i32 s5, s4, s5
	v_cvt_f64_i32_e32 v[2:3], s3
	v_cvt_f64_u32_e32 v[4:5], s5
	v_min_f64 v[2:3], v[2:3], v[4:5]
	v_cvt_i32_f64_e32 v9, v[2:3]
	s_mul_i32 s51, s4, s2
	v_cmp_ge_i32_e32 vcc, s51, v9
	s_cbranch_vccnz .LBB43_45
; %bb.3:
	v_lshrrev_b32_e32 v2, 6, v0
	s_add_i32 s4, s30, s29
	s_load_dwordx8 s[36:43], s[0:1], 0x0
	v_cmp_le_i32_e64 s[0:1], s4, v2
	v_mov_b32_e32 v3, s29
	v_cmp_le_i32_e64 s[2:3], s29, v2
	v_mov_b32_e32 v4, s30
	v_cndmask_b32_e64 v4, 0, v4, s[0:1]
	v_cndmask_b32_e64 v3, 0, v3, s[2:3]
	s_abs_i32 s5, s28
	v_add_u32_e32 v3, v3, v4
	v_cvt_f32_u32_e32 v4, s5
	v_sub_u32_e32 v18, v2, v3
	s_ashr_i32 s6, s26, 31
	s_lshr_b32 s6, s6, 25
	v_rcp_iflag_f32_e32 v3, v4
	s_sub_i32 s9, 0, s5
	s_add_i32 s6, s26, s6
	s_ashr_i32 s6, s6, 7
	v_mul_f32_e32 v3, 0x4f7ffffe, v3
	v_cvt_u32_f32_e32 v3, v3
	s_abs_i32 s8, s6
	s_xor_b32 s7, s6, s28
	s_ashr_i32 s7, s7, 31
	v_readfirstlane_b32 s10, v3
	s_mul_i32 s9, s9, s10
	s_mul_hi_u32 s9, s10, s9
	s_add_i32 s10, s10, s9
	s_mul_hi_u32 s9, s8, s10
	s_mul_i32 s10, s9, s5
	s_sub_i32 s8, s8, s10
	s_add_i32 s10, s9, 1
	s_sub_i32 s11, s8, s5
	s_cmp_ge_u32 s8, s5
	s_cselect_b32 s9, s10, s9
	s_cselect_b32 s8, s11, s8
	s_add_i32 s10, s9, 1
	s_cmp_ge_u32 s8, s5
	s_cselect_b32 s5, s10, s9
	s_xor_b32 s5, s5, s7
	s_sub_i32 s52, s5, s7
	s_add_i32 s28, s28, -1
	s_mul_i32 s5, s52, s28
	s_add_i32 s4, s4, s31
	s_sub_i32 s53, s6, s5
	v_cmp_gt_i32_e64 s[4:5], s4, v2
	v_lshlrev_b32_e32 v2, 1, v0
	v_lshlrev_b32_e32 v3, 4, v0
	v_and_b32_e32 v1, 60, v1
	v_and_b32_e32 v2, 64, v2
	;; [unrolled: 1-line block ×3, first 2 shown]
	s_abs_i32 s54, s33
	v_or3_b32 v31, v1, v2, v4
	v_and_b32_e32 v1, 1, v0
	v_cvt_f32_u32_e32 v6, s54
	v_lshlrev_b32_e32 v2, 1, v1
	v_lshrrev_b32_e32 v4, 2, v0
	v_and_b32_e32 v8, 14, v0
	v_sub_u32_e32 v2, v0, v2
	v_and_or_b32 v33, v4, 12, v1
	v_bitop3_b32 v34, v0, 1, v0 bitop3:0xc
	v_bitop3_b32 v35, v0, 3, 1 bitop3:0x6c
	v_and_b32_e32 v12, 48, v3
	v_bfe_u32 v1, v0, 2, 4
	v_and_b32_e32 v3, 60, v0
	v_lshlrev_b32_e32 v5, 8, v0
	v_lshlrev_b32_e32 v0, 6, v0
	v_and_b32_e32 v5, 0x200, v5
	v_and_b32_e32 v0, 64, v0
	v_or3_b32 v37, v3, v5, v0
	v_rcp_iflag_f32_e32 v0, v6
	s_abs_i32 s56, s50
	v_mul_lo_u32 v14, s27, v1
	v_mul_lo_u32 v39, s26, v1
	v_cvt_f32_u32_e32 v1, s56
	v_mul_f32_e32 v0, 0x4f7ffffe, v0
	v_cvt_u32_f32_e32 v0, v0
	v_mad_u64_u32 v[10:11], s[6:7], s25, v33, v[8:9]
	v_rcp_iflag_f32_e32 v1, v1
	v_readfirstlane_b32 s7, v0
	s_sub_i32 s6, 0, s54
	s_mul_i32 s6, s6, s7
	v_mul_f32_e32 v0, 0x4f7ffffe, v1
	v_cvt_u32_f32_e32 v0, v0
	s_mul_hi_u32 s6, s7, s6
	v_add_u32_e32 v2, 1, v2
	s_add_i32 s58, s7, s6
	s_sub_i32 s6, 0, s56
	v_readfirstlane_b32 s7, v0
	v_mbcnt_lo_u32_b32 v0, -1, 0
	v_and_b32_e32 v2, 63, v2
	s_mul_i32 s6, s6, s7
	v_mbcnt_hi_u32_b32 v0, -1, v0
	s_mul_hi_u32 s6, s7, s6
	v_and_or_b32 v0, v0, 64, v2
	v_cndmask_b32_e64 v30, 0, 1, s[0:1]
	v_or_b32_e32 v32, 0x2000, v31
	v_or_b32_e32 v36, 16, v8
	v_ashrrev_i32_e32 v11, 31, v10
	s_ashr_i32 s23, s25, 31
	s_mov_b32 s22, s25
	v_ashrrev_i32_e32 v15, 31, v14
	v_mov_b32_e32 v13, 0
	s_lshl_b32 s55, s27, 4
	v_bitop3_b32 v38, v4, 15, v4 bitop3:0xc
	v_or_b32_e32 v40, 0x2000, v37
	s_ashr_i32 s57, s33, 31
	s_ashr_i32 s59, s50, 31
	s_add_i32 s60, s7, s6
	v_lshlrev_b32_e32 v41, 2, v0
	v_mov_b32_e32 v42, v18
	s_branch .LBB43_7
.LBB43_4:                               ;   in Loop: Header=BB43_7 Depth=1
	s_or_b64 exec, exec, s[10:11]
.LBB43_5:                               ;   in Loop: Header=BB43_7 Depth=1
	s_or_b64 exec, exec, s[8:9]
	v_subrev_u32_e32 v42, s61, v42
.LBB43_6:                               ;   in Loop: Header=BB43_7 Depth=1
	s_or_b64 exec, exec, s[6:7]
	s_add_i32 s51, s51, 1
	v_cmp_ge_i32_e32 vcc, s51, v9
	s_cbranch_vccnz .LBB43_45
.LBB43_7:                               ; =>This Loop Header: Depth=1
                                        ;     Child Loop BB43_13 Depth 2
                                        ;       Child Loop BB43_15 Depth 3
                                        ;       Child Loop BB43_18 Depth 3
	;; [unrolled: 1-line block ×3, first 2 shown]
                                        ;     Child Loop BB43_32 Depth 2
                                        ;       Child Loop BB43_34 Depth 3
                                        ;     Child Loop BB43_42 Depth 2
                                        ;       Child Loop BB43_44 Depth 3
	s_abs_i32 s7, s51
	s_mul_hi_u32 s8, s7, s58
	s_mul_i32 s9, s8, s54
	s_ashr_i32 s6, s51, 31
	s_sub_i32 s7, s7, s9
	s_xor_b32 s6, s6, s57
	s_add_i32 s9, s8, 1
	s_sub_i32 s10, s7, s54
	s_cmp_ge_u32 s7, s54
	s_cselect_b32 s8, s9, s8
	s_cselect_b32 s7, s10, s7
	s_add_i32 s9, s8, 1
	s_cmp_ge_u32 s7, s54
	s_cselect_b32 s7, s9, s8
	s_xor_b32 s7, s7, s6
	s_sub_i32 s6, s7, s6
	s_abs_i32 s8, s6
	s_mul_i32 s7, s6, s33
	s_mul_hi_u32 s9, s8, s60
	s_sub_i32 s7, s51, s7
	s_mul_i32 s10, s9, s56
	s_lshl_b32 s62, s7, 4
	s_ashr_i32 s7, s6, 31
	s_sub_i32 s8, s8, s10
	s_xor_b32 s7, s7, s59
	s_add_i32 s10, s9, 1
	s_sub_i32 s11, s8, s56
	s_cmp_ge_u32 s8, s56
	s_cselect_b32 s9, s10, s9
	s_cselect_b32 s8, s11, s8
	s_add_i32 s10, s9, 1
	s_cmp_ge_u32 s8, s56
	s_cselect_b32 s8, s10, s9
	s_xor_b32 s8, s8, s7
	s_sub_i32 s7, s8, s7
	s_mul_i32 s8, s7, s52
	s_lshl_b32 s63, s8, 7
	s_cmp_eq_u32 s7, s28
	s_cselect_b32 s61, s53, s52
	s_sub_i32 s64, s62, s24
	s_add_i32 s64, s64, 16
	s_and_saveexec_b64 s[8:9], s[2:3]
	s_xor_b64 s[34:35], exec, s[8:9]
	s_cbranch_execz .LBB43_38
; %bb.8:                                ;   in Loop: Header=BB43_7 Depth=1
	s_mul_i32 s7, s7, s50
	s_sub_i32 s6, s6, s7
	s_lshl_b32 s6, s6, 5
	s_sub_i32 s45, s6, s25
	s_add_i32 s45, s45, 32
	s_max_i32 s7, s45, 0
	s_sub_i32 s44, s6, s7
	s_and_saveexec_b64 s[6:7], s[0:1]
	s_xor_b64 s[46:47], exec, s[6:7]
	s_cbranch_execz .LBB43_28
; %bb.9:                                ;   in Loop: Header=BB43_7 Depth=1
	s_and_saveexec_b64 s[48:49], s[4:5]
	s_cbranch_execz .LBB43_27
; %bb.10:                               ;   in Loop: Header=BB43_7 Depth=1
	s_waitcnt lgkmcnt(0)
	global_load_dword v43, v13, s[42:43]
	v_cmp_gt_i32_e32 vcc, s61, v42
	v_mov_b32_e32 v3, 0
	v_mov_b32_e32 v2, 0
	;; [unrolled: 1-line block ×8, first 2 shown]
	s_and_saveexec_b64 s[6:7], vcc
	s_cbranch_execz .LBB43_23
; %bb.11:                               ;   in Loop: Header=BB43_7 Depth=1
	v_mov_b32_e32 v4, 0
	s_mov_b64 s[8:9], 0
	v_mov_b32_e32 v5, v4
	v_mov_b32_e32 v6, v4
	;; [unrolled: 1-line block ×7, first 2 shown]
	s_branch .LBB43_13
.LBB43_12:                              ;   in Loop: Header=BB43_13 Depth=2
	s_or_b64 exec, exec, s[10:11]
	v_add_u32_e32 v24, v31, v47
	v_add_u32_e32 v25, 0x800, v24
	ds_read2_b32 v[22:23], v25 offset1:32
	v_add_u32_e32 v24, 0xc00, v24
	v_add_u32_e32 v42, s31, v42
	v_cmp_le_i32_e32 vcc, s61, v42
	s_or_b64 s[8:9], vcc, s[8:9]
	s_waitcnt lgkmcnt(0)
	v_mfma_f32_16x16x32_fp8_fp8 v[0:3], v[18:19], v[22:23], v[0:3]
	ds_read2_b32 v[18:19], v25 offset0:128 offset1:160
	ds_read2_b32 v[22:23], v24 offset1:32
	s_waitcnt lgkmcnt(1)
	v_mfma_f32_16x16x32_fp8_fp8 v[0:3], v[16:17], v[18:19], v[0:3]
	ds_read2_b32 v[16:17], v24 offset0:128 offset1:160
	v_add_u32_e32 v18, s31, v45
	v_add_u32_e32 v19, 2, v30
	s_waitcnt lgkmcnt(1)
	v_mfma_f32_16x16x32_fp8_fp8 v[0:3], v[28:29], v[22:23], v[0:3]
	v_cmp_lt_i32_e32 vcc, 1, v18
	;;#ASMSTART
	s_waitcnt lgkmcnt(0)
	;;#ASMEND
	ds_write_b32 v44, v46 offset:12300
	s_waitcnt lgkmcnt(1)
	v_mfma_f32_16x16x32_fp8_fp8 v[0:3], v[20:21], v[16:17], v[0:3]
	v_cndmask_b32_e32 v30, v30, v19, vcc
	s_andn2_b64 exec, exec, s[8:9]
	s_cbranch_execz .LBB43_22
.LBB43_13:                              ;   Parent Loop BB43_7 Depth=1
                                        ; =>  This Loop Header: Depth=2
                                        ;       Child Loop BB43_15 Depth 3
                                        ;       Child Loop BB43_18 Depth 3
	;; [unrolled: 1-line block ×3, first 2 shown]
	v_cmp_gt_i32_e32 vcc, 2, v18
	s_nop 1
	v_cndmask_b32_e64 v16, -2, 0, vcc
	v_add_u32_e32 v45, v16, v18
	v_lshlrev_b32_e32 v44, 3, v45
	ds_read_b32 v16, v44 offset:12296
	s_waitcnt lgkmcnt(0)
	v_cmp_ne_u32_e32 vcc, v16, v30
	s_and_saveexec_b64 s[10:11], vcc
	s_cbranch_execz .LBB43_16
; %bb.14:                               ;   in Loop: Header=BB43_13 Depth=2
	s_mov_b64 s[12:13], 0
.LBB43_15:                              ;   Parent Loop BB43_7 Depth=1
                                        ;     Parent Loop BB43_13 Depth=2
                                        ; =>    This Inner Loop Header: Depth=3
	;;#ASMSTART
	s_sleep 0
	;;#ASMEND
	ds_read_b32 v16, v44 offset:12296
	s_waitcnt lgkmcnt(0)
	v_cmp_eq_u32_e32 vcc, v16, v30
	s_or_b64 s[12:13], vcc, s[12:13]
	s_andn2_b64 exec, exec, s[12:13]
	s_cbranch_execnz .LBB43_15
.LBB43_16:                              ;   in Loop: Header=BB43_13 Depth=2
	s_or_b64 exec, exec, s[10:11]
	v_lshlrev_b32_e32 v47, 12, v45
	v_or_b32_e32 v16, v31, v47
	ds_read2_b32 v[20:21], v16 offset1:32
	ds_read2_b32 v[22:23], v16 offset0:128 offset1:160
	v_add_u32_e32 v16, 0x400, v16
	v_add_u32_e32 v46, 1, v30
	ds_read2_b32 v[26:27], v16 offset1:32
	ds_read2_b32 v[24:25], v16 offset0:128 offset1:160
	;;#ASMSTART
	s_waitcnt lgkmcnt(0)
	;;#ASMEND
	ds_write_b32 v44, v46 offset:12296
	v_lshlrev_b32_e32 v16, 2, v45
	ds_read_b32 v17, v16 offset:12288
	v_add_u32_e32 v48, 0x3000, v16
	s_waitcnt lgkmcnt(0)
	v_cmp_ne_u32_e32 vcc, v17, v30
	s_and_saveexec_b64 s[10:11], vcc
	s_cbranch_execz .LBB43_19
; %bb.17:                               ;   in Loop: Header=BB43_13 Depth=2
	s_mov_b64 s[12:13], 0
.LBB43_18:                              ;   Parent Loop BB43_7 Depth=1
                                        ;     Parent Loop BB43_13 Depth=2
                                        ; =>    This Inner Loop Header: Depth=3
	;;#ASMSTART
	s_sleep 0
	;;#ASMEND
	ds_read_b32 v16, v48
	s_waitcnt lgkmcnt(0)
	v_cmp_eq_u32_e32 vcc, v16, v30
	s_or_b64 s[12:13], vcc, s[12:13]
	s_andn2_b64 exec, exec, s[12:13]
	s_cbranch_execnz .LBB43_18
.LBB43_19:                              ;   in Loop: Header=BB43_13 Depth=2
	s_or_b64 exec, exec, s[10:11]
	v_lshl_add_u32 v28, v45, 11, v32
	ds_read2_b32 v[18:19], v28 offset1:32
	ds_read2_b32 v[16:17], v28 offset0:128 offset1:160
	v_add_u32_e32 v49, 0x400, v28
	ds_read2_b32 v[28:29], v49 offset1:32
	ds_write_b32 v48, v46
	s_waitcnt lgkmcnt(3)
	v_mfma_f32_16x16x32_fp8_fp8 v[4:7], v[18:19], v[20:21], v[4:7]
	ds_read2_b32 v[20:21], v49 offset0:128 offset1:160
	s_waitcnt lgkmcnt(3)
	v_mfma_f32_16x16x32_fp8_fp8 v[4:7], v[16:17], v[22:23], v[4:7]
	ds_read_b32 v22, v44 offset:12300
	s_waitcnt lgkmcnt(0)
	v_cmp_ne_u32_e32 vcc, v22, v30
	v_mfma_f32_16x16x32_fp8_fp8 v[4:7], v[28:29], v[26:27], v[4:7]
	v_mfma_f32_16x16x32_fp8_fp8 v[4:7], v[20:21], v[24:25], v[4:7]
	s_and_saveexec_b64 s[10:11], vcc
	s_cbranch_execz .LBB43_12
; %bb.20:                               ;   in Loop: Header=BB43_13 Depth=2
	s_mov_b64 s[12:13], 0
.LBB43_21:                              ;   Parent Loop BB43_7 Depth=1
                                        ;     Parent Loop BB43_13 Depth=2
                                        ; =>    This Inner Loop Header: Depth=3
	;;#ASMSTART
	s_sleep 0
	;;#ASMEND
	ds_read_b32 v22, v44 offset:12300
	s_waitcnt lgkmcnt(0)
	v_cmp_eq_u32_e32 vcc, v22, v30
	s_or_b64 s[12:13], vcc, s[12:13]
	s_andn2_b64 exec, exec, s[12:13]
	s_cbranch_execnz .LBB43_21
	s_branch .LBB43_12
.LBB43_22:                              ;   in Loop: Header=BB43_7 Depth=1
	s_or_b64 exec, exec, s[8:9]
.LBB43_23:                              ;   in Loop: Header=BB43_7 Depth=1
	s_or_b64 exec, exec, s[6:7]
	v_cmp_le_i32_e32 vcc, s45, v8
	v_cmp_eq_u32_e64 s[6:7], 2, v34
	v_cmp_eq_u32_e64 s[8:9], 3, v34
	s_waitcnt vmcnt(0)
	v_cndmask_b32_e32 v16, 0, v43, vcc
	v_pk_mul_f32 v[20:21], v[16:17], v[4:5] op_sel_hi:[0,1]
	v_cmp_eq_u32_e32 vcc, 1, v34
	v_pk_mul_f32 v[6:7], v[16:17], v[6:7] op_sel_hi:[0,1]
	v_cmp_eq_u32_e64 s[10:11], 0, v34
	v_cndmask_b32_e32 v4, v20, v21, vcc
	v_cndmask_b32_e64 v4, v4, v6, s[6:7]
	v_cndmask_b32_e64 v4, v4, v7, s[8:9]
	ds_bpermute_b32 v17, v41, v4
	v_cmp_eq_u32_e64 s[12:13], 1, v35
	v_cmp_eq_u32_e64 s[18:19], 4, v35
	;; [unrolled: 1-line block ×4, first 2 shown]
	s_waitcnt lgkmcnt(0)
	v_cndmask_b32_e64 v4, v7, v17, s[8:9]
	v_cndmask_b32_e64 v5, v6, v17, s[6:7]
	v_cndmask_b32_e32 v16, v21, v17, vcc
	v_cndmask_b32_e64 v17, v20, v17, s[10:11]
	v_cndmask_b32_e64 v6, v17, v16, s[12:13]
	s_or_b64 s[20:21], s[20:21], s[18:19]
	v_cmp_eq_u32_e64 s[18:19], 6, v35
	v_cndmask_b32_e64 v6, v6, v5, s[14:15]
	v_cmp_eq_u32_e64 s[16:17], 3, v35
	s_or_b64 s[20:21], s[18:19], s[20:21]
	v_cmp_le_i32_e64 s[18:19], s45, v36
	v_cndmask_b32_e64 v7, v6, v4, s[16:17]
	s_nop 0
	v_cndmask_b32_e64 v6, 0, v43, s[18:19]
	v_pk_mul_f32 v[20:21], v[6:7], v[0:1] op_sel_hi:[0,1]
	v_pk_mul_f32 v[0:1], v[6:7], v[2:3] op_sel_hi:[0,1]
	v_cndmask_b32_e32 v2, v20, v21, vcc
	v_cndmask_b32_e64 v2, v2, v0, s[6:7]
	v_cndmask_b32_e64 v2, v2, v1, s[8:9]
	ds_bpermute_b32 v19, v41, v2
	v_cmp_eq_u32_e32 vcc, 7, v35
	s_or_b64 vcc, vcc, s[20:21]
	s_waitcnt lgkmcnt(0)
	v_cndmask_b32_e64 v3, v1, v19, s[8:9]
	v_cndmask_b32_e32 v2, v7, v0, vcc
	v_cmp_ne_u32_e32 vcc, 0, v34
	v_cndmask_b32_e64 v6, v0, v19, s[6:7]
	v_cndmask_b32_e64 v1, v20, v19, s[10:11]
	v_cndmask_b32_e32 v0, v21, v19, vcc
	v_cndmask_b32_e64 v7, v1, v0, s[12:13]
	v_cndmask_b32_e64 v7, v7, v6, s[14:15]
	v_cndmask_b32_e64 v7, v7, v3, s[16:17]
	ds_bpermute_b32 v2, v41, v2
	ds_bpermute_b32 v7, v41, v7
	s_max_i32 s6, s64, 0
	v_add_u32_e32 v19, s6, v33
	v_cmp_gt_u32_e32 vcc, 16, v19
	s_and_saveexec_b64 s[12:13], vcc
	s_cbranch_execz .LBB43_26
; %bb.24:                               ;   in Loop: Header=BB43_7 Depth=1
	v_cmp_eq_u32_e64 s[8:9], 1, v35
	v_cmp_eq_u32_e64 s[10:11], 0, v35
	v_cmp_eq_u32_e32 vcc, 3, v35
	s_waitcnt lgkmcnt(1)
	v_cndmask_b32_e64 v16, v16, v2, s[8:9]
	s_waitcnt lgkmcnt(0)
	v_cndmask_b32_e64 v20, v0, v7, s[8:9]
	s_mul_i32 s8, s62, s25
	s_ashr_i32 s9, s8, 31
	s_lshl_b64 s[8:9], s[8:9], 1
	v_cndmask_b32_e64 v17, v17, v2, s[10:11]
	v_cndmask_b32_e64 v21, v1, v7, s[10:11]
	s_add_u32 s10, s40, s8
	s_addc_u32 s11, s41, s9
	s_ashr_i32 s45, s44, 31
	v_cvt_f16_f32_e32 v17, v17
	v_cvt_f16_f32_sdwa v16, v16 dst_sel:WORD_1 dst_unused:UNUSED_PAD src0_sel:DWORD
	s_lshl_b64 s[8:9], s[44:45], 1
	v_cvt_f16_f32_e32 v21, v21
	v_cvt_f16_f32_sdwa v20, v20 dst_sel:WORD_1 dst_unused:UNUSED_PAD src0_sel:DWORD
	s_add_u32 s8, s10, s8
	s_addc_u32 s9, s11, s9
	v_cmp_eq_u32_e64 s[6:7], 2, v35
	v_lshl_add_u64 v[0:1], v[10:11], 1, s[8:9]
	v_or_b32_e32 v16, v16, v17
	v_cmp_gt_u32_e64 s[8:9], 14, v19
	;;#ASMSTART
	global_atomic_pk_add_f16 v[0:1], v16, off
	
	;;#ASMEND
	v_lshl_add_u64 v[16:17], v[0:1], 0, 32
	v_or_b32_e32 v20, v20, v21
	;;#ASMSTART
	global_atomic_pk_add_f16 v[16:17], v20, off
	
	;;#ASMEND
	s_and_b64 exec, exec, s[8:9]
	s_cbranch_execz .LBB43_26
; %bb.25:                               ;   in Loop: Header=BB43_7 Depth=1
	v_cndmask_b32_e32 v4, v4, v2, vcc
	v_cndmask_b32_e64 v2, v5, v2, s[6:7]
	v_cndmask_b32_e32 v3, v3, v7, vcc
	v_cndmask_b32_e64 v5, v6, v7, s[6:7]
	v_cvt_f16_f32_e32 v2, v2
	v_cvt_f16_f32_sdwa v4, v4 dst_sel:WORD_1 dst_unused:UNUSED_PAD src0_sel:DWORD
	v_cvt_f16_f32_e32 v5, v5
	v_cvt_f16_f32_sdwa v3, v3 dst_sel:WORD_1 dst_unused:UNUSED_PAD src0_sel:DWORD
	v_lshl_add_u64 v[0:1], s[22:23], 2, v[0:1]
	v_or_b32_e32 v2, v4, v2
	;;#ASMSTART
	global_atomic_pk_add_f16 v[0:1], v2, off
	
	;;#ASMEND
	v_lshl_add_u64 v[0:1], v[0:1], 0, 32
	v_or_b32_e32 v2, v3, v5
	;;#ASMSTART
	global_atomic_pk_add_f16 v[0:1], v2, off
	
	;;#ASMEND
.LBB43_26:                              ;   in Loop: Header=BB43_7 Depth=1
	s_or_b64 exec, exec, s[12:13]
	v_subrev_u32_e32 v42, s61, v42
.LBB43_27:                              ;   in Loop: Header=BB43_7 Depth=1
	s_or_b64 exec, exec, s[48:49]
.LBB43_28:                              ;   in Loop: Header=BB43_7 Depth=1
	s_andn2_saveexec_b64 s[6:7], s[46:47]
	s_cbranch_execz .LBB43_37
; %bb.29:                               ;   in Loop: Header=BB43_7 Depth=1
	s_lshl_b32 s16, s61, 1
	v_cmp_gt_i32_e32 vcc, s16, v42
	s_and_saveexec_b64 s[8:9], vcc
	s_cbranch_execz .LBB43_36
; %bb.30:                               ;   in Loop: Header=BB43_7 Depth=1
	s_mul_i32 s10, s44, s27
	s_ashr_i32 s11, s10, 31
	s_waitcnt lgkmcnt(0)
	s_add_u32 s10, s38, s10
	s_addc_u32 s11, s39, s11
	s_ashr_i32 s12, s63, 31
	s_add_u32 s10, s10, s63
	s_addc_u32 s11, s11, s12
	v_lshl_add_u64 v[0:1], s[10:11], 0, v[14:15]
	v_lshl_add_u64 v[16:17], v[0:1], 0, v[12:13]
	s_mov_b64 s[10:11], 0
	s_branch .LBB43_32
.LBB43_31:                              ;   in Loop: Header=BB43_32 Depth=2
	s_or_b64 exec, exec, s[12:13]
	v_lshl_or_b32 v20, v18, 11, v37
	;;#ASMSTART
	s_waitcnt vmcnt(1)
	;;#ASMEND
	ds_write2_b32 v20, v4, v5 offset1:32
	ds_write2_b32 v20, v6, v7 offset0:64 offset1:96
	v_add_u32_e32 v4, 0x400, v20
	v_add_u32_e32 v42, s30, v42
	;;#ASMSTART
	s_waitcnt vmcnt(0)
	;;#ASMEND
	ds_write2_b32 v4, v0, v1 offset1:32
	ds_write2_b32 v4, v2, v3 offset0:64 offset1:96
	v_add_u32_e32 v0, 1, v30
	v_add_u32_e32 v18, s30, v18
	v_cmp_le_i32_e32 vcc, s16, v42
	ds_write_b32 v19, v0 offset:8
	v_add_u32_e32 v0, 2, v30
	s_or_b64 s[10:11], vcc, s[10:11]
	v_cmp_lt_i32_e32 vcc, 3, v18
	s_nop 1
	v_cndmask_b32_e32 v30, v30, v0, vcc
	s_andn2_b64 exec, exec, s[10:11]
	s_cbranch_execz .LBB43_35
.LBB43_32:                              ;   Parent Loop BB43_7 Depth=1
                                        ; =>  This Loop Header: Depth=2
                                        ;       Child Loop BB43_34 Depth 3
	v_cmp_gt_i32_e32 vcc, 4, v18
	s_nop 1
	v_cndmask_b32_e64 v0, -4, 0, vcc
	v_add_u32_e32 v18, v0, v18
	v_lshrrev_b32_e32 v0, 31, v42
	v_add_u32_e32 v0, v42, v0
	v_and_b32_e32 v1, -2, v0
	v_lshlrev_b32_e32 v0, 6, v0
	v_sub_u32_e32 v2, v42, v1
	v_and_b32_e32 v0, 0xffffff80, v0
	v_ashrrev_i32_e32 v1, 31, v0
	v_mul_lo_u32 v2, s55, v2
	v_lshl_add_u64 v[0:1], v[16:17], 0, v[0:1]
	v_ashrrev_i32_e32 v3, 31, v2
	v_lshl_add_u64 v[0:1], v[0:1], 0, v[2:3]
	v_lshlrev_b32_e32 v19, 2, v18
	;;#ASMSTART
	global_load_dwordx4 v[4:7], v[0:1], off offset:0   sc0 sc1 nt  
	global_load_dwordx4 v[0:3], v[0:1], off offset:64  sc0 sc1 nt  
	
	;;#ASMEND
	ds_read_b32 v20, v19 offset:12296
	v_add_u32_e32 v19, 0x3000, v19
	s_waitcnt lgkmcnt(0)
	v_cmp_ne_u32_e32 vcc, v20, v30
	s_and_saveexec_b64 s[12:13], vcc
	s_cbranch_execz .LBB43_31
; %bb.33:                               ;   in Loop: Header=BB43_32 Depth=2
	s_mov_b64 s[14:15], 0
.LBB43_34:                              ;   Parent Loop BB43_7 Depth=1
                                        ;     Parent Loop BB43_32 Depth=2
                                        ; =>    This Inner Loop Header: Depth=3
	;;#ASMSTART
	s_sleep 0
	;;#ASMEND
	ds_read_b32 v20, v19 offset:8
	s_waitcnt lgkmcnt(0)
	v_cmp_eq_u32_e32 vcc, v20, v30
	s_or_b64 s[14:15], vcc, s[14:15]
	s_andn2_b64 exec, exec, s[14:15]
	s_cbranch_execnz .LBB43_34
	s_branch .LBB43_31
.LBB43_35:                              ;   in Loop: Header=BB43_7 Depth=1
	s_or_b64 exec, exec, s[10:11]
.LBB43_36:                              ;   in Loop: Header=BB43_7 Depth=1
	s_or_b64 exec, exec, s[8:9]
	v_subrev_u32_e32 v42, s16, v42
.LBB43_37:                              ;   in Loop: Header=BB43_7 Depth=1
	s_or_b64 exec, exec, s[6:7]
.LBB43_38:                              ;   in Loop: Header=BB43_7 Depth=1
	s_andn2_saveexec_b64 s[6:7], s[34:35]
	s_cbranch_execz .LBB43_6
; %bb.39:                               ;   in Loop: Header=BB43_7 Depth=1
	v_cmp_gt_i32_e32 vcc, s61, v42
	s_and_saveexec_b64 s[8:9], vcc
	s_cbranch_execz .LBB43_5
; %bb.40:                               ;   in Loop: Header=BB43_7 Depth=1
	s_mul_i32 s62, s62, s26
	s_ashr_i32 s10, s62, 31
	s_waitcnt lgkmcnt(0)
	s_add_u32 s11, s36, s62
	s_addc_u32 s12, s37, s10
	s_ashr_i32 s13, s63, 31
	v_cmp_le_i32_e32 vcc, s64, v38
	s_add_u32 s10, s11, s63
	s_addc_u32 s11, s12, s13
	v_cndmask_b32_e32 v0, 0, v39, vcc
	v_ashrrev_i32_e32 v1, 31, v0
	v_lshl_add_u64 v[0:1], s[10:11], 0, v[0:1]
	v_lshl_add_u64 v[16:17], v[0:1], 0, v[12:13]
	s_mov_b64 s[10:11], 0
	s_branch .LBB43_42
.LBB43_41:                              ;   in Loop: Header=BB43_42 Depth=2
	s_or_b64 exec, exec, s[12:13]
	v_lshl_add_u32 v20, v18, 11, v40
	;;#ASMSTART
	s_waitcnt vmcnt(1)
	;;#ASMEND
	ds_write2_b32 v20, v4, v5 offset1:32
	ds_write2_b32 v20, v6, v7 offset0:64 offset1:96
	v_add_u32_e32 v4, 0x400, v20
	v_add_u32_e32 v42, s29, v42
	;;#ASMSTART
	s_waitcnt vmcnt(0)
	;;#ASMEND
	ds_write2_b32 v4, v0, v1 offset1:32
	ds_write2_b32 v4, v2, v3 offset0:64 offset1:96
	v_add_u32_e32 v0, 1, v30
	v_add_u32_e32 v18, s29, v18
	v_cmp_le_i32_e32 vcc, s61, v42
	ds_write_b32 v19, v0
	v_add_u32_e32 v0, 2, v30
	s_or_b64 s[10:11], vcc, s[10:11]
	v_cmp_lt_i32_e32 vcc, 1, v18
	s_nop 1
	v_cndmask_b32_e32 v30, v30, v0, vcc
	s_andn2_b64 exec, exec, s[10:11]
	s_cbranch_execz .LBB43_4
.LBB43_42:                              ;   Parent Loop BB43_7 Depth=1
                                        ; =>  This Loop Header: Depth=2
                                        ;       Child Loop BB43_44 Depth 3
	v_cmp_gt_i32_e32 vcc, 2, v18
	s_nop 1
	v_cndmask_b32_e64 v0, -2, 0, vcc
	v_add_u32_e32 v18, v0, v18
	v_lshlrev_b32_e32 v0, 7, v42
	v_ashrrev_i32_e32 v1, 31, v0
	v_lshl_add_u64 v[0:1], v[16:17], 0, v[0:1]
	v_lshlrev_b32_e32 v19, 2, v18
	;;#ASMSTART
	global_load_dwordx4 v[4:7], v[0:1], off offset:0   
	global_load_dwordx4 v[0:3], v[0:1], off offset:64  
	
	;;#ASMEND
	ds_read_b32 v20, v19 offset:12288
	v_add_u32_e32 v19, 0x3000, v19
	s_waitcnt lgkmcnt(0)
	v_cmp_ne_u32_e32 vcc, v20, v30
	s_and_saveexec_b64 s[12:13], vcc
	s_cbranch_execz .LBB43_41
; %bb.43:                               ;   in Loop: Header=BB43_42 Depth=2
	s_mov_b64 s[14:15], 0
.LBB43_44:                              ;   Parent Loop BB43_7 Depth=1
                                        ;     Parent Loop BB43_42 Depth=2
                                        ; =>    This Inner Loop Header: Depth=3
	;;#ASMSTART
	s_sleep 0
	;;#ASMEND
	ds_read_b32 v20, v19
	s_waitcnt lgkmcnt(0)
	v_cmp_eq_u32_e32 vcc, v20, v30
	s_or_b64 s[14:15], vcc, s[14:15]
	s_andn2_b64 exec, exec, s[14:15]
	s_cbranch_execnz .LBB43_44
	s_branch .LBB43_41
.LBB43_45:
	s_endpgm
	.section	.rodata,"a",@progbits
	.p2align	6, 0x0
	.amdhsa_kernel _Z19_skinny_gemm_kernelILi1ELi2ELi2ELi16ELi4EEvPKhS1_P6__halfPKfiiiiiiii
		.amdhsa_group_segment_fixed_size 12312
		.amdhsa_private_segment_fixed_size 0
		.amdhsa_kernarg_size 64
		.amdhsa_user_sgpr_count 2
		.amdhsa_user_sgpr_dispatch_ptr 0
		.amdhsa_user_sgpr_queue_ptr 0
		.amdhsa_user_sgpr_kernarg_segment_ptr 1
		.amdhsa_user_sgpr_dispatch_id 0
		.amdhsa_user_sgpr_kernarg_preload_length 0
		.amdhsa_user_sgpr_kernarg_preload_offset 0
		.amdhsa_user_sgpr_private_segment_size 0
		.amdhsa_uses_dynamic_stack 0
		.amdhsa_enable_private_segment 0
		.amdhsa_system_sgpr_workgroup_id_x 1
		.amdhsa_system_sgpr_workgroup_id_y 0
		.amdhsa_system_sgpr_workgroup_id_z 0
		.amdhsa_system_sgpr_workgroup_info 0
		.amdhsa_system_vgpr_workitem_id 0
		.amdhsa_next_free_vgpr 50
		.amdhsa_next_free_sgpr 65
		.amdhsa_accum_offset 52
		.amdhsa_reserve_vcc 1
		.amdhsa_float_round_mode_32 0
		.amdhsa_float_round_mode_16_64 0
		.amdhsa_float_denorm_mode_32 3
		.amdhsa_float_denorm_mode_16_64 3
		.amdhsa_dx10_clamp 1
		.amdhsa_ieee_mode 1
		.amdhsa_fp16_overflow 0
		.amdhsa_tg_split 0
		.amdhsa_exception_fp_ieee_invalid_op 0
		.amdhsa_exception_fp_denorm_src 0
		.amdhsa_exception_fp_ieee_div_zero 0
		.amdhsa_exception_fp_ieee_overflow 0
		.amdhsa_exception_fp_ieee_underflow 0
		.amdhsa_exception_fp_ieee_inexact 0
		.amdhsa_exception_int_div_zero 0
	.end_amdhsa_kernel
	.section	.text._Z19_skinny_gemm_kernelILi1ELi2ELi2ELi16ELi4EEvPKhS1_P6__halfPKfiiiiiiii,"axG",@progbits,_Z19_skinny_gemm_kernelILi1ELi2ELi2ELi16ELi4EEvPKhS1_P6__halfPKfiiiiiiii,comdat
.Lfunc_end43:
	.size	_Z19_skinny_gemm_kernelILi1ELi2ELi2ELi16ELi4EEvPKhS1_P6__halfPKfiiiiiiii, .Lfunc_end43-_Z19_skinny_gemm_kernelILi1ELi2ELi2ELi16ELi4EEvPKhS1_P6__halfPKfiiiiiiii
                                        ; -- End function
	.set _Z19_skinny_gemm_kernelILi1ELi2ELi2ELi16ELi4EEvPKhS1_P6__halfPKfiiiiiiii.num_vgpr, 50
	.set _Z19_skinny_gemm_kernelILi1ELi2ELi2ELi16ELi4EEvPKhS1_P6__halfPKfiiiiiiii.num_agpr, 0
	.set _Z19_skinny_gemm_kernelILi1ELi2ELi2ELi16ELi4EEvPKhS1_P6__halfPKfiiiiiiii.numbered_sgpr, 65
	.set _Z19_skinny_gemm_kernelILi1ELi2ELi2ELi16ELi4EEvPKhS1_P6__halfPKfiiiiiiii.num_named_barrier, 0
	.set _Z19_skinny_gemm_kernelILi1ELi2ELi2ELi16ELi4EEvPKhS1_P6__halfPKfiiiiiiii.private_seg_size, 0
	.set _Z19_skinny_gemm_kernelILi1ELi2ELi2ELi16ELi4EEvPKhS1_P6__halfPKfiiiiiiii.uses_vcc, 1
	.set _Z19_skinny_gemm_kernelILi1ELi2ELi2ELi16ELi4EEvPKhS1_P6__halfPKfiiiiiiii.uses_flat_scratch, 0
	.set _Z19_skinny_gemm_kernelILi1ELi2ELi2ELi16ELi4EEvPKhS1_P6__halfPKfiiiiiiii.has_dyn_sized_stack, 0
	.set _Z19_skinny_gemm_kernelILi1ELi2ELi2ELi16ELi4EEvPKhS1_P6__halfPKfiiiiiiii.has_recursion, 0
	.set _Z19_skinny_gemm_kernelILi1ELi2ELi2ELi16ELi4EEvPKhS1_P6__halfPKfiiiiiiii.has_indirect_call, 0
	.section	.AMDGPU.csdata,"",@progbits
; Kernel info:
; codeLenInByte = 3172
; TotalNumSgprs: 71
; NumVgprs: 50
; NumAgprs: 0
; TotalNumVgprs: 50
; ScratchSize: 0
; MemoryBound: 0
; FloatMode: 240
; IeeeMode: 1
; LDSByteSize: 12312 bytes/workgroup (compile time only)
; SGPRBlocks: 8
; VGPRBlocks: 6
; NumSGPRsForWavesPerEU: 71
; NumVGPRsForWavesPerEU: 50
; AccumOffset: 52
; Occupancy: 8
; WaveLimiterHint : 0
; COMPUTE_PGM_RSRC2:SCRATCH_EN: 0
; COMPUTE_PGM_RSRC2:USER_SGPR: 2
; COMPUTE_PGM_RSRC2:TRAP_HANDLER: 0
; COMPUTE_PGM_RSRC2:TGID_X_EN: 1
; COMPUTE_PGM_RSRC2:TGID_Y_EN: 0
; COMPUTE_PGM_RSRC2:TGID_Z_EN: 0
; COMPUTE_PGM_RSRC2:TIDIG_COMP_CNT: 0
; COMPUTE_PGM_RSRC3_GFX90A:ACCUM_OFFSET: 12
; COMPUTE_PGM_RSRC3_GFX90A:TG_SPLIT: 0
	.section	.text._Z19_skinny_gemm_kernelILi1ELi2ELi2ELi16ELi8EEvPKhS1_P6__halfPKfiiiiiiii,"axG",@progbits,_Z19_skinny_gemm_kernelILi1ELi2ELi2ELi16ELi8EEvPKhS1_P6__halfPKfiiiiiiii,comdat
	.protected	_Z19_skinny_gemm_kernelILi1ELi2ELi2ELi16ELi8EEvPKhS1_P6__halfPKfiiiiiiii ; -- Begin function _Z19_skinny_gemm_kernelILi1ELi2ELi2ELi16ELi8EEvPKhS1_P6__halfPKfiiiiiiii
	.globl	_Z19_skinny_gemm_kernelILi1ELi2ELi2ELi16ELi8EEvPKhS1_P6__halfPKfiiiiiiii
	.p2align	8
	.type	_Z19_skinny_gemm_kernelILi1ELi2ELi2ELi16ELi8EEvPKhS1_P6__halfPKfiiiiiiii,@function
_Z19_skinny_gemm_kernelILi1ELi2ELi2ELi16ELi8EEvPKhS1_P6__halfPKfiiiiiiii: ; @_Z19_skinny_gemm_kernelILi1ELi2ELi2ELi16ELi8EEvPKhS1_P6__halfPKfiiiiiiii
; %bb.0:
	v_cmp_gt_u32_e32 vcc, 6, v0
	v_lshlrev_b32_e32 v1, 2, v0
	s_and_saveexec_b64 s[4:5], vcc
; %bb.1:
	v_mov_b32_e32 v2, 0
	ds_write_b32 v1, v2 offset:24576
; %bb.2:
	s_or_b64 exec, exec, s[4:5]
	s_load_dwordx8 s[16:23], s[0:1], 0x20
	s_waitcnt lgkmcnt(0)
	s_barrier
	s_add_i32 s3, s16, 15
	s_ashr_i32 s5, s3, 31
	s_add_i32 s4, s17, 31
	s_lshr_b32 s5, s5, 28
	s_ashr_i32 s6, s4, 31
	s_add_i32 s3, s3, s5
	s_ashr_i32 s33, s3, 4
	s_lshr_b32 s3, s6, 27
	s_add_i32 s4, s4, s3
	s_ashr_i32 s44, s4, 5
	s_mul_i32 s3, s44, s33
	s_mul_i32 s3, s3, s20
	s_add_i32 s4, s3, 0x12f
	s_mul_hi_i32 s4, s4, 0x6bca1af3
	s_lshr_b32 s5, s4, 31
	s_ashr_i32 s4, s4, 7
	s_add_i32 s4, s4, s5
	s_add_i32 s5, s2, 1
	s_mul_i32 s5, s4, s5
	v_cvt_f64_i32_e32 v[2:3], s3
	v_cvt_f64_u32_e32 v[4:5], s5
	v_min_f64 v[2:3], v[2:3], v[4:5]
	v_cvt_i32_f64_e32 v17, v[2:3]
	s_mul_i32 s45, s4, s2
	v_cmp_ge_i32_e32 vcc, s45, v17
	s_cbranch_vccnz .LBB44_45
; %bb.3:
	v_lshrrev_b32_e32 v2, 6, v0
	s_add_i32 s4, s22, s21
	s_load_dwordx8 s[24:31], s[0:1], 0x0
	v_cmp_le_i32_e64 s[0:1], s4, v2
	v_mov_b32_e32 v3, s21
	v_cmp_le_i32_e64 s[2:3], s21, v2
	v_mov_b32_e32 v4, s22
	v_cndmask_b32_e64 v4, 0, v4, s[0:1]
	v_cndmask_b32_e64 v3, 0, v3, s[2:3]
	s_abs_i32 s5, s20
	v_add_u32_e32 v3, v3, v4
	v_cvt_f32_u32_e32 v4, s5
	v_sub_u32_e32 v8, v2, v3
	s_ashr_i32 s6, s18, 31
	s_lshr_b32 s6, s6, 24
	v_rcp_iflag_f32_e32 v3, v4
	s_sub_i32 s9, 0, s5
	s_add_i32 s6, s18, s6
	s_ashr_i32 s6, s6, 8
	v_mul_f32_e32 v3, 0x4f7ffffe, v3
	v_cvt_u32_f32_e32 v3, v3
	s_abs_i32 s8, s6
	s_xor_b32 s7, s6, s20
	s_ashr_i32 s7, s7, 31
	v_readfirstlane_b32 s10, v3
	s_mul_i32 s9, s9, s10
	s_mul_hi_u32 s9, s10, s9
	s_add_i32 s10, s10, s9
	s_mul_hi_u32 s9, s8, s10
	s_mul_i32 s10, s9, s5
	s_sub_i32 s8, s8, s10
	s_add_i32 s10, s9, 1
	s_sub_i32 s11, s8, s5
	s_cmp_ge_u32 s8, s5
	s_cselect_b32 s9, s10, s9
	s_cselect_b32 s8, s11, s8
	s_add_i32 s10, s9, 1
	s_cmp_ge_u32 s8, s5
	s_cselect_b32 s5, s10, s9
	s_xor_b32 s5, s5, s7
	s_sub_i32 s46, s5, s7
	s_add_i32 s20, s20, -1
	s_mul_i32 s5, s46, s20
	s_add_i32 s4, s4, s23
	s_sub_i32 s47, s6, s5
	v_cmp_gt_i32_e64 s[4:5], s4, v2
	v_lshlrev_b32_e32 v2, 1, v0
	v_lshlrev_b32_e32 v3, 4, v0
	v_and_b32_e32 v1, 60, v1
	v_and_b32_e32 v2, 64, v2
	;; [unrolled: 1-line block ×3, first 2 shown]
	s_abs_i32 s48, s33
	v_or3_b32 v43, v1, v2, v4
	v_and_b32_e32 v1, 1, v0
	v_cvt_f32_u32_e32 v6, s48
	v_lshlrev_b32_e32 v2, 1, v1
	v_lshrrev_b32_e32 v4, 2, v0
	v_and_b32_e32 v16, 14, v0
	v_sub_u32_e32 v2, v0, v2
	v_and_or_b32 v45, v4, 12, v1
	v_bitop3_b32 v46, v0, 1, v0 bitop3:0xc
	v_bitop3_b32 v47, v0, 3, 1 bitop3:0x6c
	v_and_b32_e32 v20, 48, v3
	v_bfe_u32 v1, v0, 2, 4
	v_and_b32_e32 v3, 60, v0
	v_lshlrev_b32_e32 v5, 8, v0
	v_lshlrev_b32_e32 v0, 6, v0
	v_and_b32_e32 v5, 0x200, v5
	v_and_b32_e32 v0, 64, v0
	v_or3_b32 v49, v3, v5, v0
	v_rcp_iflag_f32_e32 v0, v6
	s_abs_i32 s50, s44
	v_mul_lo_u32 v22, s19, v1
	v_mul_lo_u32 v51, s18, v1
	v_cvt_f32_u32_e32 v1, s50
	v_mul_f32_e32 v0, 0x4f7ffffe, v0
	v_cvt_u32_f32_e32 v0, v0
	v_mad_u64_u32 v[18:19], s[6:7], s17, v45, v[16:17]
	v_rcp_iflag_f32_e32 v1, v1
	v_readfirstlane_b32 s7, v0
	s_sub_i32 s6, 0, s48
	s_mul_i32 s6, s6, s7
	v_mul_f32_e32 v0, 0x4f7ffffe, v1
	v_cvt_u32_f32_e32 v0, v0
	s_mul_hi_u32 s6, s7, s6
	v_add_u32_e32 v2, 1, v2
	s_add_i32 s52, s7, s6
	s_sub_i32 s6, 0, s50
	v_readfirstlane_b32 s7, v0
	v_mbcnt_lo_u32_b32 v0, -1, 0
	v_and_b32_e32 v2, 63, v2
	s_mul_i32 s6, s6, s7
	v_mbcnt_hi_u32_b32 v0, -1, v0
	s_mul_hi_u32 s6, s7, s6
	v_and_or_b32 v0, v0, 64, v2
	v_cndmask_b32_e64 v42, 0, 1, s[0:1]
	v_or_b32_e32 v44, 0x4000, v43
	v_or_b32_e32 v48, 16, v16
	v_ashrrev_i32_e32 v19, 31, v18
	s_ashr_i32 s35, s17, 31
	s_mov_b32 s34, s17
	v_ashrrev_i32_e32 v23, 31, v22
	v_mov_b32_e32 v21, 0
	s_lshl_b32 s49, s19, 4
	v_bitop3_b32 v50, v4, 15, v4 bitop3:0xc
	v_or_b32_e32 v52, 0x4000, v49
	s_ashr_i32 s51, s33, 31
	s_ashr_i32 s53, s44, 31
	s_add_i32 s54, s7, s6
	v_lshlrev_b32_e32 v53, 2, v0
	v_mov_b32_e32 v54, v8
	s_branch .LBB44_7
.LBB44_4:                               ;   in Loop: Header=BB44_7 Depth=1
	s_or_b64 exec, exec, s[10:11]
.LBB44_5:                               ;   in Loop: Header=BB44_7 Depth=1
	s_or_b64 exec, exec, s[8:9]
	v_subrev_u32_e32 v54, s55, v54
.LBB44_6:                               ;   in Loop: Header=BB44_7 Depth=1
	s_or_b64 exec, exec, s[6:7]
	s_add_i32 s45, s45, 1
	v_cmp_ge_i32_e32 vcc, s45, v17
	s_cbranch_vccnz .LBB44_45
.LBB44_7:                               ; =>This Loop Header: Depth=1
                                        ;     Child Loop BB44_13 Depth 2
                                        ;       Child Loop BB44_15 Depth 3
                                        ;       Child Loop BB44_18 Depth 3
	;; [unrolled: 1-line block ×3, first 2 shown]
                                        ;     Child Loop BB44_32 Depth 2
                                        ;       Child Loop BB44_34 Depth 3
                                        ;     Child Loop BB44_42 Depth 2
                                        ;       Child Loop BB44_44 Depth 3
	s_abs_i32 s7, s45
	s_mul_hi_u32 s8, s7, s52
	s_mul_i32 s9, s8, s48
	s_ashr_i32 s6, s45, 31
	s_sub_i32 s7, s7, s9
	s_xor_b32 s6, s6, s51
	s_add_i32 s9, s8, 1
	s_sub_i32 s10, s7, s48
	s_cmp_ge_u32 s7, s48
	s_cselect_b32 s8, s9, s8
	s_cselect_b32 s7, s10, s7
	s_add_i32 s9, s8, 1
	s_cmp_ge_u32 s7, s48
	s_cselect_b32 s7, s9, s8
	s_xor_b32 s7, s7, s6
	s_sub_i32 s6, s7, s6
	s_abs_i32 s8, s6
	s_mul_i32 s7, s6, s33
	s_mul_hi_u32 s9, s8, s54
	s_sub_i32 s7, s45, s7
	s_mul_i32 s10, s9, s50
	s_lshl_b32 s56, s7, 4
	s_ashr_i32 s7, s6, 31
	s_sub_i32 s8, s8, s10
	s_xor_b32 s7, s7, s53
	s_add_i32 s10, s9, 1
	s_sub_i32 s11, s8, s50
	s_cmp_ge_u32 s8, s50
	s_cselect_b32 s9, s10, s9
	s_cselect_b32 s8, s11, s8
	s_add_i32 s10, s9, 1
	s_cmp_ge_u32 s8, s50
	s_cselect_b32 s8, s10, s9
	s_xor_b32 s8, s8, s7
	s_sub_i32 s7, s8, s7
	s_mul_i32 s8, s7, s46
	s_lshl_b32 s57, s8, 8
	s_cmp_eq_u32 s7, s20
	s_cselect_b32 s55, s47, s46
	s_sub_i32 s58, s56, s16
	s_add_i32 s58, s58, 16
	s_and_saveexec_b64 s[8:9], s[2:3]
	s_xor_b64 s[36:37], exec, s[8:9]
	s_cbranch_execz .LBB44_38
; %bb.8:                                ;   in Loop: Header=BB44_7 Depth=1
	s_mul_i32 s7, s7, s44
	s_sub_i32 s6, s6, s7
	s_lshl_b32 s6, s6, 5
	s_sub_i32 s14, s6, s17
	s_add_i32 s14, s14, 32
	s_max_i32 s7, s14, 0
	s_sub_i32 s38, s6, s7
	s_and_saveexec_b64 s[6:7], s[0:1]
	s_xor_b64 s[40:41], exec, s[6:7]
	s_cbranch_execz .LBB44_28
; %bb.9:                                ;   in Loop: Header=BB44_7 Depth=1
	s_and_saveexec_b64 s[42:43], s[4:5]
	s_cbranch_execz .LBB44_27
; %bb.10:                               ;   in Loop: Header=BB44_7 Depth=1
	s_waitcnt lgkmcnt(0)
	global_load_dword v55, v21, s[30:31]
	v_mov_b32_e32 v7, 0
	v_cmp_gt_i32_e32 vcc, s55, v54
	v_mov_b32_e32 v6, v7
	v_mov_b32_e32 v5, v7
	;; [unrolled: 1-line block ×7, first 2 shown]
	s_and_saveexec_b64 s[6:7], vcc
	s_cbranch_execz .LBB44_23
; %bb.11:                               ;   in Loop: Header=BB44_7 Depth=1
	v_mov_b32_e32 v0, 0
	s_mov_b64 s[8:9], 0
	v_mov_b32_e32 v1, v0
	v_mov_b32_e32 v2, v0
	;; [unrolled: 1-line block ×7, first 2 shown]
	s_branch .LBB44_13
.LBB44_12:                              ;   in Loop: Header=BB44_13 Depth=2
	s_or_b64 exec, exec, s[10:11]
	v_add_u32_e32 v28, v43, v59
	v_add_u32_e32 v29, 0x1000, v28
	ds_read2_b32 v[26:27], v29 offset1:32
	v_add_u32_e32 v54, s23, v54
	v_cmp_le_i32_e32 vcc, s55, v54
	s_or_b64 s[8:9], vcc, s[8:9]
	s_waitcnt lgkmcnt(0)
	v_mfma_f32_16x16x32_fp8_fp8 v[0:3], v[8:9], v[26:27], v[0:3]
	ds_read2_b32 v[8:9], v29 offset0:128 offset1:160
	v_add_u32_e32 v26, 0x1400, v28
	s_waitcnt lgkmcnt(0)
	v_mfma_f32_16x16x32_fp8_fp8 v[0:3], v[10:11], v[8:9], v[0:3]
	ds_read2_b32 v[8:9], v26 offset1:32
	v_add_u32_e32 v10, 0x1800, v28
	s_waitcnt lgkmcnt(0)
	v_mfma_f32_16x16x32_fp8_fp8 v[0:3], v[38:39], v[8:9], v[0:3]
	ds_read2_b32 v[8:9], v26 offset0:128 offset1:160
	v_add_u32_e32 v26, 0x1c00, v28
	s_waitcnt lgkmcnt(0)
	v_mfma_f32_16x16x32_fp8_fp8 v[0:3], v[36:37], v[8:9], v[0:3]
	ds_read2_b32 v[8:9], v10 offset1:32
	s_waitcnt lgkmcnt(0)
	v_mfma_f32_16x16x32_fp8_fp8 v[0:3], v[40:41], v[8:9], v[0:3]
	ds_read2_b32 v[8:9], v10 offset0:128 offset1:160
	ds_read2_b32 v[10:11], v26 offset1:32
	s_waitcnt lgkmcnt(1)
	v_mfma_f32_16x16x32_fp8_fp8 v[0:3], v[24:25], v[8:9], v[0:3]
	ds_read2_b32 v[24:25], v26 offset0:128 offset1:160
	v_add_u32_e32 v8, s23, v57
	v_add_u32_e32 v9, 2, v42
	s_waitcnt lgkmcnt(1)
	v_mfma_f32_16x16x32_fp8_fp8 v[0:3], v[14:15], v[10:11], v[0:3]
	v_cmp_lt_i32_e32 vcc, 1, v8
	;;#ASMSTART
	s_waitcnt lgkmcnt(0)
	;;#ASMEND
	ds_write_b32 v56, v58 offset:24588
	s_waitcnt lgkmcnt(1)
	v_mfma_f32_16x16x32_fp8_fp8 v[0:3], v[12:13], v[24:25], v[0:3]
	v_cndmask_b32_e32 v42, v42, v9, vcc
	s_andn2_b64 exec, exec, s[8:9]
	s_cbranch_execz .LBB44_22
.LBB44_13:                              ;   Parent Loop BB44_7 Depth=1
                                        ; =>  This Loop Header: Depth=2
                                        ;       Child Loop BB44_15 Depth 3
                                        ;       Child Loop BB44_18 Depth 3
	;; [unrolled: 1-line block ×3, first 2 shown]
	v_cmp_gt_i32_e32 vcc, 2, v8
	s_nop 1
	v_cndmask_b32_e64 v9, -2, 0, vcc
	v_add_u32_e32 v57, v9, v8
	v_lshlrev_b32_e32 v56, 3, v57
	ds_read_b32 v8, v56 offset:24584
	s_waitcnt lgkmcnt(0)
	v_cmp_ne_u32_e32 vcc, v8, v42
	s_and_saveexec_b64 s[10:11], vcc
	s_cbranch_execz .LBB44_16
; %bb.14:                               ;   in Loop: Header=BB44_13 Depth=2
	s_mov_b64 s[12:13], 0
.LBB44_15:                              ;   Parent Loop BB44_7 Depth=1
                                        ;     Parent Loop BB44_13 Depth=2
                                        ; =>    This Inner Loop Header: Depth=3
	;;#ASMSTART
	s_sleep 0
	;;#ASMEND
	ds_read_b32 v8, v56 offset:24584
	s_waitcnt lgkmcnt(0)
	v_cmp_eq_u32_e32 vcc, v8, v42
	s_or_b64 s[12:13], vcc, s[12:13]
	s_andn2_b64 exec, exec, s[12:13]
	s_cbranch_execnz .LBB44_15
.LBB44_16:                              ;   in Loop: Header=BB44_13 Depth=2
	s_or_b64 exec, exec, s[10:11]
	v_lshlrev_b32_e32 v59, 13, v57
	v_or_b32_e32 v8, v43, v59
	v_add_u32_e32 v9, 0x400, v8
	ds_read2_b32 v[12:13], v8 offset1:32
	ds_read2_b32 v[14:15], v8 offset0:128 offset1:160
	ds_read2_b32 v[24:25], v9 offset1:32
	ds_read2_b32 v[26:27], v9 offset0:128 offset1:160
	v_add_u32_e32 v9, 0x800, v8
	v_add_u32_e32 v8, 0xc00, v8
	;; [unrolled: 1-line block ×3, first 2 shown]
	ds_read2_b32 v[28:29], v9 offset1:32
	ds_read2_b32 v[30:31], v9 offset0:128 offset1:160
	ds_read2_b32 v[34:35], v8 offset1:32
	ds_read2_b32 v[32:33], v8 offset0:128 offset1:160
	;;#ASMSTART
	s_waitcnt lgkmcnt(0)
	;;#ASMEND
	ds_write_b32 v56, v58 offset:24584
	v_lshlrev_b32_e32 v8, 2, v57
	ds_read_b32 v9, v8 offset:24576
	v_add_u32_e32 v60, 0x6000, v8
	s_waitcnt lgkmcnt(0)
	v_cmp_ne_u32_e32 vcc, v9, v42
	s_and_saveexec_b64 s[10:11], vcc
	s_cbranch_execz .LBB44_19
; %bb.17:                               ;   in Loop: Header=BB44_13 Depth=2
	s_mov_b64 s[12:13], 0
.LBB44_18:                              ;   Parent Loop BB44_7 Depth=1
                                        ;     Parent Loop BB44_13 Depth=2
                                        ; =>    This Inner Loop Header: Depth=3
	;;#ASMSTART
	s_sleep 0
	;;#ASMEND
	ds_read_b32 v8, v60
	s_waitcnt lgkmcnt(0)
	v_cmp_eq_u32_e32 vcc, v8, v42
	s_or_b64 s[12:13], vcc, s[12:13]
	s_andn2_b64 exec, exec, s[12:13]
	s_cbranch_execnz .LBB44_18
.LBB44_19:                              ;   in Loop: Header=BB44_13 Depth=2
	s_or_b64 exec, exec, s[10:11]
	v_lshl_add_u32 v61, v57, 12, v44
	ds_read2_b32 v[8:9], v61 offset1:32
	ds_read2_b32 v[10:11], v61 offset0:128 offset1:160
	v_add_u32_e32 v36, 0x400, v61
	ds_read2_b32 v[38:39], v36 offset1:32
	ds_read2_b32 v[36:37], v36 offset0:128 offset1:160
	s_waitcnt lgkmcnt(3)
	v_mfma_f32_16x16x32_fp8_fp8 v[4:7], v[8:9], v[12:13], v[4:7]
	v_add_u32_e32 v12, 0x800, v61
	ds_read2_b32 v[40:41], v12 offset1:32
	ds_write_b32 v60, v58
	s_waitcnt lgkmcnt(4)
	v_mfma_f32_16x16x32_fp8_fp8 v[4:7], v[10:11], v[14:15], v[4:7]
	s_waitcnt lgkmcnt(3)
	v_mfma_f32_16x16x32_fp8_fp8 v[4:7], v[38:39], v[24:25], v[4:7]
	ds_read2_b32 v[24:25], v12 offset0:128 offset1:160
	v_add_u32_e32 v12, 0xc00, v61
	ds_read2_b32 v[14:15], v12 offset1:32
	s_waitcnt lgkmcnt(4)
	v_mfma_f32_16x16x32_fp8_fp8 v[4:7], v[36:37], v[26:27], v[4:7]
	ds_read2_b32 v[12:13], v12 offset0:128 offset1:160
	ds_read_b32 v26, v56 offset:24588
	s_waitcnt lgkmcnt(0)
	v_cmp_ne_u32_e32 vcc, v26, v42
	v_mfma_f32_16x16x32_fp8_fp8 v[4:7], v[40:41], v[28:29], v[4:7]
	v_mfma_f32_16x16x32_fp8_fp8 v[4:7], v[24:25], v[30:31], v[4:7]
	;; [unrolled: 1-line block ×4, first 2 shown]
	s_and_saveexec_b64 s[10:11], vcc
	s_cbranch_execz .LBB44_12
; %bb.20:                               ;   in Loop: Header=BB44_13 Depth=2
	s_mov_b64 s[12:13], 0
.LBB44_21:                              ;   Parent Loop BB44_7 Depth=1
                                        ;     Parent Loop BB44_13 Depth=2
                                        ; =>    This Inner Loop Header: Depth=3
	;;#ASMSTART
	s_sleep 0
	;;#ASMEND
	ds_read_b32 v26, v56 offset:24588
	s_waitcnt lgkmcnt(0)
	v_cmp_eq_u32_e32 vcc, v26, v42
	s_or_b64 s[12:13], vcc, s[12:13]
	s_andn2_b64 exec, exec, s[12:13]
	s_cbranch_execnz .LBB44_21
	s_branch .LBB44_12
.LBB44_22:                              ;   in Loop: Header=BB44_7 Depth=1
	s_or_b64 exec, exec, s[8:9]
.LBB44_23:                              ;   in Loop: Header=BB44_7 Depth=1
	s_or_b64 exec, exec, s[6:7]
	v_cmp_le_i32_e32 vcc, s14, v16
	v_cmp_eq_u32_e64 s[6:7], 2, v46
	v_cmp_eq_u32_e64 s[8:9], 3, v46
	s_waitcnt vmcnt(0)
	v_cndmask_b32_e32 v10, 0, v55, vcc
	v_pk_mul_f32 v[6:7], v[10:11], v[6:7] op_sel_hi:[0,1]
	v_pk_mul_f32 v[10:11], v[10:11], v[4:5] op_sel_hi:[0,1]
	v_cmp_eq_u32_e32 vcc, 1, v46
	v_cmp_eq_u32_e64 s[10:11], 0, v46
	v_cmp_eq_u32_e64 s[12:13], 1, v47
	v_cndmask_b32_e32 v4, v10, v11, vcc
	v_cndmask_b32_e64 v4, v4, v6, s[6:7]
	v_cndmask_b32_e64 v4, v4, v7, s[8:9]
	ds_bpermute_b32 v12, v53, v4
	v_cmp_le_i32_e64 s[14:15], s14, v48
	s_waitcnt lgkmcnt(0)
	v_cndmask_b32_e32 v9, v11, v12, vcc
	v_cndmask_b32_e64 v10, v10, v12, s[10:11]
	v_cndmask_b32_e64 v4, v7, v12, s[8:9]
	v_cndmask_b32_e64 v5, v6, v12, s[6:7]
	v_cndmask_b32_e64 v7, v10, v9, s[12:13]
	v_cndmask_b32_e64 v6, 0, v55, s[14:15]
	v_pk_mul_f32 v[14:15], v[6:7], v[0:1] op_sel_hi:[0,1]
	v_pk_mul_f32 v[12:13], v[6:7], v[2:3] op_sel_hi:[0,1]
	v_cndmask_b32_e32 v0, v14, v15, vcc
	v_cndmask_b32_e64 v0, v0, v12, s[6:7]
	v_cndmask_b32_e64 v0, v0, v13, s[8:9]
	ds_bpermute_b32 v1, v53, v0
	v_cmp_eq_u32_e32 vcc, 2, v47
	v_cmp_eq_u32_e64 s[14:15], 3, v47
	s_waitcnt lgkmcnt(0)
	v_cndmask_b32_e64 v6, v12, v1, s[6:7]
	v_cndmask_b32_e32 v0, v7, v5, vcc
	v_cndmask_b32_e64 v0, v0, v4, s[14:15]
	v_cmp_ne_u32_e64 s[6:7], 0, v46
	ds_bpermute_b32 v2, v53, v0
	v_cndmask_b32_e64 v3, v13, v1, s[8:9]
	v_cndmask_b32_e64 v0, v15, v1, s[6:7]
	;; [unrolled: 1-line block ×4, first 2 shown]
	v_cndmask_b32_e32 v7, v7, v6, vcc
	v_cndmask_b32_e64 v7, v7, v3, s[14:15]
	ds_bpermute_b32 v7, v53, v7
	s_max_i32 s6, s58, 0
	v_add_u32_e32 v11, s6, v45
	v_cmp_gt_u32_e32 vcc, 16, v11
	s_and_saveexec_b64 s[12:13], vcc
	s_cbranch_execz .LBB44_26
; %bb.24:                               ;   in Loop: Header=BB44_7 Depth=1
	v_cmp_eq_u32_e64 s[8:9], 1, v47
	v_cmp_eq_u32_e64 s[10:11], 0, v47
	v_cmp_eq_u32_e32 vcc, 3, v47
	s_waitcnt lgkmcnt(1)
	v_cndmask_b32_e64 v9, v9, v2, s[8:9]
	s_waitcnt lgkmcnt(0)
	v_cndmask_b32_e64 v12, v0, v7, s[8:9]
	s_mul_i32 s8, s56, s17
	s_ashr_i32 s9, s8, 31
	s_lshl_b64 s[8:9], s[8:9], 1
	v_cndmask_b32_e64 v10, v10, v2, s[10:11]
	v_cndmask_b32_e64 v13, v1, v7, s[10:11]
	s_add_u32 s10, s28, s8
	s_addc_u32 s11, s29, s9
	s_ashr_i32 s39, s38, 31
	v_cvt_f16_f32_e32 v10, v10
	v_cvt_f16_f32_sdwa v9, v9 dst_sel:WORD_1 dst_unused:UNUSED_PAD src0_sel:DWORD
	s_lshl_b64 s[8:9], s[38:39], 1
	v_cvt_f16_f32_e32 v14, v13
	v_cvt_f16_f32_sdwa v15, v12 dst_sel:WORD_1 dst_unused:UNUSED_PAD src0_sel:DWORD
	s_add_u32 s8, s10, s8
	s_addc_u32 s9, s11, s9
	v_cmp_eq_u32_e64 s[6:7], 2, v47
	v_lshl_add_u64 v[0:1], v[18:19], 1, s[8:9]
	v_or_b32_e32 v9, v9, v10
	v_cmp_gt_u32_e64 s[8:9], 14, v11
	;;#ASMSTART
	global_atomic_pk_add_f16 v[0:1], v9, off
	
	;;#ASMEND
	v_lshl_add_u64 v[12:13], v[0:1], 0, 32
	v_or_b32_e32 v9, v15, v14
	;;#ASMSTART
	global_atomic_pk_add_f16 v[12:13], v9, off
	
	;;#ASMEND
	s_and_b64 exec, exec, s[8:9]
	s_cbranch_execz .LBB44_26
; %bb.25:                               ;   in Loop: Header=BB44_7 Depth=1
	v_cndmask_b32_e32 v4, v4, v2, vcc
	v_cndmask_b32_e64 v2, v5, v2, s[6:7]
	v_cndmask_b32_e32 v3, v3, v7, vcc
	v_cndmask_b32_e64 v5, v6, v7, s[6:7]
	v_cvt_f16_f32_e32 v2, v2
	v_cvt_f16_f32_sdwa v4, v4 dst_sel:WORD_1 dst_unused:UNUSED_PAD src0_sel:DWORD
	v_cvt_f16_f32_e32 v5, v5
	v_cvt_f16_f32_sdwa v3, v3 dst_sel:WORD_1 dst_unused:UNUSED_PAD src0_sel:DWORD
	v_lshl_add_u64 v[0:1], s[34:35], 2, v[0:1]
	v_or_b32_e32 v2, v4, v2
	;;#ASMSTART
	global_atomic_pk_add_f16 v[0:1], v2, off
	
	;;#ASMEND
	v_lshl_add_u64 v[0:1], v[0:1], 0, 32
	v_or_b32_e32 v2, v3, v5
	;;#ASMSTART
	global_atomic_pk_add_f16 v[0:1], v2, off
	
	;;#ASMEND
.LBB44_26:                              ;   in Loop: Header=BB44_7 Depth=1
	s_or_b64 exec, exec, s[12:13]
	v_subrev_u32_e32 v54, s55, v54
.LBB44_27:                              ;   in Loop: Header=BB44_7 Depth=1
	s_or_b64 exec, exec, s[42:43]
.LBB44_28:                              ;   in Loop: Header=BB44_7 Depth=1
	s_andn2_saveexec_b64 s[6:7], s[40:41]
	s_cbranch_execz .LBB44_37
; %bb.29:                               ;   in Loop: Header=BB44_7 Depth=1
	s_lshl_b32 s39, s55, 1
	v_cmp_gt_i32_e32 vcc, s39, v54
	s_and_saveexec_b64 s[8:9], vcc
	s_cbranch_execz .LBB44_36
; %bb.30:                               ;   in Loop: Header=BB44_7 Depth=1
	s_mul_i32 s10, s38, s19
	s_ashr_i32 s11, s10, 31
	s_waitcnt lgkmcnt(0)
	s_add_u32 s10, s26, s10
	s_addc_u32 s11, s27, s11
	s_ashr_i32 s12, s57, 31
	s_add_u32 s10, s10, s57
	s_addc_u32 s11, s11, s12
	v_lshl_add_u64 v[0:1], s[10:11], 0, v[22:23]
	v_lshl_add_u64 v[24:25], v[0:1], 0, v[20:21]
	s_mov_b64 s[10:11], 0
	s_branch .LBB44_32
.LBB44_31:                              ;   in Loop: Header=BB44_32 Depth=2
	s_or_b64 exec, exec, s[12:13]
	v_lshl_or_b32 v28, v26, 12, v49
	;;#ASMSTART
	s_waitcnt vmcnt(3)
	;;#ASMEND
	ds_write2_b32 v28, v12, v13 offset1:32
	ds_write2_b32 v28, v14, v15 offset0:64 offset1:96
	v_add_u32_e32 v12, 0x400, v28
	;;#ASMSTART
	s_waitcnt vmcnt(2)
	;;#ASMEND
	ds_write2_b32 v12, v8, v9 offset1:32
	ds_write2_b32 v12, v10, v11 offset0:64 offset1:96
	v_add_u32_e32 v8, 0x800, v28
	;; [unrolled: 6-line block ×3, first 2 shown]
	v_add_u32_e32 v54, s22, v54
	;;#ASMSTART
	s_waitcnt vmcnt(0)
	;;#ASMEND
	ds_write2_b32 v4, v0, v1 offset1:32
	ds_write2_b32 v4, v2, v3 offset0:64 offset1:96
	v_add_u32_e32 v0, 1, v42
	v_add_u32_e32 v8, s22, v26
	v_cmp_le_i32_e32 vcc, s39, v54
	ds_write_b32 v27, v0 offset:8
	v_add_u32_e32 v0, 2, v42
	s_or_b64 s[10:11], vcc, s[10:11]
	v_cmp_lt_i32_e32 vcc, 3, v8
	s_nop 1
	v_cndmask_b32_e32 v42, v42, v0, vcc
	s_andn2_b64 exec, exec, s[10:11]
	s_cbranch_execz .LBB44_35
.LBB44_32:                              ;   Parent Loop BB44_7 Depth=1
                                        ; =>  This Loop Header: Depth=2
                                        ;       Child Loop BB44_34 Depth 3
	v_cmp_gt_i32_e32 vcc, 4, v8
	s_nop 1
	v_cndmask_b32_e64 v0, -4, 0, vcc
	v_add_u32_e32 v26, v0, v8
	v_lshrrev_b32_e32 v0, 31, v54
	v_add_u32_e32 v0, v54, v0
	v_and_b32_e32 v1, -2, v0
	v_lshlrev_b32_e32 v0, 7, v0
	v_sub_u32_e32 v2, v54, v1
	v_and_b32_e32 v0, 0xffffff00, v0
	v_ashrrev_i32_e32 v1, 31, v0
	v_mul_lo_u32 v2, s49, v2
	v_lshl_add_u64 v[0:1], v[24:25], 0, v[0:1]
	v_ashrrev_i32_e32 v3, 31, v2
	v_lshl_add_u64 v[0:1], v[0:1], 0, v[2:3]
	v_lshlrev_b32_e32 v27, 2, v26
	;;#ASMSTART
	global_load_dwordx4 v[12:15], v[0:1], off offset:0    sc0 sc1 nt  
	global_load_dwordx4 v[8:11], v[0:1], off offset:64   sc0 sc1 nt  
	global_load_dwordx4 v[4:7], v[0:1], off offset:128  sc0 sc1 nt  
	global_load_dwordx4 v[0:3], v[0:1], off offset:192  sc0 sc1 nt  
	
	;;#ASMEND
	ds_read_b32 v28, v27 offset:24584
	v_add_u32_e32 v27, 0x6000, v27
	s_waitcnt lgkmcnt(0)
	v_cmp_ne_u32_e32 vcc, v28, v42
	s_and_saveexec_b64 s[12:13], vcc
	s_cbranch_execz .LBB44_31
; %bb.33:                               ;   in Loop: Header=BB44_32 Depth=2
	s_mov_b64 s[14:15], 0
.LBB44_34:                              ;   Parent Loop BB44_7 Depth=1
                                        ;     Parent Loop BB44_32 Depth=2
                                        ; =>    This Inner Loop Header: Depth=3
	;;#ASMSTART
	s_sleep 0
	;;#ASMEND
	ds_read_b32 v28, v27 offset:8
	s_waitcnt lgkmcnt(0)
	v_cmp_eq_u32_e32 vcc, v28, v42
	s_or_b64 s[14:15], vcc, s[14:15]
	s_andn2_b64 exec, exec, s[14:15]
	s_cbranch_execnz .LBB44_34
	s_branch .LBB44_31
.LBB44_35:                              ;   in Loop: Header=BB44_7 Depth=1
	s_or_b64 exec, exec, s[10:11]
.LBB44_36:                              ;   in Loop: Header=BB44_7 Depth=1
	s_or_b64 exec, exec, s[8:9]
	v_subrev_u32_e32 v54, s39, v54
.LBB44_37:                              ;   in Loop: Header=BB44_7 Depth=1
	s_or_b64 exec, exec, s[6:7]
.LBB44_38:                              ;   in Loop: Header=BB44_7 Depth=1
	s_andn2_saveexec_b64 s[6:7], s[36:37]
	s_cbranch_execz .LBB44_6
; %bb.39:                               ;   in Loop: Header=BB44_7 Depth=1
	v_cmp_gt_i32_e32 vcc, s55, v54
	s_and_saveexec_b64 s[8:9], vcc
	s_cbranch_execz .LBB44_5
; %bb.40:                               ;   in Loop: Header=BB44_7 Depth=1
	s_mul_i32 s56, s56, s18
	s_ashr_i32 s10, s56, 31
	s_waitcnt lgkmcnt(0)
	s_add_u32 s11, s24, s56
	s_addc_u32 s12, s25, s10
	s_ashr_i32 s13, s57, 31
	v_cmp_le_i32_e32 vcc, s58, v50
	s_add_u32 s10, s11, s57
	s_addc_u32 s11, s12, s13
	v_cndmask_b32_e32 v0, 0, v51, vcc
	v_ashrrev_i32_e32 v1, 31, v0
	v_lshl_add_u64 v[0:1], s[10:11], 0, v[0:1]
	v_lshl_add_u64 v[24:25], v[0:1], 0, v[20:21]
	s_mov_b64 s[10:11], 0
	s_branch .LBB44_42
.LBB44_41:                              ;   in Loop: Header=BB44_42 Depth=2
	s_or_b64 exec, exec, s[12:13]
	v_lshl_add_u32 v28, v26, 12, v52
	;;#ASMSTART
	s_waitcnt vmcnt(3)
	;;#ASMEND
	ds_write2_b32 v28, v12, v13 offset1:32
	ds_write2_b32 v28, v14, v15 offset0:64 offset1:96
	v_add_u32_e32 v12, 0x400, v28
	;;#ASMSTART
	s_waitcnt vmcnt(2)
	;;#ASMEND
	ds_write2_b32 v12, v8, v9 offset1:32
	ds_write2_b32 v12, v10, v11 offset0:64 offset1:96
	v_add_u32_e32 v8, 0x800, v28
	;; [unrolled: 6-line block ×3, first 2 shown]
	v_add_u32_e32 v54, s21, v54
	;;#ASMSTART
	s_waitcnt vmcnt(0)
	;;#ASMEND
	ds_write2_b32 v4, v0, v1 offset1:32
	ds_write2_b32 v4, v2, v3 offset0:64 offset1:96
	v_add_u32_e32 v0, 1, v42
	v_add_u32_e32 v8, s21, v26
	v_cmp_le_i32_e32 vcc, s55, v54
	ds_write_b32 v27, v0
	v_add_u32_e32 v0, 2, v42
	s_or_b64 s[10:11], vcc, s[10:11]
	v_cmp_lt_i32_e32 vcc, 1, v8
	s_nop 1
	v_cndmask_b32_e32 v42, v42, v0, vcc
	s_andn2_b64 exec, exec, s[10:11]
	s_cbranch_execz .LBB44_4
.LBB44_42:                              ;   Parent Loop BB44_7 Depth=1
                                        ; =>  This Loop Header: Depth=2
                                        ;       Child Loop BB44_44 Depth 3
	v_cmp_gt_i32_e32 vcc, 2, v8
	s_nop 1
	v_cndmask_b32_e64 v0, -2, 0, vcc
	v_add_u32_e32 v26, v0, v8
	v_lshlrev_b32_e32 v0, 8, v54
	v_ashrrev_i32_e32 v1, 31, v0
	v_lshl_add_u64 v[0:1], v[24:25], 0, v[0:1]
	v_lshlrev_b32_e32 v27, 2, v26
	;;#ASMSTART
	global_load_dwordx4 v[12:15], v[0:1], off offset:0    
	global_load_dwordx4 v[8:11], v[0:1], off offset:64   
	;; [unrolled: 1-line block ×4, first 2 shown]
	
	;;#ASMEND
	ds_read_b32 v28, v27 offset:24576
	v_add_u32_e32 v27, 0x6000, v27
	s_waitcnt lgkmcnt(0)
	v_cmp_ne_u32_e32 vcc, v28, v42
	s_and_saveexec_b64 s[12:13], vcc
	s_cbranch_execz .LBB44_41
; %bb.43:                               ;   in Loop: Header=BB44_42 Depth=2
	s_mov_b64 s[14:15], 0
.LBB44_44:                              ;   Parent Loop BB44_7 Depth=1
                                        ;     Parent Loop BB44_42 Depth=2
                                        ; =>    This Inner Loop Header: Depth=3
	;;#ASMSTART
	s_sleep 0
	;;#ASMEND
	ds_read_b32 v28, v27
	s_waitcnt lgkmcnt(0)
	v_cmp_eq_u32_e32 vcc, v28, v42
	s_or_b64 s[14:15], vcc, s[14:15]
	s_andn2_b64 exec, exec, s[14:15]
	s_cbranch_execnz .LBB44_44
	s_branch .LBB44_41
.LBB44_45:
	s_endpgm
	.section	.rodata,"a",@progbits
	.p2align	6, 0x0
	.amdhsa_kernel _Z19_skinny_gemm_kernelILi1ELi2ELi2ELi16ELi8EEvPKhS1_P6__halfPKfiiiiiiii
		.amdhsa_group_segment_fixed_size 24600
		.amdhsa_private_segment_fixed_size 0
		.amdhsa_kernarg_size 64
		.amdhsa_user_sgpr_count 2
		.amdhsa_user_sgpr_dispatch_ptr 0
		.amdhsa_user_sgpr_queue_ptr 0
		.amdhsa_user_sgpr_kernarg_segment_ptr 1
		.amdhsa_user_sgpr_dispatch_id 0
		.amdhsa_user_sgpr_kernarg_preload_length 0
		.amdhsa_user_sgpr_kernarg_preload_offset 0
		.amdhsa_user_sgpr_private_segment_size 0
		.amdhsa_uses_dynamic_stack 0
		.amdhsa_enable_private_segment 0
		.amdhsa_system_sgpr_workgroup_id_x 1
		.amdhsa_system_sgpr_workgroup_id_y 0
		.amdhsa_system_sgpr_workgroup_id_z 0
		.amdhsa_system_sgpr_workgroup_info 0
		.amdhsa_system_vgpr_workitem_id 0
		.amdhsa_next_free_vgpr 62
		.amdhsa_next_free_sgpr 59
		.amdhsa_accum_offset 64
		.amdhsa_reserve_vcc 1
		.amdhsa_float_round_mode_32 0
		.amdhsa_float_round_mode_16_64 0
		.amdhsa_float_denorm_mode_32 3
		.amdhsa_float_denorm_mode_16_64 3
		.amdhsa_dx10_clamp 1
		.amdhsa_ieee_mode 1
		.amdhsa_fp16_overflow 0
		.amdhsa_tg_split 0
		.amdhsa_exception_fp_ieee_invalid_op 0
		.amdhsa_exception_fp_denorm_src 0
		.amdhsa_exception_fp_ieee_div_zero 0
		.amdhsa_exception_fp_ieee_overflow 0
		.amdhsa_exception_fp_ieee_underflow 0
		.amdhsa_exception_fp_ieee_inexact 0
		.amdhsa_exception_int_div_zero 0
	.end_amdhsa_kernel
	.section	.text._Z19_skinny_gemm_kernelILi1ELi2ELi2ELi16ELi8EEvPKhS1_P6__halfPKfiiiiiiii,"axG",@progbits,_Z19_skinny_gemm_kernelILi1ELi2ELi2ELi16ELi8EEvPKhS1_P6__halfPKfiiiiiiii,comdat
.Lfunc_end44:
	.size	_Z19_skinny_gemm_kernelILi1ELi2ELi2ELi16ELi8EEvPKhS1_P6__halfPKfiiiiiiii, .Lfunc_end44-_Z19_skinny_gemm_kernelILi1ELi2ELi2ELi16ELi8EEvPKhS1_P6__halfPKfiiiiiiii
                                        ; -- End function
	.set _Z19_skinny_gemm_kernelILi1ELi2ELi2ELi16ELi8EEvPKhS1_P6__halfPKfiiiiiiii.num_vgpr, 62
	.set _Z19_skinny_gemm_kernelILi1ELi2ELi2ELi16ELi8EEvPKhS1_P6__halfPKfiiiiiiii.num_agpr, 0
	.set _Z19_skinny_gemm_kernelILi1ELi2ELi2ELi16ELi8EEvPKhS1_P6__halfPKfiiiiiiii.numbered_sgpr, 59
	.set _Z19_skinny_gemm_kernelILi1ELi2ELi2ELi16ELi8EEvPKhS1_P6__halfPKfiiiiiiii.num_named_barrier, 0
	.set _Z19_skinny_gemm_kernelILi1ELi2ELi2ELi16ELi8EEvPKhS1_P6__halfPKfiiiiiiii.private_seg_size, 0
	.set _Z19_skinny_gemm_kernelILi1ELi2ELi2ELi16ELi8EEvPKhS1_P6__halfPKfiiiiiiii.uses_vcc, 1
	.set _Z19_skinny_gemm_kernelILi1ELi2ELi2ELi16ELi8EEvPKhS1_P6__halfPKfiiiiiiii.uses_flat_scratch, 0
	.set _Z19_skinny_gemm_kernelILi1ELi2ELi2ELi16ELi8EEvPKhS1_P6__halfPKfiiiiiiii.has_dyn_sized_stack, 0
	.set _Z19_skinny_gemm_kernelILi1ELi2ELi2ELi16ELi8EEvPKhS1_P6__halfPKfiiiiiiii.has_recursion, 0
	.set _Z19_skinny_gemm_kernelILi1ELi2ELi2ELi16ELi8EEvPKhS1_P6__halfPKfiiiiiiii.has_indirect_call, 0
	.section	.AMDGPU.csdata,"",@progbits
; Kernel info:
; codeLenInByte = 3576
; TotalNumSgprs: 65
; NumVgprs: 62
; NumAgprs: 0
; TotalNumVgprs: 62
; ScratchSize: 0
; MemoryBound: 0
; FloatMode: 240
; IeeeMode: 1
; LDSByteSize: 24600 bytes/workgroup (compile time only)
; SGPRBlocks: 8
; VGPRBlocks: 7
; NumSGPRsForWavesPerEU: 65
; NumVGPRsForWavesPerEU: 62
; AccumOffset: 64
; Occupancy: 8
; WaveLimiterHint : 0
; COMPUTE_PGM_RSRC2:SCRATCH_EN: 0
; COMPUTE_PGM_RSRC2:USER_SGPR: 2
; COMPUTE_PGM_RSRC2:TRAP_HANDLER: 0
; COMPUTE_PGM_RSRC2:TGID_X_EN: 1
; COMPUTE_PGM_RSRC2:TGID_Y_EN: 0
; COMPUTE_PGM_RSRC2:TGID_Z_EN: 0
; COMPUTE_PGM_RSRC2:TIDIG_COMP_CNT: 0
; COMPUTE_PGM_RSRC3_GFX90A:ACCUM_OFFSET: 15
; COMPUTE_PGM_RSRC3_GFX90A:TG_SPLIT: 0
	.section	.text._Z19_skinny_gemm_kernelILi1ELi2ELi2ELi32ELi4EEvPKhS1_P6__halfPKfiiiiiiii,"axG",@progbits,_Z19_skinny_gemm_kernelILi1ELi2ELi2ELi32ELi4EEvPKhS1_P6__halfPKfiiiiiiii,comdat
	.protected	_Z19_skinny_gemm_kernelILi1ELi2ELi2ELi32ELi4EEvPKhS1_P6__halfPKfiiiiiiii ; -- Begin function _Z19_skinny_gemm_kernelILi1ELi2ELi2ELi32ELi4EEvPKhS1_P6__halfPKfiiiiiiii
	.globl	_Z19_skinny_gemm_kernelILi1ELi2ELi2ELi32ELi4EEvPKhS1_P6__halfPKfiiiiiiii
	.p2align	8
	.type	_Z19_skinny_gemm_kernelILi1ELi2ELi2ELi32ELi4EEvPKhS1_P6__halfPKfiiiiiiii,@function
_Z19_skinny_gemm_kernelILi1ELi2ELi2ELi32ELi4EEvPKhS1_P6__halfPKfiiiiiiii: ; @_Z19_skinny_gemm_kernelILi1ELi2ELi2ELi32ELi4EEvPKhS1_P6__halfPKfiiiiiiii
; %bb.0:
	v_cmp_gt_u32_e32 vcc, 6, v0
	s_and_saveexec_b64 s[4:5], vcc
; %bb.1:
	v_lshlrev_b32_e32 v1, 2, v0
	v_mov_b32_e32 v2, 0
	ds_write_b32 v1, v2 offset:12288
; %bb.2:
	s_or_b64 exec, exec, s[4:5]
	s_load_dwordx8 s[16:23], s[0:1], 0x20
	s_waitcnt lgkmcnt(0)
	s_barrier
	s_add_i32 s3, s16, 31
	s_ashr_i32 s5, s3, 31
	s_add_i32 s4, s17, 63
	s_lshr_b32 s5, s5, 27
	s_ashr_i32 s6, s4, 31
	s_add_i32 s3, s3, s5
	s_ashr_i32 s11, s3, 5
	s_lshr_b32 s3, s6, 26
	s_add_i32 s4, s4, s3
	s_ashr_i32 s12, s4, 6
	s_mul_i32 s3, s12, s11
	s_mul_i32 s3, s3, s20
	s_add_i32 s4, s3, 0x12f
	s_mul_hi_i32 s4, s4, 0x6bca1af3
	s_lshr_b32 s5, s4, 31
	s_ashr_i32 s4, s4, 7
	s_add_i32 s4, s4, s5
	s_add_i32 s5, s2, 1
	s_mul_i32 s5, s4, s5
	v_cvt_f64_i32_e32 v[2:3], s3
	v_cvt_f64_u32_e32 v[4:5], s5
	v_min_f64 v[2:3], v[2:3], v[4:5]
	v_cvt_i32_f64_e32 v62, v[2:3]
	s_mul_i32 s33, s4, s2
	v_cmp_ge_i32_e32 vcc, s33, v62
	s_cbranch_vccnz .LBB45_51
; %bb.3:
	s_load_dwordx8 s[44:51], s[0:1], 0x0
	v_lshrrev_b32_e32 v1, 6, v0
	s_add_i32 s0, s22, s21
	v_cmp_le_i32_e64 s[14:15], s0, v1
	v_mov_b32_e32 v2, s21
	v_cmp_le_i32_e64 s[24:25], s21, v1
	v_mov_b32_e32 v3, s22
	v_cndmask_b32_e64 v3, 0, v3, s[14:15]
	v_cndmask_b32_e64 v2, 0, v2, s[24:25]
	s_abs_i32 s1, s20
	v_add_u32_e32 v2, v2, v3
	v_cvt_f32_u32_e32 v3, s1
	v_sub_u32_e32 v54, v1, v2
	s_ashr_i32 s2, s18, 31
	s_lshr_b32 s2, s2, 26
	v_rcp_iflag_f32_e32 v2, v3
	s_sub_i32 s5, 0, s1
	s_add_i32 s2, s18, s2
	s_ashr_i32 s2, s2, 6
	v_mul_f32_e32 v2, 0x4f7ffffe, v2
	v_cvt_u32_f32_e32 v2, v2
	s_abs_i32 s4, s2
	s_xor_b32 s3, s2, s20
	s_ashr_i32 s3, s3, 31
	v_readfirstlane_b32 s6, v2
	s_mul_i32 s5, s5, s6
	s_mul_hi_u32 s5, s6, s5
	s_add_i32 s6, s6, s5
	s_mul_hi_u32 s5, s4, s6
	s_mul_i32 s6, s5, s1
	s_sub_i32 s4, s4, s6
	s_add_i32 s6, s5, 1
	s_sub_i32 s7, s4, s1
	s_cmp_ge_u32 s4, s1
	s_cselect_b32 s5, s6, s5
	s_cselect_b32 s4, s7, s4
	s_add_i32 s6, s5, 1
	s_cmp_ge_u32 s4, s1
	s_cselect_b32 s1, s6, s5
	s_add_i32 s0, s0, s23
	v_and_b32_e32 v64, 31, v0
	v_lshrrev_b32_e32 v2, 3, v0
	v_cmp_gt_i32_e64 s[28:29], s0, v1
	v_lshlrev_b32_e32 v1, 2, v64
	v_and_b32_e32 v3, 4, v2
	v_and_b32_e32 v5, 1, v0
	v_lshlrev_b32_e32 v2, 6, v3
	v_or_b32_e32 v4, 0x2000, v1
	v_or_b32_e32 v3, v3, v5
	;; [unrolled: 1-line block ×4, first 2 shown]
	v_lshlrev_b32_e32 v2, 1, v5
	v_or_b32_e32 v5, 2, v3
	v_sub_u32_e32 v77, 32, v5
	v_or_b32_e32 v5, 8, v3
	v_sub_u32_e32 v78, 32, v5
	;; [unrolled: 2-line block ×4, first 2 shown]
	v_or_b32_e32 v5, 18, v3
	s_add_i32 s26, s20, -1
	v_sub_u32_e32 v81, 32, v5
	v_or_b32_e32 v5, 24, v3
	s_abs_i32 s20, s11
	v_sub_u32_e32 v76, 32, v3
	v_mul_lo_u32 v34, s17, v3
	v_sub_u32_e32 v82, 32, v5
	v_or_b32_e32 v3, 26, v3
	v_cvt_f32_u32_e32 v5, s20
	v_sub_u32_e32 v83, 32, v3
	v_lshrrev_b32_e32 v3, 1, v0
                                        ; implicit-def: $vgpr100 : SGPR spill to VGPR lane
	v_and_b32_e32 v50, 16, v3
	v_lshlrev_b32_e32 v3, 4, v0
	v_writelane_b32 v100, s11, 0
	v_and_b32_e32 v3, 0x200, v3
	v_writelane_b32 v100, s12, 1
	v_or_b32_e32 v84, v1, v3
	v_rcp_iflag_f32_e32 v1, v5
	s_waitcnt lgkmcnt(0)
	v_writelane_b32 v100, s44, 2
	v_sub_u32_e32 v2, v0, v2
	v_add_u32_e32 v2, 1, v2
	v_writelane_b32 v100, s45, 3
	v_writelane_b32 v100, s46, 4
	s_abs_i32 s98, s12
	v_writelane_b32 v100, s47, 5
	s_xor_b32 s1, s1, s3
	v_and_b32_e32 v6, 63, v2
	v_bitop3_b32 v67, v0, 1, v0 bitop3:0xc
	v_bitop3_b32 v68, v0, 3, 1 bitop3:0x6c
	;; [unrolled: 1-line block ×8, first 2 shown]
	v_and_b32_e32 v2, 30, v0
	v_bitop3_b32 v85, v0, 31, v0 bitop3:0xc
	v_mul_f32_e32 v0, 0x4f7ffffe, v1
	v_cvt_f32_u32_e32 v1, s98
	v_writelane_b32 v100, s48, 6
	s_sub_i32 s13, s1, s3
	v_writelane_b32 v100, s49, 7
	s_mul_i32 s1, s13, s26
	s_lshl_b32 s0, s17, 1
	v_writelane_b32 v100, s50, 8
	s_sub_i32 s27, s2, s1
	v_add_u32_e32 v36, s0, v34
	s_mul_i32 s1, s17, 6
	v_writelane_b32 v100, s51, 9
	v_cndmask_b32_e64 v63, 0, 1, s[14:15]
	v_add_u32_e32 v38, s1, v36
	v_cvt_u32_f32_e32 v0, v0
	v_rcp_iflag_f32_e32 v1, v1
	v_writelane_b32 v100, s14, 10
	v_add_u32_e32 v40, s0, v38
	v_add_u32_e32 v42, s1, v40
	v_writelane_b32 v100, s15, 11
	v_writelane_b32 v100, s24, 12
	v_add_u32_e32 v44, s0, v42
	v_add_u32_e32 v46, s1, v44
	v_writelane_b32 v100, s25, 13
	v_readfirstlane_b32 s1, v0
	v_mul_f32_e32 v0, 0x4f7ffffe, v1
	v_writelane_b32 v100, s13, 14
	v_cvt_u32_f32_e32 v0, v0
	v_writelane_b32 v100, s26, 15
	v_add_u32_e32 v48, s0, v46
	s_sub_i32 s0, 0, s20
	v_writelane_b32 v100, s27, 16
	s_mul_i32 s0, s0, s1
	v_writelane_b32 v100, s28, 17
	s_lshl_b32 s30, s19, 5
	s_mul_hi_u32 s0, s1, s0
	v_writelane_b32 v100, s29, 18
	s_ashr_i32 s31, s11, 31
	s_add_i32 s34, s1, s0
	s_sub_i32 s0, 0, s98
	v_readfirstlane_b32 s1, v0
	v_mbcnt_lo_u32_b32 v0, -1, 0
	v_writelane_b32 v100, s30, 19
	s_mul_i32 s0, s0, s1
	v_mbcnt_hi_u32_b32 v0, -1, v0
	v_writelane_b32 v100, s31, 20
	v_mov_b32_e32 v33, 0
	v_mul_lo_u32 v52, s19, v64
	s_ashr_i32 s35, s12, 31
	s_mul_hi_u32 s0, s1, s0
	v_and_or_b32 v0, v0, 64, v6
	v_writelane_b32 v100, s34, 21
	v_or_b32_e32 v75, 32, v64
	v_ashrrev_i32_e32 v35, 31, v34
	v_ashrrev_i32_e32 v37, 31, v36
	;; [unrolled: 1-line block ×9, first 2 shown]
	v_mov_b32_e32 v51, v33
	v_mul_lo_u32 v86, s18, v64
	v_or_b32_e32 v87, v4, v3
	s_add_i32 s36, s1, s0
	v_lshlrev_b32_e32 v32, 1, v2
	v_lshlrev_b32_e32 v88, 2, v0
	v_mov_b32_e32 v89, v54
	v_writelane_b32 v100, s35, 22
	v_writelane_b32 v100, s36, 23
	s_branch .LBB45_7
.LBB45_4:                               ;   in Loop: Header=BB45_7 Depth=1
	s_or_b64 exec, exec, s[4:5]
.LBB45_5:                               ;   in Loop: Header=BB45_7 Depth=1
	s_or_b64 exec, exec, s[2:3]
	v_subrev_u32_e32 v89, s99, v89
.LBB45_6:                               ;   in Loop: Header=BB45_7 Depth=1
	s_or_b64 exec, exec, s[0:1]
	s_add_i32 s33, s33, 1
	v_cmp_ge_i32_e32 vcc, s33, v62
	s_cbranch_vccnz .LBB45_51
.LBB45_7:                               ; =>This Loop Header: Depth=1
                                        ;     Child Loop BB45_13 Depth 2
                                        ;       Child Loop BB45_15 Depth 3
                                        ;       Child Loop BB45_18 Depth 3
	;; [unrolled: 1-line block ×3, first 2 shown]
                                        ;     Child Loop BB45_38 Depth 2
                                        ;       Child Loop BB45_40 Depth 3
                                        ;     Child Loop BB45_48 Depth 2
                                        ;       Child Loop BB45_50 Depth 3
	s_abs_i32 s1, s33
	s_mul_hi_u32 s2, s1, s34
	s_mul_i32 s3, s2, s20
	s_ashr_i32 s0, s33, 31
	s_sub_i32 s1, s1, s3
	s_xor_b32 s0, s0, s31
	s_add_i32 s3, s2, 1
	s_sub_i32 s4, s1, s20
	s_cmp_ge_u32 s1, s20
	s_cselect_b32 s2, s3, s2
	s_cselect_b32 s1, s4, s1
	s_add_i32 s3, s2, 1
	s_cmp_ge_u32 s1, s20
	s_cselect_b32 s1, s3, s2
	s_xor_b32 s1, s1, s0
	s_sub_i32 s0, s1, s0
	s_abs_i32 s2, s0
	s_mul_i32 s1, s0, s11
	s_mul_hi_u32 s3, s2, s36
	s_sub_i32 s1, s33, s1
	s_mul_i32 s4, s3, s98
	s_lshl_b32 s52, s1, 5
	s_ashr_i32 s1, s0, 31
	s_sub_i32 s2, s2, s4
	s_xor_b32 s1, s1, s35
	s_add_i32 s4, s3, 1
	s_sub_i32 s5, s2, s98
	s_cmp_ge_u32 s2, s98
	s_cselect_b32 s3, s4, s3
	s_cselect_b32 s2, s5, s2
	s_add_i32 s4, s3, 1
	s_cmp_ge_u32 s2, s98
	s_cselect_b32 s2, s4, s3
	s_xor_b32 s2, s2, s1
	s_sub_i32 s1, s2, s1
	s_mul_i32 s2, s1, s13
	s_lshl_b32 s37, s2, 6
	s_cmp_eq_u32 s1, s26
	s_cselect_b32 s99, s27, s13
	s_sub_i32 s2, s52, s16
	s_add_i32 s53, s2, 32
	s_and_saveexec_b64 s[2:3], s[24:25]
	s_xor_b64 s[38:39], exec, s[2:3]
	s_cbranch_execz .LBB45_44
; %bb.8:                                ;   in Loop: Header=BB45_7 Depth=1
	s_mul_i32 s1, s1, s12
	s_sub_i32 s0, s0, s1
	s_lshl_b32 s0, s0, 6
	s_sub_i32 s90, s0, s17
	s_add_i32 s90, s90, 64
	s_max_i32 s1, s90, 0
	s_sub_i32 s54, s0, s1
	s_and_saveexec_b64 s[0:1], s[14:15]
	s_xor_b64 s[4:5], exec, s[0:1]
	s_cbranch_execz .LBB45_34
; %bb.9:                                ;   in Loop: Header=BB45_7 Depth=1
	s_and_saveexec_b64 s[2:3], s[28:29]
	s_cbranch_execz .LBB45_33
; %bb.10:                               ;   in Loop: Header=BB45_7 Depth=1
	global_load_dword v90, v33, s[50:51]
	v_writelane_b32 v100, s2, 24
	v_mov_b32_e32 v31, 0
	v_cmp_gt_i32_e32 vcc, s99, v89
	v_writelane_b32 v100, s3, 25
	v_writelane_b32 v100, s4, 26
	v_mov_b32_e32 v30, v31
	v_mov_b32_e32 v29, v31
	;; [unrolled: 1-line block ×12, first 2 shown]
	s_waitcnt lgkmcnt(1)
	v_mov_b32_e32 v18, v31
	v_mov_b32_e32 v17, v31
	;; [unrolled: 1-line block ×19, first 2 shown]
	v_writelane_b32 v100, s5, 27
	s_and_saveexec_b64 s[0:1], vcc
	s_cbranch_execz .LBB45_23
; %bb.11:                               ;   in Loop: Header=BB45_7 Depth=1
	v_mov_b32_e32 v0, 0
	s_mov_b64 s[2:3], 0
	v_mov_b32_e32 v1, v0
	v_mov_b32_e32 v2, v0
	;; [unrolled: 1-line block ×31, first 2 shown]
	s_branch .LBB45_13
.LBB45_12:                              ;   in Loop: Header=BB45_13 Depth=2
	s_or_b64 exec, exec, s[4:5]
	v_add_u32_e32 v96, v66, v94
	v_add_u32_e32 v97, 0x800, v96
	ds_read2_b32 v[94:95], v97 offset1:32
	v_add_u32_e32 v89, s23, v89
	v_cmp_le_i32_e32 vcc, s99, v89
	s_or_b64 s[2:3], vcc, s[2:3]
	ds_write_b32 v92, v93 offset:12300
	s_waitcnt lgkmcnt(1)
	v_mfma_f32_32x32x16_fp8_fp8 v[0:15], v[58:59], v[94:95], v[0:15]
	ds_read2_b32 v[58:59], v97 offset0:128 offset1:160
	s_waitcnt lgkmcnt(0)
	v_mfma_f32_32x32x16_fp8_fp8 v[0:15], v[56:57], v[58:59], v[0:15]
	v_add_u32_e32 v58, 0xc00, v96
	ds_read2_b32 v[56:57], v58 offset1:32
	s_waitcnt lgkmcnt(0)
	v_mfma_f32_32x32x16_fp8_fp8 v[0:15], v[54:55], v[56:57], v[0:15]
	ds_read2_b32 v[54:55], v58 offset0:128 offset1:160
	s_waitcnt lgkmcnt(0)
	v_mfma_f32_32x32x16_fp8_fp8 v[0:15], v[60:61], v[54:55], v[0:15]
	v_add_u32_e32 v54, s23, v91
	v_add_u32_e32 v55, 2, v63
	v_cmp_lt_i32_e32 vcc, 1, v54
	s_nop 1
	v_cndmask_b32_e32 v63, v63, v55, vcc
	s_andn2_b64 exec, exec, s[2:3]
	s_cbranch_execz .LBB45_22
.LBB45_13:                              ;   Parent Loop BB45_7 Depth=1
                                        ; =>  This Loop Header: Depth=2
                                        ;       Child Loop BB45_15 Depth 3
                                        ;       Child Loop BB45_18 Depth 3
	;; [unrolled: 1-line block ×3, first 2 shown]
	v_cmp_gt_i32_e32 vcc, 2, v54
	s_nop 1
	v_cndmask_b32_e64 v55, -2, 0, vcc
	v_add_u32_e32 v91, v55, v54
	v_lshlrev_b32_e32 v92, 4, v91
	ds_read_b32 v54, v92 offset:12288
	s_waitcnt lgkmcnt(0)
	v_cmp_ne_u32_e32 vcc, v54, v63
	s_and_saveexec_b64 s[4:5], vcc
	s_cbranch_execz .LBB45_16
; %bb.14:                               ;   in Loop: Header=BB45_13 Depth=2
	s_mov_b64 s[6:7], 0
.LBB45_15:                              ;   Parent Loop BB45_7 Depth=1
                                        ;     Parent Loop BB45_13 Depth=2
                                        ; =>    This Inner Loop Header: Depth=3
	;;#ASMSTART
	s_sleep 0
	;;#ASMEND
	ds_read_b32 v54, v92 offset:12288
	s_waitcnt lgkmcnt(0)
	v_cmp_eq_u32_e32 vcc, v54, v63
	s_or_b64 s[6:7], vcc, s[6:7]
	s_andn2_b64 exec, exec, s[6:7]
	s_cbranch_execnz .LBB45_15
.LBB45_16:                              ;   in Loop: Header=BB45_13 Depth=2
	s_or_b64 exec, exec, s[4:5]
	v_lshl_add_u32 v54, v91, 11, v65
	v_add_u32_e32 v60, 0x400, v54
	ds_read2_b32 v[58:59], v54 offset1:32
	ds_read2_b32 v[56:57], v54 offset0:128 offset1:160
	ds_read2_b32 v[54:55], v60 offset1:32
	ds_read_b32 v94, v92 offset:12292
	ds_read2_b32 v[60:61], v60 offset0:128 offset1:160
	v_add_u32_e32 v93, 1, v63
	ds_write_b32 v92, v93 offset:12288
	s_waitcnt lgkmcnt(2)
	v_cmp_ne_u32_e32 vcc, v94, v63
	s_and_saveexec_b64 s[4:5], vcc
	s_cbranch_execz .LBB45_19
; %bb.17:                               ;   in Loop: Header=BB45_13 Depth=2
	s_mov_b64 s[6:7], 0
.LBB45_18:                              ;   Parent Loop BB45_7 Depth=1
                                        ;     Parent Loop BB45_13 Depth=2
                                        ; =>    This Inner Loop Header: Depth=3
	;;#ASMSTART
	s_sleep 0
	;;#ASMEND
	ds_read_b32 v94, v92 offset:12292
	s_waitcnt lgkmcnt(0)
	v_cmp_eq_u32_e32 vcc, v94, v63
	s_or_b64 s[6:7], vcc, s[6:7]
	s_andn2_b64 exec, exec, s[6:7]
	s_cbranch_execnz .LBB45_18
.LBB45_19:                              ;   in Loop: Header=BB45_13 Depth=2
	s_or_b64 exec, exec, s[4:5]
	v_lshlrev_b32_e32 v94, 12, v91
	v_or_b32_e32 v95, v66, v94
	ds_read2_b32 v[96:97], v95 offset1:32
	ds_write_b32 v92, v93 offset:12292
	s_waitcnt lgkmcnt(1)
	v_mfma_f32_32x32x16_fp8_fp8 v[16:31], v[58:59], v[96:97], v[16:31]
	ds_read2_b32 v[96:97], v95 offset0:128 offset1:160
	v_add_u32_e32 v95, 0x400, v95
	s_waitcnt lgkmcnt(0)
	v_mfma_f32_32x32x16_fp8_fp8 v[16:31], v[56:57], v[96:97], v[16:31]
	ds_read2_b32 v[96:97], v95 offset1:32
	s_waitcnt lgkmcnt(0)
	v_mfma_f32_32x32x16_fp8_fp8 v[16:31], v[54:55], v[96:97], v[16:31]
	ds_read2_b32 v[96:97], v95 offset0:128 offset1:160
	ds_read_b32 v95, v92 offset:12300
	s_waitcnt lgkmcnt(0)
	v_cmp_ne_u32_e32 vcc, v95, v63
	v_mfma_f32_32x32x16_fp8_fp8 v[16:31], v[60:61], v[96:97], v[16:31]
	s_and_saveexec_b64 s[4:5], vcc
	s_cbranch_execz .LBB45_12
; %bb.20:                               ;   in Loop: Header=BB45_13 Depth=2
	s_mov_b64 s[6:7], 0
.LBB45_21:                              ;   Parent Loop BB45_7 Depth=1
                                        ;     Parent Loop BB45_13 Depth=2
                                        ; =>    This Inner Loop Header: Depth=3
	;;#ASMSTART
	s_sleep 0
	;;#ASMEND
	ds_read_b32 v95, v92 offset:12300
	s_waitcnt lgkmcnt(0)
	v_cmp_eq_u32_e32 vcc, v95, v63
	s_or_b64 s[6:7], vcc, s[6:7]
	s_andn2_b64 exec, exec, s[6:7]
	s_cbranch_execnz .LBB45_21
	s_branch .LBB45_12
.LBB45_22:                              ;   in Loop: Header=BB45_7 Depth=1
	s_or_b64 exec, exec, s[2:3]
.LBB45_23:                              ;   in Loop: Header=BB45_7 Depth=1
	v_writelane_b32 v100, s54, 28
	s_nop 1
	v_writelane_b32 v100, s55, 29
	v_writelane_b32 v100, s38, 30
	s_nop 1
	v_writelane_b32 v100, s39, 31
	v_writelane_b32 v100, s53, 32
	;; [unrolled: 1-line block ×4, first 2 shown]
	s_or_b64 exec, exec, s[0:1]
	v_cmp_le_i32_e32 vcc, s90, v64
	v_cmp_eq_u32_e64 s[86:87], 1, v67
	v_cmp_eq_u32_e64 s[50:51], 2, v67
	s_waitcnt vmcnt(0)
	v_cndmask_b32_e32 v56, 0, v90, vcc
	v_pk_mul_f32 v[16:17], v[56:57], v[16:17] op_sel_hi:[0,1]
	v_pk_mul_f32 v[18:19], v[56:57], v[18:19] op_sel_hi:[0,1]
	v_cndmask_b32_e64 v55, v16, v17, s[86:87]
	v_cndmask_b32_e64 v55, v55, v18, s[50:51]
	v_cmp_eq_u32_e64 s[52:53], 3, v67
	v_pk_mul_f32 v[20:21], v[56:57], v[20:21] op_sel_hi:[0,1]
	v_cmp_eq_u32_e64 s[56:57], 4, v67
	v_cndmask_b32_e64 v55, v55, v19, s[52:53]
	v_cmp_eq_u32_e64 s[60:61], 5, v67
	v_cndmask_b32_e64 v55, v55, v20, s[56:57]
	v_pk_mul_f32 v[22:23], v[56:57], v[22:23] op_sel_hi:[0,1]
	v_cndmask_b32_e64 v55, v55, v21, s[60:61]
	v_cmp_eq_u32_e64 s[64:65], 6, v67
	v_cmp_eq_u32_e64 s[68:69], 7, v67
	v_pk_mul_f32 v[24:25], v[56:57], v[24:25] op_sel_hi:[0,1]
	v_cndmask_b32_e64 v55, v55, v22, s[64:65]
	v_cndmask_b32_e64 v55, v55, v23, s[68:69]
	v_cmp_eq_u32_e64 s[72:73], 8, v67
	v_cmp_eq_u32_e64 s[74:75], 9, v67
	v_pk_mul_f32 v[26:27], v[56:57], v[26:27] op_sel_hi:[0,1]
	v_cndmask_b32_e64 v55, v55, v24, s[72:73]
	;; [unrolled: 5-line block ×4, first 2 shown]
	v_cndmask_b32_e64 v55, v55, v29, s[82:83]
	v_cmp_eq_u32_e64 s[84:85], 14, v67
	v_cmp_eq_u32_e64 s[88:89], 15, v67
	;; [unrolled: 1-line block ×3, first 2 shown]
	v_cndmask_b32_e64 v55, v55, v30, s[84:85]
	v_cndmask_b32_e64 v55, v55, v31, s[88:89]
	ds_bpermute_b32 v55, v88, v55
	v_cmp_eq_u32_e64 s[24:25], 1, v68
	v_cmp_eq_u32_e64 s[26:27], 2, v68
	v_cmp_eq_u32_e64 s[28:29], 3, v68
	v_cmp_eq_u32_e64 s[30:31], 4, v68
	s_waitcnt lgkmcnt(0)
	v_cndmask_b32_e64 v17, v17, v55, s[86:87]
	v_cndmask_b32_e64 v16, v16, v55, s[70:71]
	;; [unrolled: 1-line block ×10, first 2 shown]
	v_cmp_eq_u32_e64 s[34:35], 5, v68
	v_cndmask_b32_e64 v58, v22, v55, s[64:65]
	v_cmp_eq_u32_e64 s[36:37], 6, v68
	v_cndmask_b32_e64 v18, v18, v59, s[34:35]
	v_cndmask_b32_e64 v57, v23, v55, s[68:69]
	v_cndmask_b32_e64 v18, v18, v58, s[36:37]
	v_cmp_eq_u32_e64 s[38:39], 7, v68
	v_cndmask_b32_e64 v56, v24, v55, s[72:73]
	v_cmp_eq_u32_e64 s[42:43], 8, v68
	v_cndmask_b32_e64 v18, v18, v57, s[38:39]
	v_cndmask_b32_e64 v25, v25, v55, s[74:75]
	v_cndmask_b32_e64 v18, v18, v56, s[42:43]
	;; [unrolled: 6-line block ×5, first 2 shown]
	v_cmp_eq_u32_e64 s[66:67], 15, v68
	v_cmp_le_i32_e64 s[90:91], s90, v75
	v_cmp_eq_u32_e64 s[40:41], 0, v68
	v_cndmask_b32_e64 v18, v18, v31, s[66:67]
	ds_bpermute_b32 v55, v88, v18
	v_cmp_eq_u32_e64 s[2:3], 1, v69
	v_cmp_eq_u32_e64 s[6:7], 2, v69
	;; [unrolled: 1-line block ×4, first 2 shown]
	s_waitcnt lgkmcnt(0)
	v_cndmask_b32_e64 v24, v25, v55, s[44:45]
	v_cndmask_b32_e64 v25, v56, v55, s[42:43]
	;; [unrolled: 1-line block ×3, first 2 shown]
	v_pk_mul_f32 v[0:1], v[56:57], v[0:1] op_sel_hi:[0,1]
	v_pk_mul_f32 v[14:15], v[56:57], v[14:15] op_sel_hi:[0,1]
	;; [unrolled: 1-line block ×8, first 2 shown]
	v_cndmask_b32_e64 v56, v0, v1, s[86:87]
	v_cndmask_b32_e64 v56, v56, v2, s[50:51]
	;; [unrolled: 1-line block ×32, first 2 shown]
	v_cmp_eq_u32_e64 s[12:13], 5, v69
	v_cndmask_b32_e64 v56, v56, v15, s[88:89]
	v_cmp_eq_u32_e64 s[14:15], 6, v69
	v_cndmask_b32_e64 v55, v55, v28, s[12:13]
	ds_bpermute_b32 v56, v88, v56
	v_cndmask_b32_e64 v55, v55, v27, s[14:15]
	v_cmp_eq_u32_e64 s[96:97], 7, v69
	v_cmp_eq_u32_e64 s[4:5], 8, v69
	v_cmp_eq_u32_e32 vcc, 9, v69
	v_cndmask_b32_e64 v55, v55, v26, s[96:97]
	v_cndmask_b32_e64 v55, v55, v25, s[4:5]
	v_cndmask_b32_e32 v55, v55, v24, vcc
	v_cmp_eq_u32_e64 s[0:1], 10, v69
	v_cmp_eq_u32_e64 s[86:87], 11, v69
	s_waitcnt lgkmcnt(0)
	v_cndmask_b32_e64 v2, v2, v56, s[50:51]
	v_cndmask_b32_e64 v55, v55, v23, s[0:1]
	v_cmp_ne_u32_e64 s[50:51], 0, v67
	v_cndmask_b32_e64 v55, v55, v22, s[86:87]
	v_cmp_eq_u32_e64 s[90:91], 12, v69
	v_cndmask_b32_e64 v1, v1, v56, s[50:51]
	v_cndmask_b32_e64 v0, v0, v56, s[70:71]
	;; [unrolled: 1-line block ×4, first 2 shown]
	v_cmp_eq_u32_e64 s[88:89], 13, v69
	v_cndmask_b32_e64 v14, v14, v56, s[84:85]
	v_cndmask_b32_e64 v13, v13, v56, s[82:83]
	;; [unrolled: 1-line block ×14, first 2 shown]
	v_cmp_eq_u32_e64 s[84:85], 14, v69
	v_cndmask_b32_e64 v56, v56, v2, s[26:27]
	v_cmp_eq_u32_e64 s[82:83], 15, v69
	v_cndmask_b32_e64 v55, v55, v19, s[84:85]
	v_cndmask_b32_e64 v56, v56, v3, s[28:29]
	;; [unrolled: 1-line block ×4, first 2 shown]
	ds_bpermute_b32 v55, v88, v55
	v_cndmask_b32_e64 v56, v56, v5, s[34:35]
	v_cndmask_b32_e64 v56, v56, v6, s[36:37]
	;; [unrolled: 1-line block ×4, first 2 shown]
	v_cmp_eq_u32_e64 s[80:81], 0, v69
	v_cndmask_b32_e64 v56, v56, v9, s[44:45]
	s_waitcnt lgkmcnt(0)
	v_cndmask_b32_e64 v17, v17, v55, s[2:3]
	v_cndmask_b32_e64 v16, v16, v55, s[80:81]
	v_cmp_eq_u32_e64 s[78:79], 1, v70
	v_cndmask_b32_e64 v56, v56, v10, s[46:47]
	v_cndmask_b32_e64 v18, v18, v55, s[82:83]
	;; [unrolled: 1-line block ×7, first 2 shown]
	v_cndmask_b32_e32 v24, v24, v55, vcc
	v_cndmask_b32_e64 v25, v25, v55, s[4:5]
	v_cndmask_b32_e64 v26, v26, v55, s[96:97]
	v_cndmask_b32_e64 v27, v27, v55, s[14:15]
	v_cndmask_b32_e64 v28, v28, v55, s[12:13]
	v_cndmask_b32_e64 v29, v29, v55, s[10:11]
	v_cndmask_b32_e64 v30, v30, v55, s[8:9]
	v_cndmask_b32_e64 v31, v31, v55, s[6:7]
	v_cndmask_b32_e64 v55, v16, v17, s[78:79]
	v_cmp_eq_u32_e64 s[76:77], 2, v70
	v_cndmask_b32_e64 v56, v56, v11, s[48:49]
	v_cmp_eq_u32_e64 s[74:75], 3, v70
	v_cndmask_b32_e64 v55, v55, v31, s[76:77]
	v_cndmask_b32_e64 v56, v56, v12, s[54:55]
	;; [unrolled: 1-line block ×3, first 2 shown]
	v_cmp_eq_u32_e64 s[72:73], 4, v70
	v_cndmask_b32_e64 v56, v56, v13, s[58:59]
	v_cmp_eq_u32_e64 s[68:69], 5, v70
	v_cndmask_b32_e64 v55, v55, v29, s[72:73]
	v_cndmask_b32_e64 v56, v56, v14, s[62:63]
	;; [unrolled: 1-line block ×3, first 2 shown]
	v_cmp_eq_u32_e64 s[64:65], 6, v70
	v_cndmask_b32_e64 v56, v56, v15, s[66:67]
	v_cmp_eq_u32_e64 s[60:61], 7, v70
	v_cndmask_b32_e64 v55, v55, v27, s[64:65]
	ds_bpermute_b32 v56, v88, v56
	v_cndmask_b32_e64 v55, v55, v26, s[60:61]
	v_cmp_eq_u32_e64 s[56:57], 8, v70
	v_cmp_eq_u32_e64 s[52:53], 9, v70
	;; [unrolled: 1-line block ×3, first 2 shown]
	v_cndmask_b32_e64 v55, v55, v25, s[56:57]
	v_cndmask_b32_e64 v55, v55, v24, s[52:53]
	;; [unrolled: 1-line block ×3, first 2 shown]
	v_cmp_eq_u32_e64 s[70:71], 11, v70
	s_waitcnt lgkmcnt(0)
	v_cndmask_b32_e64 v15, v15, v56, s[66:67]
	v_cmp_eq_u32_e64 s[66:67], 12, v70
	v_cndmask_b32_e64 v55, v55, v22, s[70:71]
	v_cndmask_b32_e64 v14, v14, v56, s[62:63]
	;; [unrolled: 1-line block ×3, first 2 shown]
	v_cmp_eq_u32_e64 s[62:63], 13, v70
	v_cndmask_b32_e64 v1, v1, v56, s[24:25]
	v_cndmask_b32_e64 v0, v0, v56, s[40:41]
	;; [unrolled: 1-line block ×4, first 2 shown]
	v_cmp_eq_u32_e64 s[92:93], 14, v70
	v_cndmask_b32_e64 v12, v12, v56, s[54:55]
	v_cndmask_b32_e64 v11, v11, v56, s[48:49]
	;; [unrolled: 1-line block ×13, first 2 shown]
	v_cmp_eq_u32_e64 s[94:95], 15, v70
	v_cndmask_b32_e64 v56, v56, v2, s[6:7]
	v_cndmask_b32_e64 v56, v56, v3, s[8:9]
	;; [unrolled: 1-line block ×3, first 2 shown]
	ds_bpermute_b32 v55, v88, v55
	v_cndmask_b32_e64 v56, v56, v4, s[10:11]
	v_cndmask_b32_e64 v56, v56, v5, s[12:13]
	;; [unrolled: 1-line block ×4, first 2 shown]
	v_cmp_eq_u32_e64 s[48:49], 0, v70
	v_cndmask_b32_e64 v56, v56, v8, s[4:5]
	s_waitcnt lgkmcnt(0)
	v_cndmask_b32_e64 v17, v17, v55, s[78:79]
	v_cndmask_b32_e64 v16, v16, v55, s[48:49]
	v_cmp_eq_u32_e64 s[46:47], 1, v71
	v_cndmask_b32_e32 v56, v56, v9, vcc
	v_cndmask_b32_e64 v18, v18, v55, s[94:95]
	v_cndmask_b32_e64 v19, v19, v55, s[92:93]
	;; [unrolled: 1-line block ×15, first 2 shown]
	v_cmp_eq_u32_e64 s[44:45], 2, v71
	v_cndmask_b32_e64 v56, v56, v10, s[0:1]
	v_cmp_eq_u32_e64 s[42:43], 3, v71
	v_cndmask_b32_e64 v55, v55, v31, s[44:45]
	v_cndmask_b32_e64 v56, v56, v11, s[86:87]
	v_cndmask_b32_e64 v55, v55, v30, s[42:43]
	v_cmp_eq_u32_e64 s[38:39], 4, v71
	v_cndmask_b32_e64 v56, v56, v12, s[90:91]
	v_cmp_eq_u32_e64 s[36:37], 5, v71
	v_cndmask_b32_e64 v55, v55, v29, s[38:39]
	v_cndmask_b32_e64 v56, v56, v13, s[88:89]
	v_cndmask_b32_e64 v55, v55, v28, s[36:37]
	v_cmp_eq_u32_e64 s[34:35], 6, v71
	v_cndmask_b32_e64 v56, v56, v14, s[84:85]
	v_cmp_eq_u32_e64 s[30:31], 7, v71
	v_cndmask_b32_e64 v55, v55, v27, s[34:35]
	v_cndmask_b32_e64 v56, v56, v15, s[82:83]
	v_cndmask_b32_e64 v55, v55, v26, s[30:31]
	v_cmp_eq_u32_e64 s[28:29], 8, v71
	ds_bpermute_b32 v56, v88, v56
	v_cmp_eq_u32_e64 s[26:27], 9, v71
	v_cndmask_b32_e64 v55, v55, v25, s[28:29]
	v_cmp_eq_u32_e64 s[24:25], 10, v71
	v_cndmask_b32_e64 v55, v55, v24, s[26:27]
	;; [unrolled: 2-line block ×4, first 2 shown]
	s_waitcnt lgkmcnt(0)
	v_cndmask_b32_e64 v15, v15, v56, s[82:83]
	v_cndmask_b32_e64 v55, v55, v21, s[58:59]
	v_cmp_eq_u32_e64 s[82:83], 13, v71
	v_cndmask_b32_e64 v14, v14, v56, s[84:85]
	v_cmp_eq_u32_e64 s[84:85], 14, v71
	v_cndmask_b32_e64 v55, v55, v20, s[82:83]
	v_cndmask_b32_e64 v1, v1, v56, s[2:3]
	;; [unrolled: 1-line block ×6, first 2 shown]
	v_cmp_eq_u32_e64 s[90:91], 15, v71
	v_cndmask_b32_e64 v11, v11, v56, s[86:87]
	v_cndmask_b32_e64 v10, v10, v56, s[0:1]
	v_cndmask_b32_e32 v9, v9, v56, vcc
	v_cndmask_b32_e64 v8, v8, v56, s[4:5]
	v_cndmask_b32_e64 v7, v7, v56, s[96:97]
	;; [unrolled: 1-line block ×10, first 2 shown]
	ds_bpermute_b32 v55, v88, v55
	v_cndmask_b32_e64 v56, v56, v3, s[74:75]
	v_cndmask_b32_e64 v56, v56, v4, s[72:73]
	;; [unrolled: 1-line block ×3, first 2 shown]
	v_cmp_eq_u32_e64 s[54:55], 0, v71
	v_cndmask_b32_e64 v56, v56, v6, s[64:65]
	v_cndmask_b32_e64 v56, v56, v7, s[60:61]
	v_writelane_b32 v100, s54, 35
	s_waitcnt lgkmcnt(0)
	v_cndmask_b32_e64 v17, v17, v55, s[46:47]
	v_cndmask_b32_e64 v56, v56, v8, s[56:57]
	v_writelane_b32 v100, s55, 36
	v_cndmask_b32_e64 v16, v16, v55, s[54:55]
	v_cmp_eq_u32_e64 s[54:55], 1, v72
	v_cndmask_b32_e64 v18, v18, v55, s[90:91]
	v_cndmask_b32_e64 v19, v19, v55, s[84:85]
	;; [unrolled: 1-line block ×15, first 2 shown]
	v_cmp_eq_u32_e64 s[0:1], 2, v72
	v_cndmask_b32_e64 v56, v56, v9, s[52:53]
	v_cmp_eq_u32_e64 s[4:5], 3, v72
	v_cndmask_b32_e64 v55, v55, v31, s[0:1]
	v_cndmask_b32_e64 v56, v56, v10, s[50:51]
	v_cndmask_b32_e64 v55, v55, v30, s[4:5]
	v_cmp_eq_u32_e64 s[96:97], 4, v72
	v_cndmask_b32_e64 v56, v56, v11, s[70:71]
	v_cmp_eq_u32_e64 s[14:15], 5, v72
	v_cndmask_b32_e64 v55, v55, v29, s[96:97]
	v_cndmask_b32_e64 v56, v56, v12, s[66:67]
	v_cndmask_b32_e64 v55, v55, v28, s[14:15]
	;; [unrolled: 6-line block ×3, first 2 shown]
	v_cmp_eq_u32_e64 s[8:9], 8, v72
	v_cndmask_b32_e64 v56, v56, v15, s[94:95]
	v_cmp_eq_u32_e64 s[6:7], 9, v72
	v_cndmask_b32_e64 v55, v55, v25, s[8:9]
	ds_bpermute_b32 v56, v88, v56
	v_cndmask_b32_e64 v55, v55, v24, s[6:7]
	v_cmp_eq_u32_e32 vcc, 10, v72
	v_cmp_eq_u32_e64 s[80:81], 11, v72
	v_cmp_eq_u32_e64 s[86:87], 12, v72
	v_cndmask_b32_e32 v55, v55, v23, vcc
	v_cndmask_b32_e64 v55, v55, v22, s[80:81]
	v_cndmask_b32_e64 v55, v55, v21, s[86:87]
	v_cmp_eq_u32_e64 s[88:89], 13, v72
	s_waitcnt lgkmcnt(0)
	v_cndmask_b32_e64 v13, v13, v56, s[62:63]
	v_cmp_eq_u32_e64 s[62:63], 14, v72
	v_cndmask_b32_e64 v55, v55, v20, s[88:89]
	v_cndmask_b32_e64 v12, v12, v56, s[66:67]
	v_cndmask_b32_e64 v55, v55, v19, s[62:63]
	v_cmp_eq_u32_e64 s[66:67], 15, v72
	v_cndmask_b32_e64 v57, v11, v56, s[70:71]
	v_cmp_eq_u32_e64 s[70:71], 0, v72
	v_cndmask_b32_e64 v55, v55, v18, s[66:67]
	ds_bpermute_b32 v55, v88, v55
	v_cndmask_b32_e64 v15, v15, v56, s[94:95]
	v_cndmask_b32_e64 v14, v14, v56, s[92:93]
	;; [unrolled: 1-line block ×4, first 2 shown]
	s_waitcnt lgkmcnt(0)
	v_cndmask_b32_e64 v18, v18, v55, s[66:67]
	v_cndmask_b32_e64 v19, v19, v55, s[62:63]
	;; [unrolled: 1-line block ×5, first 2 shown]
	v_cndmask_b32_e32 v23, v23, v55, vcc
	v_cndmask_b32_e64 v24, v24, v55, s[6:7]
	v_cndmask_b32_e64 v25, v25, v55, s[8:9]
	v_cndmask_b32_e64 v26, v26, v55, s[10:11]
	v_cndmask_b32_e64 v27, v27, v55, s[12:13]
	v_cndmask_b32_e64 v28, v28, v55, s[14:15]
	v_cndmask_b32_e64 v29, v29, v55, s[96:97]
	v_cndmask_b32_e64 v30, v30, v55, s[4:5]
	v_cndmask_b32_e64 v31, v31, v55, s[0:1]
	v_cndmask_b32_e64 v17, v17, v55, s[54:55]
	v_cndmask_b32_e64 v16, v16, v55, s[70:71]
	v_cndmask_b32_e64 v55, v10, v56, s[50:51]
	v_cndmask_b32_e64 v60, v7, v56, s[60:61]
	v_cndmask_b32_e64 v61, v6, v56, s[64:65]
	v_cndmask_b32_e64 v90, v5, v56, s[68:69]
	v_cndmask_b32_e64 v91, v4, v56, s[72:73]
	v_cndmask_b32_e64 v92, v3, v56, s[74:75]
	v_cndmask_b32_e64 v93, v2, v56, s[76:77]
	v_cndmask_b32_e64 v94, v1, v56, s[78:79]
	v_cndmask_b32_e64 v56, v0, v56, s[48:49]
	v_cndmask_b32_e64 v0, v56, v94, s[46:47]
	v_cndmask_b32_e64 v0, v0, v93, s[44:45]
	v_cndmask_b32_e64 v0, v0, v92, s[42:43]
	v_cndmask_b32_e64 v0, v0, v91, s[38:39]
	v_cndmask_b32_e64 v0, v0, v90, s[36:37]
	v_cndmask_b32_e64 v0, v0, v61, s[34:35]
	v_cndmask_b32_e64 v0, v0, v60, s[30:31]
	v_cndmask_b32_e64 v0, v0, v59, s[28:29]
	v_cndmask_b32_e64 v0, v0, v58, s[26:27]
	v_cmp_eq_u32_e64 s[50:51], 1, v73
	v_cndmask_b32_e64 v0, v0, v55, s[24:25]
	v_cmp_eq_u32_e64 s[52:53], 2, v73
	v_cndmask_b32_e64 v10, v16, v17, s[50:51]
	v_cndmask_b32_e64 v0, v0, v57, s[40:41]
	v_cndmask_b32_e64 v9, v10, v31, s[52:53]
	v_cmp_eq_u32_e64 s[56:57], 3, v73
	v_cndmask_b32_e64 v0, v0, v12, s[58:59]
	v_cmp_eq_u32_e64 s[60:61], 4, v73
	v_cndmask_b32_e64 v8, v9, v30, s[56:57]
	v_cndmask_b32_e64 v0, v0, v13, s[82:83]
	v_cndmask_b32_e64 v7, v8, v29, s[60:61]
	;; [unrolled: 6-line block ×3, first 2 shown]
	v_cmp_eq_u32_e64 s[72:73], 7, v73
	ds_bpermute_b32 v95, v88, v0
	v_cmp_eq_u32_e64 s[74:75], 8, v73
	v_cndmask_b32_e64 v4, v5, v26, s[72:73]
	v_cmp_eq_u32_e64 s[76:77], 9, v73
	v_cndmask_b32_e64 v3, v4, v25, s[74:75]
	;; [unrolled: 2-line block ×4, first 2 shown]
	s_waitcnt lgkmcnt(0)
	v_cndmask_b32_e64 v96, v15, v95, s[90:91]
	v_cndmask_b32_e64 v0, v0, v22, s[78:79]
	v_cmp_eq_u32_e64 s[90:91], 12, v73
	v_cndmask_b32_e64 v97, v14, v95, s[84:85]
	v_cmp_eq_u32_e64 s[84:85], 13, v73
	v_cndmask_b32_e64 v0, v0, v21, s[90:91]
	v_cndmask_b32_e64 v98, v13, v95, s[82:83]
	;; [unrolled: 1-line block ×3, first 2 shown]
	v_cmp_eq_u32_e64 s[82:83], 14, v73
	v_cndmask_b32_e64 v99, v12, v95, s[58:59]
	v_cmp_eq_u32_e64 s[58:59], 15, v73
	v_cndmask_b32_e64 v0, v0, v19, s[82:83]
	v_readlane_b32 s2, v100, 35
	v_cndmask_b32_e64 v0, v0, v18, s[58:59]
	ds_bpermute_b32 v1, v88, v0
	v_readlane_b32 s3, v100, 36
	s_waitcnt lgkmcnt(0)
	v_cndmask_b32_e64 v11, v27, v1, s[68:69]
	v_cndmask_b32_e64 v12, v28, v1, s[64:65]
	;; [unrolled: 1-line block ×4, first 2 shown]
	s_mov_b64 s[2:3], s[54:55]
	v_cndmask_b32_e64 v10, v26, v1, s[72:73]
	v_cndmask_b32_e64 v13, v29, v1, s[60:61]
	v_cndmask_b32_e64 v26, v93, v95, s[44:45]
	v_cndmask_b32_e64 v29, v28, v27, s[2:3]
	v_cndmask_b32_e64 v9, v25, v1, s[74:75]
	v_cndmask_b32_e64 v25, v92, v95, s[42:43]
	v_cndmask_b32_e64 v29, v29, v26, s[0:1]
	v_cndmask_b32_e64 v8, v24, v1, s[76:77]
	v_cndmask_b32_e64 v24, v91, v95, s[38:39]
	v_cndmask_b32_e64 v29, v29, v25, s[4:5]
	v_cndmask_b32_e64 v7, v23, v1, s[48:49]
	v_cndmask_b32_e64 v23, v90, v95, s[36:37]
	v_cndmask_b32_e64 v29, v29, v24, s[96:97]
	v_cndmask_b32_e64 v6, v22, v1, s[78:79]
	v_cndmask_b32_e64 v22, v61, v95, s[34:35]
	v_cndmask_b32_e64 v29, v29, v23, s[14:15]
	v_cndmask_b32_e64 v5, v21, v1, s[90:91]
	v_cndmask_b32_e64 v21, v60, v95, s[30:31]
	v_cndmask_b32_e64 v29, v29, v22, s[12:13]
	v_cndmask_b32_e64 v4, v20, v1, s[84:85]
	v_cndmask_b32_e64 v20, v59, v95, s[28:29]
	v_cndmask_b32_e64 v29, v29, v21, s[10:11]
	v_cndmask_b32_e64 v3, v19, v1, s[82:83]
	v_cndmask_b32_e64 v0, v17, v1, s[50:51]
	v_cndmask_b32_e64 v17, v57, v95, s[40:41]
	v_cmp_eq_u32_e64 s[40:41], 0, v73
	v_cndmask_b32_e64 v19, v58, v95, s[26:27]
	v_cndmask_b32_e64 v29, v29, v20, s[8:9]
	;; [unrolled: 1-line block ×8, first 2 shown]
	v_cndmask_b32_e32 v29, v29, v16, vcc
	v_cndmask_b32_e64 v29, v29, v17, s[80:81]
	v_cndmask_b32_e64 v29, v29, v99, s[86:87]
	;; [unrolled: 1-line block ×5, first 2 shown]
	ds_bpermute_b32 v29, v88, v29
	v_cmp_eq_u32_e64 s[24:25], 1, v74
	v_cmp_eq_u32_e64 s[26:27], 2, v74
	;; [unrolled: 1-line block ×3, first 2 shown]
	v_cndmask_b32_e64 v18, v1, v0, s[24:25]
	s_waitcnt lgkmcnt(0)
	v_cndmask_b32_e64 v93, v27, v29, s[2:3]
	v_cndmask_b32_e64 v94, v28, v29, s[70:71]
	;; [unrolled: 1-line block ×18, first 2 shown]
	v_cndmask_b32_e32 v16, v16, v29, vcc
	v_cndmask_b32_e64 v19, v19, v57, s[76:77]
	v_cndmask_b32_e64 v17, v17, v29, s[80:81]
	;; [unrolled: 1-line block ×12, first 2 shown]
	ds_bpermute_b32 v95, v88, v19
	v_cndmask_b32_e64 v18, v18, v15, s[26:27]
	v_cndmask_b32_e64 v18, v18, v14, s[28:29]
	v_cmp_eq_u32_e64 s[30:31], 4, v74
	v_cmp_eq_u32_e64 s[34:35], 5, v74
	s_waitcnt lgkmcnt(0)
	v_cndmask_b32_e64 v23, v17, v95, s[78:79]
	v_cndmask_b32_e64 v24, v16, v95, s[48:49]
	;; [unrolled: 1-line block ×18, first 2 shown]
	v_cmp_eq_u32_e64 s[36:37], 6, v74
	v_cndmask_b32_e64 v28, v60, v95, s[68:69]
	v_cndmask_b32_e64 v56, v56, v29, s[34:35]
	v_cndmask_b32_e64 v18, v18, v11, s[36:37]
	v_cmp_eq_u32_e64 s[38:39], 7, v74
	v_cndmask_b32_e64 v27, v59, v95, s[72:73]
	v_cndmask_b32_e64 v56, v56, v28, s[36:37]
	v_cndmask_b32_e64 v18, v18, v10, s[38:39]
	v_cmp_eq_u32_e64 s[42:43], 8, v74
	v_cndmask_b32_e64 v26, v58, v95, s[74:75]
	v_cndmask_b32_e64 v56, v56, v27, s[38:39]
	v_cndmask_b32_e64 v18, v18, v9, s[42:43]
	v_cmp_eq_u32_e64 s[44:45], 9, v74
	v_cndmask_b32_e64 v25, v57, v95, s[76:77]
	v_cndmask_b32_e64 v56, v56, v26, s[42:43]
	v_cndmask_b32_e64 v18, v18, v8, s[44:45]
	v_cmp_eq_u32_e64 s[46:47], 10, v74
	v_cndmask_b32_e64 v56, v56, v25, s[44:45]
	v_cmp_eq_u32_e64 s[54:55], 11, v74
	v_cndmask_b32_e64 v18, v18, v7, s[46:47]
	v_cndmask_b32_e64 v56, v56, v24, s[46:47]
	;; [unrolled: 1-line block ×3, first 2 shown]
	v_cmp_eq_u32_e64 s[66:67], 12, v74
	v_cndmask_b32_e64 v56, v56, v23, s[54:55]
	v_cmp_eq_u32_e64 s[62:63], 13, v74
	v_cndmask_b32_e64 v18, v18, v5, s[66:67]
	v_cndmask_b32_e64 v56, v56, v22, s[66:67]
	;; [unrolled: 1-line block ×3, first 2 shown]
	v_cmp_eq_u32_e32 vcc, 14, v74
	v_cndmask_b32_e64 v56, v56, v21, s[62:63]
	v_cmp_eq_u32_e64 s[6:7], 15, v74
	v_cndmask_b32_e32 v18, v18, v3, vcc
	v_cndmask_b32_e32 v56, v56, v20, vcc
	v_cndmask_b32_e64 v18, v18, v2, s[6:7]
	v_cndmask_b32_e64 v56, v56, v19, s[6:7]
	ds_bpermute_b32 v18, v88, v18
	ds_bpermute_b32 v58, v88, v56
	v_readlane_b32 s53, v100, 32
	s_nop 1
	v_cmp_lt_i32_e32 vcc, s53, v76
	s_and_saveexec_b64 s[40:41], vcc
	v_readlane_b32 s44, v100, 2
	v_readlane_b32 s45, v100, 3
	;; [unrolled: 1-line block ×11, first 2 shown]
	s_cbranch_execz .LBB45_32
; %bb.24:                               ;   in Loop: Header=BB45_7 Depth=1
	s_mul_i32 s0, s52, s17
	s_ashr_i32 s1, s0, 31
	s_lshl_b64 s[0:1], s[0:1], 1
	s_add_u32 s2, s48, s0
	v_cmp_eq_u32_e64 s[34:35], 1, v74
	v_cmp_eq_u32_e64 s[36:37], 0, v74
	s_addc_u32 s3, s49, s1
	s_ashr_i32 s55, s54, 31
	s_waitcnt lgkmcnt(1)
	v_cndmask_b32_e64 v56, v0, v18, s[34:35]
	v_cndmask_b32_e64 v57, v1, v18, s[36:37]
	s_lshl_b64 s[0:1], s[54:55], 1
	s_waitcnt lgkmcnt(0)
	v_cndmask_b32_e64 v59, v16, v58, s[34:35]
	v_cndmask_b32_e64 v60, v17, v58, s[36:37]
	v_cvt_f16_f32_e32 v57, v57
	v_cvt_f16_f32_sdwa v56, v56 dst_sel:WORD_1 dst_unused:UNUSED_PAD src0_sel:DWORD
	s_add_u32 s42, s2, s0
	v_cvt_f16_f32_e32 v60, v60
	v_cvt_f16_f32_sdwa v59, v59 dst_sel:WORD_1 dst_unused:UNUSED_PAD src0_sel:DWORD
	s_addc_u32 s43, s3, s1
	v_lshl_add_u64 v[0:1], s[42:43], 0, v[32:33]
	v_cmp_eq_u32_e32 vcc, 15, v74
	v_cmp_eq_u32_e64 s[6:7], 14, v74
	v_cmp_eq_u32_e64 s[8:9], 13, v74
	;; [unrolled: 1-line block ×13, first 2 shown]
	v_lshl_add_u64 v[16:17], v[34:35], 1, v[0:1]
	v_or_b32_e32 v56, v56, v57
	v_cmp_lt_i32_e64 s[34:35], s53, v77
	;;#ASMSTART
	global_atomic_pk_add_f16 v[16:17], v56, off
	
	;;#ASMEND
	v_lshl_add_u64 v[16:17], v[16:17], 0, 64
	v_or_b32_e32 v56, v59, v60
	;;#ASMSTART
	global_atomic_pk_add_f16 v[16:17], v56, off
	
	;;#ASMEND
	s_and_b64 exec, exec, s[34:35]
	s_cbranch_execz .LBB45_32
; %bb.25:                               ;   in Loop: Header=BB45_7 Depth=1
	v_cndmask_b32_e32 v2, v2, v18, vcc
	v_cndmask_b32_e64 v3, v3, v18, s[6:7]
	v_cndmask_b32_e64 v16, v4, v18, s[8:9]
	;; [unrolled: 1-line block ×19, first 2 shown]
	v_cvt_f16_f32_e32 v22, v18
	v_cvt_f16_f32_sdwa v23, v93 dst_sel:WORD_1 dst_unused:UNUSED_PAD src0_sel:DWORD
	v_cvt_f16_f32_e32 v21, v21
	v_cvt_f16_f32_sdwa v20, v20 dst_sel:WORD_1 dst_unused:UNUSED_PAD src0_sel:DWORD
	v_cndmask_b32_e32 v4, v19, v58, vcc
	v_cndmask_b32_e64 v9, v24, v58, s[14:15]
	v_cndmask_b32_e64 v10, v25, v58, s[0:1]
	;; [unrolled: 1-line block ×7, first 2 shown]
	v_lshl_add_u64 v[18:19], v[36:37], 1, v[0:1]
	v_cmp_lt_i32_e32 vcc, s53, v78
	v_or_b32_e32 v22, v23, v22
	;;#ASMSTART
	global_atomic_pk_add_f16 v[18:19], v22, off
	
	;;#ASMEND
	v_lshl_add_u64 v[18:19], v[18:19], 0, 64
	v_or_b32_e32 v20, v20, v21
	;;#ASMSTART
	global_atomic_pk_add_f16 v[18:19], v20, off
	
	;;#ASMEND
	s_and_b64 exec, exec, vcc
	s_cbranch_execz .LBB45_32
; %bb.26:                               ;   in Loop: Header=BB45_7 Depth=1
	v_cvt_f16_f32_e32 v20, v92
	v_cvt_f16_f32_sdwa v21, v91 dst_sel:WORD_1 dst_unused:UNUSED_PAD src0_sel:DWORD
	v_cvt_f16_f32_e32 v22, v15
	v_cvt_f16_f32_sdwa v23, v14 dst_sel:WORD_1 dst_unused:UNUSED_PAD src0_sel:DWORD
	v_lshl_add_u64 v[18:19], v[38:39], 1, v[0:1]
	v_or_b32_e32 v14, v21, v20
	v_cmp_lt_i32_e32 vcc, s53, v79
	;;#ASMSTART
	global_atomic_pk_add_f16 v[18:19], v14, off
	
	;;#ASMEND
	v_lshl_add_u64 v[14:15], v[18:19], 0, 64
	v_or_b32_e32 v18, v23, v22
	;;#ASMSTART
	global_atomic_pk_add_f16 v[14:15], v18, off
	
	;;#ASMEND
	s_and_b64 exec, exec, vcc
	s_cbranch_execz .LBB45_32
; %bb.27:                               ;   in Loop: Header=BB45_7 Depth=1
	v_cvt_f16_f32_e32 v18, v90
	v_cvt_f16_f32_sdwa v19, v61 dst_sel:WORD_1 dst_unused:UNUSED_PAD src0_sel:DWORD
	v_cvt_f16_f32_e32 v20, v13
	v_cvt_f16_f32_sdwa v21, v12 dst_sel:WORD_1 dst_unused:UNUSED_PAD src0_sel:DWORD
	v_lshl_add_u64 v[14:15], v[40:41], 1, v[0:1]
	v_or_b32_e32 v12, v19, v18
	v_cmp_lt_i32_e32 vcc, s53, v80
	;; [unrolled: 20-line block ×5, first 2 shown]
	;;#ASMSTART
	global_atomic_pk_add_f16 v[8:9], v6, off
	
	;;#ASMEND
	v_lshl_add_u64 v[6:7], v[8:9], 0, 64
	v_or_b32_e32 v8, v13, v12
	;;#ASMSTART
	global_atomic_pk_add_f16 v[6:7], v8, off
	
	;;#ASMEND
	s_and_b64 exec, exec, vcc
	s_cbranch_execz .LBB45_32
; %bb.31:                               ;   in Loop: Header=BB45_7 Depth=1
	v_cvt_f16_f32_e32 v3, v3
	v_cvt_f16_f32_sdwa v2, v2 dst_sel:WORD_1 dst_unused:UNUSED_PAD src0_sel:DWORD
	v_cvt_f16_f32_e32 v5, v5
	v_cvt_f16_f32_sdwa v4, v4 dst_sel:WORD_1 dst_unused:UNUSED_PAD src0_sel:DWORD
	v_lshl_add_u64 v[0:1], v[48:49], 1, v[0:1]
	v_or_b32_e32 v2, v2, v3
	;;#ASMSTART
	global_atomic_pk_add_f16 v[0:1], v2, off
	
	;;#ASMEND
	v_lshl_add_u64 v[0:1], v[0:1], 0, 64
	v_or_b32_e32 v2, v4, v5
	;;#ASMSTART
	global_atomic_pk_add_f16 v[0:1], v2, off
	
	;;#ASMEND
.LBB45_32:                              ;   in Loop: Header=BB45_7 Depth=1
	s_or_b64 exec, exec, s[40:41]
	v_readlane_b32 s14, v100, 10
	v_readlane_b32 s24, v100, 12
	v_readlane_b32 s28, v100, 17
	v_readlane_b32 s38, v100, 30
	v_readlane_b32 s4, v100, 26
	v_readlane_b32 s2, v100, 24
	v_subrev_u32_e32 v89, s99, v89
	v_readlane_b32 s11, v100, 0
	v_readlane_b32 s12, v100, 1
	;; [unrolled: 1-line block ×17, first 2 shown]
.LBB45_33:                              ;   in Loop: Header=BB45_7 Depth=1
	s_or_b64 exec, exec, s[2:3]
.LBB45_34:                              ;   in Loop: Header=BB45_7 Depth=1
	s_andn2_saveexec_b64 s[0:1], s[4:5]
	s_cbranch_execz .LBB45_43
; %bb.35:                               ;   in Loop: Header=BB45_7 Depth=1
	s_lshl_b32 s10, s99, 1
	v_cmp_gt_i32_e32 vcc, s10, v89
	s_and_saveexec_b64 s[2:3], vcc
	s_cbranch_execz .LBB45_42
; %bb.36:                               ;   in Loop: Header=BB45_7 Depth=1
	s_mul_i32 s4, s54, s19
	s_ashr_i32 s5, s4, 31
	s_add_u32 s4, s46, s4
	s_addc_u32 s5, s47, s5
	s_ashr_i32 s6, s37, 31
	s_add_u32 s4, s4, s37
	s_addc_u32 s5, s5, s6
	v_lshl_add_u64 v[0:1], s[4:5], 0, v[52:53]
	v_lshl_add_u64 v[8:9], v[0:1], 0, v[50:51]
	s_mov_b64 s[4:5], 0
	s_branch .LBB45_38
.LBB45_37:                              ;   in Loop: Header=BB45_38 Depth=2
	s_or_b64 exec, exec, s[6:7]
	v_lshl_or_b32 v12, v10, 11, v84
	;;#ASMSTART
	s_waitcnt vmcnt(1)
	;;#ASMEND
	ds_write2_b32 v12, v4, v5 offset1:32
	ds_write2_b32 v12, v6, v7 offset0:64 offset1:96
	v_add_u32_e32 v4, 0x400, v12
	v_add_u32_e32 v89, s22, v89
	;;#ASMSTART
	s_waitcnt vmcnt(0)
	;;#ASMEND
	ds_write2_b32 v4, v0, v1 offset1:32
	ds_write2_b32 v4, v2, v3 offset0:64 offset1:96
	v_add_u32_e32 v0, 1, v63
	v_add_u32_e32 v54, s22, v10
	v_cmp_le_i32_e32 vcc, s10, v89
	ds_write_b32 v11, v0 offset:8
	v_add_u32_e32 v0, 2, v63
	s_or_b64 s[4:5], vcc, s[4:5]
	v_cmp_lt_i32_e32 vcc, 3, v54
	s_nop 1
	v_cndmask_b32_e32 v63, v63, v0, vcc
	s_andn2_b64 exec, exec, s[4:5]
	s_cbranch_execz .LBB45_41
.LBB45_38:                              ;   Parent Loop BB45_7 Depth=1
                                        ; =>  This Loop Header: Depth=2
                                        ;       Child Loop BB45_40 Depth 3
	v_cmp_gt_i32_e32 vcc, 4, v54
	s_nop 1
	v_cndmask_b32_e64 v0, -4, 0, vcc
	v_add_u32_e32 v10, v0, v54
	v_lshrrev_b32_e32 v0, 31, v89
	v_add_u32_e32 v0, v89, v0
	v_and_b32_e32 v1, -2, v0
	v_lshlrev_b32_e32 v0, 5, v0
	v_sub_u32_e32 v2, v89, v1
	v_and_b32_e32 v0, 0xffffffc0, v0
	v_ashrrev_i32_e32 v1, 31, v0
	v_mul_lo_u32 v2, s30, v2
	v_lshl_add_u64 v[0:1], v[8:9], 0, v[0:1]
	v_ashrrev_i32_e32 v3, 31, v2
	v_lshl_add_u64 v[0:1], v[0:1], 0, v[2:3]
	v_lshlrev_b32_e32 v11, 2, v10
	;;#ASMSTART
	global_load_dwordx4 v[4:7], v[0:1], off offset:0   sc0 sc1 nt  
	global_load_dwordx4 v[0:3], v[0:1], off offset:32  sc0 sc1 nt  
	
	;;#ASMEND
	ds_read_b32 v12, v11 offset:12296
	v_add_u32_e32 v11, 0x3000, v11
	s_waitcnt lgkmcnt(0)
	v_cmp_ne_u32_e32 vcc, v12, v63
	s_and_saveexec_b64 s[6:7], vcc
	s_cbranch_execz .LBB45_37
; %bb.39:                               ;   in Loop: Header=BB45_38 Depth=2
	s_mov_b64 s[8:9], 0
.LBB45_40:                              ;   Parent Loop BB45_7 Depth=1
                                        ;     Parent Loop BB45_38 Depth=2
                                        ; =>    This Inner Loop Header: Depth=3
	;;#ASMSTART
	s_sleep 0
	;;#ASMEND
	ds_read_b32 v12, v11 offset:8
	s_waitcnt lgkmcnt(0)
	v_cmp_eq_u32_e32 vcc, v12, v63
	s_or_b64 s[8:9], vcc, s[8:9]
	s_andn2_b64 exec, exec, s[8:9]
	s_cbranch_execnz .LBB45_40
	s_branch .LBB45_37
.LBB45_41:                              ;   in Loop: Header=BB45_7 Depth=1
	s_or_b64 exec, exec, s[4:5]
.LBB45_42:                              ;   in Loop: Header=BB45_7 Depth=1
	s_or_b64 exec, exec, s[2:3]
	v_subrev_u32_e32 v89, s10, v89
.LBB45_43:                              ;   in Loop: Header=BB45_7 Depth=1
	s_or_b64 exec, exec, s[0:1]
.LBB45_44:                              ;   in Loop: Header=BB45_7 Depth=1
	s_andn2_saveexec_b64 s[0:1], s[38:39]
	s_cbranch_execz .LBB45_6
; %bb.45:                               ;   in Loop: Header=BB45_7 Depth=1
	v_cmp_gt_i32_e32 vcc, s99, v89
	s_and_saveexec_b64 s[2:3], vcc
	s_cbranch_execz .LBB45_5
; %bb.46:                               ;   in Loop: Header=BB45_7 Depth=1
	s_mul_i32 s4, s52, s18
	s_ashr_i32 s5, s4, 31
	s_add_u32 s4, s44, s4
	s_addc_u32 s5, s45, s5
	s_ashr_i32 s6, s37, 31
	v_cmp_le_i32_e32 vcc, s53, v85
	s_add_u32 s4, s4, s37
	s_addc_u32 s5, s5, s6
	v_cndmask_b32_e32 v0, 0, v86, vcc
	v_ashrrev_i32_e32 v1, 31, v0
	v_lshl_add_u64 v[0:1], s[4:5], 0, v[0:1]
	v_lshl_add_u64 v[8:9], v[0:1], 0, v[50:51]
	s_mov_b64 s[4:5], 0
	s_branch .LBB45_48
.LBB45_47:                              ;   in Loop: Header=BB45_48 Depth=2
	s_or_b64 exec, exec, s[6:7]
	v_lshl_add_u32 v12, v10, 11, v87
	;;#ASMSTART
	s_waitcnt vmcnt(1)
	;;#ASMEND
	ds_write2_b32 v12, v4, v5 offset1:32
	ds_write2_b32 v12, v6, v7 offset0:64 offset1:96
	v_add_u32_e32 v4, 0x400, v12
	v_add_u32_e32 v89, s21, v89
	;;#ASMSTART
	s_waitcnt vmcnt(0)
	;;#ASMEND
	ds_write2_b32 v4, v0, v1 offset1:32
	ds_write2_b32 v4, v2, v3 offset0:64 offset1:96
	v_add_u32_e32 v0, 1, v63
	v_add_u32_e32 v54, s21, v10
	v_cmp_le_i32_e32 vcc, s99, v89
	ds_write_b32 v11, v0
	v_add_u32_e32 v0, 2, v63
	s_or_b64 s[4:5], vcc, s[4:5]
	v_cmp_lt_i32_e32 vcc, 1, v54
	s_nop 1
	v_cndmask_b32_e32 v63, v63, v0, vcc
	s_andn2_b64 exec, exec, s[4:5]
	s_cbranch_execz .LBB45_4
.LBB45_48:                              ;   Parent Loop BB45_7 Depth=1
                                        ; =>  This Loop Header: Depth=2
                                        ;       Child Loop BB45_50 Depth 3
	v_cmp_gt_i32_e32 vcc, 2, v54
	s_nop 1
	v_cndmask_b32_e64 v0, -2, 0, vcc
	v_add_u32_e32 v10, v0, v54
	v_lshlrev_b32_e32 v0, 6, v89
	v_ashrrev_i32_e32 v1, 31, v0
	v_lshl_add_u64 v[0:1], v[8:9], 0, v[0:1]
	v_lshlrev_b32_e32 v11, 2, v10
	;;#ASMSTART
	global_load_dwordx4 v[4:7], v[0:1], off offset:0   
	global_load_dwordx4 v[0:3], v[0:1], off offset:32  
	
	;;#ASMEND
	ds_read_b32 v12, v11 offset:12288
	v_add_u32_e32 v11, 0x3000, v11
	s_waitcnt lgkmcnt(0)
	v_cmp_ne_u32_e32 vcc, v12, v63
	s_and_saveexec_b64 s[6:7], vcc
	s_cbranch_execz .LBB45_47
; %bb.49:                               ;   in Loop: Header=BB45_48 Depth=2
	s_mov_b64 s[8:9], 0
.LBB45_50:                              ;   Parent Loop BB45_7 Depth=1
                                        ;     Parent Loop BB45_48 Depth=2
                                        ; =>    This Inner Loop Header: Depth=3
	;;#ASMSTART
	s_sleep 0
	;;#ASMEND
	ds_read_b32 v12, v11
	s_waitcnt lgkmcnt(0)
	v_cmp_eq_u32_e32 vcc, v12, v63
	s_or_b64 s[8:9], vcc, s[8:9]
	s_andn2_b64 exec, exec, s[8:9]
	s_cbranch_execnz .LBB45_50
	s_branch .LBB45_47
.LBB45_51:
	s_endpgm
	.section	.rodata,"a",@progbits
	.p2align	6, 0x0
	.amdhsa_kernel _Z19_skinny_gemm_kernelILi1ELi2ELi2ELi32ELi4EEvPKhS1_P6__halfPKfiiiiiiii
		.amdhsa_group_segment_fixed_size 12312
		.amdhsa_private_segment_fixed_size 0
		.amdhsa_kernarg_size 64
		.amdhsa_user_sgpr_count 2
		.amdhsa_user_sgpr_dispatch_ptr 0
		.amdhsa_user_sgpr_queue_ptr 0
		.amdhsa_user_sgpr_kernarg_segment_ptr 1
		.amdhsa_user_sgpr_dispatch_id 0
		.amdhsa_user_sgpr_kernarg_preload_length 0
		.amdhsa_user_sgpr_kernarg_preload_offset 0
		.amdhsa_user_sgpr_private_segment_size 0
		.amdhsa_uses_dynamic_stack 0
		.amdhsa_enable_private_segment 0
		.amdhsa_system_sgpr_workgroup_id_x 1
		.amdhsa_system_sgpr_workgroup_id_y 0
		.amdhsa_system_sgpr_workgroup_id_z 0
		.amdhsa_system_sgpr_workgroup_info 0
		.amdhsa_system_vgpr_workitem_id 0
		.amdhsa_next_free_vgpr 101
		.amdhsa_next_free_sgpr 100
		.amdhsa_accum_offset 104
		.amdhsa_reserve_vcc 1
		.amdhsa_float_round_mode_32 0
		.amdhsa_float_round_mode_16_64 0
		.amdhsa_float_denorm_mode_32 3
		.amdhsa_float_denorm_mode_16_64 3
		.amdhsa_dx10_clamp 1
		.amdhsa_ieee_mode 1
		.amdhsa_fp16_overflow 0
		.amdhsa_tg_split 0
		.amdhsa_exception_fp_ieee_invalid_op 0
		.amdhsa_exception_fp_denorm_src 0
		.amdhsa_exception_fp_ieee_div_zero 0
		.amdhsa_exception_fp_ieee_overflow 0
		.amdhsa_exception_fp_ieee_underflow 0
		.amdhsa_exception_fp_ieee_inexact 0
		.amdhsa_exception_int_div_zero 0
	.end_amdhsa_kernel
	.section	.text._Z19_skinny_gemm_kernelILi1ELi2ELi2ELi32ELi4EEvPKhS1_P6__halfPKfiiiiiiii,"axG",@progbits,_Z19_skinny_gemm_kernelILi1ELi2ELi2ELi32ELi4EEvPKhS1_P6__halfPKfiiiiiiii,comdat
.Lfunc_end45:
	.size	_Z19_skinny_gemm_kernelILi1ELi2ELi2ELi32ELi4EEvPKhS1_P6__halfPKfiiiiiiii, .Lfunc_end45-_Z19_skinny_gemm_kernelILi1ELi2ELi2ELi32ELi4EEvPKhS1_P6__halfPKfiiiiiiii
                                        ; -- End function
	.set _Z19_skinny_gemm_kernelILi1ELi2ELi2ELi32ELi4EEvPKhS1_P6__halfPKfiiiiiiii.num_vgpr, 101
	.set _Z19_skinny_gemm_kernelILi1ELi2ELi2ELi32ELi4EEvPKhS1_P6__halfPKfiiiiiiii.num_agpr, 0
	.set _Z19_skinny_gemm_kernelILi1ELi2ELi2ELi32ELi4EEvPKhS1_P6__halfPKfiiiiiiii.numbered_sgpr, 100
	.set _Z19_skinny_gemm_kernelILi1ELi2ELi2ELi32ELi4EEvPKhS1_P6__halfPKfiiiiiiii.num_named_barrier, 0
	.set _Z19_skinny_gemm_kernelILi1ELi2ELi2ELi32ELi4EEvPKhS1_P6__halfPKfiiiiiiii.private_seg_size, 0
	.set _Z19_skinny_gemm_kernelILi1ELi2ELi2ELi32ELi4EEvPKhS1_P6__halfPKfiiiiiiii.uses_vcc, 1
	.set _Z19_skinny_gemm_kernelILi1ELi2ELi2ELi32ELi4EEvPKhS1_P6__halfPKfiiiiiiii.uses_flat_scratch, 0
	.set _Z19_skinny_gemm_kernelILi1ELi2ELi2ELi32ELi4EEvPKhS1_P6__halfPKfiiiiiiii.has_dyn_sized_stack, 0
	.set _Z19_skinny_gemm_kernelILi1ELi2ELi2ELi32ELi4EEvPKhS1_P6__halfPKfiiiiiiii.has_recursion, 0
	.set _Z19_skinny_gemm_kernelILi1ELi2ELi2ELi32ELi4EEvPKhS1_P6__halfPKfiiiiiiii.has_indirect_call, 0
	.section	.AMDGPU.csdata,"",@progbits
; Kernel info:
; codeLenInByte = 9584
; TotalNumSgprs: 106
; NumVgprs: 101
; NumAgprs: 0
; TotalNumVgprs: 101
; ScratchSize: 0
; MemoryBound: 0
; FloatMode: 240
; IeeeMode: 1
; LDSByteSize: 12312 bytes/workgroup (compile time only)
; SGPRBlocks: 13
; VGPRBlocks: 12
; NumSGPRsForWavesPerEU: 106
; NumVGPRsForWavesPerEU: 101
; AccumOffset: 104
; Occupancy: 4
; WaveLimiterHint : 0
; COMPUTE_PGM_RSRC2:SCRATCH_EN: 0
; COMPUTE_PGM_RSRC2:USER_SGPR: 2
; COMPUTE_PGM_RSRC2:TRAP_HANDLER: 0
; COMPUTE_PGM_RSRC2:TGID_X_EN: 1
; COMPUTE_PGM_RSRC2:TGID_Y_EN: 0
; COMPUTE_PGM_RSRC2:TGID_Z_EN: 0
; COMPUTE_PGM_RSRC2:TIDIG_COMP_CNT: 0
; COMPUTE_PGM_RSRC3_GFX90A:ACCUM_OFFSET: 25
; COMPUTE_PGM_RSRC3_GFX90A:TG_SPLIT: 0
	.section	.text._Z19_skinny_gemm_kernelILi1ELi2ELi2ELi32ELi8EEvPKhS1_P6__halfPKfiiiiiiii,"axG",@progbits,_Z19_skinny_gemm_kernelILi1ELi2ELi2ELi32ELi8EEvPKhS1_P6__halfPKfiiiiiiii,comdat
	.protected	_Z19_skinny_gemm_kernelILi1ELi2ELi2ELi32ELi8EEvPKhS1_P6__halfPKfiiiiiiii ; -- Begin function _Z19_skinny_gemm_kernelILi1ELi2ELi2ELi32ELi8EEvPKhS1_P6__halfPKfiiiiiiii
	.globl	_Z19_skinny_gemm_kernelILi1ELi2ELi2ELi32ELi8EEvPKhS1_P6__halfPKfiiiiiiii
	.p2align	8
	.type	_Z19_skinny_gemm_kernelILi1ELi2ELi2ELi32ELi8EEvPKhS1_P6__halfPKfiiiiiiii,@function
_Z19_skinny_gemm_kernelILi1ELi2ELi2ELi32ELi8EEvPKhS1_P6__halfPKfiiiiiiii: ; @_Z19_skinny_gemm_kernelILi1ELi2ELi2ELi32ELi8EEvPKhS1_P6__halfPKfiiiiiiii
; %bb.0:
	v_cmp_gt_u32_e32 vcc, 6, v0
	s_and_saveexec_b64 s[4:5], vcc
; %bb.1:
	v_lshlrev_b32_e32 v1, 2, v0
	v_mov_b32_e32 v2, 0
	ds_write_b32 v1, v2 offset:24576
; %bb.2:
	s_or_b64 exec, exec, s[4:5]
	s_load_dwordx8 s[16:23], s[0:1], 0x20
	s_waitcnt lgkmcnt(0)
	s_barrier
	s_add_i32 s3, s16, 31
	s_ashr_i32 s5, s3, 31
	s_add_i32 s4, s17, 63
	s_lshr_b32 s5, s5, 27
	s_ashr_i32 s6, s4, 31
	s_add_i32 s3, s3, s5
	s_ashr_i32 s11, s3, 5
	s_lshr_b32 s3, s6, 26
	s_add_i32 s4, s4, s3
	s_ashr_i32 s12, s4, 6
	s_mul_i32 s3, s12, s11
	s_mul_i32 s3, s3, s20
	s_add_i32 s4, s3, 0x12f
	s_mul_hi_i32 s4, s4, 0x6bca1af3
	s_lshr_b32 s5, s4, 31
	s_ashr_i32 s4, s4, 7
	s_add_i32 s4, s4, s5
	s_add_i32 s5, s2, 1
	s_mul_i32 s5, s4, s5
	v_cvt_f64_i32_e32 v[2:3], s3
	v_cvt_f64_u32_e32 v[4:5], s5
	v_min_f64 v[2:3], v[2:3], v[4:5]
	v_cvt_i32_f64_e32 v70, v[2:3]
	s_mul_i32 s33, s4, s2
	v_cmp_ge_i32_e32 vcc, s33, v70
	s_cbranch_vccnz .LBB46_51
; %bb.3:
	s_load_dwordx8 s[44:51], s[0:1], 0x0
	v_lshrrev_b32_e32 v1, 6, v0
	s_add_i32 s0, s22, s21
	v_cmp_le_i32_e64 s[14:15], s0, v1
	v_mov_b32_e32 v2, s21
	v_cmp_le_i32_e64 s[24:25], s21, v1
	v_mov_b32_e32 v3, s22
	v_cndmask_b32_e64 v3, 0, v3, s[14:15]
	v_cndmask_b32_e64 v2, 0, v2, s[24:25]
	s_abs_i32 s1, s20
	v_add_u32_e32 v2, v2, v3
	v_cvt_f32_u32_e32 v3, s1
	v_sub_u32_e32 v54, v1, v2
	s_ashr_i32 s2, s18, 31
	s_lshr_b32 s2, s2, 25
	v_rcp_iflag_f32_e32 v2, v3
	s_sub_i32 s5, 0, s1
	s_add_i32 s2, s18, s2
	s_ashr_i32 s2, s2, 7
	v_mul_f32_e32 v2, 0x4f7ffffe, v2
	v_cvt_u32_f32_e32 v2, v2
	s_abs_i32 s4, s2
	s_xor_b32 s3, s2, s20
	s_ashr_i32 s3, s3, 31
	v_readfirstlane_b32 s6, v2
	s_mul_i32 s5, s5, s6
	s_mul_hi_u32 s5, s6, s5
	s_add_i32 s6, s6, s5
	s_mul_hi_u32 s5, s4, s6
	s_mul_i32 s6, s5, s1
	s_sub_i32 s4, s4, s6
	s_add_i32 s6, s5, 1
	s_sub_i32 s7, s4, s1
	s_cmp_ge_u32 s4, s1
	s_cselect_b32 s5, s6, s5
	s_cselect_b32 s4, s7, s4
	s_add_i32 s6, s5, 1
	s_cmp_ge_u32 s4, s1
	s_cselect_b32 s1, s6, s5
	s_add_i32 s0, s0, s23
	v_and_b32_e32 v72, 31, v0
	v_lshrrev_b32_e32 v2, 3, v0
	v_cmp_gt_i32_e64 s[28:29], s0, v1
	v_lshlrev_b32_e32 v1, 2, v72
	v_and_b32_e32 v3, 4, v2
	v_and_b32_e32 v5, 1, v0
	v_lshlrev_b32_e32 v2, 6, v3
	v_or_b32_e32 v4, 0x4000, v1
	v_or_b32_e32 v3, v3, v5
	;; [unrolled: 1-line block ×4, first 2 shown]
	v_lshlrev_b32_e32 v2, 1, v5
	v_or_b32_e32 v5, 2, v3
	v_sub_u32_e32 v85, 32, v5
	v_or_b32_e32 v5, 8, v3
	v_sub_u32_e32 v86, 32, v5
	;; [unrolled: 2-line block ×5, first 2 shown]
	v_or_b32_e32 v5, 24, v3
	s_abs_i32 s30, s11
                                        ; implicit-def: $vgpr107 : SGPR spill to VGPR lane
	v_sub_u32_e32 v84, 32, v3
	v_mul_lo_u32 v34, s17, v3
	v_sub_u32_e32 v90, 32, v5
	v_or_b32_e32 v3, 26, v3
	v_cvt_f32_u32_e32 v5, s30
	v_writelane_b32 v107, s11, 0
	v_sub_u32_e32 v91, 32, v3
	v_lshrrev_b32_e32 v3, 1, v0
	v_writelane_b32 v107, s12, 1
	v_and_b32_e32 v50, 16, v3
	v_lshlrev_b32_e32 v3, 4, v0
	s_waitcnt lgkmcnt(0)
	v_writelane_b32 v107, s44, 2
	v_and_b32_e32 v3, 0x200, v3
	v_or_b32_e32 v92, v1, v3
	v_writelane_b32 v107, s45, 3
	v_rcp_iflag_f32_e32 v1, v5
	v_writelane_b32 v107, s46, 4
	v_writelane_b32 v107, s47, 5
	v_sub_u32_e32 v2, v0, v2
	v_writelane_b32 v107, s48, 6
	v_add_u32_e32 v2, 1, v2
	s_abs_i32 s34, s12
	v_writelane_b32 v107, s49, 7
	s_xor_b32 s1, s1, s3
	v_and_b32_e32 v6, 63, v2
	v_bitop3_b32 v75, v0, 1, v0 bitop3:0xc
	v_bitop3_b32 v76, v0, 3, 1 bitop3:0x6c
	;; [unrolled: 1-line block ×8, first 2 shown]
	v_and_b32_e32 v2, 30, v0
	v_bitop3_b32 v93, v0, 31, v0 bitop3:0xc
	v_mul_f32_e32 v0, 0x4f7ffffe, v1
	v_cvt_f32_u32_e32 v1, s34
	v_writelane_b32 v107, s50, 8
	s_sub_i32 s13, s1, s3
	s_add_i32 s26, s20, -1
	v_writelane_b32 v107, s51, 9
	v_cndmask_b32_e64 v71, 0, 1, s[14:15]
	s_mul_i32 s1, s13, s26
	s_lshl_b32 s0, s17, 1
	v_writelane_b32 v107, s14, 10
	s_sub_i32 s27, s2, s1
	v_add_u32_e32 v36, s0, v34
	s_mul_i32 s1, s17, 6
	v_writelane_b32 v107, s15, 11
	v_add_u32_e32 v38, s1, v36
	v_cvt_u32_f32_e32 v0, v0
	v_rcp_iflag_f32_e32 v1, v1
	v_writelane_b32 v107, s24, 12
	v_add_u32_e32 v40, s0, v38
	v_add_u32_e32 v42, s1, v40
	v_writelane_b32 v107, s25, 13
	v_writelane_b32 v107, s13, 14
	v_add_u32_e32 v44, s0, v42
	v_writelane_b32 v107, s26, 15
	v_add_u32_e32 v46, s1, v44
	v_readfirstlane_b32 s1, v0
	v_mul_f32_e32 v0, 0x4f7ffffe, v1
	v_writelane_b32 v107, s27, 16
	v_cvt_u32_f32_e32 v0, v0
	v_writelane_b32 v107, s28, 17
	v_add_u32_e32 v48, s0, v46
	s_sub_i32 s0, 0, s30
	v_writelane_b32 v107, s29, 18
	s_lshl_b32 s31, s19, 5
	s_mul_i32 s0, s0, s1
	v_writelane_b32 v107, s30, 19
	s_mul_hi_u32 s0, s1, s0
	v_writelane_b32 v107, s31, 20
	s_ashr_i32 s35, s11, 31
	s_add_i32 s36, s1, s0
	s_sub_i32 s0, 0, s34
	v_readfirstlane_b32 s1, v0
	v_mbcnt_lo_u32_b32 v0, -1, 0
	v_writelane_b32 v107, s34, 21
	s_mul_i32 s0, s0, s1
	v_mbcnt_hi_u32_b32 v0, -1, v0
	v_writelane_b32 v107, s35, 22
	v_mov_b32_e32 v33, 0
	v_mul_lo_u32 v52, s19, v72
	s_ashr_i32 s37, s12, 31
	s_mul_hi_u32 s0, s1, s0
	v_and_or_b32 v0, v0, 64, v6
	v_writelane_b32 v107, s36, 23
	v_or_b32_e32 v83, 32, v72
	v_ashrrev_i32_e32 v35, 31, v34
	v_ashrrev_i32_e32 v37, 31, v36
	v_ashrrev_i32_e32 v39, 31, v38
	v_ashrrev_i32_e32 v41, 31, v40
	v_ashrrev_i32_e32 v43, 31, v42
	v_ashrrev_i32_e32 v45, 31, v44
	v_ashrrev_i32_e32 v47, 31, v46
	v_ashrrev_i32_e32 v49, 31, v48
	v_ashrrev_i32_e32 v53, 31, v52
	v_mov_b32_e32 v51, v33
	v_mul_lo_u32 v94, s18, v72
	v_or_b32_e32 v95, v4, v3
	s_add_i32 s38, s1, s0
	v_lshlrev_b32_e32 v32, 1, v2
	v_lshlrev_b32_e32 v96, 2, v0
	v_mov_b32_e32 v97, v54
	v_writelane_b32 v107, s37, 24
	v_writelane_b32 v107, s38, 25
	s_branch .LBB46_7
.LBB46_4:                               ;   in Loop: Header=BB46_7 Depth=1
	s_or_b64 exec, exec, s[4:5]
.LBB46_5:                               ;   in Loop: Header=BB46_7 Depth=1
	s_or_b64 exec, exec, s[2:3]
	v_subrev_u32_e32 v97, s20, v97
.LBB46_6:                               ;   in Loop: Header=BB46_7 Depth=1
	s_or_b64 exec, exec, s[0:1]
	s_add_i32 s33, s33, 1
	v_cmp_ge_i32_e32 vcc, s33, v70
	s_cbranch_vccnz .LBB46_51
.LBB46_7:                               ; =>This Loop Header: Depth=1
                                        ;     Child Loop BB46_13 Depth 2
                                        ;       Child Loop BB46_15 Depth 3
                                        ;       Child Loop BB46_18 Depth 3
                                        ;       Child Loop BB46_21 Depth 3
                                        ;     Child Loop BB46_38 Depth 2
                                        ;       Child Loop BB46_40 Depth 3
                                        ;     Child Loop BB46_48 Depth 2
                                        ;       Child Loop BB46_50 Depth 3
	s_abs_i32 s1, s33
	s_mul_hi_u32 s2, s1, s36
	s_mul_i32 s3, s2, s30
	s_ashr_i32 s0, s33, 31
	s_sub_i32 s1, s1, s3
	s_xor_b32 s0, s0, s35
	s_add_i32 s3, s2, 1
	s_sub_i32 s4, s1, s30
	s_cmp_ge_u32 s1, s30
	s_cselect_b32 s2, s3, s2
	s_cselect_b32 s1, s4, s1
	s_add_i32 s3, s2, 1
	s_cmp_ge_u32 s1, s30
	s_cselect_b32 s1, s3, s2
	s_xor_b32 s1, s1, s0
	s_sub_i32 s0, s1, s0
	s_abs_i32 s2, s0
	s_mul_i32 s1, s0, s11
	s_mul_hi_u32 s3, s2, s38
	s_sub_i32 s1, s33, s1
	s_mul_i32 s4, s3, s34
	s_lshl_b32 s52, s1, 5
	s_ashr_i32 s1, s0, 31
	s_sub_i32 s2, s2, s4
	s_xor_b32 s1, s1, s37
	s_add_i32 s4, s3, 1
	s_sub_i32 s5, s2, s34
	s_cmp_ge_u32 s2, s34
	s_cselect_b32 s3, s4, s3
	s_cselect_b32 s2, s5, s2
	s_add_i32 s4, s3, 1
	s_cmp_ge_u32 s2, s34
	s_cselect_b32 s2, s4, s3
	s_xor_b32 s2, s2, s1
	s_sub_i32 s1, s2, s1
	s_mul_i32 s2, s1, s13
	s_lshl_b32 s39, s2, 7
	s_cmp_eq_u32 s1, s26
	s_cselect_b32 s20, s27, s13
	s_sub_i32 s2, s52, s16
	s_add_i32 s53, s2, 32
	s_and_saveexec_b64 s[2:3], s[24:25]
	s_xor_b64 s[40:41], exec, s[2:3]
	s_cbranch_execz .LBB46_44
; %bb.8:                                ;   in Loop: Header=BB46_7 Depth=1
	s_mul_i32 s1, s1, s12
	s_sub_i32 s0, s0, s1
	s_lshl_b32 s0, s0, 6
	s_sub_i32 s90, s0, s17
	s_add_i32 s90, s90, 64
	s_max_i32 s1, s90, 0
	s_sub_i32 s54, s0, s1
	s_and_saveexec_b64 s[0:1], s[14:15]
	s_xor_b64 s[4:5], exec, s[0:1]
	s_cbranch_execz .LBB46_34
; %bb.9:                                ;   in Loop: Header=BB46_7 Depth=1
	s_and_saveexec_b64 s[2:3], s[28:29]
	s_cbranch_execz .LBB46_33
; %bb.10:                               ;   in Loop: Header=BB46_7 Depth=1
	global_load_dword v98, v33, s[50:51]
	v_writelane_b32 v107, s2, 26
	v_mov_b32_e32 v31, 0
	v_cmp_gt_i32_e32 vcc, s20, v97
	v_writelane_b32 v107, s3, 27
	v_writelane_b32 v107, s4, 28
	v_mov_b32_e32 v30, v31
	v_mov_b32_e32 v29, v31
	;; [unrolled: 1-line block ×12, first 2 shown]
	s_waitcnt lgkmcnt(1)
	v_mov_b32_e32 v18, v31
	v_mov_b32_e32 v17, v31
	;; [unrolled: 1-line block ×19, first 2 shown]
	v_writelane_b32 v107, s5, 29
	s_and_saveexec_b64 s[0:1], vcc
	s_cbranch_execz .LBB46_23
; %bb.11:                               ;   in Loop: Header=BB46_7 Depth=1
	v_mov_b32_e32 v0, 0
	s_mov_b64 s[2:3], 0
	v_mov_b32_e32 v1, v0
	v_mov_b32_e32 v2, v0
	;; [unrolled: 1-line block ×31, first 2 shown]
	s_branch .LBB46_13
.LBB46_12:                              ;   in Loop: Header=BB46_13 Depth=2
	s_or_b64 exec, exec, s[4:5]
	v_add_u32_e32 v104, v74, v102
	v_add_u32_e32 v105, 0x1000, v104
	ds_read2_b32 v[102:103], v105 offset1:32
	v_add_u32_e32 v97, s23, v97
	v_cmp_le_i32_e32 vcc, s20, v97
	s_or_b64 s[2:3], vcc, s[2:3]
	ds_write_b32 v100, v101 offset:24588
	s_waitcnt lgkmcnt(1)
	v_mfma_f32_32x32x16_fp8_fp8 v[0:15], v[66:67], v[102:103], v[0:15]
	ds_read2_b32 v[66:67], v105 offset0:128 offset1:160
	s_waitcnt lgkmcnt(0)
	v_mfma_f32_32x32x16_fp8_fp8 v[0:15], v[64:65], v[66:67], v[0:15]
	v_add_u32_e32 v66, 0x1400, v104
	ds_read2_b32 v[64:65], v66 offset1:32
	s_waitcnt lgkmcnt(0)
	v_mfma_f32_32x32x16_fp8_fp8 v[0:15], v[62:63], v[64:65], v[0:15]
	ds_read2_b32 v[62:63], v66 offset0:128 offset1:160
	s_waitcnt lgkmcnt(0)
	v_mfma_f32_32x32x16_fp8_fp8 v[0:15], v[60:61], v[62:63], v[0:15]
	v_add_u32_e32 v62, 0x1800, v104
	ds_read2_b32 v[60:61], v62 offset1:32
	;; [unrolled: 7-line block ×3, first 2 shown]
	s_waitcnt lgkmcnt(0)
	v_mfma_f32_32x32x16_fp8_fp8 v[0:15], v[54:55], v[56:57], v[0:15]
	ds_read2_b32 v[54:55], v58 offset0:128 offset1:160
	s_waitcnt lgkmcnt(0)
	v_mfma_f32_32x32x16_fp8_fp8 v[0:15], v[68:69], v[54:55], v[0:15]
	v_add_u32_e32 v54, s23, v99
	v_add_u32_e32 v55, 2, v71
	v_cmp_lt_i32_e32 vcc, 1, v54
	s_nop 1
	v_cndmask_b32_e32 v71, v71, v55, vcc
	s_andn2_b64 exec, exec, s[2:3]
	s_cbranch_execz .LBB46_22
.LBB46_13:                              ;   Parent Loop BB46_7 Depth=1
                                        ; =>  This Loop Header: Depth=2
                                        ;       Child Loop BB46_15 Depth 3
                                        ;       Child Loop BB46_18 Depth 3
	;; [unrolled: 1-line block ×3, first 2 shown]
	v_cmp_gt_i32_e32 vcc, 2, v54
	s_nop 1
	v_cndmask_b32_e64 v55, -2, 0, vcc
	v_add_u32_e32 v99, v55, v54
	v_lshlrev_b32_e32 v100, 4, v99
	ds_read_b32 v54, v100 offset:24576
	s_waitcnt lgkmcnt(0)
	v_cmp_ne_u32_e32 vcc, v54, v71
	s_and_saveexec_b64 s[4:5], vcc
	s_cbranch_execz .LBB46_16
; %bb.14:                               ;   in Loop: Header=BB46_13 Depth=2
	s_mov_b64 s[6:7], 0
.LBB46_15:                              ;   Parent Loop BB46_7 Depth=1
                                        ;     Parent Loop BB46_13 Depth=2
                                        ; =>    This Inner Loop Header: Depth=3
	;;#ASMSTART
	s_sleep 0
	;;#ASMEND
	ds_read_b32 v54, v100 offset:24576
	s_waitcnt lgkmcnt(0)
	v_cmp_eq_u32_e32 vcc, v54, v71
	s_or_b64 s[6:7], vcc, s[6:7]
	s_andn2_b64 exec, exec, s[6:7]
	s_cbranch_execnz .LBB46_15
.LBB46_16:                              ;   in Loop: Header=BB46_13 Depth=2
	s_or_b64 exec, exec, s[4:5]
	v_lshl_add_u32 v54, v99, 12, v73
	v_add_u32_e32 v55, 0x400, v54
	ds_read2_b32 v[66:67], v54 offset1:32
	ds_read2_b32 v[64:65], v54 offset0:128 offset1:160
	ds_read2_b32 v[62:63], v55 offset1:32
	ds_read2_b32 v[60:61], v55 offset0:128 offset1:160
	v_add_u32_e32 v55, 0x800, v54
	v_add_u32_e32 v68, 0xc00, v54
	ds_read2_b32 v[58:59], v55 offset1:32
	ds_read2_b32 v[56:57], v55 offset0:128 offset1:160
	ds_read2_b32 v[54:55], v68 offset1:32
	ds_read_b32 v102, v100 offset:24580
	ds_read2_b32 v[68:69], v68 offset0:128 offset1:160
	v_add_u32_e32 v101, 1, v71
	ds_write_b32 v100, v101 offset:24576
	s_waitcnt lgkmcnt(2)
	v_cmp_ne_u32_e32 vcc, v102, v71
	s_and_saveexec_b64 s[4:5], vcc
	s_cbranch_execz .LBB46_19
; %bb.17:                               ;   in Loop: Header=BB46_13 Depth=2
	s_mov_b64 s[6:7], 0
.LBB46_18:                              ;   Parent Loop BB46_7 Depth=1
                                        ;     Parent Loop BB46_13 Depth=2
                                        ; =>    This Inner Loop Header: Depth=3
	;;#ASMSTART
	s_sleep 0
	;;#ASMEND
	ds_read_b32 v102, v100 offset:24580
	s_waitcnt lgkmcnt(0)
	v_cmp_eq_u32_e32 vcc, v102, v71
	s_or_b64 s[6:7], vcc, s[6:7]
	s_andn2_b64 exec, exec, s[6:7]
	s_cbranch_execnz .LBB46_18
.LBB46_19:                              ;   in Loop: Header=BB46_13 Depth=2
	s_or_b64 exec, exec, s[4:5]
	v_lshlrev_b32_e32 v102, 13, v99
	v_or_b32_e32 v103, v74, v102
	ds_read2_b32 v[104:105], v103 offset1:32
	v_add_u32_e32 v106, 0x400, v103
	ds_write_b32 v100, v101 offset:24580
	s_waitcnt lgkmcnt(1)
	v_mfma_f32_32x32x16_fp8_fp8 v[16:31], v[66:67], v[104:105], v[16:31]
	ds_read2_b32 v[104:105], v103 offset0:128 offset1:160
	s_waitcnt lgkmcnt(0)
	v_mfma_f32_32x32x16_fp8_fp8 v[16:31], v[64:65], v[104:105], v[16:31]
	ds_read2_b32 v[104:105], v106 offset1:32
	s_waitcnt lgkmcnt(0)
	v_mfma_f32_32x32x16_fp8_fp8 v[16:31], v[62:63], v[104:105], v[16:31]
	ds_read2_b32 v[104:105], v106 offset0:128 offset1:160
	v_add_u32_e32 v106, 0x800, v103
	v_add_u32_e32 v103, 0xc00, v103
	s_waitcnt lgkmcnt(0)
	v_mfma_f32_32x32x16_fp8_fp8 v[16:31], v[60:61], v[104:105], v[16:31]
	ds_read2_b32 v[104:105], v106 offset1:32
	s_waitcnt lgkmcnt(0)
	v_mfma_f32_32x32x16_fp8_fp8 v[16:31], v[58:59], v[104:105], v[16:31]
	ds_read2_b32 v[104:105], v106 offset0:128 offset1:160
	s_waitcnt lgkmcnt(0)
	v_mfma_f32_32x32x16_fp8_fp8 v[16:31], v[56:57], v[104:105], v[16:31]
	ds_read2_b32 v[104:105], v103 offset1:32
	s_waitcnt lgkmcnt(0)
	v_mfma_f32_32x32x16_fp8_fp8 v[16:31], v[54:55], v[104:105], v[16:31]
	ds_read2_b32 v[104:105], v103 offset0:128 offset1:160
	ds_read_b32 v103, v100 offset:24588
	s_waitcnt lgkmcnt(0)
	v_cmp_ne_u32_e32 vcc, v103, v71
	v_mfma_f32_32x32x16_fp8_fp8 v[16:31], v[68:69], v[104:105], v[16:31]
	s_and_saveexec_b64 s[4:5], vcc
	s_cbranch_execz .LBB46_12
; %bb.20:                               ;   in Loop: Header=BB46_13 Depth=2
	s_mov_b64 s[6:7], 0
.LBB46_21:                              ;   Parent Loop BB46_7 Depth=1
                                        ;     Parent Loop BB46_13 Depth=2
                                        ; =>    This Inner Loop Header: Depth=3
	;;#ASMSTART
	s_sleep 0
	;;#ASMEND
	ds_read_b32 v103, v100 offset:24588
	s_waitcnt lgkmcnt(0)
	v_cmp_eq_u32_e32 vcc, v103, v71
	s_or_b64 s[6:7], vcc, s[6:7]
	s_andn2_b64 exec, exec, s[6:7]
	s_cbranch_execnz .LBB46_21
	s_branch .LBB46_12
.LBB46_22:                              ;   in Loop: Header=BB46_7 Depth=1
	s_or_b64 exec, exec, s[2:3]
.LBB46_23:                              ;   in Loop: Header=BB46_7 Depth=1
	v_writelane_b32 v107, s54, 30
	s_nop 1
	v_writelane_b32 v107, s55, 31
	v_writelane_b32 v107, s40, 32
	s_nop 1
	v_writelane_b32 v107, s41, 33
	v_writelane_b32 v107, s53, 34
	;; [unrolled: 1-line block ×4, first 2 shown]
	s_or_b64 exec, exec, s[0:1]
	v_cmp_le_i32_e32 vcc, s90, v72
	v_cmp_eq_u32_e64 s[86:87], 1, v75
	v_cmp_eq_u32_e64 s[50:51], 2, v75
	s_waitcnt vmcnt(0)
	v_cndmask_b32_e32 v56, 0, v98, vcc
	v_pk_mul_f32 v[16:17], v[56:57], v[16:17] op_sel_hi:[0,1]
	v_pk_mul_f32 v[18:19], v[56:57], v[18:19] op_sel_hi:[0,1]
	v_cndmask_b32_e64 v55, v16, v17, s[86:87]
	v_cndmask_b32_e64 v55, v55, v18, s[50:51]
	v_cmp_eq_u32_e64 s[52:53], 3, v75
	v_pk_mul_f32 v[20:21], v[56:57], v[20:21] op_sel_hi:[0,1]
	v_cmp_eq_u32_e64 s[56:57], 4, v75
	v_cndmask_b32_e64 v55, v55, v19, s[52:53]
	v_cmp_eq_u32_e64 s[60:61], 5, v75
	v_cndmask_b32_e64 v55, v55, v20, s[56:57]
	v_pk_mul_f32 v[22:23], v[56:57], v[22:23] op_sel_hi:[0,1]
	v_cndmask_b32_e64 v55, v55, v21, s[60:61]
	v_cmp_eq_u32_e64 s[64:65], 6, v75
	v_cmp_eq_u32_e64 s[68:69], 7, v75
	v_pk_mul_f32 v[24:25], v[56:57], v[24:25] op_sel_hi:[0,1]
	v_cndmask_b32_e64 v55, v55, v22, s[64:65]
	v_cndmask_b32_e64 v55, v55, v23, s[68:69]
	v_cmp_eq_u32_e64 s[72:73], 8, v75
	v_cmp_eq_u32_e64 s[74:75], 9, v75
	v_pk_mul_f32 v[26:27], v[56:57], v[26:27] op_sel_hi:[0,1]
	v_cndmask_b32_e64 v55, v55, v24, s[72:73]
	;; [unrolled: 5-line block ×4, first 2 shown]
	v_cndmask_b32_e64 v55, v55, v29, s[82:83]
	v_cmp_eq_u32_e64 s[84:85], 14, v75
	v_cmp_eq_u32_e64 s[88:89], 15, v75
	;; [unrolled: 1-line block ×3, first 2 shown]
	v_cndmask_b32_e64 v55, v55, v30, s[84:85]
	v_cndmask_b32_e64 v55, v55, v31, s[88:89]
	ds_bpermute_b32 v55, v96, v55
	v_cmp_eq_u32_e64 s[24:25], 1, v76
	v_cmp_eq_u32_e64 s[26:27], 2, v76
	;; [unrolled: 1-line block ×4, first 2 shown]
	s_waitcnt lgkmcnt(0)
	v_cndmask_b32_e64 v62, v17, v55, s[86:87]
	v_cndmask_b32_e64 v16, v16, v55, s[70:71]
	;; [unrolled: 1-line block ×10, first 2 shown]
	v_cmp_eq_u32_e64 s[34:35], 5, v76
	v_cndmask_b32_e64 v57, v22, v55, s[64:65]
	v_cmp_eq_u32_e64 s[36:37], 6, v76
	v_cndmask_b32_e64 v17, v17, v58, s[34:35]
	v_cndmask_b32_e64 v56, v23, v55, s[68:69]
	v_cndmask_b32_e64 v17, v17, v57, s[36:37]
	v_cmp_eq_u32_e64 s[38:39], 7, v76
	v_cndmask_b32_e64 v24, v24, v55, s[72:73]
	v_cmp_eq_u32_e64 s[42:43], 8, v76
	v_cndmask_b32_e64 v17, v17, v56, s[38:39]
	v_cndmask_b32_e64 v25, v25, v55, s[74:75]
	v_cndmask_b32_e64 v17, v17, v24, s[42:43]
	;; [unrolled: 6-line block ×5, first 2 shown]
	v_cmp_eq_u32_e64 s[66:67], 15, v76
	v_cmp_le_i32_e64 s[90:91], s90, v83
	v_cmp_eq_u32_e64 s[40:41], 0, v76
	v_cndmask_b32_e64 v17, v17, v31, s[66:67]
	ds_bpermute_b32 v55, v96, v17
	v_cmp_eq_u32_e64 s[4:5], 1, v77
	v_cmp_eq_u32_e64 s[6:7], 2, v77
	;; [unrolled: 1-line block ×4, first 2 shown]
	s_waitcnt lgkmcnt(0)
	v_cndmask_b32_e64 v23, v25, v55, s[44:45]
	v_cndmask_b32_e64 v25, v56, v55, s[38:39]
	;; [unrolled: 1-line block ×3, first 2 shown]
	v_pk_mul_f32 v[0:1], v[56:57], v[0:1] op_sel_hi:[0,1]
	v_pk_mul_f32 v[14:15], v[56:57], v[14:15] op_sel_hi:[0,1]
	;; [unrolled: 1-line block ×8, first 2 shown]
	v_cndmask_b32_e64 v56, v0, v1, s[86:87]
	v_cndmask_b32_e64 v56, v56, v2, s[50:51]
	;; [unrolled: 1-line block ×32, first 2 shown]
	v_cmp_eq_u32_e64 s[12:13], 5, v77
	v_cndmask_b32_e64 v56, v56, v15, s[88:89]
	v_cmp_eq_u32_e64 s[14:15], 6, v77
	v_cndmask_b32_e64 v55, v55, v27, s[12:13]
	ds_bpermute_b32 v56, v96, v56
	v_cndmask_b32_e64 v55, v55, v26, s[14:15]
	v_cmp_eq_u32_e64 s[96:97], 7, v77
	v_cmp_eq_u32_e64 s[98:99], 8, v77
	v_cmp_eq_u32_e32 vcc, 9, v77
	v_cndmask_b32_e64 v55, v55, v25, s[96:97]
	v_cndmask_b32_e64 v55, v55, v24, s[98:99]
	v_cndmask_b32_e32 v55, v55, v23, vcc
	v_cmp_eq_u32_e64 s[0:1], 10, v77
	v_cmp_eq_u32_e64 s[86:87], 11, v77
	s_waitcnt lgkmcnt(0)
	v_cndmask_b32_e64 v2, v2, v56, s[50:51]
	v_cndmask_b32_e64 v55, v55, v22, s[0:1]
	v_cmp_ne_u32_e64 s[50:51], 0, v75
	v_cndmask_b32_e64 v55, v55, v21, s[86:87]
	v_cmp_eq_u32_e64 s[90:91], 12, v77
	v_cndmask_b32_e64 v1, v1, v56, s[50:51]
	v_cndmask_b32_e64 v0, v0, v56, s[70:71]
	;; [unrolled: 1-line block ×4, first 2 shown]
	v_cmp_eq_u32_e64 s[88:89], 13, v77
	v_cndmask_b32_e64 v14, v14, v56, s[84:85]
	v_cndmask_b32_e64 v13, v13, v56, s[82:83]
	;; [unrolled: 1-line block ×14, first 2 shown]
	v_cmp_eq_u32_e64 s[84:85], 14, v77
	v_cndmask_b32_e64 v56, v56, v2, s[26:27]
	v_cmp_eq_u32_e64 s[82:83], 15, v77
	v_cndmask_b32_e64 v55, v55, v18, s[84:85]
	v_cndmask_b32_e64 v56, v56, v3, s[28:29]
	;; [unrolled: 1-line block ×4, first 2 shown]
	ds_bpermute_b32 v55, v96, v55
	v_cndmask_b32_e64 v56, v56, v5, s[34:35]
	v_cndmask_b32_e64 v56, v56, v6, s[36:37]
	v_cndmask_b32_e64 v56, v56, v7, s[38:39]
	v_cndmask_b32_e64 v56, v56, v8, s[42:43]
	v_cmp_eq_u32_e64 s[80:81], 0, v77
	v_cndmask_b32_e64 v56, v56, v9, s[44:45]
	s_waitcnt lgkmcnt(0)
	v_cndmask_b32_e64 v31, v31, v55, s[4:5]
	v_cndmask_b32_e64 v16, v16, v55, s[80:81]
	v_cmp_eq_u32_e64 s[78:79], 1, v78
	v_cndmask_b32_e64 v56, v56, v10, s[46:47]
	v_cndmask_b32_e64 v17, v17, v55, s[82:83]
	;; [unrolled: 1-line block ×7, first 2 shown]
	v_cndmask_b32_e32 v23, v23, v55, vcc
	v_cndmask_b32_e64 v24, v24, v55, s[98:99]
	v_cndmask_b32_e64 v25, v25, v55, s[96:97]
	;; [unrolled: 1-line block ×8, first 2 shown]
	v_cmp_eq_u32_e64 s[76:77], 2, v78
	v_cndmask_b32_e64 v56, v56, v11, s[48:49]
	v_cmp_eq_u32_e64 s[74:75], 3, v78
	v_cndmask_b32_e64 v55, v55, v30, s[76:77]
	v_cndmask_b32_e64 v56, v56, v12, s[54:55]
	;; [unrolled: 1-line block ×3, first 2 shown]
	v_cmp_eq_u32_e64 s[72:73], 4, v78
	v_cndmask_b32_e64 v56, v56, v13, s[58:59]
	v_cmp_eq_u32_e64 s[68:69], 5, v78
	v_cndmask_b32_e64 v55, v55, v28, s[72:73]
	v_cndmask_b32_e64 v56, v56, v14, s[62:63]
	;; [unrolled: 1-line block ×3, first 2 shown]
	v_cmp_eq_u32_e64 s[64:65], 6, v78
	v_cndmask_b32_e64 v56, v56, v15, s[66:67]
	v_cmp_eq_u32_e64 s[60:61], 7, v78
	v_cndmask_b32_e64 v55, v55, v26, s[64:65]
	ds_bpermute_b32 v56, v96, v56
	v_cndmask_b32_e64 v55, v55, v25, s[60:61]
	v_cmp_eq_u32_e64 s[56:57], 8, v78
	v_cmp_eq_u32_e64 s[52:53], 9, v78
	;; [unrolled: 1-line block ×3, first 2 shown]
	v_cndmask_b32_e64 v55, v55, v24, s[56:57]
	v_cndmask_b32_e64 v55, v55, v23, s[52:53]
	v_cndmask_b32_e64 v55, v55, v22, s[50:51]
	v_cmp_eq_u32_e64 s[70:71], 11, v78
	s_waitcnt lgkmcnt(0)
	v_cndmask_b32_e64 v15, v15, v56, s[66:67]
	v_cmp_eq_u32_e64 s[66:67], 12, v78
	v_cndmask_b32_e64 v55, v55, v21, s[70:71]
	v_cndmask_b32_e64 v14, v14, v56, s[62:63]
	;; [unrolled: 1-line block ×3, first 2 shown]
	v_cmp_eq_u32_e64 s[62:63], 13, v78
	v_cndmask_b32_e64 v1, v1, v56, s[24:25]
	v_cndmask_b32_e64 v0, v0, v56, s[40:41]
	;; [unrolled: 1-line block ×4, first 2 shown]
	v_cmp_eq_u32_e64 s[92:93], 14, v78
	v_cndmask_b32_e64 v12, v12, v56, s[54:55]
	v_cndmask_b32_e64 v11, v11, v56, s[48:49]
	;; [unrolled: 1-line block ×13, first 2 shown]
	v_cmp_eq_u32_e64 s[94:95], 15, v78
	v_cndmask_b32_e64 v56, v56, v2, s[6:7]
	v_cndmask_b32_e64 v56, v56, v3, s[8:9]
	;; [unrolled: 1-line block ×3, first 2 shown]
	ds_bpermute_b32 v55, v96, v55
	v_cndmask_b32_e64 v56, v56, v4, s[10:11]
	v_cndmask_b32_e64 v56, v56, v5, s[12:13]
	;; [unrolled: 1-line block ×4, first 2 shown]
	v_cmp_eq_u32_e64 s[48:49], 0, v78
	v_cndmask_b32_e64 v56, v56, v8, s[98:99]
	s_waitcnt lgkmcnt(0)
	v_cndmask_b32_e64 v31, v31, v55, s[78:79]
	v_cndmask_b32_e64 v16, v16, v55, s[48:49]
	v_cmp_eq_u32_e64 s[46:47], 1, v79
	v_cndmask_b32_e32 v56, v56, v9, vcc
	v_cndmask_b32_e64 v17, v17, v55, s[94:95]
	v_cndmask_b32_e64 v18, v18, v55, s[92:93]
	;; [unrolled: 1-line block ×15, first 2 shown]
	v_cmp_eq_u32_e64 s[44:45], 2, v79
	v_cndmask_b32_e64 v56, v56, v10, s[0:1]
	v_cmp_eq_u32_e64 s[42:43], 3, v79
	v_cndmask_b32_e64 v55, v55, v30, s[44:45]
	v_cndmask_b32_e64 v56, v56, v11, s[86:87]
	v_cndmask_b32_e64 v55, v55, v29, s[42:43]
	v_cmp_eq_u32_e64 s[38:39], 4, v79
	v_cndmask_b32_e64 v56, v56, v12, s[90:91]
	v_cmp_eq_u32_e64 s[36:37], 5, v79
	v_cndmask_b32_e64 v55, v55, v28, s[38:39]
	v_cndmask_b32_e64 v56, v56, v13, s[88:89]
	v_cndmask_b32_e64 v55, v55, v27, s[36:37]
	;; [unrolled: 6-line block ×3, first 2 shown]
	v_cmp_eq_u32_e64 s[28:29], 8, v79
	ds_bpermute_b32 v56, v96, v56
	v_cmp_eq_u32_e64 s[26:27], 9, v79
	v_cndmask_b32_e64 v55, v55, v24, s[28:29]
	v_cmp_eq_u32_e64 s[24:25], 10, v79
	v_cndmask_b32_e64 v55, v55, v23, s[26:27]
	v_cmp_eq_u32_e64 s[40:41], 11, v79
	v_cndmask_b32_e64 v55, v55, v22, s[24:25]
	v_cmp_eq_u32_e64 s[58:59], 12, v79
	v_cndmask_b32_e64 v55, v55, v21, s[40:41]
	s_waitcnt lgkmcnt(0)
	v_cndmask_b32_e64 v15, v15, v56, s[82:83]
	v_cndmask_b32_e64 v55, v55, v20, s[58:59]
	v_cmp_eq_u32_e64 s[82:83], 13, v79
	v_cndmask_b32_e64 v14, v14, v56, s[84:85]
	v_cmp_eq_u32_e64 s[84:85], 14, v79
	v_cndmask_b32_e64 v55, v55, v19, s[82:83]
	v_cndmask_b32_e64 v1, v1, v56, s[4:5]
	;; [unrolled: 1-line block ×6, first 2 shown]
	v_cmp_eq_u32_e64 s[90:91], 15, v79
	v_cndmask_b32_e64 v11, v11, v56, s[86:87]
	v_cndmask_b32_e64 v10, v10, v56, s[0:1]
	v_cndmask_b32_e32 v9, v9, v56, vcc
	v_cndmask_b32_e64 v8, v8, v56, s[98:99]
	v_cndmask_b32_e64 v7, v7, v56, s[96:97]
	;; [unrolled: 1-line block ×10, first 2 shown]
	ds_bpermute_b32 v55, v96, v55
	v_cndmask_b32_e64 v56, v56, v3, s[74:75]
	v_cndmask_b32_e64 v56, v56, v4, s[72:73]
	;; [unrolled: 1-line block ×4, first 2 shown]
	v_cmp_eq_u32_e64 s[54:55], 0, v79
	v_cndmask_b32_e64 v56, v56, v7, s[60:61]
	s_waitcnt lgkmcnt(0)
	v_cndmask_b32_e64 v31, v31, v55, s[46:47]
	v_cndmask_b32_e64 v16, v16, v55, s[54:55]
	v_cmp_eq_u32_e64 s[0:1], 1, v80
	v_cndmask_b32_e64 v56, v56, v8, s[56:57]
	v_cndmask_b32_e64 v17, v17, v55, s[90:91]
	;; [unrolled: 1-line block ×16, first 2 shown]
	v_cmp_eq_u32_e64 s[2:3], 2, v80
	v_cndmask_b32_e64 v56, v56, v9, s[52:53]
	v_cmp_eq_u32_e64 s[98:99], 3, v80
	v_cndmask_b32_e64 v55, v55, v30, s[2:3]
	v_cndmask_b32_e64 v56, v56, v10, s[50:51]
	v_cndmask_b32_e64 v55, v55, v29, s[98:99]
	v_cmp_eq_u32_e64 s[96:97], 4, v80
	v_cndmask_b32_e64 v56, v56, v11, s[70:71]
	v_cmp_eq_u32_e64 s[14:15], 5, v80
	v_cndmask_b32_e64 v55, v55, v28, s[96:97]
	v_cndmask_b32_e64 v56, v56, v12, s[66:67]
	v_cndmask_b32_e64 v55, v55, v27, s[14:15]
	;; [unrolled: 6-line block ×3, first 2 shown]
	v_cmp_eq_u32_e64 s[8:9], 8, v80
	v_cndmask_b32_e64 v56, v56, v15, s[94:95]
	v_cmp_eq_u32_e64 s[6:7], 9, v80
	v_cndmask_b32_e64 v55, v55, v24, s[8:9]
	ds_bpermute_b32 v56, v96, v56
	v_cndmask_b32_e64 v55, v55, v23, s[6:7]
	v_cmp_eq_u32_e32 vcc, 10, v80
	v_cmp_eq_u32_e64 s[80:81], 11, v80
	v_cmp_eq_u32_e64 s[86:87], 12, v80
	v_cndmask_b32_e32 v55, v55, v22, vcc
	v_cndmask_b32_e64 v55, v55, v21, s[80:81]
	v_cndmask_b32_e64 v55, v55, v20, s[86:87]
	v_cmp_eq_u32_e64 s[88:89], 13, v80
	s_waitcnt lgkmcnt(0)
	v_cndmask_b32_e64 v13, v13, v56, s[62:63]
	v_cmp_eq_u32_e64 s[62:63], 14, v80
	v_cndmask_b32_e64 v55, v55, v19, s[88:89]
	v_cndmask_b32_e64 v12, v12, v56, s[66:67]
	;; [unrolled: 1-line block ×3, first 2 shown]
	v_cmp_eq_u32_e64 s[66:67], 15, v80
	v_cndmask_b32_e64 v57, v11, v56, s[70:71]
	v_cmp_eq_u32_e64 s[70:71], 0, v80
	v_cndmask_b32_e64 v55, v55, v17, s[66:67]
	ds_bpermute_b32 v55, v96, v55
	v_cndmask_b32_e64 v15, v15, v56, s[94:95]
	v_cndmask_b32_e64 v14, v14, v56, s[92:93]
	;; [unrolled: 1-line block ×4, first 2 shown]
	s_waitcnt lgkmcnt(0)
	v_cndmask_b32_e64 v17, v17, v55, s[66:67]
	v_cndmask_b32_e64 v18, v18, v55, s[62:63]
	;; [unrolled: 1-line block ×5, first 2 shown]
	v_cndmask_b32_e32 v22, v22, v55, vcc
	v_cndmask_b32_e64 v23, v23, v55, s[6:7]
	v_cndmask_b32_e64 v24, v24, v55, s[8:9]
	v_cndmask_b32_e64 v25, v25, v55, s[10:11]
	v_cndmask_b32_e64 v26, v26, v55, s[12:13]
	v_cndmask_b32_e64 v27, v27, v55, s[14:15]
	v_cndmask_b32_e64 v28, v28, v55, s[96:97]
	v_cndmask_b32_e64 v29, v29, v55, s[98:99]
	v_cndmask_b32_e64 v30, v30, v55, s[2:3]
	v_cndmask_b32_e64 v31, v31, v55, s[0:1]
	v_cndmask_b32_e64 v16, v16, v55, s[70:71]
	v_cndmask_b32_e64 v55, v10, v56, s[50:51]
	v_cndmask_b32_e64 v60, v7, v56, s[60:61]
	v_cndmask_b32_e64 v61, v6, v56, s[64:65]
	v_cndmask_b32_e64 v62, v5, v56, s[68:69]
	v_cndmask_b32_e64 v63, v4, v56, s[72:73]
	v_cndmask_b32_e64 v64, v3, v56, s[74:75]
	v_cndmask_b32_e64 v65, v2, v56, s[76:77]
	v_cndmask_b32_e64 v66, v1, v56, s[78:79]
	v_cndmask_b32_e64 v56, v0, v56, s[48:49]
	v_cndmask_b32_e64 v0, v56, v66, s[46:47]
	v_cndmask_b32_e64 v0, v0, v65, s[44:45]
	v_cndmask_b32_e64 v0, v0, v64, s[42:43]
	v_cndmask_b32_e64 v0, v0, v63, s[38:39]
	v_cndmask_b32_e64 v0, v0, v62, s[36:37]
	v_cndmask_b32_e64 v0, v0, v61, s[34:35]
	v_cndmask_b32_e64 v0, v0, v60, s[30:31]
	v_cndmask_b32_e64 v0, v0, v59, s[28:29]
	v_cndmask_b32_e64 v0, v0, v58, s[26:27]
	v_cmp_eq_u32_e64 s[50:51], 1, v81
	v_cndmask_b32_e64 v0, v0, v55, s[24:25]
	v_cmp_eq_u32_e64 s[52:53], 2, v81
	v_cndmask_b32_e64 v10, v16, v31, s[50:51]
	v_cndmask_b32_e64 v0, v0, v57, s[40:41]
	v_cndmask_b32_e64 v9, v10, v30, s[52:53]
	v_cmp_eq_u32_e64 s[56:57], 3, v81
	v_cndmask_b32_e64 v0, v0, v12, s[58:59]
	v_cmp_eq_u32_e64 s[60:61], 4, v81
	v_cndmask_b32_e64 v8, v9, v29, s[56:57]
	v_cndmask_b32_e64 v0, v0, v13, s[82:83]
	v_cndmask_b32_e64 v7, v8, v28, s[60:61]
	;; [unrolled: 6-line block ×3, first 2 shown]
	v_cmp_eq_u32_e64 s[72:73], 7, v81
	ds_bpermute_b32 v67, v96, v0
	v_cmp_eq_u32_e64 s[74:75], 8, v81
	v_cndmask_b32_e64 v4, v5, v25, s[72:73]
	v_cmp_eq_u32_e64 s[76:77], 9, v81
	v_cndmask_b32_e64 v3, v4, v24, s[74:75]
	;; [unrolled: 2-line block ×4, first 2 shown]
	s_waitcnt lgkmcnt(0)
	v_cndmask_b32_e64 v68, v15, v67, s[90:91]
	v_cndmask_b32_e64 v0, v0, v21, s[78:79]
	v_cmp_eq_u32_e64 s[90:91], 12, v81
	v_cndmask_b32_e64 v69, v14, v67, s[84:85]
	v_cmp_eq_u32_e64 s[84:85], 13, v81
	v_cndmask_b32_e64 v0, v0, v20, s[90:91]
	v_cndmask_b32_e64 v98, v13, v67, s[82:83]
	;; [unrolled: 1-line block ×3, first 2 shown]
	v_cmp_eq_u32_e64 s[82:83], 14, v81
	v_cndmask_b32_e64 v99, v12, v67, s[58:59]
	v_cmp_eq_u32_e64 s[58:59], 15, v81
	v_cndmask_b32_e64 v0, v0, v18, s[82:83]
	s_nop 0
	v_cndmask_b32_e64 v0, v0, v17, s[58:59]
	ds_bpermute_b32 v1, v96, v0
	s_waitcnt lgkmcnt(0)
	v_cndmask_b32_e64 v12, v27, v1, s[64:65]
	v_cndmask_b32_e64 v13, v28, v1, s[60:61]
	;; [unrolled: 1-line block ×29, first 2 shown]
	v_cmp_eq_u32_e64 s[40:41], 0, v81
	v_cndmask_b32_e64 v19, v58, v67, s[26:27]
	v_cndmask_b32_e64 v29, v29, v20, s[8:9]
	;; [unrolled: 1-line block ×8, first 2 shown]
	v_cndmask_b32_e32 v29, v29, v16, vcc
	v_cndmask_b32_e64 v29, v29, v17, s[80:81]
	v_cndmask_b32_e64 v29, v29, v99, s[86:87]
	;; [unrolled: 1-line block ×5, first 2 shown]
	ds_bpermute_b32 v29, v96, v29
	v_cmp_eq_u32_e64 s[24:25], 1, v82
	v_cmp_eq_u32_e64 s[26:27], 2, v82
	;; [unrolled: 1-line block ×3, first 2 shown]
	v_cndmask_b32_e64 v18, v1, v0, s[24:25]
	s_waitcnt lgkmcnt(0)
	v_cndmask_b32_e64 v65, v27, v29, s[0:1]
	v_cndmask_b32_e64 v66, v28, v29, s[70:71]
	v_cndmask_b32_e64 v57, v19, v29, s[6:7]
	v_cndmask_b32_e64 v64, v26, v29, s[2:3]
	v_cndmask_b32_e64 v19, v66, v65, s[50:51]
	v_cndmask_b32_e64 v63, v25, v29, s[98:99]
	v_cndmask_b32_e64 v19, v19, v64, s[52:53]
	v_cndmask_b32_e64 v62, v24, v29, s[96:97]
	v_cndmask_b32_e64 v19, v19, v63, s[56:57]
	v_cndmask_b32_e64 v61, v23, v29, s[14:15]
	v_cndmask_b32_e64 v19, v19, v62, s[60:61]
	v_cndmask_b32_e64 v60, v22, v29, s[12:13]
	v_cndmask_b32_e64 v19, v19, v61, s[64:65]
	v_cndmask_b32_e64 v59, v21, v29, s[10:11]
	v_cndmask_b32_e64 v19, v19, v60, s[68:69]
	v_cndmask_b32_e64 v58, v20, v29, s[8:9]
	v_cndmask_b32_e64 v19, v19, v59, s[72:73]
	v_cndmask_b32_e64 v19, v19, v58, s[74:75]
	v_cndmask_b32_e32 v16, v16, v29, vcc
	v_cndmask_b32_e64 v19, v19, v57, s[76:77]
	v_cndmask_b32_e64 v17, v17, v29, s[80:81]
	;; [unrolled: 1-line block ×12, first 2 shown]
	ds_bpermute_b32 v67, v96, v19
	v_cndmask_b32_e64 v18, v18, v15, s[26:27]
	v_cndmask_b32_e64 v18, v18, v14, s[28:29]
	v_cmp_eq_u32_e64 s[30:31], 4, v82
	v_cmp_eq_u32_e64 s[34:35], 5, v82
	s_waitcnt lgkmcnt(0)
	v_cndmask_b32_e64 v23, v17, v67, s[78:79]
	v_cndmask_b32_e64 v24, v16, v67, s[48:49]
	;; [unrolled: 1-line block ×18, first 2 shown]
	v_cmp_eq_u32_e64 s[36:37], 6, v82
	v_cndmask_b32_e64 v28, v60, v67, s[68:69]
	v_cndmask_b32_e64 v56, v56, v29, s[34:35]
	v_cndmask_b32_e64 v18, v18, v11, s[36:37]
	v_cmp_eq_u32_e64 s[38:39], 7, v82
	v_cndmask_b32_e64 v27, v59, v67, s[72:73]
	v_cndmask_b32_e64 v56, v56, v28, s[36:37]
	v_cndmask_b32_e64 v18, v18, v10, s[38:39]
	;; [unrolled: 4-line block ×4, first 2 shown]
	v_cmp_eq_u32_e64 s[46:47], 10, v82
	v_cndmask_b32_e64 v56, v56, v25, s[44:45]
	v_cmp_eq_u32_e64 s[54:55], 11, v82
	v_cndmask_b32_e64 v18, v18, v7, s[46:47]
	v_cndmask_b32_e64 v56, v56, v24, s[46:47]
	;; [unrolled: 1-line block ×3, first 2 shown]
	v_cmp_eq_u32_e64 s[66:67], 12, v82
	v_cndmask_b32_e64 v56, v56, v23, s[54:55]
	v_cmp_eq_u32_e64 s[62:63], 13, v82
	v_cndmask_b32_e64 v18, v18, v5, s[66:67]
	v_cndmask_b32_e64 v56, v56, v22, s[66:67]
	;; [unrolled: 1-line block ×3, first 2 shown]
	v_cmp_eq_u32_e32 vcc, 14, v82
	v_cndmask_b32_e64 v56, v56, v21, s[62:63]
	v_cmp_eq_u32_e64 s[6:7], 15, v82
	v_cndmask_b32_e32 v18, v18, v3, vcc
	v_cndmask_b32_e32 v56, v56, v20, vcc
	v_cndmask_b32_e64 v18, v18, v2, s[6:7]
	v_cndmask_b32_e64 v56, v56, v19, s[6:7]
	ds_bpermute_b32 v18, v96, v18
	ds_bpermute_b32 v58, v96, v56
	v_readlane_b32 s53, v107, 34
	s_nop 1
	v_cmp_lt_i32_e32 vcc, s53, v84
	s_and_saveexec_b64 s[40:41], vcc
	v_readlane_b32 s44, v107, 2
	v_readlane_b32 s45, v107, 3
	;; [unrolled: 1-line block ×11, first 2 shown]
	s_cbranch_execz .LBB46_32
; %bb.24:                               ;   in Loop: Header=BB46_7 Depth=1
	s_mul_i32 s0, s52, s17
	s_ashr_i32 s1, s0, 31
	s_lshl_b64 s[0:1], s[0:1], 1
	s_add_u32 s2, s48, s0
	v_cmp_eq_u32_e64 s[34:35], 1, v82
	v_cmp_eq_u32_e64 s[36:37], 0, v82
	s_addc_u32 s3, s49, s1
	s_ashr_i32 s55, s54, 31
	s_waitcnt lgkmcnt(1)
	v_cndmask_b32_e64 v56, v0, v18, s[34:35]
	v_cndmask_b32_e64 v57, v1, v18, s[36:37]
	s_lshl_b64 s[0:1], s[54:55], 1
	s_waitcnt lgkmcnt(0)
	v_cndmask_b32_e64 v59, v16, v58, s[34:35]
	v_cndmask_b32_e64 v60, v17, v58, s[36:37]
	v_cvt_f16_f32_e32 v57, v57
	v_cvt_f16_f32_sdwa v56, v56 dst_sel:WORD_1 dst_unused:UNUSED_PAD src0_sel:DWORD
	s_add_u32 s42, s2, s0
	v_cvt_f16_f32_e32 v60, v60
	v_cvt_f16_f32_sdwa v59, v59 dst_sel:WORD_1 dst_unused:UNUSED_PAD src0_sel:DWORD
	s_addc_u32 s43, s3, s1
	v_lshl_add_u64 v[0:1], s[42:43], 0, v[32:33]
	v_cmp_eq_u32_e32 vcc, 15, v82
	v_cmp_eq_u32_e64 s[6:7], 14, v82
	v_cmp_eq_u32_e64 s[8:9], 13, v82
	;; [unrolled: 1-line block ×13, first 2 shown]
	v_lshl_add_u64 v[16:17], v[34:35], 1, v[0:1]
	v_or_b32_e32 v56, v56, v57
	v_cmp_lt_i32_e64 s[34:35], s53, v85
	;;#ASMSTART
	global_atomic_pk_add_f16 v[16:17], v56, off
	
	;;#ASMEND
	v_lshl_add_u64 v[16:17], v[16:17], 0, 64
	v_or_b32_e32 v56, v59, v60
	;;#ASMSTART
	global_atomic_pk_add_f16 v[16:17], v56, off
	
	;;#ASMEND
	s_and_b64 exec, exec, s[34:35]
	s_cbranch_execz .LBB46_32
; %bb.25:                               ;   in Loop: Header=BB46_7 Depth=1
	v_cndmask_b32_e32 v2, v2, v18, vcc
	v_cndmask_b32_e64 v3, v3, v18, s[6:7]
	v_cndmask_b32_e64 v16, v4, v18, s[8:9]
	;; [unrolled: 1-line block ×19, first 2 shown]
	v_cvt_f16_f32_e32 v22, v18
	v_cvt_f16_f32_sdwa v23, v65 dst_sel:WORD_1 dst_unused:UNUSED_PAD src0_sel:DWORD
	v_cvt_f16_f32_e32 v21, v21
	v_cvt_f16_f32_sdwa v20, v20 dst_sel:WORD_1 dst_unused:UNUSED_PAD src0_sel:DWORD
	v_cndmask_b32_e32 v4, v19, v58, vcc
	v_cndmask_b32_e64 v9, v24, v58, s[14:15]
	v_cndmask_b32_e64 v10, v25, v58, s[0:1]
	;; [unrolled: 1-line block ×7, first 2 shown]
	v_lshl_add_u64 v[18:19], v[36:37], 1, v[0:1]
	v_cmp_lt_i32_e32 vcc, s53, v86
	v_or_b32_e32 v22, v23, v22
	;;#ASMSTART
	global_atomic_pk_add_f16 v[18:19], v22, off
	
	;;#ASMEND
	v_lshl_add_u64 v[18:19], v[18:19], 0, 64
	v_or_b32_e32 v20, v20, v21
	;;#ASMSTART
	global_atomic_pk_add_f16 v[18:19], v20, off
	
	;;#ASMEND
	s_and_b64 exec, exec, vcc
	s_cbranch_execz .LBB46_32
; %bb.26:                               ;   in Loop: Header=BB46_7 Depth=1
	v_cvt_f16_f32_e32 v20, v64
	v_cvt_f16_f32_sdwa v21, v63 dst_sel:WORD_1 dst_unused:UNUSED_PAD src0_sel:DWORD
	v_cvt_f16_f32_e32 v22, v15
	v_cvt_f16_f32_sdwa v23, v14 dst_sel:WORD_1 dst_unused:UNUSED_PAD src0_sel:DWORD
	v_lshl_add_u64 v[18:19], v[38:39], 1, v[0:1]
	v_or_b32_e32 v14, v21, v20
	v_cmp_lt_i32_e32 vcc, s53, v87
	;;#ASMSTART
	global_atomic_pk_add_f16 v[18:19], v14, off
	
	;;#ASMEND
	v_lshl_add_u64 v[14:15], v[18:19], 0, 64
	v_or_b32_e32 v18, v23, v22
	;;#ASMSTART
	global_atomic_pk_add_f16 v[14:15], v18, off
	
	;;#ASMEND
	s_and_b64 exec, exec, vcc
	s_cbranch_execz .LBB46_32
; %bb.27:                               ;   in Loop: Header=BB46_7 Depth=1
	v_cvt_f16_f32_e32 v18, v62
	v_cvt_f16_f32_sdwa v19, v61 dst_sel:WORD_1 dst_unused:UNUSED_PAD src0_sel:DWORD
	v_cvt_f16_f32_e32 v20, v13
	v_cvt_f16_f32_sdwa v21, v12 dst_sel:WORD_1 dst_unused:UNUSED_PAD src0_sel:DWORD
	v_lshl_add_u64 v[14:15], v[40:41], 1, v[0:1]
	v_or_b32_e32 v12, v19, v18
	v_cmp_lt_i32_e32 vcc, s53, v88
	;; [unrolled: 20-line block ×5, first 2 shown]
	;;#ASMSTART
	global_atomic_pk_add_f16 v[8:9], v6, off
	
	;;#ASMEND
	v_lshl_add_u64 v[6:7], v[8:9], 0, 64
	v_or_b32_e32 v8, v13, v12
	;;#ASMSTART
	global_atomic_pk_add_f16 v[6:7], v8, off
	
	;;#ASMEND
	s_and_b64 exec, exec, vcc
	s_cbranch_execz .LBB46_32
; %bb.31:                               ;   in Loop: Header=BB46_7 Depth=1
	v_cvt_f16_f32_e32 v3, v3
	v_cvt_f16_f32_sdwa v2, v2 dst_sel:WORD_1 dst_unused:UNUSED_PAD src0_sel:DWORD
	v_cvt_f16_f32_e32 v5, v5
	v_cvt_f16_f32_sdwa v4, v4 dst_sel:WORD_1 dst_unused:UNUSED_PAD src0_sel:DWORD
	v_lshl_add_u64 v[0:1], v[48:49], 1, v[0:1]
	v_or_b32_e32 v2, v2, v3
	;;#ASMSTART
	global_atomic_pk_add_f16 v[0:1], v2, off
	
	;;#ASMEND
	v_lshl_add_u64 v[0:1], v[0:1], 0, 64
	v_or_b32_e32 v2, v4, v5
	;;#ASMSTART
	global_atomic_pk_add_f16 v[0:1], v2, off
	
	;;#ASMEND
.LBB46_32:                              ;   in Loop: Header=BB46_7 Depth=1
	s_or_b64 exec, exec, s[40:41]
	v_readlane_b32 s14, v107, 10
	v_readlane_b32 s24, v107, 12
	;; [unrolled: 1-line block ×6, first 2 shown]
	v_subrev_u32_e32 v97, s20, v97
	v_readlane_b32 s11, v107, 0
	v_readlane_b32 s12, v107, 1
	;; [unrolled: 1-line block ×19, first 2 shown]
.LBB46_33:                              ;   in Loop: Header=BB46_7 Depth=1
	s_or_b64 exec, exec, s[2:3]
.LBB46_34:                              ;   in Loop: Header=BB46_7 Depth=1
	s_andn2_saveexec_b64 s[0:1], s[4:5]
	s_cbranch_execz .LBB46_43
; %bb.35:                               ;   in Loop: Header=BB46_7 Depth=1
	s_lshl_b32 s10, s20, 1
	v_cmp_gt_i32_e32 vcc, s10, v97
	s_and_saveexec_b64 s[2:3], vcc
	s_cbranch_execz .LBB46_42
; %bb.36:                               ;   in Loop: Header=BB46_7 Depth=1
	s_mul_i32 s4, s54, s19
	s_ashr_i32 s5, s4, 31
	s_add_u32 s4, s46, s4
	s_addc_u32 s5, s47, s5
	s_ashr_i32 s6, s39, 31
	s_add_u32 s4, s4, s39
	s_addc_u32 s5, s5, s6
	v_lshl_add_u64 v[0:1], s[4:5], 0, v[52:53]
	v_lshl_add_u64 v[16:17], v[0:1], 0, v[50:51]
	s_mov_b64 s[4:5], 0
	s_branch .LBB46_38
.LBB46_37:                              ;   in Loop: Header=BB46_38 Depth=2
	s_or_b64 exec, exec, s[6:7]
	v_lshl_or_b32 v20, v18, 12, v92
	;;#ASMSTART
	s_waitcnt vmcnt(3)
	;;#ASMEND
	ds_write2_b32 v20, v12, v13 offset1:32
	ds_write2_b32 v20, v14, v15 offset0:64 offset1:96
	v_add_u32_e32 v12, 0x400, v20
	;;#ASMSTART
	s_waitcnt vmcnt(2)
	;;#ASMEND
	ds_write2_b32 v12, v8, v9 offset1:32
	ds_write2_b32 v12, v10, v11 offset0:64 offset1:96
	v_add_u32_e32 v8, 0x800, v20
	;; [unrolled: 6-line block ×3, first 2 shown]
	v_add_u32_e32 v97, s22, v97
	;;#ASMSTART
	s_waitcnt vmcnt(0)
	;;#ASMEND
	ds_write2_b32 v4, v0, v1 offset1:32
	ds_write2_b32 v4, v2, v3 offset0:64 offset1:96
	v_add_u32_e32 v0, 1, v71
	v_add_u32_e32 v54, s22, v18
	v_cmp_le_i32_e32 vcc, s10, v97
	ds_write_b32 v19, v0 offset:8
	v_add_u32_e32 v0, 2, v71
	s_or_b64 s[4:5], vcc, s[4:5]
	v_cmp_lt_i32_e32 vcc, 3, v54
	s_nop 1
	v_cndmask_b32_e32 v71, v71, v0, vcc
	s_andn2_b64 exec, exec, s[4:5]
	s_cbranch_execz .LBB46_41
.LBB46_38:                              ;   Parent Loop BB46_7 Depth=1
                                        ; =>  This Loop Header: Depth=2
                                        ;       Child Loop BB46_40 Depth 3
	v_cmp_gt_i32_e32 vcc, 4, v54
	s_nop 1
	v_cndmask_b32_e64 v0, -4, 0, vcc
	s_waitcnt lgkmcnt(1)
	v_add_u32_e32 v18, v0, v54
	v_lshrrev_b32_e32 v0, 31, v97
	v_add_u32_e32 v0, v97, v0
	v_and_b32_e32 v1, -2, v0
	v_lshlrev_b32_e32 v0, 6, v0
	v_sub_u32_e32 v2, v97, v1
	v_and_b32_e32 v0, 0xffffff80, v0
	v_ashrrev_i32_e32 v1, 31, v0
	v_mul_lo_u32 v2, s31, v2
	v_lshl_add_u64 v[0:1], v[16:17], 0, v[0:1]
	v_ashrrev_i32_e32 v3, 31, v2
	v_lshl_add_u64 v[0:1], v[0:1], 0, v[2:3]
	v_lshlrev_b32_e32 v19, 2, v18
	;;#ASMSTART
	global_load_dwordx4 v[12:15], v[0:1], off offset:0   sc0 sc1 nt  
	global_load_dwordx4 v[8:11], v[0:1], off offset:32  sc0 sc1 nt  
	global_load_dwordx4 v[4:7], v[0:1], off offset:64  sc0 sc1 nt  
	;; [unrolled: 1-line block ×3, first 2 shown]
	
	;;#ASMEND
	ds_read_b32 v20, v19 offset:24584
	v_add_u32_e32 v19, 0x6000, v19
	s_waitcnt lgkmcnt(0)
	v_cmp_ne_u32_e32 vcc, v20, v71
	s_and_saveexec_b64 s[6:7], vcc
	s_cbranch_execz .LBB46_37
; %bb.39:                               ;   in Loop: Header=BB46_38 Depth=2
	s_mov_b64 s[8:9], 0
.LBB46_40:                              ;   Parent Loop BB46_7 Depth=1
                                        ;     Parent Loop BB46_38 Depth=2
                                        ; =>    This Inner Loop Header: Depth=3
	;;#ASMSTART
	s_sleep 0
	;;#ASMEND
	ds_read_b32 v20, v19 offset:8
	s_waitcnt lgkmcnt(0)
	v_cmp_eq_u32_e32 vcc, v20, v71
	s_or_b64 s[8:9], vcc, s[8:9]
	s_andn2_b64 exec, exec, s[8:9]
	s_cbranch_execnz .LBB46_40
	s_branch .LBB46_37
.LBB46_41:                              ;   in Loop: Header=BB46_7 Depth=1
	s_or_b64 exec, exec, s[4:5]
.LBB46_42:                              ;   in Loop: Header=BB46_7 Depth=1
	s_or_b64 exec, exec, s[2:3]
	v_subrev_u32_e32 v97, s10, v97
.LBB46_43:                              ;   in Loop: Header=BB46_7 Depth=1
	s_or_b64 exec, exec, s[0:1]
.LBB46_44:                              ;   in Loop: Header=BB46_7 Depth=1
	s_andn2_saveexec_b64 s[0:1], s[40:41]
	s_cbranch_execz .LBB46_6
; %bb.45:                               ;   in Loop: Header=BB46_7 Depth=1
	v_cmp_gt_i32_e32 vcc, s20, v97
	s_and_saveexec_b64 s[2:3], vcc
	s_cbranch_execz .LBB46_5
; %bb.46:                               ;   in Loop: Header=BB46_7 Depth=1
	s_mul_i32 s4, s52, s18
	s_ashr_i32 s5, s4, 31
	s_add_u32 s4, s44, s4
	s_addc_u32 s5, s45, s5
	s_ashr_i32 s6, s39, 31
	v_cmp_le_i32_e32 vcc, s53, v93
	s_add_u32 s4, s4, s39
	s_addc_u32 s5, s5, s6
	v_cndmask_b32_e32 v0, 0, v94, vcc
	v_ashrrev_i32_e32 v1, 31, v0
	v_lshl_add_u64 v[0:1], s[4:5], 0, v[0:1]
	v_lshl_add_u64 v[16:17], v[0:1], 0, v[50:51]
	s_mov_b64 s[4:5], 0
	s_branch .LBB46_48
.LBB46_47:                              ;   in Loop: Header=BB46_48 Depth=2
	s_or_b64 exec, exec, s[6:7]
	v_lshl_add_u32 v20, v18, 12, v95
	;;#ASMSTART
	s_waitcnt vmcnt(3)
	;;#ASMEND
	ds_write2_b32 v20, v12, v13 offset1:32
	ds_write2_b32 v20, v14, v15 offset0:64 offset1:96
	v_add_u32_e32 v12, 0x400, v20
	;;#ASMSTART
	s_waitcnt vmcnt(2)
	;;#ASMEND
	ds_write2_b32 v12, v8, v9 offset1:32
	ds_write2_b32 v12, v10, v11 offset0:64 offset1:96
	v_add_u32_e32 v8, 0x800, v20
	;; [unrolled: 6-line block ×3, first 2 shown]
	v_add_u32_e32 v97, s21, v97
	;;#ASMSTART
	s_waitcnt vmcnt(0)
	;;#ASMEND
	ds_write2_b32 v4, v0, v1 offset1:32
	ds_write2_b32 v4, v2, v3 offset0:64 offset1:96
	v_add_u32_e32 v0, 1, v71
	v_add_u32_e32 v54, s21, v18
	v_cmp_le_i32_e32 vcc, s20, v97
	ds_write_b32 v19, v0
	v_add_u32_e32 v0, 2, v71
	s_or_b64 s[4:5], vcc, s[4:5]
	v_cmp_lt_i32_e32 vcc, 1, v54
	s_nop 1
	v_cndmask_b32_e32 v71, v71, v0, vcc
	s_andn2_b64 exec, exec, s[4:5]
	s_cbranch_execz .LBB46_4
.LBB46_48:                              ;   Parent Loop BB46_7 Depth=1
                                        ; =>  This Loop Header: Depth=2
                                        ;       Child Loop BB46_50 Depth 3
	v_cmp_gt_i32_e32 vcc, 2, v54
	s_nop 1
	v_cndmask_b32_e64 v0, -2, 0, vcc
	s_waitcnt lgkmcnt(1)
	v_add_u32_e32 v18, v0, v54
	v_lshlrev_b32_e32 v0, 7, v97
	v_ashrrev_i32_e32 v1, 31, v0
	v_lshl_add_u64 v[0:1], v[16:17], 0, v[0:1]
	v_lshlrev_b32_e32 v19, 2, v18
	;;#ASMSTART
	global_load_dwordx4 v[12:15], v[0:1], off offset:0   
	global_load_dwordx4 v[8:11], v[0:1], off offset:32  
	;; [unrolled: 1-line block ×4, first 2 shown]
	
	;;#ASMEND
	ds_read_b32 v20, v19 offset:24576
	v_add_u32_e32 v19, 0x6000, v19
	s_waitcnt lgkmcnt(0)
	v_cmp_ne_u32_e32 vcc, v20, v71
	s_and_saveexec_b64 s[6:7], vcc
	s_cbranch_execz .LBB46_47
; %bb.49:                               ;   in Loop: Header=BB46_48 Depth=2
	s_mov_b64 s[8:9], 0
.LBB46_50:                              ;   Parent Loop BB46_7 Depth=1
                                        ;     Parent Loop BB46_48 Depth=2
                                        ; =>    This Inner Loop Header: Depth=3
	;;#ASMSTART
	s_sleep 0
	;;#ASMEND
	ds_read_b32 v20, v19
	s_waitcnt lgkmcnt(0)
	v_cmp_eq_u32_e32 vcc, v20, v71
	s_or_b64 s[8:9], vcc, s[8:9]
	s_andn2_b64 exec, exec, s[8:9]
	s_cbranch_execnz .LBB46_50
	s_branch .LBB46_47
.LBB46_51:
	s_endpgm
	.section	.rodata,"a",@progbits
	.p2align	6, 0x0
	.amdhsa_kernel _Z19_skinny_gemm_kernelILi1ELi2ELi2ELi32ELi8EEvPKhS1_P6__halfPKfiiiiiiii
		.amdhsa_group_segment_fixed_size 24600
		.amdhsa_private_segment_fixed_size 0
		.amdhsa_kernarg_size 64
		.amdhsa_user_sgpr_count 2
		.amdhsa_user_sgpr_dispatch_ptr 0
		.amdhsa_user_sgpr_queue_ptr 0
		.amdhsa_user_sgpr_kernarg_segment_ptr 1
		.amdhsa_user_sgpr_dispatch_id 0
		.amdhsa_user_sgpr_kernarg_preload_length 0
		.amdhsa_user_sgpr_kernarg_preload_offset 0
		.amdhsa_user_sgpr_private_segment_size 0
		.amdhsa_uses_dynamic_stack 0
		.amdhsa_enable_private_segment 0
		.amdhsa_system_sgpr_workgroup_id_x 1
		.amdhsa_system_sgpr_workgroup_id_y 0
		.amdhsa_system_sgpr_workgroup_id_z 0
		.amdhsa_system_sgpr_workgroup_info 0
		.amdhsa_system_vgpr_workitem_id 0
		.amdhsa_next_free_vgpr 108
		.amdhsa_next_free_sgpr 100
		.amdhsa_accum_offset 108
		.amdhsa_reserve_vcc 1
		.amdhsa_float_round_mode_32 0
		.amdhsa_float_round_mode_16_64 0
		.amdhsa_float_denorm_mode_32 3
		.amdhsa_float_denorm_mode_16_64 3
		.amdhsa_dx10_clamp 1
		.amdhsa_ieee_mode 1
		.amdhsa_fp16_overflow 0
		.amdhsa_tg_split 0
		.amdhsa_exception_fp_ieee_invalid_op 0
		.amdhsa_exception_fp_denorm_src 0
		.amdhsa_exception_fp_ieee_div_zero 0
		.amdhsa_exception_fp_ieee_overflow 0
		.amdhsa_exception_fp_ieee_underflow 0
		.amdhsa_exception_fp_ieee_inexact 0
		.amdhsa_exception_int_div_zero 0
	.end_amdhsa_kernel
	.section	.text._Z19_skinny_gemm_kernelILi1ELi2ELi2ELi32ELi8EEvPKhS1_P6__halfPKfiiiiiiii,"axG",@progbits,_Z19_skinny_gemm_kernelILi1ELi2ELi2ELi32ELi8EEvPKhS1_P6__halfPKfiiiiiiii,comdat
.Lfunc_end46:
	.size	_Z19_skinny_gemm_kernelILi1ELi2ELi2ELi32ELi8EEvPKhS1_P6__halfPKfiiiiiiii, .Lfunc_end46-_Z19_skinny_gemm_kernelILi1ELi2ELi2ELi32ELi8EEvPKhS1_P6__halfPKfiiiiiiii
                                        ; -- End function
	.set _Z19_skinny_gemm_kernelILi1ELi2ELi2ELi32ELi8EEvPKhS1_P6__halfPKfiiiiiiii.num_vgpr, 108
	.set _Z19_skinny_gemm_kernelILi1ELi2ELi2ELi32ELi8EEvPKhS1_P6__halfPKfiiiiiiii.num_agpr, 0
	.set _Z19_skinny_gemm_kernelILi1ELi2ELi2ELi32ELi8EEvPKhS1_P6__halfPKfiiiiiiii.numbered_sgpr, 100
	.set _Z19_skinny_gemm_kernelILi1ELi2ELi2ELi32ELi8EEvPKhS1_P6__halfPKfiiiiiiii.num_named_barrier, 0
	.set _Z19_skinny_gemm_kernelILi1ELi2ELi2ELi32ELi8EEvPKhS1_P6__halfPKfiiiiiiii.private_seg_size, 0
	.set _Z19_skinny_gemm_kernelILi1ELi2ELi2ELi32ELi8EEvPKhS1_P6__halfPKfiiiiiiii.uses_vcc, 1
	.set _Z19_skinny_gemm_kernelILi1ELi2ELi2ELi32ELi8EEvPKhS1_P6__halfPKfiiiiiiii.uses_flat_scratch, 0
	.set _Z19_skinny_gemm_kernelILi1ELi2ELi2ELi32ELi8EEvPKhS1_P6__halfPKfiiiiiiii.has_dyn_sized_stack, 0
	.set _Z19_skinny_gemm_kernelILi1ELi2ELi2ELi32ELi8EEvPKhS1_P6__halfPKfiiiiiiii.has_recursion, 0
	.set _Z19_skinny_gemm_kernelILi1ELi2ELi2ELi32ELi8EEvPKhS1_P6__halfPKfiiiiiiii.has_indirect_call, 0
	.section	.AMDGPU.csdata,"",@progbits
; Kernel info:
; codeLenInByte = 10056
; TotalNumSgprs: 106
; NumVgprs: 108
; NumAgprs: 0
; TotalNumVgprs: 108
; ScratchSize: 0
; MemoryBound: 0
; FloatMode: 240
; IeeeMode: 1
; LDSByteSize: 24600 bytes/workgroup (compile time only)
; SGPRBlocks: 13
; VGPRBlocks: 13
; NumSGPRsForWavesPerEU: 106
; NumVGPRsForWavesPerEU: 108
; AccumOffset: 108
; Occupancy: 4
; WaveLimiterHint : 0
; COMPUTE_PGM_RSRC2:SCRATCH_EN: 0
; COMPUTE_PGM_RSRC2:USER_SGPR: 2
; COMPUTE_PGM_RSRC2:TRAP_HANDLER: 0
; COMPUTE_PGM_RSRC2:TGID_X_EN: 1
; COMPUTE_PGM_RSRC2:TGID_Y_EN: 0
; COMPUTE_PGM_RSRC2:TGID_Z_EN: 0
; COMPUTE_PGM_RSRC2:TIDIG_COMP_CNT: 0
; COMPUTE_PGM_RSRC3_GFX90A:ACCUM_OFFSET: 26
; COMPUTE_PGM_RSRC3_GFX90A:TG_SPLIT: 0
	.section	.text._Z19_skinny_gemm_kernelILi1ELi2ELi3ELi8ELi4EEvPKhS1_P6__halfPKfiiiiiiii,"axG",@progbits,_Z19_skinny_gemm_kernelILi1ELi2ELi3ELi8ELi4EEvPKhS1_P6__halfPKfiiiiiiii,comdat
	.protected	_Z19_skinny_gemm_kernelILi1ELi2ELi3ELi8ELi4EEvPKhS1_P6__halfPKfiiiiiiii ; -- Begin function _Z19_skinny_gemm_kernelILi1ELi2ELi3ELi8ELi4EEvPKhS1_P6__halfPKfiiiiiiii
	.globl	_Z19_skinny_gemm_kernelILi1ELi2ELi3ELi8ELi4EEvPKhS1_P6__halfPKfiiiiiiii
	.p2align	8
	.type	_Z19_skinny_gemm_kernelILi1ELi2ELi3ELi8ELi4EEvPKhS1_P6__halfPKfiiiiiiii,@function
_Z19_skinny_gemm_kernelILi1ELi2ELi3ELi8ELi4EEvPKhS1_P6__halfPKfiiiiiiii: ; @_Z19_skinny_gemm_kernelILi1ELi2ELi3ELi8ELi4EEvPKhS1_P6__halfPKfiiiiiiii
; %bb.0:
	v_cmp_gt_u32_e32 vcc, 9, v0
	v_lshlrev_b32_e32 v1, 2, v0
	s_and_saveexec_b64 s[4:5], vcc
; %bb.1:
	v_mov_b32_e32 v2, 0
	ds_write_b32 v1, v2 offset:30720
; %bb.2:
	s_or_b64 exec, exec, s[4:5]
	s_load_dwordx8 s[12:19], s[0:1], 0x20
	s_waitcnt lgkmcnt(0)
	s_barrier
	s_add_i32 s3, s12, 7
	s_ashr_i32 s5, s3, 31
	s_add_i32 s4, s13, 31
	s_lshr_b32 s5, s5, 29
	s_ashr_i32 s6, s4, 31
	s_add_i32 s3, s3, s5
	s_ashr_i32 s33, s3, 3
	s_lshr_b32 s3, s6, 27
	s_add_i32 s4, s4, s3
	s_ashr_i32 s42, s4, 5
	s_mul_i32 s3, s42, s33
	s_mul_i32 s3, s3, s16
	s_add_i32 s4, s3, 0x12f
	s_mul_hi_i32 s4, s4, 0x6bca1af3
	s_lshr_b32 s5, s4, 31
	s_ashr_i32 s4, s4, 7
	s_add_i32 s4, s4, s5
	s_add_i32 s5, s2, 1
	s_mul_i32 s5, s4, s5
	v_cvt_f64_i32_e32 v[2:3], s3
	v_cvt_f64_u32_e32 v[4:5], s5
	v_min_f64 v[2:3], v[2:3], v[4:5]
	v_cvt_i32_f64_e32 v17, v[2:3]
	s_mul_i32 s43, s4, s2
	v_cmp_ge_i32_e32 vcc, s43, v17
	s_cbranch_vccnz .LBB47_44
; %bb.3:
	v_lshrrev_b32_e32 v2, 6, v0
	s_add_i32 s4, s18, s17
	s_load_dwordx8 s[20:27], s[0:1], 0x0
	v_cmp_le_i32_e64 s[0:1], s4, v2
	v_mov_b32_e32 v3, s17
	v_cmp_le_i32_e64 s[2:3], s17, v2
	v_mov_b32_e32 v4, s18
	v_cndmask_b32_e64 v4, 0, v4, s[0:1]
	v_cndmask_b32_e64 v3, 0, v3, s[2:3]
	s_abs_i32 s5, s16
	v_add_u32_e32 v3, v3, v4
	v_cvt_f32_u32_e32 v4, s5
	v_sub_u32_e32 v10, v2, v3
	s_ashr_i32 s6, s14, 31
	s_lshr_b32 s6, s6, 24
	v_rcp_iflag_f32_e32 v3, v4
	s_sub_i32 s9, 0, s5
	s_add_i32 s6, s14, s6
	s_ashr_i32 s6, s6, 8
	v_mul_f32_e32 v3, 0x4f7ffffe, v3
	v_cvt_u32_f32_e32 v3, v3
	s_abs_i32 s8, s6
	s_xor_b32 s7, s6, s16
	s_ashr_i32 s7, s7, 31
	v_readfirstlane_b32 s10, v3
	s_mul_i32 s9, s9, s10
	s_mul_hi_u32 s9, s10, s9
	s_add_i32 s10, s10, s9
	s_mul_hi_u32 s9, s8, s10
	s_mul_i32 s10, s9, s5
	s_sub_i32 s8, s8, s10
	s_add_i32 s10, s9, 1
	s_sub_i32 s28, s8, s5
	s_cmp_ge_u32 s8, s5
	s_cselect_b32 s9, s10, s9
	s_cselect_b32 s8, s28, s8
	s_add_i32 s10, s9, 1
	s_cmp_ge_u32 s8, s5
	s_cselect_b32 s5, s10, s9
	s_xor_b32 s5, s5, s7
	s_sub_i32 s44, s5, s7
	s_add_i32 s16, s16, -1
	s_mul_i32 s5, s44, s16
	s_add_i32 s4, s4, s19
	s_sub_i32 s45, s6, s5
	v_cmp_gt_i32_e64 s[4:5], s4, v2
	v_and_b32_e32 v2, 1, v0
	v_lshlrev_b32_e32 v3, 1, v0
	v_and_b32_e32 v3, 0x7c, v3
	v_lshlrev_b32_e32 v4, 8, v2
	v_lshlrev_b32_e32 v5, 4, v0
	s_movk_i32 s7, 0x6000
	s_movk_i32 s6, 0x7c
	v_and_b32_e32 v6, 0x200, v5
	v_or3_b32 v32, v3, v4, s7
	v_lshrrev_b32_e32 v3, 3, v0
	v_cmp_eq_u32_e32 vcc, 0, v2
	v_and_or_b32 v33, v1, s6, v6
	v_lshlrev_b32_e32 v1, 1, v2
	v_and_or_b32 v2, v3, 6, v2
	v_sub_u32_e32 v36, 8, v2
	v_mul_lo_u32 v18, s13, v2
	v_bfe_u32 v2, v0, 2, 4
	v_lshlrev_b32_e32 v4, 8, v0
	v_lshlrev_b32_e32 v6, 6, v0
	v_mul_lo_u32 v24, s15, v2
	v_and_b32_e32 v2, 60, v0
	v_and_b32_e32 v4, 0x200, v4
	;; [unrolled: 1-line block ×3, first 2 shown]
	s_abs_i32 s47, s33
	v_or3_b32 v37, v2, v4, v6
	v_cvt_f32_u32_e32 v6, s47
	v_lshlrev_b32_e32 v4, 7, v0
	v_and_b32_e32 v16, 14, v0
	v_bitop3_b32 v34, v0, 1, v0 bitop3:0xc
	v_sub_u32_e32 v1, v0, v1
	v_bfe_u32 v2, v0, 3, 3
	v_and_b32_e32 v4, 0x200, v4
	v_lshlrev_b32_e32 v0, 5, v0
	v_lshl_or_b32 v4, v2, 2, v4
	v_and_b32_e32 v0, 0x60, v0
	v_or3_b32 v38, v4, v0, s7
	v_rcp_iflag_f32_e32 v0, v6
	s_abs_i32 s48, s42
	v_mul_lo_u32 v40, s14, v2
	v_cvt_f32_u32_e32 v2, s48
	v_mul_f32_e32 v0, 0x4f7ffffe, v0
	v_cvt_u32_f32_e32 v0, v0
	s_sub_i32 s6, 0, s47
	v_rcp_iflag_f32_e32 v2, v2
	v_add_u32_e32 v1, 1, v1
	v_readfirstlane_b32 s7, v0
	s_mul_i32 s6, s6, s7
	v_mul_f32_e32 v0, 0x4f7ffffe, v2
	v_cvt_u32_f32_e32 v0, v0
	s_mul_hi_u32 s6, s7, s6
	s_add_i32 s50, s7, s6
	s_sub_i32 s6, 0, s48
	v_readfirstlane_b32 s7, v0
	v_mbcnt_lo_u32_b32 v0, -1, 0
	v_and_b32_e32 v1, 63, v1
	s_mul_i32 s6, s6, s7
	v_mbcnt_hi_u32_b32 v0, -1, v0
	v_mov_b32_e32 v7, 0xeeee
	v_mov_b32_e32 v8, 0x4444
	;; [unrolled: 1-line block ×3, first 2 shown]
	s_mul_hi_u32 s6, s7, s6
	v_and_or_b32 v0, v0, 64, v1
	v_cndmask_b32_e64 v30, 0, 1, s[0:1]
	s_mov_b32 s11, 0
	v_cndmask_b32_e32 v31, v7, v8, vcc
	v_or_b32_e32 v35, 16, v16
	v_ashrrev_i32_e32 v19, 31, v18
	v_and_b32_e32 v22, 48, v5
	v_ashrrev_i32_e32 v25, 31, v24
	v_mov_b32_e32 v23, v21
	s_lshl_b32 s46, s15, 4
	v_bitop3_b32 v39, v3, 7, v3 bitop3:0xc
	v_and_b32_e32 v26, 0x70, v5
	v_mov_b32_e32 v27, v21
	s_lshl_b32 s10, s17, 8
	s_ashr_i32 s49, s33, 31
	s_ashr_i32 s51, s42, 31
	s_add_i32 s52, s7, s6
	v_lshlrev_b32_e32 v41, 2, v0
	v_lshlrev_b32_e32 v20, 1, v16
	v_mov_b32_e32 v42, v10
	s_branch .LBB47_7
.LBB47_4:                               ;   in Loop: Header=BB47_7 Depth=1
	s_or_b64 exec, exec, s[28:29]
.LBB47_5:                               ;   in Loop: Header=BB47_7 Depth=1
	s_or_b64 exec, exec, s[8:9]
	v_subrev_u32_e32 v42, s53, v42
.LBB47_6:                               ;   in Loop: Header=BB47_7 Depth=1
	s_or_b64 exec, exec, s[6:7]
	s_add_i32 s43, s43, 1
	v_cmp_ge_i32_e32 vcc, s43, v17
	s_cbranch_vccnz .LBB47_44
.LBB47_7:                               ; =>This Loop Header: Depth=1
                                        ;     Child Loop BB47_13 Depth 2
                                        ;       Child Loop BB47_15 Depth 3
                                        ;       Child Loop BB47_18 Depth 3
	;; [unrolled: 1-line block ×3, first 2 shown]
                                        ;     Child Loop BB47_31 Depth 2
                                        ;       Child Loop BB47_33 Depth 3
                                        ;     Child Loop BB47_41 Depth 2
                                        ;       Child Loop BB47_43 Depth 3
	s_abs_i32 s7, s43
	s_mul_hi_u32 s8, s7, s50
	s_mul_i32 s9, s8, s47
	s_ashr_i32 s6, s43, 31
	s_sub_i32 s7, s7, s9
	s_xor_b32 s6, s6, s49
	s_add_i32 s9, s8, 1
	s_sub_i32 s28, s7, s47
	s_cmp_ge_u32 s7, s47
	s_cselect_b32 s8, s9, s8
	s_cselect_b32 s7, s28, s7
	s_add_i32 s9, s8, 1
	s_cmp_ge_u32 s7, s47
	s_cselect_b32 s7, s9, s8
	s_xor_b32 s7, s7, s6
	s_sub_i32 s6, s7, s6
	s_abs_i32 s8, s6
	s_mul_i32 s7, s6, s33
	s_mul_hi_u32 s9, s8, s52
	s_sub_i32 s7, s43, s7
	s_mul_i32 s28, s9, s48
	s_lshl_b32 s54, s7, 3
	s_ashr_i32 s7, s6, 31
	s_sub_i32 s8, s8, s28
	s_xor_b32 s7, s7, s51
	s_add_i32 s28, s9, 1
	s_sub_i32 s29, s8, s48
	s_cmp_ge_u32 s8, s48
	s_cselect_b32 s9, s28, s9
	s_cselect_b32 s8, s29, s8
	s_add_i32 s28, s9, 1
	s_cmp_ge_u32 s8, s48
	s_cselect_b32 s8, s28, s9
	s_xor_b32 s8, s8, s7
	s_sub_i32 s7, s8, s7
	s_mul_i32 s8, s7, s44
	s_lshl_b32 s55, s8, 8
	s_cmp_eq_u32 s7, s16
	s_cselect_b32 s53, s45, s44
	s_sub_i32 s56, s54, s12
	s_add_i32 s56, s56, 8
	s_and_saveexec_b64 s[8:9], s[2:3]
	s_xor_b64 s[28:29], exec, s[8:9]
	s_cbranch_execz .LBB47_37
; %bb.8:                                ;   in Loop: Header=BB47_7 Depth=1
	s_mul_i32 s7, s7, s42
	s_sub_i32 s6, s6, s7
	s_lshl_b32 s6, s6, 5
	s_sub_i32 s31, s6, s13
	s_add_i32 s31, s31, 32
	s_max_i32 s7, s31, 0
	s_sub_i32 s30, s6, s7
	s_and_saveexec_b64 s[6:7], s[0:1]
	s_xor_b64 s[34:35], exec, s[6:7]
	s_cbranch_execz .LBB47_27
; %bb.9:                                ;   in Loop: Header=BB47_7 Depth=1
	s_and_saveexec_b64 s[36:37], s[4:5]
	s_cbranch_execz .LBB47_26
; %bb.10:                               ;   in Loop: Header=BB47_7 Depth=1
	s_waitcnt lgkmcnt(0)
	global_load_dword v28, v21, s[26:27]
	v_mov_b32_e32 v7, 0
	v_cmp_gt_i32_e32 vcc, s53, v42
	v_mov_b32_e32 v6, v7
	v_mov_b32_e32 v5, v7
	;; [unrolled: 1-line block ×7, first 2 shown]
	s_and_saveexec_b64 s[6:7], vcc
	s_cbranch_execz .LBB47_23
; %bb.11:                               ;   in Loop: Header=BB47_7 Depth=1
	v_mov_b32_e32 v0, 0
	s_mov_b64 s[8:9], 0
	v_mov_b32_e32 v1, v0
	v_mov_b32_e32 v2, v0
	;; [unrolled: 1-line block ×7, first 2 shown]
	s_branch .LBB47_13
.LBB47_12:                              ;   in Loop: Header=BB47_13 Depth=2
	s_or_b64 exec, exec, s[38:39]
	v_add_u32_e32 v45, v33, v45
	v_add_u32_e32 v48, 0x1000, v45
	ds_read2_b32 v[46:47], v48 offset1:32
	ds_read2_b32 v[48:49], v48 offset0:64 offset1:96
	v_add_u32_e32 v52, 0x1400, v45
	ds_read2_b32 v[50:51], v52 offset1:32
	ds_read2_b32 v[52:53], v52 offset0:64 offset1:96
	v_add_u32_e32 v42, s19, v42
	v_cmp_le_i32_e32 vcc, s53, v42
	s_waitcnt lgkmcnt(2)
	v_smfmac_f32_16x16x64_fp8_fp8 v[0:3], v[14:15], v[46:49], v31 cbsz:7 abid:1
	v_add_u32_e32 v14, 0x1800, v45
	ds_read2_b32 v[46:47], v14 offset1:32
	ds_read2_b32 v[48:49], v14 offset0:64 offset1:96
	v_add_u32_e32 v14, 0x1c00, v45
	s_waitcnt lgkmcnt(2)
	v_smfmac_f32_16x16x64_fp8_fp8 v[0:3], v[12:13], v[50:53], v31 cbsz:7 abid:1
	ds_read2_b32 v[12:13], v14 offset1:32
	ds_read2_b32 v[14:15], v14 offset0:64 offset1:96
	s_or_b64 s[8:9], vcc, s[8:9]
	ds_write_b32 v44, v43 offset:30736
	s_waitcnt lgkmcnt(3)
	v_smfmac_f32_16x16x64_fp8_fp8 v[0:3], v[10:11], v[46:49], v31 cbsz:7 abid:1
	v_add_u32_e32 v10, s19, v29
	v_add_u32_e32 v11, 2, v30
	v_cmp_lt_i32_e32 vcc, 2, v10
	s_waitcnt lgkmcnt(1)
	v_smfmac_f32_16x16x64_fp8_fp8 v[0:3], v[8:9], v[12:15], v31 cbsz:7 abid:1
	v_cndmask_b32_e32 v30, v30, v11, vcc
	s_andn2_b64 exec, exec, s[8:9]
	s_cbranch_execz .LBB47_22
.LBB47_13:                              ;   Parent Loop BB47_7 Depth=1
                                        ; =>  This Loop Header: Depth=2
                                        ;       Child Loop BB47_15 Depth 3
                                        ;       Child Loop BB47_18 Depth 3
	;; [unrolled: 1-line block ×3, first 2 shown]
	v_cmp_gt_i32_e32 vcc, 3, v10
	s_nop 1
	v_cndmask_b32_e64 v8, -3, 0, vcc
	v_add_u32_e32 v29, v8, v10
	v_lshlrev_b32_e32 v8, 2, v29
	ds_read_b32 v9, v8 offset:30720
	v_add_u32_e32 v44, 0x7800, v8
	s_waitcnt lgkmcnt(0)
	v_cmp_ne_u32_e32 vcc, v9, v30
	s_and_saveexec_b64 s[38:39], vcc
	s_cbranch_execz .LBB47_16
; %bb.14:                               ;   in Loop: Header=BB47_13 Depth=2
	s_mov_b64 s[40:41], 0
.LBB47_15:                              ;   Parent Loop BB47_7 Depth=1
                                        ;     Parent Loop BB47_13 Depth=2
                                        ; =>    This Inner Loop Header: Depth=3
	;;#ASMSTART
	s_sleep 0
	;;#ASMEND
	ds_read_b32 v8, v44
	s_waitcnt lgkmcnt(0)
	v_cmp_eq_u32_e32 vcc, v8, v30
	s_or_b64 s[40:41], vcc, s[40:41]
	s_andn2_b64 exec, exec, s[40:41]
	s_cbranch_execnz .LBB47_15
.LBB47_16:                              ;   in Loop: Header=BB47_13 Depth=2
	s_or_b64 exec, exec, s[38:39]
	v_lshl_add_u32 v8, v29, 11, v32
	ds_read2_b32 v[14:15], v8 offset1:32
	ds_read2_b32 v[12:13], v8 offset0:128 offset1:160
	v_add_u32_e32 v8, 0x400, v8
	v_add_u32_e32 v43, 1, v30
	ds_read2_b32 v[10:11], v8 offset1:32
	ds_read2_b32 v[8:9], v8 offset0:128 offset1:160
	;;#ASMSTART
	s_waitcnt lgkmcnt(0)
	;;#ASMEND
	ds_write_b32 v44, v43
	v_lshlrev_b32_e32 v44, 3, v29
	ds_read_b32 v45, v44 offset:30732
	s_waitcnt lgkmcnt(0)
	v_cmp_ne_u32_e32 vcc, v45, v30
	s_and_saveexec_b64 s[38:39], vcc
	s_cbranch_execz .LBB47_19
; %bb.17:                               ;   in Loop: Header=BB47_13 Depth=2
	s_mov_b64 s[40:41], 0
.LBB47_18:                              ;   Parent Loop BB47_7 Depth=1
                                        ;     Parent Loop BB47_13 Depth=2
                                        ; =>    This Inner Loop Header: Depth=3
	;;#ASMSTART
	s_sleep 0
	;;#ASMEND
	ds_read_b32 v45, v44 offset:30732
	s_waitcnt lgkmcnt(0)
	v_cmp_eq_u32_e32 vcc, v45, v30
	s_or_b64 s[40:41], vcc, s[40:41]
	s_andn2_b64 exec, exec, s[40:41]
	s_cbranch_execnz .LBB47_18
.LBB47_19:                              ;   in Loop: Header=BB47_13 Depth=2
	s_or_b64 exec, exec, s[38:39]
	v_lshlrev_b32_e32 v45, 13, v29
	v_or_b32_e32 v54, v33, v45
	ds_read2_b32 v[46:47], v54 offset1:32
	ds_read2_b32 v[48:49], v54 offset0:64 offset1:96
	v_add_u32_e32 v52, 0x400, v54
	ds_read2_b32 v[50:51], v52 offset1:32
	ds_read2_b32 v[52:53], v52 offset0:64 offset1:96
	s_waitcnt lgkmcnt(2)
	v_smfmac_f32_16x16x64_fp8_fp8 v[4:7], v[14:15], v[46:49], v31 cbsz:7 abid:1
	v_add_u32_e32 v48, 0x800, v54
	ds_read2_b32 v[46:47], v48 offset1:32
	ds_read2_b32 v[48:49], v48 offset0:64 offset1:96
	s_waitcnt lgkmcnt(2)
	v_smfmac_f32_16x16x64_fp8_fp8 v[4:7], v[12:13], v[50:53], v31 cbsz:7 abid:1
	v_add_u32_e32 v52, 0xc00, v54
	ds_read2_b32 v[50:51], v52 offset1:32
	s_waitcnt lgkmcnt(1)
	v_smfmac_f32_16x16x64_fp8_fp8 v[4:7], v[10:11], v[46:49], v31 cbsz:7 abid:1
	ds_read2_b32 v[52:53], v52 offset0:64 offset1:96
	ds_read_b32 v46, v44 offset:30736
	ds_write_b32 v44, v43 offset:30732
	s_waitcnt lgkmcnt(1)
	v_cmp_ne_u32_e32 vcc, v46, v30
	v_smfmac_f32_16x16x64_fp8_fp8 v[4:7], v[8:9], v[50:53], v31 cbsz:7 abid:1
	s_and_saveexec_b64 s[38:39], vcc
	s_cbranch_execz .LBB47_12
; %bb.20:                               ;   in Loop: Header=BB47_13 Depth=2
	s_mov_b64 s[40:41], 0
.LBB47_21:                              ;   Parent Loop BB47_7 Depth=1
                                        ;     Parent Loop BB47_13 Depth=2
                                        ; =>    This Inner Loop Header: Depth=3
	;;#ASMSTART
	s_sleep 0
	;;#ASMEND
	ds_read_b32 v46, v44 offset:30736
	s_waitcnt lgkmcnt(0)
	v_cmp_eq_u32_e32 vcc, v46, v30
	s_or_b64 s[40:41], vcc, s[40:41]
	s_andn2_b64 exec, exec, s[40:41]
	s_cbranch_execnz .LBB47_21
	s_branch .LBB47_12
.LBB47_22:                              ;   in Loop: Header=BB47_7 Depth=1
	s_or_b64 exec, exec, s[8:9]
.LBB47_23:                              ;   in Loop: Header=BB47_7 Depth=1
	s_or_b64 exec, exec, s[6:7]
	v_cmp_le_i32_e32 vcc, s31, v16
	v_mov_b32_e32 v12, v5
	v_mov_b32_e32 v13, v6
	;; [unrolled: 1-line block ×3, first 2 shown]
	s_waitcnt vmcnt(0)
	v_cndmask_b32_e32 v8, 0, v28, vcc
	v_pk_add_f32 v[4:5], v[12:13], v[4:5]
	v_cmp_eq_u32_e32 vcc, 1, v34
	v_pk_mul_f32 v[4:5], v[8:9], v[4:5] op_sel_hi:[0,1]
	v_cmp_le_i32_e64 s[8:9], s31, v35
	v_cndmask_b32_e32 v8, v4, v5, vcc
	v_cmp_eq_u32_e32 vcc, 2, v34
	v_mov_b32_e32 v12, v1
	v_mov_b32_e32 v13, v2
	;; [unrolled: 1-line block ×3, first 2 shown]
	v_cndmask_b32_e32 v6, v8, v6, vcc
	v_cndmask_b32_e64 v8, 0, v28, s[8:9]
	v_pk_add_f32 v[0:1], v[12:13], v[0:1]
	v_cmp_eq_u32_e64 s[6:7], 3, v34
	v_pk_mul_f32 v[0:1], v[8:9], v[0:1] op_sel_hi:[0,1]
	v_cmp_ne_u32_e64 s[8:9], 0, v34
	v_cndmask_b32_e64 v6, v6, v7, s[6:7]
	ds_bpermute_b32 v6, v41, v6
	v_cndmask_b32_e64 v7, v0, v1, s[8:9]
	v_cndmask_b32_e32 v2, v7, v2, vcc
	v_cndmask_b32_e64 v2, v2, v3, s[6:7]
	ds_bpermute_b32 v2, v41, v2
	v_cmp_lt_i32_e32 vcc, s56, v36
	s_and_saveexec_b64 s[8:9], vcc
	s_cbranch_execz .LBB47_25
; %bb.24:                               ;   in Loop: Header=BB47_7 Depth=1
	s_mul_i32 s6, s54, s13
	s_ashr_i32 s7, s6, 31
	s_lshl_b64 s[6:7], s[6:7], 1
	s_add_u32 s38, s24, s6
	s_addc_u32 s39, s25, s7
	s_ashr_i32 s31, s30, 31
	s_lshl_b64 s[6:7], s[30:31], 1
	s_add_u32 s38, s38, s6
	s_addc_u32 s39, s39, s7
	v_cmp_ne_u32_e32 vcc, 0, v34
	v_cmp_eq_u32_e64 s[6:7], 0, v34
	s_waitcnt lgkmcnt(0)
	v_cndmask_b32_e32 v3, v1, v2, vcc
	v_cndmask_b32_e64 v2, v0, v2, s[6:7]
	v_cndmask_b32_e32 v5, v5, v6, vcc
	v_cndmask_b32_e64 v4, v4, v6, s[6:7]
	v_cvt_f16_f32_e32 v4, v4
	v_cvt_f16_f32_sdwa v5, v5 dst_sel:WORD_1 dst_unused:UNUSED_PAD src0_sel:DWORD
	v_cvt_f16_f32_e32 v2, v2
	v_cvt_f16_f32_sdwa v3, v3 dst_sel:WORD_1 dst_unused:UNUSED_PAD src0_sel:DWORD
	v_lshl_add_u64 v[0:1], v[18:19], 1, s[38:39]
	v_lshl_add_u64 v[0:1], v[0:1], 0, v[20:21]
	v_or_b32_e32 v4, v5, v4
	;;#ASMSTART
	global_atomic_pk_add_f16 v[0:1], v4, off
	
	;;#ASMEND
	v_lshl_add_u64 v[0:1], v[0:1], 0, 32
	v_or_b32_e32 v2, v3, v2
	;;#ASMSTART
	global_atomic_pk_add_f16 v[0:1], v2, off
	
	;;#ASMEND
.LBB47_25:                              ;   in Loop: Header=BB47_7 Depth=1
	s_or_b64 exec, exec, s[8:9]
	v_subrev_u32_e32 v42, s53, v42
.LBB47_26:                              ;   in Loop: Header=BB47_7 Depth=1
	s_or_b64 exec, exec, s[36:37]
.LBB47_27:                              ;   in Loop: Header=BB47_7 Depth=1
	s_andn2_saveexec_b64 s[6:7], s[34:35]
	s_cbranch_execz .LBB47_36
; %bb.28:                               ;   in Loop: Header=BB47_7 Depth=1
	s_lshl_b32 s38, s53, 1
	v_cmp_gt_i32_e32 vcc, s38, v42
	s_and_saveexec_b64 s[8:9], vcc
	s_cbranch_execz .LBB47_35
; %bb.29:                               ;   in Loop: Header=BB47_7 Depth=1
	s_mul_i32 s30, s30, s15
	s_ashr_i32 s31, s30, 31
	s_waitcnt lgkmcnt(0)
	s_add_u32 s30, s22, s30
	s_addc_u32 s31, s23, s31
	s_ashr_i32 s34, s55, 31
	s_add_u32 s30, s30, s55
	s_addc_u32 s31, s31, s34
	v_lshl_add_u64 v[0:1], s[30:31], 0, v[24:25]
	v_lshl_add_u64 v[28:29], v[0:1], 0, v[22:23]
	s_mov_b64 s[30:31], 0
	s_branch .LBB47_31
.LBB47_30:                              ;   in Loop: Header=BB47_31 Depth=2
	s_or_b64 exec, exec, s[34:35]
	v_lshl_or_b32 v45, v43, 12, v37
	;;#ASMSTART
	s_waitcnt vmcnt(3)
	;;#ASMEND
	ds_write2_b32 v45, v12, v13 offset1:32
	ds_write2_b32 v45, v14, v15 offset0:64 offset1:96
	v_add_u32_e32 v12, 0x400, v45
	;;#ASMSTART
	s_waitcnt vmcnt(2)
	;;#ASMEND
	ds_write2_b32 v12, v8, v9 offset1:32
	ds_write2_b32 v12, v10, v11 offset0:64 offset1:96
	v_add_u32_e32 v8, 0x800, v45
	;; [unrolled: 6-line block ×3, first 2 shown]
	v_add_u32_e32 v42, s18, v42
	;;#ASMSTART
	s_waitcnt vmcnt(0)
	;;#ASMEND
	ds_write2_b32 v4, v0, v1 offset1:32
	ds_write2_b32 v4, v2, v3 offset0:64 offset1:96
	v_add_u32_e32 v0, 1, v30
	v_add_u32_e32 v10, s18, v43
	v_cmp_le_i32_e32 vcc, s38, v42
	ds_write_b32 v44, v0 offset:12
	v_add_u32_e32 v0, 2, v30
	s_or_b64 s[30:31], vcc, s[30:31]
	v_cmp_lt_i32_e32 vcc, 5, v10
	s_nop 1
	v_cndmask_b32_e32 v30, v30, v0, vcc
	s_andn2_b64 exec, exec, s[30:31]
	s_cbranch_execz .LBB47_34
.LBB47_31:                              ;   Parent Loop BB47_7 Depth=1
                                        ; =>  This Loop Header: Depth=2
                                        ;       Child Loop BB47_33 Depth 3
	v_cmp_gt_i32_e32 vcc, 6, v10
	s_nop 1
	v_cndmask_b32_e64 v0, -6, 0, vcc
	v_add_u32_e32 v43, v0, v10
	v_lshrrev_b32_e32 v0, 31, v42
	v_add_u32_e32 v0, v42, v0
	v_and_b32_e32 v1, -2, v0
	v_lshlrev_b32_e32 v0, 7, v0
	v_sub_u32_e32 v2, v42, v1
	v_and_b32_e32 v0, 0xffffff00, v0
	v_ashrrev_i32_e32 v1, 31, v0
	v_mul_lo_u32 v2, s46, v2
	v_lshl_add_u64 v[0:1], v[28:29], 0, v[0:1]
	v_ashrrev_i32_e32 v3, 31, v2
	v_lshl_add_u64 v[0:1], v[0:1], 0, v[2:3]
	v_lshlrev_b32_e32 v44, 2, v43
	;;#ASMSTART
	global_load_dwordx4 v[12:15], v[0:1], off offset:0    sc0 sc1 nt  
	global_load_dwordx4 v[8:11], v[0:1], off offset:64   sc0 sc1 nt  
	global_load_dwordx4 v[4:7], v[0:1], off offset:128  sc0 sc1 nt  
	global_load_dwordx4 v[0:3], v[0:1], off offset:192  sc0 sc1 nt  
	
	;;#ASMEND
	ds_read_b32 v45, v44 offset:30732
	v_add_u32_e32 v44, 0x7800, v44
	s_waitcnt lgkmcnt(0)
	v_cmp_ne_u32_e32 vcc, v45, v30
	s_and_saveexec_b64 s[34:35], vcc
	s_cbranch_execz .LBB47_30
; %bb.32:                               ;   in Loop: Header=BB47_31 Depth=2
	s_mov_b64 s[36:37], 0
.LBB47_33:                              ;   Parent Loop BB47_7 Depth=1
                                        ;     Parent Loop BB47_31 Depth=2
                                        ; =>    This Inner Loop Header: Depth=3
	;;#ASMSTART
	s_sleep 0
	;;#ASMEND
	ds_read_b32 v45, v44 offset:12
	s_waitcnt lgkmcnt(0)
	v_cmp_eq_u32_e32 vcc, v45, v30
	s_or_b64 s[36:37], vcc, s[36:37]
	s_andn2_b64 exec, exec, s[36:37]
	s_cbranch_execnz .LBB47_33
	s_branch .LBB47_30
.LBB47_34:                              ;   in Loop: Header=BB47_7 Depth=1
	s_or_b64 exec, exec, s[30:31]
.LBB47_35:                              ;   in Loop: Header=BB47_7 Depth=1
	s_or_b64 exec, exec, s[8:9]
	v_subrev_u32_e32 v42, s38, v42
.LBB47_36:                              ;   in Loop: Header=BB47_7 Depth=1
	s_or_b64 exec, exec, s[6:7]
.LBB47_37:                              ;   in Loop: Header=BB47_7 Depth=1
	s_andn2_saveexec_b64 s[6:7], s[28:29]
	s_cbranch_execz .LBB47_6
; %bb.38:                               ;   in Loop: Header=BB47_7 Depth=1
	v_cmp_gt_i32_e32 vcc, s53, v42
	s_and_saveexec_b64 s[8:9], vcc
	s_cbranch_execz .LBB47_5
; %bb.39:                               ;   in Loop: Header=BB47_7 Depth=1
	s_mul_i32 s54, s54, s14
	s_ashr_i32 s28, s54, 31
	s_waitcnt lgkmcnt(0)
	s_add_u32 s29, s20, s54
	s_addc_u32 s30, s21, s28
	s_ashr_i32 s31, s55, 31
	v_cmp_le_i32_e32 vcc, s56, v39
	s_add_u32 s28, s29, s55
	s_addc_u32 s29, s30, s31
	v_cndmask_b32_e32 v0, 0, v40, vcc
	v_ashrrev_i32_e32 v1, 31, v0
	v_lshl_add_u64 v[0:1], s[28:29], 0, v[0:1]
	v_lshlrev_b32_e32 v2, 8, v42
	v_lshl_add_u64 v[0:1], v[0:1], 0, v[26:27]
	v_ashrrev_i32_e32 v3, 31, v2
	v_lshl_add_u64 v[8:9], v[0:1], 0, v[2:3]
	s_mov_b64 s[28:29], 0
	s_branch .LBB47_41
.LBB47_40:                              ;   in Loop: Header=BB47_41 Depth=2
	s_or_b64 exec, exec, s[30:31]
	;;#ASMSTART
	s_waitcnt vmcnt(1)
	v_pack_b32_f16 v12, v4, v5, op_sel:[0,0]
	v_pack_b32_f16 v13, v4, v5, op_sel:[1,1]
	;; [unrolled: 1-line block ×4, first 2 shown]
	v_swap_b32 v12, v4
	v_swap_b32 v13, v6
	;; [unrolled: 1-line block ×4, first 2 shown]
	;;#ASMEND
	v_add_u32_e32 v42, s17, v42
	v_lshl_add_u32 v12, v10, 11, v38
	ds_write2_b32 v12, v4, v5 offset1:32
	ds_write2_b32 v12, v6, v7 offset0:64 offset1:96
	;;#ASMSTART
	s_waitcnt vmcnt(0)
	v_pack_b32_f16 v4, v0, v1, op_sel:[0,0]
	v_pack_b32_f16 v5, v0, v1, op_sel:[1,1]
	;; [unrolled: 1-line block ×4, first 2 shown]
	v_swap_b32 v4, v0
	v_swap_b32 v5, v2
	;; [unrolled: 1-line block ×4, first 2 shown]
	;;#ASMEND
	v_add_u32_e32 v10, s17, v10
	v_add_u32_e32 v4, 0x400, v12
	ds_write2_b32 v4, v0, v1 offset1:32
	ds_write2_b32 v4, v2, v3 offset0:64 offset1:96
	v_add_u32_e32 v0, 1, v30
	v_cmp_le_i32_e32 vcc, s53, v42
	ds_write_b32 v11, v0
	v_add_u32_e32 v0, 2, v30
	s_or_b64 s[28:29], vcc, s[28:29]
	v_cmp_lt_i32_e32 vcc, 2, v10
	v_lshl_add_u64 v[8:9], v[8:9], 0, s[10:11]
	s_nop 0
	v_cndmask_b32_e32 v30, v30, v0, vcc
	s_andn2_b64 exec, exec, s[28:29]
	s_cbranch_execz .LBB47_4
.LBB47_41:                              ;   Parent Loop BB47_7 Depth=1
                                        ; =>  This Loop Header: Depth=2
                                        ;       Child Loop BB47_43 Depth 3
	v_cmp_gt_i32_e32 vcc, 3, v10
	s_nop 1
	v_cndmask_b32_e64 v0, -3, 0, vcc
	v_add_u32_e32 v10, v0, v10
	v_lshlrev_b32_e32 v11, 2, v10
	;;#ASMSTART
	global_load_dwordx4 v[4:7], v[8:9], off offset:0  
	global_load_dwordx4 v[0:3], v[8:9], off offset:128
	
	;;#ASMEND
	ds_read_b32 v12, v11 offset:30720
	v_add_u32_e32 v11, 0x7800, v11
	s_waitcnt lgkmcnt(0)
	v_cmp_ne_u32_e32 vcc, v12, v30
	s_and_saveexec_b64 s[30:31], vcc
	s_cbranch_execz .LBB47_40
; %bb.42:                               ;   in Loop: Header=BB47_41 Depth=2
	s_mov_b64 s[34:35], 0
.LBB47_43:                              ;   Parent Loop BB47_7 Depth=1
                                        ;     Parent Loop BB47_41 Depth=2
                                        ; =>    This Inner Loop Header: Depth=3
	;;#ASMSTART
	s_sleep 0
	;;#ASMEND
	ds_read_b32 v12, v11
	s_waitcnt lgkmcnt(0)
	v_cmp_eq_u32_e32 vcc, v12, v30
	s_or_b64 s[34:35], vcc, s[34:35]
	s_andn2_b64 exec, exec, s[34:35]
	s_cbranch_execnz .LBB47_43
	s_branch .LBB47_40
.LBB47_44:
	s_endpgm
	.section	.rodata,"a",@progbits
	.p2align	6, 0x0
	.amdhsa_kernel _Z19_skinny_gemm_kernelILi1ELi2ELi3ELi8ELi4EEvPKhS1_P6__halfPKfiiiiiiii
		.amdhsa_group_segment_fixed_size 30756
		.amdhsa_private_segment_fixed_size 0
		.amdhsa_kernarg_size 64
		.amdhsa_user_sgpr_count 2
		.amdhsa_user_sgpr_dispatch_ptr 0
		.amdhsa_user_sgpr_queue_ptr 0
		.amdhsa_user_sgpr_kernarg_segment_ptr 1
		.amdhsa_user_sgpr_dispatch_id 0
		.amdhsa_user_sgpr_kernarg_preload_length 0
		.amdhsa_user_sgpr_kernarg_preload_offset 0
		.amdhsa_user_sgpr_private_segment_size 0
		.amdhsa_uses_dynamic_stack 0
		.amdhsa_enable_private_segment 0
		.amdhsa_system_sgpr_workgroup_id_x 1
		.amdhsa_system_sgpr_workgroup_id_y 0
		.amdhsa_system_sgpr_workgroup_id_z 0
		.amdhsa_system_sgpr_workgroup_info 0
		.amdhsa_system_vgpr_workitem_id 0
		.amdhsa_next_free_vgpr 55
		.amdhsa_next_free_sgpr 57
		.amdhsa_accum_offset 56
		.amdhsa_reserve_vcc 1
		.amdhsa_float_round_mode_32 0
		.amdhsa_float_round_mode_16_64 0
		.amdhsa_float_denorm_mode_32 3
		.amdhsa_float_denorm_mode_16_64 3
		.amdhsa_dx10_clamp 1
		.amdhsa_ieee_mode 1
		.amdhsa_fp16_overflow 0
		.amdhsa_tg_split 0
		.amdhsa_exception_fp_ieee_invalid_op 0
		.amdhsa_exception_fp_denorm_src 0
		.amdhsa_exception_fp_ieee_div_zero 0
		.amdhsa_exception_fp_ieee_overflow 0
		.amdhsa_exception_fp_ieee_underflow 0
		.amdhsa_exception_fp_ieee_inexact 0
		.amdhsa_exception_int_div_zero 0
	.end_amdhsa_kernel
	.section	.text._Z19_skinny_gemm_kernelILi1ELi2ELi3ELi8ELi4EEvPKhS1_P6__halfPKfiiiiiiii,"axG",@progbits,_Z19_skinny_gemm_kernelILi1ELi2ELi3ELi8ELi4EEvPKhS1_P6__halfPKfiiiiiiii,comdat
.Lfunc_end47:
	.size	_Z19_skinny_gemm_kernelILi1ELi2ELi3ELi8ELi4EEvPKhS1_P6__halfPKfiiiiiiii, .Lfunc_end47-_Z19_skinny_gemm_kernelILi1ELi2ELi3ELi8ELi4EEvPKhS1_P6__halfPKfiiiiiiii
                                        ; -- End function
	.set _Z19_skinny_gemm_kernelILi1ELi2ELi3ELi8ELi4EEvPKhS1_P6__halfPKfiiiiiiii.num_vgpr, 55
	.set _Z19_skinny_gemm_kernelILi1ELi2ELi3ELi8ELi4EEvPKhS1_P6__halfPKfiiiiiiii.num_agpr, 0
	.set _Z19_skinny_gemm_kernelILi1ELi2ELi3ELi8ELi4EEvPKhS1_P6__halfPKfiiiiiiii.numbered_sgpr, 57
	.set _Z19_skinny_gemm_kernelILi1ELi2ELi3ELi8ELi4EEvPKhS1_P6__halfPKfiiiiiiii.num_named_barrier, 0
	.set _Z19_skinny_gemm_kernelILi1ELi2ELi3ELi8ELi4EEvPKhS1_P6__halfPKfiiiiiiii.private_seg_size, 0
	.set _Z19_skinny_gemm_kernelILi1ELi2ELi3ELi8ELi4EEvPKhS1_P6__halfPKfiiiiiiii.uses_vcc, 1
	.set _Z19_skinny_gemm_kernelILi1ELi2ELi3ELi8ELi4EEvPKhS1_P6__halfPKfiiiiiiii.uses_flat_scratch, 0
	.set _Z19_skinny_gemm_kernelILi1ELi2ELi3ELi8ELi4EEvPKhS1_P6__halfPKfiiiiiiii.has_dyn_sized_stack, 0
	.set _Z19_skinny_gemm_kernelILi1ELi2ELi3ELi8ELi4EEvPKhS1_P6__halfPKfiiiiiiii.has_recursion, 0
	.set _Z19_skinny_gemm_kernelILi1ELi2ELi3ELi8ELi4EEvPKhS1_P6__halfPKfiiiiiiii.has_indirect_call, 0
	.section	.AMDGPU.csdata,"",@progbits
; Kernel info:
; codeLenInByte = 3388
; TotalNumSgprs: 63
; NumVgprs: 55
; NumAgprs: 0
; TotalNumVgprs: 55
; ScratchSize: 0
; MemoryBound: 0
; FloatMode: 240
; IeeeMode: 1
; LDSByteSize: 30756 bytes/workgroup (compile time only)
; SGPRBlocks: 7
; VGPRBlocks: 6
; NumSGPRsForWavesPerEU: 63
; NumVGPRsForWavesPerEU: 55
; AccumOffset: 56
; Occupancy: 8
; WaveLimiterHint : 0
; COMPUTE_PGM_RSRC2:SCRATCH_EN: 0
; COMPUTE_PGM_RSRC2:USER_SGPR: 2
; COMPUTE_PGM_RSRC2:TRAP_HANDLER: 0
; COMPUTE_PGM_RSRC2:TGID_X_EN: 1
; COMPUTE_PGM_RSRC2:TGID_Y_EN: 0
; COMPUTE_PGM_RSRC2:TGID_Z_EN: 0
; COMPUTE_PGM_RSRC2:TIDIG_COMP_CNT: 0
; COMPUTE_PGM_RSRC3_GFX90A:ACCUM_OFFSET: 13
; COMPUTE_PGM_RSRC3_GFX90A:TG_SPLIT: 0
	.section	.text._Z19_skinny_gemm_kernelILi1ELi2ELi3ELi8ELi8EEvPKhS1_P6__halfPKfiiiiiiii,"axG",@progbits,_Z19_skinny_gemm_kernelILi1ELi2ELi3ELi8ELi8EEvPKhS1_P6__halfPKfiiiiiiii,comdat
	.protected	_Z19_skinny_gemm_kernelILi1ELi2ELi3ELi8ELi8EEvPKhS1_P6__halfPKfiiiiiiii ; -- Begin function _Z19_skinny_gemm_kernelILi1ELi2ELi3ELi8ELi8EEvPKhS1_P6__halfPKfiiiiiiii
	.globl	_Z19_skinny_gemm_kernelILi1ELi2ELi3ELi8ELi8EEvPKhS1_P6__halfPKfiiiiiiii
	.p2align	8
	.type	_Z19_skinny_gemm_kernelILi1ELi2ELi3ELi8ELi8EEvPKhS1_P6__halfPKfiiiiiiii,@function
_Z19_skinny_gemm_kernelILi1ELi2ELi3ELi8ELi8EEvPKhS1_P6__halfPKfiiiiiiii: ; @_Z19_skinny_gemm_kernelILi1ELi2ELi3ELi8ELi8EEvPKhS1_P6__halfPKfiiiiiiii
; %bb.0:
	v_cmp_gt_u32_e32 vcc, 9, v0
	v_lshlrev_b32_e32 v1, 2, v0
	s_and_saveexec_b64 s[4:5], vcc
; %bb.1:
	v_mov_b32_e32 v2, 0
	ds_write_b32 v1, v2 offset:61440
; %bb.2:
	s_or_b64 exec, exec, s[4:5]
	s_load_dwordx8 s[12:19], s[0:1], 0x20
	s_waitcnt lgkmcnt(0)
	s_barrier
	s_add_i32 s3, s12, 7
	s_ashr_i32 s5, s3, 31
	s_add_i32 s4, s13, 31
	s_lshr_b32 s5, s5, 29
	s_ashr_i32 s6, s4, 31
	s_add_i32 s3, s3, s5
	s_ashr_i32 s15, s3, 3
	s_lshr_b32 s3, s6, 27
	s_add_i32 s4, s4, s3
	s_ashr_i32 s33, s4, 5
	s_mul_i32 s3, s33, s15
	s_mul_i32 s3, s3, s16
	s_add_i32 s4, s3, 0x12f
	s_mul_hi_i32 s4, s4, 0x6bca1af3
	s_lshr_b32 s5, s4, 31
	s_ashr_i32 s4, s4, 7
	s_add_i32 s4, s4, s5
	s_add_i32 s5, s2, 1
	s_mul_i32 s5, s4, s5
	v_cvt_f64_i32_e32 v[2:3], s3
	v_cvt_f64_u32_e32 v[4:5], s5
	v_min_f64 v[2:3], v[2:3], v[4:5]
	v_cvt_i32_f64_e32 v9, v[2:3]
	s_mul_i32 s38, s4, s2
	v_cmp_ge_i32_e32 vcc, s38, v9
	s_cbranch_vccnz .LBB48_44
; %bb.3:
	v_lshrrev_b32_e32 v2, 6, v0
	s_add_i32 s4, s18, s17
	s_load_dwordx2 s[10:11], s[0:1], 0x0
	s_load_dwordx4 s[20:23], s[0:1], 0x10
	v_cmp_le_i32_e64 s[0:1], s4, v2
	v_mov_b32_e32 v3, s17
	v_cmp_le_i32_e64 s[2:3], s17, v2
	v_mov_b32_e32 v4, s18
	v_cndmask_b32_e64 v4, 0, v4, s[0:1]
	v_cndmask_b32_e64 v3, 0, v3, s[2:3]
	s_abs_i32 s5, s16
	v_add_u32_e32 v3, v3, v4
	v_cvt_f32_u32_e32 v4, s5
	v_sub_u32_e32 v18, v2, v3
	s_ashr_i32 s6, s14, 31
	s_lshr_b32 s6, s6, 23
	v_rcp_iflag_f32_e32 v3, v4
	s_sub_i32 s9, 0, s5
	s_add_i32 s6, s14, s6
	s_ashr_i32 s6, s6, 9
	v_mul_f32_e32 v3, 0x4f7ffffe, v3
	v_cvt_u32_f32_e32 v3, v3
	s_abs_i32 s8, s6
	s_xor_b32 s7, s6, s16
	s_ashr_i32 s7, s7, 31
	v_readfirstlane_b32 s24, v3
	s_mul_i32 s9, s9, s24
	s_mul_hi_u32 s9, s24, s9
	s_add_i32 s24, s24, s9
	s_mul_hi_u32 s9, s8, s24
	s_mul_i32 s24, s9, s5
	s_sub_i32 s8, s8, s24
	s_add_i32 s24, s9, 1
	s_sub_i32 s26, s8, s5
	s_cmp_ge_u32 s8, s5
	s_cselect_b32 s9, s24, s9
	s_cselect_b32 s8, s26, s8
	s_add_i32 s24, s9, 1
	s_cmp_ge_u32 s8, s5
	s_cselect_b32 s5, s24, s9
	s_xor_b32 s5, s5, s7
	s_sub_i32 s39, s5, s7
	s_add_i32 s16, s16, -1
	s_mul_i32 s5, s39, s16
	s_add_i32 s4, s4, s19
	s_sub_i32 s40, s6, s5
	v_cmp_gt_i32_e64 s[4:5], s4, v2
	v_and_b32_e32 v2, 1, v0
	v_lshlrev_b32_e32 v3, 1, v0
	v_and_b32_e32 v3, 0x7c, v3
	v_lshlrev_b32_e32 v4, 8, v2
	v_lshlrev_b32_e32 v5, 4, v0
	s_mov_b32 s7, 0xc000
	s_movk_i32 s6, 0x7c
	v_and_b32_e32 v6, 0x200, v5
	v_or3_b32 v34, v3, v4, s7
	v_lshrrev_b32_e32 v3, 3, v0
	v_mov_b32_e32 v7, 0xeeee
	v_mov_b32_e32 v8, 0x4444
	v_cmp_eq_u32_e32 vcc, 0, v2
	v_and_or_b32 v35, v1, s6, v6
	v_lshlrev_b32_e32 v1, 1, v2
	v_and_or_b32 v2, v3, 6, v2
	v_lshlrev_b32_e32 v4, 7, v0
	v_cndmask_b32_e32 v33, v7, v8, vcc
	v_and_b32_e32 v8, 14, v0
	v_bitop3_b32 v36, v0, 1, v0 bitop3:0xc
	v_sub_u32_e32 v1, v0, v1
	v_sub_u32_e32 v38, 8, v2
	v_mul_lo_u32 v10, s13, v2
	v_bfe_u32 v2, v0, 3, 3
	v_and_b32_e32 v4, 0x200, v4
	v_lshlrev_b32_e32 v0, 5, v0
	v_lshl_or_b32 v4, v2, 2, v4
	v_and_b32_e32 v0, 0x60, v0
	s_abs_i32 s41, s15
	v_or3_b32 v39, v4, v0, s7
	v_cvt_f32_u32_e32 v0, s41
	s_abs_i32 s43, s33
	v_mul_lo_u32 v41, s14, v2
	v_cvt_f32_u32_e32 v2, s43
	v_rcp_iflag_f32_e32 v0, v0
	s_sub_i32 s6, 0, s41
	v_add_u32_e32 v1, 1, v1
	v_rcp_iflag_f32_e32 v2, v2
	v_mul_f32_e32 v0, 0x4f7ffffe, v0
	v_cvt_u32_f32_e32 v0, v0
	v_and_b32_e32 v1, 63, v1
	v_mov_b32_e32 v13, 0
	v_cndmask_b32_e64 v32, 0, 1, s[0:1]
	v_readfirstlane_b32 s7, v0
	v_mul_f32_e32 v0, 0x4f7ffffe, v2
	v_cvt_u32_f32_e32 v0, v0
	s_mul_i32 s6, s6, s7
	s_mul_hi_u32 s6, s7, s6
	s_add_i32 s45, s7, s6
	s_sub_i32 s6, 0, s43
	v_readfirstlane_b32 s7, v0
	v_mbcnt_lo_u32_b32 v0, -1, 0
	s_mul_i32 s6, s6, s7
	v_mbcnt_hi_u32_b32 v0, -1, v0
	s_mul_hi_u32 s6, s7, s6
	v_and_or_b32 v0, v0, 64, v1
	s_mov_b32 s25, 0
	v_or_b32_e32 v37, 16, v8
	v_ashrrev_i32_e32 v11, 31, v10
	s_lshl_b32 s42, s39, 9
	v_bitop3_b32 v40, v3, 7, v3 bitop3:0xc
	v_and_b32_e32 v14, 0x70, v5
	v_mov_b32_e32 v15, v13
	s_lshl_b32 s24, s17, 9
	s_ashr_i32 s44, s15, 31
	s_ashr_i32 s46, s33, 31
	s_add_i32 s47, s7, s6
	v_lshlrev_b32_e32 v42, 2, v0
	v_mov_b32_e32 v43, v18
	s_branch .LBB48_7
.LBB48_4:                               ;   in Loop: Header=BB48_7 Depth=1
	s_or_b64 exec, exec, s[26:27]
.LBB48_5:                               ;   in Loop: Header=BB48_7 Depth=1
	s_or_b64 exec, exec, s[8:9]
	v_subrev_u32_e32 v43, s48, v43
.LBB48_6:                               ;   in Loop: Header=BB48_7 Depth=1
	s_or_b64 exec, exec, s[6:7]
	s_add_i32 s38, s38, 1
	v_cmp_ge_i32_e32 vcc, s38, v9
	s_cbranch_vccnz .LBB48_44
.LBB48_7:                               ; =>This Loop Header: Depth=1
                                        ;     Child Loop BB48_13 Depth 2
                                        ;       Child Loop BB48_15 Depth 3
                                        ;       Child Loop BB48_18 Depth 3
	;; [unrolled: 1-line block ×3, first 2 shown]
                                        ;     Child Loop BB48_31 Depth 2
                                        ;       Child Loop BB48_33 Depth 3
                                        ;     Child Loop BB48_41 Depth 2
                                        ;       Child Loop BB48_43 Depth 3
	s_abs_i32 s7, s38
	s_mul_hi_u32 s8, s7, s45
	s_mul_i32 s9, s8, s41
	s_ashr_i32 s6, s38, 31
	s_sub_i32 s7, s7, s9
	s_xor_b32 s6, s6, s44
	s_add_i32 s9, s8, 1
	s_sub_i32 s26, s7, s41
	s_cmp_ge_u32 s7, s41
	s_cselect_b32 s8, s9, s8
	s_cselect_b32 s7, s26, s7
	s_add_i32 s9, s8, 1
	s_cmp_ge_u32 s7, s41
	s_cselect_b32 s7, s9, s8
	s_xor_b32 s7, s7, s6
	s_sub_i32 s52, s7, s6
	s_abs_i32 s7, s52
	s_mul_i32 s6, s52, s15
	s_mul_hi_u32 s8, s7, s47
	s_sub_i32 s6, s38, s6
	s_mul_i32 s9, s8, s43
	s_lshl_b32 s49, s6, 3
	s_ashr_i32 s6, s52, 31
	s_sub_i32 s7, s7, s9
	s_xor_b32 s6, s6, s46
	s_add_i32 s9, s8, 1
	s_sub_i32 s26, s7, s43
	s_cmp_ge_u32 s7, s43
	s_cselect_b32 s8, s9, s8
	s_cselect_b32 s7, s26, s7
	s_add_i32 s9, s8, 1
	s_cmp_ge_u32 s7, s43
	s_cselect_b32 s7, s9, s8
	s_xor_b32 s7, s7, s6
	s_sub_i32 s51, s7, s6
	s_cmp_eq_u32 s51, s16
	s_cselect_b32 s48, s40, s39
	s_sub_i32 s50, s49, s12
	s_add_i32 s50, s50, 8
	s_and_saveexec_b64 s[6:7], s[2:3]
	s_xor_b64 s[26:27], exec, s[6:7]
	s_cbranch_execz .LBB48_37
; %bb.8:                                ;   in Loop: Header=BB48_7 Depth=1
	s_and_saveexec_b64 s[6:7], s[0:1]
	s_xor_b64 s[28:29], exec, s[6:7]
	s_cbranch_execz .LBB48_27
; %bb.9:                                ;   in Loop: Header=BB48_7 Depth=1
	s_and_saveexec_b64 s[30:31], s[4:5]
	s_cbranch_execz .LBB48_26
; %bb.10:                               ;   in Loop: Header=BB48_7 Depth=1
	s_waitcnt lgkmcnt(0)
	global_load_dword v12, v13, s[22:23]
	v_mov_b32_e32 v7, 0
	v_cmp_gt_i32_e32 vcc, s48, v43
	v_mov_b32_e32 v6, v7
	v_mov_b32_e32 v5, v7
	;; [unrolled: 1-line block ×7, first 2 shown]
	s_and_saveexec_b64 s[6:7], vcc
	s_cbranch_execz .LBB48_23
; %bb.11:                               ;   in Loop: Header=BB48_7 Depth=1
	v_mov_b32_e32 v0, 0
	s_mov_b64 s[8:9], 0
	v_mov_b32_e32 v1, v0
	v_mov_b32_e32 v2, v0
	;; [unrolled: 1-line block ×7, first 2 shown]
	s_branch .LBB48_13
.LBB48_12:                              ;   in Loop: Header=BB48_13 Depth=2
	s_or_b64 exec, exec, s[34:35]
	v_add_u32_e32 v50, 0x2000, v47
	ds_read2_b32 v[48:49], v50 offset1:32
	ds_read2_b32 v[50:51], v50 offset0:64 offset1:96
	v_add_u32_e32 v54, 0x2400, v47
	ds_read2_b32 v[52:53], v54 offset1:32
	ds_read2_b32 v[54:55], v54 offset0:64 offset1:96
	v_add_u32_e32 v43, s19, v43
	v_cmp_le_i32_e32 vcc, s48, v43
	s_waitcnt lgkmcnt(2)
	v_smfmac_f32_16x16x64_fp8_fp8 v[0:3], v[30:31], v[48:51], v33 cbsz:7 abid:1
	v_add_u32_e32 v30, 0x2800, v47
	ds_read2_b32 v[48:49], v30 offset1:32
	ds_read2_b32 v[50:51], v30 offset0:64 offset1:96
	v_add_u32_e32 v30, 0x2c00, v47
	s_waitcnt lgkmcnt(2)
	v_smfmac_f32_16x16x64_fp8_fp8 v[0:3], v[28:29], v[52:55], v33 cbsz:7 abid:1
	ds_read2_b32 v[28:29], v30 offset1:32
	ds_read2_b32 v[30:31], v30 offset0:64 offset1:96
	s_or_b64 s[8:9], vcc, s[8:9]
	s_waitcnt lgkmcnt(2)
	v_smfmac_f32_16x16x64_fp8_fp8 v[0:3], v[26:27], v[48:51], v33 cbsz:7 abid:1
	v_add_u32_e32 v26, 0x3000, v47
	ds_read2_b32 v[48:49], v26 offset1:32
	ds_read2_b32 v[50:51], v26 offset0:64 offset1:96
	v_add_u32_e32 v26, 0x3400, v47
	s_waitcnt lgkmcnt(2)
	v_smfmac_f32_16x16x64_fp8_fp8 v[0:3], v[24:25], v[28:31], v33 cbsz:7 abid:1
	ds_read2_b32 v[24:25], v26 offset1:32
	ds_read2_b32 v[26:27], v26 offset0:64 offset1:96
	s_waitcnt lgkmcnt(2)
	v_smfmac_f32_16x16x64_fp8_fp8 v[0:3], v[22:23], v[48:51], v33 cbsz:7 abid:1
	v_add_u32_e32 v22, 0x3800, v47
	ds_read2_b32 v[28:29], v22 offset1:32
	ds_read2_b32 v[30:31], v22 offset0:64 offset1:96
	v_add_u32_e32 v22, 0x3c00, v47
	s_waitcnt lgkmcnt(2)
	v_smfmac_f32_16x16x64_fp8_fp8 v[0:3], v[20:21], v[24:27], v33 cbsz:7 abid:1
	ds_read2_b32 v[20:21], v22 offset1:32
	ds_read2_b32 v[22:23], v22 offset0:64 offset1:96
	ds_write_b32 v46, v45 offset:61456
	s_waitcnt lgkmcnt(3)
	v_smfmac_f32_16x16x64_fp8_fp8 v[0:3], v[18:19], v[28:31], v33 cbsz:7 abid:1
	v_add_u32_e32 v18, s19, v44
	v_add_u32_e32 v19, 2, v32
	v_cmp_lt_i32_e32 vcc, 2, v18
	s_waitcnt lgkmcnt(1)
	v_smfmac_f32_16x16x64_fp8_fp8 v[0:3], v[16:17], v[20:23], v33 cbsz:7 abid:1
	v_cndmask_b32_e32 v32, v32, v19, vcc
	s_andn2_b64 exec, exec, s[8:9]
	s_cbranch_execz .LBB48_22
.LBB48_13:                              ;   Parent Loop BB48_7 Depth=1
                                        ; =>  This Loop Header: Depth=2
                                        ;       Child Loop BB48_15 Depth 3
                                        ;       Child Loop BB48_18 Depth 3
	;; [unrolled: 1-line block ×3, first 2 shown]
	v_cmp_gt_i32_e32 vcc, 3, v18
	s_nop 1
	v_cndmask_b32_e64 v16, -3, 0, vcc
	v_add_u32_e32 v44, v16, v18
	v_lshlrev_b32_e32 v16, 2, v44
	ds_read_b32 v17, v16 offset:61440
	v_add_u32_e32 v46, 0xf000, v16
	s_waitcnt lgkmcnt(0)
	v_cmp_ne_u32_e32 vcc, v17, v32
	s_and_saveexec_b64 s[34:35], vcc
	s_cbranch_execz .LBB48_16
; %bb.14:                               ;   in Loop: Header=BB48_13 Depth=2
	s_mov_b64 s[36:37], 0
.LBB48_15:                              ;   Parent Loop BB48_7 Depth=1
                                        ;     Parent Loop BB48_13 Depth=2
                                        ; =>    This Inner Loop Header: Depth=3
	;;#ASMSTART
	s_sleep 0
	;;#ASMEND
	ds_read_b32 v16, v46
	s_waitcnt lgkmcnt(0)
	v_cmp_eq_u32_e32 vcc, v16, v32
	s_or_b64 s[36:37], vcc, s[36:37]
	s_andn2_b64 exec, exec, s[36:37]
	s_cbranch_execnz .LBB48_15
.LBB48_16:                              ;   in Loop: Header=BB48_13 Depth=2
	s_or_b64 exec, exec, s[34:35]
	v_lshl_add_u32 v16, v44, 12, v34
	v_add_u32_e32 v17, 0x400, v16
	ds_read2_b32 v[30:31], v16 offset1:32
	ds_read2_b32 v[28:29], v16 offset0:128 offset1:160
	ds_read2_b32 v[26:27], v17 offset1:32
	ds_read2_b32 v[24:25], v17 offset0:128 offset1:160
	v_add_u32_e32 v17, 0x800, v16
	v_add_u32_e32 v16, 0xc00, v16
	;; [unrolled: 1-line block ×3, first 2 shown]
	ds_read2_b32 v[22:23], v17 offset1:32
	ds_read2_b32 v[20:21], v17 offset0:128 offset1:160
	ds_read2_b32 v[18:19], v16 offset1:32
	ds_read2_b32 v[16:17], v16 offset0:128 offset1:160
	;;#ASMSTART
	s_waitcnt lgkmcnt(0)
	;;#ASMEND
	ds_write_b32 v46, v45
	v_lshlrev_b32_e32 v46, 3, v44
	ds_read_b32 v47, v46 offset:61452
	s_waitcnt lgkmcnt(0)
	v_cmp_ne_u32_e32 vcc, v47, v32
	s_and_saveexec_b64 s[34:35], vcc
	s_cbranch_execz .LBB48_19
; %bb.17:                               ;   in Loop: Header=BB48_13 Depth=2
	s_mov_b64 s[36:37], 0
.LBB48_18:                              ;   Parent Loop BB48_7 Depth=1
                                        ;     Parent Loop BB48_13 Depth=2
                                        ; =>    This Inner Loop Header: Depth=3
	;;#ASMSTART
	s_sleep 0
	;;#ASMEND
	ds_read_b32 v47, v46 offset:61452
	s_waitcnt lgkmcnt(0)
	v_cmp_eq_u32_e32 vcc, v47, v32
	s_or_b64 s[36:37], vcc, s[36:37]
	s_andn2_b64 exec, exec, s[36:37]
	s_cbranch_execnz .LBB48_18
.LBB48_19:                              ;   in Loop: Header=BB48_13 Depth=2
	s_or_b64 exec, exec, s[34:35]
	v_lshl_or_b32 v47, v44, 14, v35
	ds_read2_b32 v[48:49], v47 offset1:32
	ds_read2_b32 v[50:51], v47 offset0:64 offset1:96
	v_add_u32_e32 v54, 0x400, v47
	ds_read2_b32 v[52:53], v54 offset1:32
	ds_read2_b32 v[54:55], v54 offset0:64 offset1:96
	s_waitcnt lgkmcnt(2)
	v_smfmac_f32_16x16x64_fp8_fp8 v[4:7], v[30:31], v[48:51], v33 cbsz:7 abid:1
	v_add_u32_e32 v50, 0x800, v47
	ds_read2_b32 v[48:49], v50 offset1:32
	ds_read2_b32 v[50:51], v50 offset0:64 offset1:96
	s_waitcnt lgkmcnt(2)
	v_smfmac_f32_16x16x64_fp8_fp8 v[4:7], v[28:29], v[52:55], v33 cbsz:7 abid:1
	v_add_u32_e32 v54, 0xc00, v47
	ds_read2_b32 v[52:53], v54 offset1:32
	ds_read2_b32 v[54:55], v54 offset0:64 offset1:96
	s_waitcnt lgkmcnt(2)
	v_smfmac_f32_16x16x64_fp8_fp8 v[4:7], v[26:27], v[48:51], v33 cbsz:7 abid:1
	v_add_u32_e32 v50, 0x1000, v47
	ds_read2_b32 v[48:49], v50 offset1:32
	ds_read2_b32 v[50:51], v50 offset0:64 offset1:96
	s_waitcnt lgkmcnt(2)
	v_smfmac_f32_16x16x64_fp8_fp8 v[4:7], v[24:25], v[52:55], v33 cbsz:7 abid:1
	v_add_u32_e32 v54, 0x1400, v47
	ds_read2_b32 v[52:53], v54 offset1:32
	ds_read2_b32 v[54:55], v54 offset0:64 offset1:96
	s_waitcnt lgkmcnt(2)
	v_smfmac_f32_16x16x64_fp8_fp8 v[4:7], v[22:23], v[48:51], v33 cbsz:7 abid:1
	v_add_u32_e32 v50, 0x1800, v47
	ds_read2_b32 v[48:49], v50 offset1:32
	ds_read2_b32 v[50:51], v50 offset0:64 offset1:96
	s_waitcnt lgkmcnt(2)
	v_smfmac_f32_16x16x64_fp8_fp8 v[4:7], v[20:21], v[52:55], v33 cbsz:7 abid:1
	v_add_u32_e32 v54, 0x1c00, v47
	ds_read2_b32 v[52:53], v54 offset1:32
	s_waitcnt lgkmcnt(1)
	v_smfmac_f32_16x16x64_fp8_fp8 v[4:7], v[18:19], v[48:51], v33 cbsz:7 abid:1
	ds_read2_b32 v[54:55], v54 offset0:64 offset1:96
	ds_read_b32 v48, v46 offset:61456
	ds_write_b32 v46, v45 offset:61452
	s_waitcnt lgkmcnt(1)
	v_cmp_ne_u32_e32 vcc, v48, v32
	v_smfmac_f32_16x16x64_fp8_fp8 v[4:7], v[16:17], v[52:55], v33 cbsz:7 abid:1
	s_and_saveexec_b64 s[34:35], vcc
	s_cbranch_execz .LBB48_12
; %bb.20:                               ;   in Loop: Header=BB48_13 Depth=2
	s_mov_b64 s[36:37], 0
.LBB48_21:                              ;   Parent Loop BB48_7 Depth=1
                                        ;     Parent Loop BB48_13 Depth=2
                                        ; =>    This Inner Loop Header: Depth=3
	;;#ASMSTART
	s_sleep 0
	;;#ASMEND
	ds_read_b32 v48, v46 offset:61456
	s_waitcnt lgkmcnt(0)
	v_cmp_eq_u32_e32 vcc, v48, v32
	s_or_b64 s[36:37], vcc, s[36:37]
	s_andn2_b64 exec, exec, s[36:37]
	s_cbranch_execnz .LBB48_21
	s_branch .LBB48_12
.LBB48_22:                              ;   in Loop: Header=BB48_7 Depth=1
	s_or_b64 exec, exec, s[8:9]
.LBB48_23:                              ;   in Loop: Header=BB48_7 Depth=1
	s_or_b64 exec, exec, s[6:7]
	s_mul_i32 s6, s51, s33
	s_sub_i32 s6, s52, s6
	s_lshl_b32 s34, s6, 5
	s_sub_i32 s35, s34, s13
	s_add_i32 s35, s35, 32
	v_cmp_le_i32_e32 vcc, s35, v8
	v_mov_b32_e32 v20, v5
	v_mov_b32_e32 v21, v6
	v_mov_b32_e32 v5, v7
	s_waitcnt vmcnt(0)
	v_cndmask_b32_e32 v16, 0, v12, vcc
	v_pk_add_f32 v[4:5], v[20:21], v[4:5]
	v_cmp_eq_u32_e32 vcc, 1, v36
	v_pk_mul_f32 v[4:5], v[16:17], v[4:5] op_sel_hi:[0,1]
	v_cmp_le_i32_e64 s[8:9], s35, v37
	v_cndmask_b32_e32 v16, v4, v5, vcc
	v_cmp_eq_u32_e32 vcc, 2, v36
	v_mov_b32_e32 v17, v2
	v_cndmask_b32_e64 v12, 0, v12, s[8:9]
	v_cndmask_b32_e32 v6, v16, v6, vcc
	v_mov_b32_e32 v16, v1
	v_mov_b32_e32 v1, v3
	v_pk_add_f32 v[0:1], v[16:17], v[0:1]
	v_cmp_eq_u32_e64 s[6:7], 3, v36
	v_pk_mul_f32 v[0:1], v[12:13], v[0:1] op_sel_hi:[0,1]
	v_cmp_ne_u32_e64 s[8:9], 0, v36
	v_cndmask_b32_e64 v6, v6, v7, s[6:7]
	ds_bpermute_b32 v6, v42, v6
	v_cndmask_b32_e64 v7, v0, v1, s[8:9]
	v_cndmask_b32_e32 v2, v7, v2, vcc
	v_cndmask_b32_e64 v2, v2, v3, s[6:7]
	ds_bpermute_b32 v2, v42, v2
	v_cmp_lt_i32_e32 vcc, s50, v38
	s_and_saveexec_b64 s[8:9], vcc
	s_cbranch_execz .LBB48_25
; %bb.24:                               ;   in Loop: Header=BB48_7 Depth=1
	s_max_i32 s6, s35, 0
	s_sub_i32 s6, s34, s6
	s_mul_i32 s34, s49, s13
	s_ashr_i32 s35, s34, 31
	s_lshl_b64 s[34:35], s[34:35], 1
	s_add_u32 s34, s20, s34
	s_addc_u32 s35, s21, s35
	s_ashr_i32 s7, s6, 31
	s_lshl_b64 s[6:7], s[6:7], 1
	s_add_u32 s34, s34, s6
	s_addc_u32 s35, s35, s7
	v_cmp_ne_u32_e32 vcc, 0, v36
	v_cmp_eq_u32_e64 s[6:7], 0, v36
	v_lshlrev_b32_e32 v12, 1, v8
	s_waitcnt lgkmcnt(0)
	v_cndmask_b32_e32 v3, v1, v2, vcc
	v_cndmask_b32_e64 v2, v0, v2, s[6:7]
	v_cndmask_b32_e32 v5, v5, v6, vcc
	v_cndmask_b32_e64 v4, v4, v6, s[6:7]
	v_cvt_f16_f32_e32 v4, v4
	v_cvt_f16_f32_sdwa v5, v5 dst_sel:WORD_1 dst_unused:UNUSED_PAD src0_sel:DWORD
	v_cvt_f16_f32_e32 v2, v2
	v_cvt_f16_f32_sdwa v3, v3 dst_sel:WORD_1 dst_unused:UNUSED_PAD src0_sel:DWORD
	v_lshl_add_u64 v[0:1], v[10:11], 1, s[34:35]
	v_lshl_add_u64 v[0:1], v[0:1], 0, v[12:13]
	v_or_b32_e32 v4, v5, v4
	;;#ASMSTART
	global_atomic_pk_add_f16 v[0:1], v4, off
	
	;;#ASMEND
	v_lshl_add_u64 v[0:1], v[0:1], 0, 32
	v_or_b32_e32 v2, v3, v2
	;;#ASMSTART
	global_atomic_pk_add_f16 v[0:1], v2, off
	
	;;#ASMEND
.LBB48_25:                              ;   in Loop: Header=BB48_7 Depth=1
	s_or_b64 exec, exec, s[8:9]
	v_subrev_u32_e32 v43, s48, v43
.LBB48_26:                              ;   in Loop: Header=BB48_7 Depth=1
	s_or_b64 exec, exec, s[30:31]
.LBB48_27:                              ;   in Loop: Header=BB48_7 Depth=1
	s_andn2_saveexec_b64 s[6:7], s[28:29]
	s_cbranch_execz .LBB48_36
; %bb.28:                               ;   in Loop: Header=BB48_7 Depth=1
	s_lshl_b32 s36, s48, 1
	v_cmp_gt_i32_e32 vcc, s36, v43
	s_and_saveexec_b64 s[8:9], vcc
	s_cbranch_execz .LBB48_35
; %bb.29:                               ;   in Loop: Header=BB48_7 Depth=1
	s_mov_b64 s[28:29], 0
	s_branch .LBB48_31
.LBB48_30:                              ;   in Loop: Header=BB48_31 Depth=2
	s_or_b64 exec, exec, s[30:31]
	v_add_u32_e32 v43, s18, v43
	v_add_u32_e32 v18, s18, v0
	v_cmp_le_i32_e32 vcc, s36, v43
	v_add_u32_e32 v0, 2, v32
	s_or_b64 s[28:29], vcc, s[28:29]
	v_cmp_lt_i32_e32 vcc, 5, v18
	v_add_u32_e32 v2, 1, v32
	;;#ASMSTART
	s_waitcnt vmcnt(3)
	;;#ASMEND
	;;#ASMSTART
	s_waitcnt vmcnt(2)
	;;#ASMEND
	;; [unrolled: 3-line block ×4, first 2 shown]
	s_nop 0
	v_cndmask_b32_e32 v32, v32, v0, vcc
	ds_write_b32 v1, v2 offset:12
	s_andn2_b64 exec, exec, s[28:29]
	s_cbranch_execz .LBB48_34
.LBB48_31:                              ;   Parent Loop BB48_7 Depth=1
                                        ; =>  This Loop Header: Depth=2
                                        ;       Child Loop BB48_33 Depth 3
	v_cmp_gt_i32_e32 vcc, 6, v18
	s_nop 1
	v_cndmask_b32_e64 v0, -6, 0, vcc
	v_add_u32_e32 v0, v0, v18
	v_lshlrev_b32_e32 v1, 2, v0
	s_waitcnt lgkmcnt(0)
	ds_read_b32 v2, v1 offset:61452
	v_add_u32_e32 v1, 0xf000, v1
	s_waitcnt lgkmcnt(0)
	v_cmp_ne_u32_e32 vcc, v2, v32
	s_and_saveexec_b64 s[30:31], vcc
	s_cbranch_execz .LBB48_30
; %bb.32:                               ;   in Loop: Header=BB48_31 Depth=2
	s_mov_b64 s[34:35], 0
.LBB48_33:                              ;   Parent Loop BB48_7 Depth=1
                                        ;     Parent Loop BB48_31 Depth=2
                                        ; =>    This Inner Loop Header: Depth=3
	;;#ASMSTART
	s_sleep 0
	;;#ASMEND
	ds_read_b32 v2, v1 offset:12
	s_waitcnt lgkmcnt(0)
	v_cmp_eq_u32_e32 vcc, v2, v32
	s_or_b64 s[34:35], vcc, s[34:35]
	s_andn2_b64 exec, exec, s[34:35]
	s_cbranch_execnz .LBB48_33
	s_branch .LBB48_30
.LBB48_34:                              ;   in Loop: Header=BB48_7 Depth=1
	s_or_b64 exec, exec, s[28:29]
.LBB48_35:                              ;   in Loop: Header=BB48_7 Depth=1
	s_or_b64 exec, exec, s[8:9]
	v_subrev_u32_e32 v43, s36, v43
.LBB48_36:                              ;   in Loop: Header=BB48_7 Depth=1
	s_or_b64 exec, exec, s[6:7]
.LBB48_37:                              ;   in Loop: Header=BB48_7 Depth=1
	s_andn2_saveexec_b64 s[6:7], s[26:27]
	s_cbranch_execz .LBB48_6
; %bb.38:                               ;   in Loop: Header=BB48_7 Depth=1
	v_cmp_gt_i32_e32 vcc, s48, v43
	s_and_saveexec_b64 s[8:9], vcc
	s_cbranch_execz .LBB48_5
; %bb.39:                               ;   in Loop: Header=BB48_7 Depth=1
	s_mul_i32 s49, s49, s14
	s_ashr_i32 s26, s49, 31
	s_waitcnt lgkmcnt(0)
	s_add_u32 s27, s10, s49
	s_mul_i32 s51, s51, s42
	s_addc_u32 s28, s11, s26
	s_ashr_i32 s29, s51, 31
	v_cmp_le_i32_e32 vcc, s50, v40
	s_add_u32 s26, s27, s51
	s_addc_u32 s27, s28, s29
	v_cndmask_b32_e32 v0, 0, v41, vcc
	v_ashrrev_i32_e32 v1, 31, v0
	v_lshl_add_u64 v[0:1], s[26:27], 0, v[0:1]
	v_lshlrev_b32_e32 v2, 9, v43
	v_lshl_add_u64 v[0:1], v[0:1], 0, v[14:15]
	v_ashrrev_i32_e32 v3, 31, v2
	v_lshl_add_u64 v[16:17], v[0:1], 0, v[2:3]
	s_mov_b64 s[26:27], 0
	s_branch .LBB48_41
.LBB48_40:                              ;   in Loop: Header=BB48_41 Depth=2
	s_or_b64 exec, exec, s[28:29]
	;;#ASMSTART
	s_waitcnt vmcnt(1)
	v_pack_b32_f16 v19, v4, v5, op_sel:[0,0]
	v_pack_b32_f16 v20, v4, v5, op_sel:[1,1]
	;; [unrolled: 1-line block ×4, first 2 shown]
	v_swap_b32 v19, v4
	v_swap_b32 v20, v6
	;; [unrolled: 1-line block ×4, first 2 shown]
	;;#ASMEND
	v_add_u32_e32 v43, s17, v43
	v_lshl_add_u32 v19, v12, 12, v39
	ds_write2_b32 v19, v4, v5 offset1:32
	ds_write2_b32 v19, v6, v7 offset0:64 offset1:96
	;;#ASMSTART
	s_waitcnt vmcnt(0)
	v_pack_b32_f16 v4, v0, v1, op_sel:[0,0]
	v_pack_b32_f16 v5, v0, v1, op_sel:[1,1]
	;; [unrolled: 1-line block ×4, first 2 shown]
	v_swap_b32 v4, v0
	v_swap_b32 v5, v2
	;; [unrolled: 1-line block ×4, first 2 shown]
	;;#ASMEND
	v_cmp_le_i32_e32 vcc, s48, v43
	v_add_u32_e32 v4, 0x400, v19
	ds_write2_b32 v4, v0, v1 offset1:32
	ds_write2_b32 v4, v2, v3 offset0:64 offset1:96
	v_add_u32_e32 v0, 1, v32
	ds_write_b32 v18, v0
	v_add_u32_e32 v18, s17, v12
	v_add_u32_e32 v0, 2, v32
	s_or_b64 s[26:27], vcc, s[26:27]
	v_cmp_lt_i32_e32 vcc, 2, v18
	v_lshl_add_u64 v[16:17], v[16:17], 0, s[24:25]
	s_nop 0
	v_cndmask_b32_e32 v32, v32, v0, vcc
	s_andn2_b64 exec, exec, s[26:27]
	s_cbranch_execz .LBB48_4
.LBB48_41:                              ;   Parent Loop BB48_7 Depth=1
                                        ; =>  This Loop Header: Depth=2
                                        ;       Child Loop BB48_43 Depth 3
	v_cmp_gt_i32_e32 vcc, 3, v18
	s_nop 1
	v_cndmask_b32_e64 v0, -3, 0, vcc
	v_add_u32_e32 v12, v0, v18
	v_lshlrev_b32_e32 v18, 2, v12
	;;#ASMSTART
	global_load_dwordx4 v[4:7], v[16:17], off offset:0  
	global_load_dwordx4 v[0:3], v[16:17], off offset:128
	
	;;#ASMEND
	ds_read_b32 v19, v18 offset:61440
	v_add_u32_e32 v18, 0xf000, v18
	s_waitcnt lgkmcnt(0)
	v_cmp_ne_u32_e32 vcc, v19, v32
	s_and_saveexec_b64 s[28:29], vcc
	s_cbranch_execz .LBB48_40
; %bb.42:                               ;   in Loop: Header=BB48_41 Depth=2
	s_mov_b64 s[30:31], 0
.LBB48_43:                              ;   Parent Loop BB48_7 Depth=1
                                        ;     Parent Loop BB48_41 Depth=2
                                        ; =>    This Inner Loop Header: Depth=3
	;;#ASMSTART
	s_sleep 0
	;;#ASMEND
	ds_read_b32 v19, v18
	s_waitcnt lgkmcnt(0)
	v_cmp_eq_u32_e32 vcc, v19, v32
	s_or_b64 s[30:31], vcc, s[30:31]
	s_andn2_b64 exec, exec, s[30:31]
	s_cbranch_execnz .LBB48_43
	s_branch .LBB48_40
.LBB48_44:
	s_endpgm
	.section	.rodata,"a",@progbits
	.p2align	6, 0x0
	.amdhsa_kernel _Z19_skinny_gemm_kernelILi1ELi2ELi3ELi8ELi8EEvPKhS1_P6__halfPKfiiiiiiii
		.amdhsa_group_segment_fixed_size 61476
		.amdhsa_private_segment_fixed_size 0
		.amdhsa_kernarg_size 64
		.amdhsa_user_sgpr_count 2
		.amdhsa_user_sgpr_dispatch_ptr 0
		.amdhsa_user_sgpr_queue_ptr 0
		.amdhsa_user_sgpr_kernarg_segment_ptr 1
		.amdhsa_user_sgpr_dispatch_id 0
		.amdhsa_user_sgpr_kernarg_preload_length 0
		.amdhsa_user_sgpr_kernarg_preload_offset 0
		.amdhsa_user_sgpr_private_segment_size 0
		.amdhsa_uses_dynamic_stack 0
		.amdhsa_enable_private_segment 0
		.amdhsa_system_sgpr_workgroup_id_x 1
		.amdhsa_system_sgpr_workgroup_id_y 0
		.amdhsa_system_sgpr_workgroup_id_z 0
		.amdhsa_system_sgpr_workgroup_info 0
		.amdhsa_system_vgpr_workitem_id 0
		.amdhsa_next_free_vgpr 56
		.amdhsa_next_free_sgpr 53
		.amdhsa_accum_offset 56
		.amdhsa_reserve_vcc 1
		.amdhsa_float_round_mode_32 0
		.amdhsa_float_round_mode_16_64 0
		.amdhsa_float_denorm_mode_32 3
		.amdhsa_float_denorm_mode_16_64 3
		.amdhsa_dx10_clamp 1
		.amdhsa_ieee_mode 1
		.amdhsa_fp16_overflow 0
		.amdhsa_tg_split 0
		.amdhsa_exception_fp_ieee_invalid_op 0
		.amdhsa_exception_fp_denorm_src 0
		.amdhsa_exception_fp_ieee_div_zero 0
		.amdhsa_exception_fp_ieee_overflow 0
		.amdhsa_exception_fp_ieee_underflow 0
		.amdhsa_exception_fp_ieee_inexact 0
		.amdhsa_exception_int_div_zero 0
	.end_amdhsa_kernel
	.section	.text._Z19_skinny_gemm_kernelILi1ELi2ELi3ELi8ELi8EEvPKhS1_P6__halfPKfiiiiiiii,"axG",@progbits,_Z19_skinny_gemm_kernelILi1ELi2ELi3ELi8ELi8EEvPKhS1_P6__halfPKfiiiiiiii,comdat
.Lfunc_end48:
	.size	_Z19_skinny_gemm_kernelILi1ELi2ELi3ELi8ELi8EEvPKhS1_P6__halfPKfiiiiiiii, .Lfunc_end48-_Z19_skinny_gemm_kernelILi1ELi2ELi3ELi8ELi8EEvPKhS1_P6__halfPKfiiiiiiii
                                        ; -- End function
	.set _Z19_skinny_gemm_kernelILi1ELi2ELi3ELi8ELi8EEvPKhS1_P6__halfPKfiiiiiiii.num_vgpr, 56
	.set _Z19_skinny_gemm_kernelILi1ELi2ELi3ELi8ELi8EEvPKhS1_P6__halfPKfiiiiiiii.num_agpr, 0
	.set _Z19_skinny_gemm_kernelILi1ELi2ELi3ELi8ELi8EEvPKhS1_P6__halfPKfiiiiiiii.numbered_sgpr, 53
	.set _Z19_skinny_gemm_kernelILi1ELi2ELi3ELi8ELi8EEvPKhS1_P6__halfPKfiiiiiiii.num_named_barrier, 0
	.set _Z19_skinny_gemm_kernelILi1ELi2ELi3ELi8ELi8EEvPKhS1_P6__halfPKfiiiiiiii.private_seg_size, 0
	.set _Z19_skinny_gemm_kernelILi1ELi2ELi3ELi8ELi8EEvPKhS1_P6__halfPKfiiiiiiii.uses_vcc, 1
	.set _Z19_skinny_gemm_kernelILi1ELi2ELi3ELi8ELi8EEvPKhS1_P6__halfPKfiiiiiiii.uses_flat_scratch, 0
	.set _Z19_skinny_gemm_kernelILi1ELi2ELi3ELi8ELi8EEvPKhS1_P6__halfPKfiiiiiiii.has_dyn_sized_stack, 0
	.set _Z19_skinny_gemm_kernelILi1ELi2ELi3ELi8ELi8EEvPKhS1_P6__halfPKfiiiiiiii.has_recursion, 0
	.set _Z19_skinny_gemm_kernelILi1ELi2ELi3ELi8ELi8EEvPKhS1_P6__halfPKfiiiiiiii.has_indirect_call, 0
	.section	.AMDGPU.csdata,"",@progbits
; Kernel info:
; codeLenInByte = 3404
; TotalNumSgprs: 59
; NumVgprs: 56
; NumAgprs: 0
; TotalNumVgprs: 56
; ScratchSize: 0
; MemoryBound: 0
; FloatMode: 240
; IeeeMode: 1
; LDSByteSize: 61476 bytes/workgroup (compile time only)
; SGPRBlocks: 7
; VGPRBlocks: 6
; NumSGPRsForWavesPerEU: 59
; NumVGPRsForWavesPerEU: 56
; AccumOffset: 56
; Occupancy: 8
; WaveLimiterHint : 0
; COMPUTE_PGM_RSRC2:SCRATCH_EN: 0
; COMPUTE_PGM_RSRC2:USER_SGPR: 2
; COMPUTE_PGM_RSRC2:TRAP_HANDLER: 0
; COMPUTE_PGM_RSRC2:TGID_X_EN: 1
; COMPUTE_PGM_RSRC2:TGID_Y_EN: 0
; COMPUTE_PGM_RSRC2:TGID_Z_EN: 0
; COMPUTE_PGM_RSRC2:TIDIG_COMP_CNT: 0
; COMPUTE_PGM_RSRC3_GFX90A:ACCUM_OFFSET: 13
; COMPUTE_PGM_RSRC3_GFX90A:TG_SPLIT: 0
	.section	.text._Z19_skinny_gemm_kernelILi1ELi2ELi3ELi16ELi4EEvPKhS1_P6__halfPKfiiiiiiii,"axG",@progbits,_Z19_skinny_gemm_kernelILi1ELi2ELi3ELi16ELi4EEvPKhS1_P6__halfPKfiiiiiiii,comdat
	.protected	_Z19_skinny_gemm_kernelILi1ELi2ELi3ELi16ELi4EEvPKhS1_P6__halfPKfiiiiiiii ; -- Begin function _Z19_skinny_gemm_kernelILi1ELi2ELi3ELi16ELi4EEvPKhS1_P6__halfPKfiiiiiiii
	.globl	_Z19_skinny_gemm_kernelILi1ELi2ELi3ELi16ELi4EEvPKhS1_P6__halfPKfiiiiiiii
	.p2align	8
	.type	_Z19_skinny_gemm_kernelILi1ELi2ELi3ELi16ELi4EEvPKhS1_P6__halfPKfiiiiiiii,@function
_Z19_skinny_gemm_kernelILi1ELi2ELi3ELi16ELi4EEvPKhS1_P6__halfPKfiiiiiiii: ; @_Z19_skinny_gemm_kernelILi1ELi2ELi3ELi16ELi4EEvPKhS1_P6__halfPKfiiiiiiii
; %bb.0:
	v_cmp_gt_u32_e32 vcc, 9, v0
	v_lshlrev_b32_e32 v1, 2, v0
	s_and_saveexec_b64 s[4:5], vcc
; %bb.1:
	v_mov_b32_e32 v2, 0
	ds_write_b32 v1, v2 offset:18432
; %bb.2:
	s_or_b64 exec, exec, s[4:5]
	s_load_dwordx8 s[24:31], s[0:1], 0x20
	s_waitcnt lgkmcnt(0)
	s_barrier
	s_add_i32 s3, s24, 15
	s_ashr_i32 s5, s3, 31
	s_add_i32 s4, s25, 31
	s_lshr_b32 s5, s5, 28
	s_ashr_i32 s6, s4, 31
	s_add_i32 s3, s3, s5
	s_ashr_i32 s33, s3, 4
	s_lshr_b32 s3, s6, 27
	s_add_i32 s4, s4, s3
	s_ashr_i32 s50, s4, 5
	s_mul_i32 s3, s50, s33
	s_mul_i32 s3, s3, s28
	s_add_i32 s4, s3, 0x12f
	s_mul_hi_i32 s4, s4, 0x6bca1af3
	s_lshr_b32 s5, s4, 31
	s_ashr_i32 s4, s4, 7
	s_add_i32 s4, s4, s5
	s_add_i32 s5, s2, 1
	s_mul_i32 s5, s4, s5
	v_cvt_f64_i32_e32 v[2:3], s3
	v_cvt_f64_u32_e32 v[4:5], s5
	v_min_f64 v[2:3], v[2:3], v[4:5]
	v_cvt_i32_f64_e32 v9, v[2:3]
	s_mul_i32 s51, s4, s2
	v_cmp_ge_i32_e32 vcc, s51, v9
	s_cbranch_vccnz .LBB49_45
; %bb.3:
	v_lshrrev_b32_e32 v2, 6, v0
	s_add_i32 s4, s30, s29
	s_load_dwordx8 s[36:43], s[0:1], 0x0
	v_cmp_le_i32_e64 s[0:1], s4, v2
	v_mov_b32_e32 v3, s29
	v_cmp_le_i32_e64 s[2:3], s29, v2
	v_mov_b32_e32 v4, s30
	v_cndmask_b32_e64 v4, 0, v4, s[0:1]
	v_cndmask_b32_e64 v3, 0, v3, s[2:3]
	s_abs_i32 s5, s28
	v_add_u32_e32 v3, v3, v4
	v_cvt_f32_u32_e32 v4, s5
	v_sub_u32_e32 v18, v2, v3
	s_ashr_i32 s6, s26, 31
	s_lshr_b32 s6, s6, 25
	v_rcp_iflag_f32_e32 v3, v4
	s_sub_i32 s9, 0, s5
	s_add_i32 s6, s26, s6
	s_ashr_i32 s6, s6, 7
	v_mul_f32_e32 v3, 0x4f7ffffe, v3
	v_cvt_u32_f32_e32 v3, v3
	s_abs_i32 s8, s6
	s_xor_b32 s7, s6, s28
	s_ashr_i32 s7, s7, 31
	v_readfirstlane_b32 s10, v3
	s_mul_i32 s9, s9, s10
	s_mul_hi_u32 s9, s10, s9
	s_add_i32 s10, s10, s9
	s_mul_hi_u32 s9, s8, s10
	s_mul_i32 s10, s9, s5
	s_sub_i32 s8, s8, s10
	s_add_i32 s10, s9, 1
	s_sub_i32 s11, s8, s5
	s_cmp_ge_u32 s8, s5
	s_cselect_b32 s9, s10, s9
	s_cselect_b32 s8, s11, s8
	s_add_i32 s10, s9, 1
	s_cmp_ge_u32 s8, s5
	s_cselect_b32 s5, s10, s9
	s_xor_b32 s5, s5, s7
	s_sub_i32 s52, s5, s7
	s_add_i32 s28, s28, -1
	s_mul_i32 s5, s52, s28
	s_add_i32 s4, s4, s31
	s_sub_i32 s53, s6, s5
	v_cmp_gt_i32_e64 s[4:5], s4, v2
	v_lshlrev_b32_e32 v2, 1, v0
	v_lshlrev_b32_e32 v3, 4, v0
	v_and_b32_e32 v1, 60, v1
	v_and_b32_e32 v2, 64, v2
	;; [unrolled: 1-line block ×3, first 2 shown]
	s_abs_i32 s54, s33
	v_or3_b32 v31, v1, v2, v4
	v_and_b32_e32 v1, 1, v0
	v_cvt_f32_u32_e32 v6, s54
	v_lshlrev_b32_e32 v2, 1, v1
	v_lshrrev_b32_e32 v4, 2, v0
	v_and_b32_e32 v8, 14, v0
	v_sub_u32_e32 v2, v0, v2
	v_and_or_b32 v33, v4, 12, v1
	v_bitop3_b32 v34, v0, 1, v0 bitop3:0xc
	v_bitop3_b32 v35, v0, 3, 1 bitop3:0x6c
	v_and_b32_e32 v12, 48, v3
	v_bfe_u32 v1, v0, 2, 4
	v_and_b32_e32 v3, 60, v0
	v_lshlrev_b32_e32 v5, 8, v0
	v_lshlrev_b32_e32 v0, 6, v0
	v_and_b32_e32 v5, 0x200, v5
	v_and_b32_e32 v0, 64, v0
	v_or3_b32 v37, v3, v5, v0
	v_rcp_iflag_f32_e32 v0, v6
	s_abs_i32 s56, s50
	v_mul_lo_u32 v14, s27, v1
	v_mul_lo_u32 v39, s26, v1
	v_cvt_f32_u32_e32 v1, s56
	v_mul_f32_e32 v0, 0x4f7ffffe, v0
	v_cvt_u32_f32_e32 v0, v0
	v_mad_u64_u32 v[10:11], s[6:7], s25, v33, v[8:9]
	v_rcp_iflag_f32_e32 v1, v1
	v_readfirstlane_b32 s7, v0
	s_sub_i32 s6, 0, s54
	s_mul_i32 s6, s6, s7
	v_mul_f32_e32 v0, 0x4f7ffffe, v1
	v_cvt_u32_f32_e32 v0, v0
	s_mul_hi_u32 s6, s7, s6
	v_add_u32_e32 v2, 1, v2
	s_add_i32 s58, s7, s6
	s_sub_i32 s6, 0, s56
	v_readfirstlane_b32 s7, v0
	v_mbcnt_lo_u32_b32 v0, -1, 0
	v_and_b32_e32 v2, 63, v2
	s_mul_i32 s6, s6, s7
	v_mbcnt_hi_u32_b32 v0, -1, v0
	s_mul_hi_u32 s6, s7, s6
	v_and_or_b32 v0, v0, 64, v2
	v_cndmask_b32_e64 v30, 0, 1, s[0:1]
	v_or_b32_e32 v32, 0x3000, v31
	v_or_b32_e32 v36, 16, v8
	v_ashrrev_i32_e32 v11, 31, v10
	s_ashr_i32 s23, s25, 31
	s_mov_b32 s22, s25
	v_ashrrev_i32_e32 v15, 31, v14
	v_mov_b32_e32 v13, 0
	s_lshl_b32 s55, s27, 4
	v_bitop3_b32 v38, v4, 15, v4 bitop3:0xc
	v_or_b32_e32 v40, 0x3000, v37
	s_ashr_i32 s57, s33, 31
	s_ashr_i32 s59, s50, 31
	s_add_i32 s60, s7, s6
	v_lshlrev_b32_e32 v41, 2, v0
	v_mov_b32_e32 v42, v18
	s_branch .LBB49_7
.LBB49_4:                               ;   in Loop: Header=BB49_7 Depth=1
	s_or_b64 exec, exec, s[10:11]
.LBB49_5:                               ;   in Loop: Header=BB49_7 Depth=1
	s_or_b64 exec, exec, s[8:9]
	v_subrev_u32_e32 v42, s61, v42
.LBB49_6:                               ;   in Loop: Header=BB49_7 Depth=1
	s_or_b64 exec, exec, s[6:7]
	s_add_i32 s51, s51, 1
	v_cmp_ge_i32_e32 vcc, s51, v9
	s_cbranch_vccnz .LBB49_45
.LBB49_7:                               ; =>This Loop Header: Depth=1
                                        ;     Child Loop BB49_13 Depth 2
                                        ;       Child Loop BB49_15 Depth 3
                                        ;       Child Loop BB49_18 Depth 3
	;; [unrolled: 1-line block ×3, first 2 shown]
                                        ;     Child Loop BB49_32 Depth 2
                                        ;       Child Loop BB49_34 Depth 3
                                        ;     Child Loop BB49_42 Depth 2
                                        ;       Child Loop BB49_44 Depth 3
	s_abs_i32 s7, s51
	s_mul_hi_u32 s8, s7, s58
	s_mul_i32 s9, s8, s54
	s_ashr_i32 s6, s51, 31
	s_sub_i32 s7, s7, s9
	s_xor_b32 s6, s6, s57
	s_add_i32 s9, s8, 1
	s_sub_i32 s10, s7, s54
	s_cmp_ge_u32 s7, s54
	s_cselect_b32 s8, s9, s8
	s_cselect_b32 s7, s10, s7
	s_add_i32 s9, s8, 1
	s_cmp_ge_u32 s7, s54
	s_cselect_b32 s7, s9, s8
	s_xor_b32 s7, s7, s6
	s_sub_i32 s6, s7, s6
	s_abs_i32 s8, s6
	s_mul_i32 s7, s6, s33
	s_mul_hi_u32 s9, s8, s60
	s_sub_i32 s7, s51, s7
	s_mul_i32 s10, s9, s56
	s_lshl_b32 s62, s7, 4
	s_ashr_i32 s7, s6, 31
	s_sub_i32 s8, s8, s10
	s_xor_b32 s7, s7, s59
	s_add_i32 s10, s9, 1
	s_sub_i32 s11, s8, s56
	s_cmp_ge_u32 s8, s56
	s_cselect_b32 s9, s10, s9
	s_cselect_b32 s8, s11, s8
	s_add_i32 s10, s9, 1
	s_cmp_ge_u32 s8, s56
	s_cselect_b32 s8, s10, s9
	s_xor_b32 s8, s8, s7
	s_sub_i32 s7, s8, s7
	s_mul_i32 s8, s7, s52
	s_lshl_b32 s63, s8, 7
	s_cmp_eq_u32 s7, s28
	s_cselect_b32 s61, s53, s52
	s_sub_i32 s64, s62, s24
	s_add_i32 s64, s64, 16
	s_and_saveexec_b64 s[8:9], s[2:3]
	s_xor_b64 s[34:35], exec, s[8:9]
	s_cbranch_execz .LBB49_38
; %bb.8:                                ;   in Loop: Header=BB49_7 Depth=1
	s_mul_i32 s7, s7, s50
	s_sub_i32 s6, s6, s7
	s_lshl_b32 s6, s6, 5
	s_sub_i32 s45, s6, s25
	s_add_i32 s45, s45, 32
	s_max_i32 s7, s45, 0
	s_sub_i32 s44, s6, s7
	s_and_saveexec_b64 s[6:7], s[0:1]
	s_xor_b64 s[46:47], exec, s[6:7]
	s_cbranch_execz .LBB49_28
; %bb.9:                                ;   in Loop: Header=BB49_7 Depth=1
	s_and_saveexec_b64 s[48:49], s[4:5]
	s_cbranch_execz .LBB49_27
; %bb.10:                               ;   in Loop: Header=BB49_7 Depth=1
	s_waitcnt lgkmcnt(0)
	global_load_dword v43, v13, s[42:43]
	v_cmp_gt_i32_e32 vcc, s61, v42
	v_mov_b32_e32 v3, 0
	v_mov_b32_e32 v2, 0
	;; [unrolled: 1-line block ×8, first 2 shown]
	s_and_saveexec_b64 s[6:7], vcc
	s_cbranch_execz .LBB49_23
; %bb.11:                               ;   in Loop: Header=BB49_7 Depth=1
	v_mov_b32_e32 v4, 0
	s_mov_b64 s[8:9], 0
	v_mov_b32_e32 v5, v4
	v_mov_b32_e32 v6, v4
	;; [unrolled: 1-line block ×7, first 2 shown]
	s_branch .LBB49_13
.LBB49_12:                              ;   in Loop: Header=BB49_13 Depth=2
	s_or_b64 exec, exec, s[10:11]
	v_add_u32_e32 v24, v31, v47
	v_add_u32_e32 v25, 0x800, v24
	ds_read2_b32 v[22:23], v25 offset1:32
	v_add_u32_e32 v24, 0xc00, v24
	v_add_u32_e32 v42, s31, v42
	v_cmp_le_i32_e32 vcc, s61, v42
	s_or_b64 s[8:9], vcc, s[8:9]
	s_waitcnt lgkmcnt(0)
	v_mfma_f32_16x16x32_fp8_fp8 v[0:3], v[18:19], v[22:23], v[0:3]
	ds_read2_b32 v[18:19], v25 offset0:128 offset1:160
	ds_read2_b32 v[22:23], v24 offset1:32
	s_waitcnt lgkmcnt(1)
	v_mfma_f32_16x16x32_fp8_fp8 v[0:3], v[16:17], v[18:19], v[0:3]
	ds_read2_b32 v[16:17], v24 offset0:128 offset1:160
	v_add_u32_e32 v18, s31, v45
	v_add_u32_e32 v19, 2, v30
	s_waitcnt lgkmcnt(1)
	v_mfma_f32_16x16x32_fp8_fp8 v[0:3], v[28:29], v[22:23], v[0:3]
	v_cmp_lt_i32_e32 vcc, 2, v18
	;;#ASMSTART
	s_waitcnt lgkmcnt(0)
	;;#ASMEND
	ds_write_b32 v44, v46 offset:18448
	s_waitcnt lgkmcnt(1)
	v_mfma_f32_16x16x32_fp8_fp8 v[0:3], v[20:21], v[16:17], v[0:3]
	v_cndmask_b32_e32 v30, v30, v19, vcc
	s_andn2_b64 exec, exec, s[8:9]
	s_cbranch_execz .LBB49_22
.LBB49_13:                              ;   Parent Loop BB49_7 Depth=1
                                        ; =>  This Loop Header: Depth=2
                                        ;       Child Loop BB49_15 Depth 3
                                        ;       Child Loop BB49_18 Depth 3
	;; [unrolled: 1-line block ×3, first 2 shown]
	v_cmp_gt_i32_e32 vcc, 3, v18
	s_nop 1
	v_cndmask_b32_e64 v16, -3, 0, vcc
	v_add_u32_e32 v45, v16, v18
	v_lshlrev_b32_e32 v44, 3, v45
	ds_read_b32 v16, v44 offset:18444
	s_waitcnt lgkmcnt(0)
	v_cmp_ne_u32_e32 vcc, v16, v30
	s_and_saveexec_b64 s[10:11], vcc
	s_cbranch_execz .LBB49_16
; %bb.14:                               ;   in Loop: Header=BB49_13 Depth=2
	s_mov_b64 s[12:13], 0
.LBB49_15:                              ;   Parent Loop BB49_7 Depth=1
                                        ;     Parent Loop BB49_13 Depth=2
                                        ; =>    This Inner Loop Header: Depth=3
	;;#ASMSTART
	s_sleep 0
	;;#ASMEND
	ds_read_b32 v16, v44 offset:18444
	s_waitcnt lgkmcnt(0)
	v_cmp_eq_u32_e32 vcc, v16, v30
	s_or_b64 s[12:13], vcc, s[12:13]
	s_andn2_b64 exec, exec, s[12:13]
	s_cbranch_execnz .LBB49_15
.LBB49_16:                              ;   in Loop: Header=BB49_13 Depth=2
	s_or_b64 exec, exec, s[10:11]
	v_lshlrev_b32_e32 v47, 12, v45
	v_or_b32_e32 v16, v31, v47
	ds_read2_b32 v[20:21], v16 offset1:32
	ds_read2_b32 v[22:23], v16 offset0:128 offset1:160
	v_add_u32_e32 v16, 0x400, v16
	v_add_u32_e32 v46, 1, v30
	ds_read2_b32 v[26:27], v16 offset1:32
	ds_read2_b32 v[24:25], v16 offset0:128 offset1:160
	;;#ASMSTART
	s_waitcnt lgkmcnt(0)
	;;#ASMEND
	ds_write_b32 v44, v46 offset:18444
	v_lshlrev_b32_e32 v16, 2, v45
	ds_read_b32 v17, v16 offset:18432
	v_add_u32_e32 v48, 0x4800, v16
	s_waitcnt lgkmcnt(0)
	v_cmp_ne_u32_e32 vcc, v17, v30
	s_and_saveexec_b64 s[10:11], vcc
	s_cbranch_execz .LBB49_19
; %bb.17:                               ;   in Loop: Header=BB49_13 Depth=2
	s_mov_b64 s[12:13], 0
.LBB49_18:                              ;   Parent Loop BB49_7 Depth=1
                                        ;     Parent Loop BB49_13 Depth=2
                                        ; =>    This Inner Loop Header: Depth=3
	;;#ASMSTART
	s_sleep 0
	;;#ASMEND
	ds_read_b32 v16, v48
	s_waitcnt lgkmcnt(0)
	v_cmp_eq_u32_e32 vcc, v16, v30
	s_or_b64 s[12:13], vcc, s[12:13]
	s_andn2_b64 exec, exec, s[12:13]
	s_cbranch_execnz .LBB49_18
.LBB49_19:                              ;   in Loop: Header=BB49_13 Depth=2
	s_or_b64 exec, exec, s[10:11]
	v_lshl_add_u32 v28, v45, 11, v32
	ds_read2_b32 v[18:19], v28 offset1:32
	ds_read2_b32 v[16:17], v28 offset0:128 offset1:160
	v_add_u32_e32 v49, 0x400, v28
	ds_read2_b32 v[28:29], v49 offset1:32
	ds_write_b32 v48, v46
	s_waitcnt lgkmcnt(3)
	v_mfma_f32_16x16x32_fp8_fp8 v[4:7], v[18:19], v[20:21], v[4:7]
	ds_read2_b32 v[20:21], v49 offset0:128 offset1:160
	s_waitcnt lgkmcnt(3)
	v_mfma_f32_16x16x32_fp8_fp8 v[4:7], v[16:17], v[22:23], v[4:7]
	ds_read_b32 v22, v44 offset:18448
	s_waitcnt lgkmcnt(0)
	v_cmp_ne_u32_e32 vcc, v22, v30
	v_mfma_f32_16x16x32_fp8_fp8 v[4:7], v[28:29], v[26:27], v[4:7]
	v_mfma_f32_16x16x32_fp8_fp8 v[4:7], v[20:21], v[24:25], v[4:7]
	s_and_saveexec_b64 s[10:11], vcc
	s_cbranch_execz .LBB49_12
; %bb.20:                               ;   in Loop: Header=BB49_13 Depth=2
	s_mov_b64 s[12:13], 0
.LBB49_21:                              ;   Parent Loop BB49_7 Depth=1
                                        ;     Parent Loop BB49_13 Depth=2
                                        ; =>    This Inner Loop Header: Depth=3
	;;#ASMSTART
	s_sleep 0
	;;#ASMEND
	ds_read_b32 v22, v44 offset:18448
	s_waitcnt lgkmcnt(0)
	v_cmp_eq_u32_e32 vcc, v22, v30
	s_or_b64 s[12:13], vcc, s[12:13]
	s_andn2_b64 exec, exec, s[12:13]
	s_cbranch_execnz .LBB49_21
	s_branch .LBB49_12
.LBB49_22:                              ;   in Loop: Header=BB49_7 Depth=1
	s_or_b64 exec, exec, s[8:9]
.LBB49_23:                              ;   in Loop: Header=BB49_7 Depth=1
	s_or_b64 exec, exec, s[6:7]
	v_cmp_le_i32_e32 vcc, s45, v8
	v_cmp_eq_u32_e64 s[6:7], 2, v34
	v_cmp_eq_u32_e64 s[8:9], 3, v34
	s_waitcnt vmcnt(0)
	v_cndmask_b32_e32 v16, 0, v43, vcc
	v_pk_mul_f32 v[20:21], v[16:17], v[4:5] op_sel_hi:[0,1]
	v_cmp_eq_u32_e32 vcc, 1, v34
	v_pk_mul_f32 v[6:7], v[16:17], v[6:7] op_sel_hi:[0,1]
	v_cmp_eq_u32_e64 s[10:11], 0, v34
	v_cndmask_b32_e32 v4, v20, v21, vcc
	v_cndmask_b32_e64 v4, v4, v6, s[6:7]
	v_cndmask_b32_e64 v4, v4, v7, s[8:9]
	ds_bpermute_b32 v17, v41, v4
	v_cmp_eq_u32_e64 s[12:13], 1, v35
	v_cmp_eq_u32_e64 s[18:19], 4, v35
	;; [unrolled: 1-line block ×4, first 2 shown]
	s_waitcnt lgkmcnt(0)
	v_cndmask_b32_e64 v4, v7, v17, s[8:9]
	v_cndmask_b32_e64 v5, v6, v17, s[6:7]
	v_cndmask_b32_e32 v16, v21, v17, vcc
	v_cndmask_b32_e64 v17, v20, v17, s[10:11]
	v_cndmask_b32_e64 v6, v17, v16, s[12:13]
	s_or_b64 s[20:21], s[20:21], s[18:19]
	v_cmp_eq_u32_e64 s[18:19], 6, v35
	v_cndmask_b32_e64 v6, v6, v5, s[14:15]
	v_cmp_eq_u32_e64 s[16:17], 3, v35
	s_or_b64 s[20:21], s[18:19], s[20:21]
	v_cmp_le_i32_e64 s[18:19], s45, v36
	v_cndmask_b32_e64 v7, v6, v4, s[16:17]
	s_nop 0
	v_cndmask_b32_e64 v6, 0, v43, s[18:19]
	v_pk_mul_f32 v[20:21], v[6:7], v[0:1] op_sel_hi:[0,1]
	v_pk_mul_f32 v[0:1], v[6:7], v[2:3] op_sel_hi:[0,1]
	v_cndmask_b32_e32 v2, v20, v21, vcc
	v_cndmask_b32_e64 v2, v2, v0, s[6:7]
	v_cndmask_b32_e64 v2, v2, v1, s[8:9]
	ds_bpermute_b32 v19, v41, v2
	v_cmp_eq_u32_e32 vcc, 7, v35
	s_or_b64 vcc, vcc, s[20:21]
	s_waitcnt lgkmcnt(0)
	v_cndmask_b32_e64 v3, v1, v19, s[8:9]
	v_cndmask_b32_e32 v2, v7, v0, vcc
	v_cmp_ne_u32_e32 vcc, 0, v34
	v_cndmask_b32_e64 v6, v0, v19, s[6:7]
	v_cndmask_b32_e64 v1, v20, v19, s[10:11]
	v_cndmask_b32_e32 v0, v21, v19, vcc
	v_cndmask_b32_e64 v7, v1, v0, s[12:13]
	v_cndmask_b32_e64 v7, v7, v6, s[14:15]
	;; [unrolled: 1-line block ×3, first 2 shown]
	ds_bpermute_b32 v2, v41, v2
	ds_bpermute_b32 v7, v41, v7
	s_max_i32 s6, s64, 0
	v_add_u32_e32 v19, s6, v33
	v_cmp_gt_u32_e32 vcc, 16, v19
	s_and_saveexec_b64 s[12:13], vcc
	s_cbranch_execz .LBB49_26
; %bb.24:                               ;   in Loop: Header=BB49_7 Depth=1
	v_cmp_eq_u32_e64 s[8:9], 1, v35
	v_cmp_eq_u32_e64 s[10:11], 0, v35
	v_cmp_eq_u32_e32 vcc, 3, v35
	s_waitcnt lgkmcnt(1)
	v_cndmask_b32_e64 v16, v16, v2, s[8:9]
	s_waitcnt lgkmcnt(0)
	v_cndmask_b32_e64 v20, v0, v7, s[8:9]
	s_mul_i32 s8, s62, s25
	s_ashr_i32 s9, s8, 31
	s_lshl_b64 s[8:9], s[8:9], 1
	v_cndmask_b32_e64 v17, v17, v2, s[10:11]
	v_cndmask_b32_e64 v21, v1, v7, s[10:11]
	s_add_u32 s10, s40, s8
	s_addc_u32 s11, s41, s9
	s_ashr_i32 s45, s44, 31
	v_cvt_f16_f32_e32 v17, v17
	v_cvt_f16_f32_sdwa v16, v16 dst_sel:WORD_1 dst_unused:UNUSED_PAD src0_sel:DWORD
	s_lshl_b64 s[8:9], s[44:45], 1
	v_cvt_f16_f32_e32 v21, v21
	v_cvt_f16_f32_sdwa v20, v20 dst_sel:WORD_1 dst_unused:UNUSED_PAD src0_sel:DWORD
	s_add_u32 s8, s10, s8
	s_addc_u32 s9, s11, s9
	v_cmp_eq_u32_e64 s[6:7], 2, v35
	v_lshl_add_u64 v[0:1], v[10:11], 1, s[8:9]
	v_or_b32_e32 v16, v16, v17
	v_cmp_gt_u32_e64 s[8:9], 14, v19
	;;#ASMSTART
	global_atomic_pk_add_f16 v[0:1], v16, off
	
	;;#ASMEND
	v_lshl_add_u64 v[16:17], v[0:1], 0, 32
	v_or_b32_e32 v20, v20, v21
	;;#ASMSTART
	global_atomic_pk_add_f16 v[16:17], v20, off
	
	;;#ASMEND
	s_and_b64 exec, exec, s[8:9]
	s_cbranch_execz .LBB49_26
; %bb.25:                               ;   in Loop: Header=BB49_7 Depth=1
	v_cndmask_b32_e32 v4, v4, v2, vcc
	v_cndmask_b32_e64 v2, v5, v2, s[6:7]
	v_cndmask_b32_e32 v3, v3, v7, vcc
	v_cndmask_b32_e64 v5, v6, v7, s[6:7]
	v_cvt_f16_f32_e32 v2, v2
	v_cvt_f16_f32_sdwa v4, v4 dst_sel:WORD_1 dst_unused:UNUSED_PAD src0_sel:DWORD
	v_cvt_f16_f32_e32 v5, v5
	v_cvt_f16_f32_sdwa v3, v3 dst_sel:WORD_1 dst_unused:UNUSED_PAD src0_sel:DWORD
	v_lshl_add_u64 v[0:1], s[22:23], 2, v[0:1]
	v_or_b32_e32 v2, v4, v2
	;;#ASMSTART
	global_atomic_pk_add_f16 v[0:1], v2, off
	
	;;#ASMEND
	v_lshl_add_u64 v[0:1], v[0:1], 0, 32
	v_or_b32_e32 v2, v3, v5
	;;#ASMSTART
	global_atomic_pk_add_f16 v[0:1], v2, off
	
	;;#ASMEND
.LBB49_26:                              ;   in Loop: Header=BB49_7 Depth=1
	s_or_b64 exec, exec, s[12:13]
	v_subrev_u32_e32 v42, s61, v42
.LBB49_27:                              ;   in Loop: Header=BB49_7 Depth=1
	s_or_b64 exec, exec, s[48:49]
.LBB49_28:                              ;   in Loop: Header=BB49_7 Depth=1
	s_andn2_saveexec_b64 s[6:7], s[46:47]
	s_cbranch_execz .LBB49_37
; %bb.29:                               ;   in Loop: Header=BB49_7 Depth=1
	s_lshl_b32 s16, s61, 1
	v_cmp_gt_i32_e32 vcc, s16, v42
	s_and_saveexec_b64 s[8:9], vcc
	s_cbranch_execz .LBB49_36
; %bb.30:                               ;   in Loop: Header=BB49_7 Depth=1
	s_mul_i32 s10, s44, s27
	s_ashr_i32 s11, s10, 31
	s_waitcnt lgkmcnt(0)
	s_add_u32 s10, s38, s10
	s_addc_u32 s11, s39, s11
	s_ashr_i32 s12, s63, 31
	s_add_u32 s10, s10, s63
	s_addc_u32 s11, s11, s12
	v_lshl_add_u64 v[0:1], s[10:11], 0, v[14:15]
	v_lshl_add_u64 v[16:17], v[0:1], 0, v[12:13]
	s_mov_b64 s[10:11], 0
	s_branch .LBB49_32
.LBB49_31:                              ;   in Loop: Header=BB49_32 Depth=2
	s_or_b64 exec, exec, s[12:13]
	v_lshl_or_b32 v20, v18, 11, v37
	;;#ASMSTART
	s_waitcnt vmcnt(1)
	;;#ASMEND
	ds_write2_b32 v20, v4, v5 offset1:32
	ds_write2_b32 v20, v6, v7 offset0:64 offset1:96
	v_add_u32_e32 v4, 0x400, v20
	v_add_u32_e32 v42, s30, v42
	;;#ASMSTART
	s_waitcnt vmcnt(0)
	;;#ASMEND
	ds_write2_b32 v4, v0, v1 offset1:32
	ds_write2_b32 v4, v2, v3 offset0:64 offset1:96
	v_add_u32_e32 v0, 1, v30
	v_add_u32_e32 v18, s30, v18
	v_cmp_le_i32_e32 vcc, s16, v42
	ds_write_b32 v19, v0 offset:12
	v_add_u32_e32 v0, 2, v30
	s_or_b64 s[10:11], vcc, s[10:11]
	v_cmp_lt_i32_e32 vcc, 5, v18
	s_nop 1
	v_cndmask_b32_e32 v30, v30, v0, vcc
	s_andn2_b64 exec, exec, s[10:11]
	s_cbranch_execz .LBB49_35
.LBB49_32:                              ;   Parent Loop BB49_7 Depth=1
                                        ; =>  This Loop Header: Depth=2
                                        ;       Child Loop BB49_34 Depth 3
	v_cmp_gt_i32_e32 vcc, 6, v18
	s_nop 1
	v_cndmask_b32_e64 v0, -6, 0, vcc
	v_add_u32_e32 v18, v0, v18
	v_lshrrev_b32_e32 v0, 31, v42
	v_add_u32_e32 v0, v42, v0
	v_and_b32_e32 v1, -2, v0
	v_lshlrev_b32_e32 v0, 6, v0
	v_sub_u32_e32 v2, v42, v1
	v_and_b32_e32 v0, 0xffffff80, v0
	v_ashrrev_i32_e32 v1, 31, v0
	v_mul_lo_u32 v2, s55, v2
	v_lshl_add_u64 v[0:1], v[16:17], 0, v[0:1]
	v_ashrrev_i32_e32 v3, 31, v2
	v_lshl_add_u64 v[0:1], v[0:1], 0, v[2:3]
	v_lshlrev_b32_e32 v19, 2, v18
	;;#ASMSTART
	global_load_dwordx4 v[4:7], v[0:1], off offset:0   sc0 sc1 nt  
	global_load_dwordx4 v[0:3], v[0:1], off offset:64  sc0 sc1 nt  
	
	;;#ASMEND
	ds_read_b32 v20, v19 offset:18444
	v_add_u32_e32 v19, 0x4800, v19
	s_waitcnt lgkmcnt(0)
	v_cmp_ne_u32_e32 vcc, v20, v30
	s_and_saveexec_b64 s[12:13], vcc
	s_cbranch_execz .LBB49_31
; %bb.33:                               ;   in Loop: Header=BB49_32 Depth=2
	s_mov_b64 s[14:15], 0
.LBB49_34:                              ;   Parent Loop BB49_7 Depth=1
                                        ;     Parent Loop BB49_32 Depth=2
                                        ; =>    This Inner Loop Header: Depth=3
	;;#ASMSTART
	s_sleep 0
	;;#ASMEND
	ds_read_b32 v20, v19 offset:12
	s_waitcnt lgkmcnt(0)
	v_cmp_eq_u32_e32 vcc, v20, v30
	s_or_b64 s[14:15], vcc, s[14:15]
	s_andn2_b64 exec, exec, s[14:15]
	s_cbranch_execnz .LBB49_34
	s_branch .LBB49_31
.LBB49_35:                              ;   in Loop: Header=BB49_7 Depth=1
	s_or_b64 exec, exec, s[10:11]
.LBB49_36:                              ;   in Loop: Header=BB49_7 Depth=1
	s_or_b64 exec, exec, s[8:9]
	v_subrev_u32_e32 v42, s16, v42
.LBB49_37:                              ;   in Loop: Header=BB49_7 Depth=1
	s_or_b64 exec, exec, s[6:7]
.LBB49_38:                              ;   in Loop: Header=BB49_7 Depth=1
	s_andn2_saveexec_b64 s[6:7], s[34:35]
	s_cbranch_execz .LBB49_6
; %bb.39:                               ;   in Loop: Header=BB49_7 Depth=1
	v_cmp_gt_i32_e32 vcc, s61, v42
	s_and_saveexec_b64 s[8:9], vcc
	s_cbranch_execz .LBB49_5
; %bb.40:                               ;   in Loop: Header=BB49_7 Depth=1
	s_mul_i32 s62, s62, s26
	s_ashr_i32 s10, s62, 31
	s_waitcnt lgkmcnt(0)
	s_add_u32 s11, s36, s62
	s_addc_u32 s12, s37, s10
	s_ashr_i32 s13, s63, 31
	v_cmp_le_i32_e32 vcc, s64, v38
	s_add_u32 s10, s11, s63
	s_addc_u32 s11, s12, s13
	v_cndmask_b32_e32 v0, 0, v39, vcc
	v_ashrrev_i32_e32 v1, 31, v0
	v_lshl_add_u64 v[0:1], s[10:11], 0, v[0:1]
	v_lshl_add_u64 v[16:17], v[0:1], 0, v[12:13]
	s_mov_b64 s[10:11], 0
	s_branch .LBB49_42
.LBB49_41:                              ;   in Loop: Header=BB49_42 Depth=2
	s_or_b64 exec, exec, s[12:13]
	v_lshl_add_u32 v20, v18, 11, v40
	;;#ASMSTART
	s_waitcnt vmcnt(1)
	;;#ASMEND
	ds_write2_b32 v20, v4, v5 offset1:32
	ds_write2_b32 v20, v6, v7 offset0:64 offset1:96
	v_add_u32_e32 v4, 0x400, v20
	v_add_u32_e32 v42, s29, v42
	;;#ASMSTART
	s_waitcnt vmcnt(0)
	;;#ASMEND
	ds_write2_b32 v4, v0, v1 offset1:32
	ds_write2_b32 v4, v2, v3 offset0:64 offset1:96
	v_add_u32_e32 v0, 1, v30
	v_add_u32_e32 v18, s29, v18
	v_cmp_le_i32_e32 vcc, s61, v42
	ds_write_b32 v19, v0
	v_add_u32_e32 v0, 2, v30
	s_or_b64 s[10:11], vcc, s[10:11]
	v_cmp_lt_i32_e32 vcc, 2, v18
	s_nop 1
	v_cndmask_b32_e32 v30, v30, v0, vcc
	s_andn2_b64 exec, exec, s[10:11]
	s_cbranch_execz .LBB49_4
.LBB49_42:                              ;   Parent Loop BB49_7 Depth=1
                                        ; =>  This Loop Header: Depth=2
                                        ;       Child Loop BB49_44 Depth 3
	v_cmp_gt_i32_e32 vcc, 3, v18
	s_nop 1
	v_cndmask_b32_e64 v0, -3, 0, vcc
	v_add_u32_e32 v18, v0, v18
	v_lshlrev_b32_e32 v0, 7, v42
	v_ashrrev_i32_e32 v1, 31, v0
	v_lshl_add_u64 v[0:1], v[16:17], 0, v[0:1]
	v_lshlrev_b32_e32 v19, 2, v18
	;;#ASMSTART
	global_load_dwordx4 v[4:7], v[0:1], off offset:0   
	global_load_dwordx4 v[0:3], v[0:1], off offset:64  
	
	;;#ASMEND
	ds_read_b32 v20, v19 offset:18432
	v_add_u32_e32 v19, 0x4800, v19
	s_waitcnt lgkmcnt(0)
	v_cmp_ne_u32_e32 vcc, v20, v30
	s_and_saveexec_b64 s[12:13], vcc
	s_cbranch_execz .LBB49_41
; %bb.43:                               ;   in Loop: Header=BB49_42 Depth=2
	s_mov_b64 s[14:15], 0
.LBB49_44:                              ;   Parent Loop BB49_7 Depth=1
                                        ;     Parent Loop BB49_42 Depth=2
                                        ; =>    This Inner Loop Header: Depth=3
	;;#ASMSTART
	s_sleep 0
	;;#ASMEND
	ds_read_b32 v20, v19
	s_waitcnt lgkmcnt(0)
	v_cmp_eq_u32_e32 vcc, v20, v30
	s_or_b64 s[14:15], vcc, s[14:15]
	s_andn2_b64 exec, exec, s[14:15]
	s_cbranch_execnz .LBB49_44
	s_branch .LBB49_41
.LBB49_45:
	s_endpgm
	.section	.rodata,"a",@progbits
	.p2align	6, 0x0
	.amdhsa_kernel _Z19_skinny_gemm_kernelILi1ELi2ELi3ELi16ELi4EEvPKhS1_P6__halfPKfiiiiiiii
		.amdhsa_group_segment_fixed_size 18468
		.amdhsa_private_segment_fixed_size 0
		.amdhsa_kernarg_size 64
		.amdhsa_user_sgpr_count 2
		.amdhsa_user_sgpr_dispatch_ptr 0
		.amdhsa_user_sgpr_queue_ptr 0
		.amdhsa_user_sgpr_kernarg_segment_ptr 1
		.amdhsa_user_sgpr_dispatch_id 0
		.amdhsa_user_sgpr_kernarg_preload_length 0
		.amdhsa_user_sgpr_kernarg_preload_offset 0
		.amdhsa_user_sgpr_private_segment_size 0
		.amdhsa_uses_dynamic_stack 0
		.amdhsa_enable_private_segment 0
		.amdhsa_system_sgpr_workgroup_id_x 1
		.amdhsa_system_sgpr_workgroup_id_y 0
		.amdhsa_system_sgpr_workgroup_id_z 0
		.amdhsa_system_sgpr_workgroup_info 0
		.amdhsa_system_vgpr_workitem_id 0
		.amdhsa_next_free_vgpr 50
		.amdhsa_next_free_sgpr 65
		.amdhsa_accum_offset 52
		.amdhsa_reserve_vcc 1
		.amdhsa_float_round_mode_32 0
		.amdhsa_float_round_mode_16_64 0
		.amdhsa_float_denorm_mode_32 3
		.amdhsa_float_denorm_mode_16_64 3
		.amdhsa_dx10_clamp 1
		.amdhsa_ieee_mode 1
		.amdhsa_fp16_overflow 0
		.amdhsa_tg_split 0
		.amdhsa_exception_fp_ieee_invalid_op 0
		.amdhsa_exception_fp_denorm_src 0
		.amdhsa_exception_fp_ieee_div_zero 0
		.amdhsa_exception_fp_ieee_overflow 0
		.amdhsa_exception_fp_ieee_underflow 0
		.amdhsa_exception_fp_ieee_inexact 0
		.amdhsa_exception_int_div_zero 0
	.end_amdhsa_kernel
	.section	.text._Z19_skinny_gemm_kernelILi1ELi2ELi3ELi16ELi4EEvPKhS1_P6__halfPKfiiiiiiii,"axG",@progbits,_Z19_skinny_gemm_kernelILi1ELi2ELi3ELi16ELi4EEvPKhS1_P6__halfPKfiiiiiiii,comdat
.Lfunc_end49:
	.size	_Z19_skinny_gemm_kernelILi1ELi2ELi3ELi16ELi4EEvPKhS1_P6__halfPKfiiiiiiii, .Lfunc_end49-_Z19_skinny_gemm_kernelILi1ELi2ELi3ELi16ELi4EEvPKhS1_P6__halfPKfiiiiiiii
                                        ; -- End function
	.set _Z19_skinny_gemm_kernelILi1ELi2ELi3ELi16ELi4EEvPKhS1_P6__halfPKfiiiiiiii.num_vgpr, 50
	.set _Z19_skinny_gemm_kernelILi1ELi2ELi3ELi16ELi4EEvPKhS1_P6__halfPKfiiiiiiii.num_agpr, 0
	.set _Z19_skinny_gemm_kernelILi1ELi2ELi3ELi16ELi4EEvPKhS1_P6__halfPKfiiiiiiii.numbered_sgpr, 65
	.set _Z19_skinny_gemm_kernelILi1ELi2ELi3ELi16ELi4EEvPKhS1_P6__halfPKfiiiiiiii.num_named_barrier, 0
	.set _Z19_skinny_gemm_kernelILi1ELi2ELi3ELi16ELi4EEvPKhS1_P6__halfPKfiiiiiiii.private_seg_size, 0
	.set _Z19_skinny_gemm_kernelILi1ELi2ELi3ELi16ELi4EEvPKhS1_P6__halfPKfiiiiiiii.uses_vcc, 1
	.set _Z19_skinny_gemm_kernelILi1ELi2ELi3ELi16ELi4EEvPKhS1_P6__halfPKfiiiiiiii.uses_flat_scratch, 0
	.set _Z19_skinny_gemm_kernelILi1ELi2ELi3ELi16ELi4EEvPKhS1_P6__halfPKfiiiiiiii.has_dyn_sized_stack, 0
	.set _Z19_skinny_gemm_kernelILi1ELi2ELi3ELi16ELi4EEvPKhS1_P6__halfPKfiiiiiiii.has_recursion, 0
	.set _Z19_skinny_gemm_kernelILi1ELi2ELi3ELi16ELi4EEvPKhS1_P6__halfPKfiiiiiiii.has_indirect_call, 0
	.section	.AMDGPU.csdata,"",@progbits
; Kernel info:
; codeLenInByte = 3172
; TotalNumSgprs: 71
; NumVgprs: 50
; NumAgprs: 0
; TotalNumVgprs: 50
; ScratchSize: 0
; MemoryBound: 0
; FloatMode: 240
; IeeeMode: 1
; LDSByteSize: 18468 bytes/workgroup (compile time only)
; SGPRBlocks: 8
; VGPRBlocks: 6
; NumSGPRsForWavesPerEU: 71
; NumVGPRsForWavesPerEU: 50
; AccumOffset: 52
; Occupancy: 8
; WaveLimiterHint : 0
; COMPUTE_PGM_RSRC2:SCRATCH_EN: 0
; COMPUTE_PGM_RSRC2:USER_SGPR: 2
; COMPUTE_PGM_RSRC2:TRAP_HANDLER: 0
; COMPUTE_PGM_RSRC2:TGID_X_EN: 1
; COMPUTE_PGM_RSRC2:TGID_Y_EN: 0
; COMPUTE_PGM_RSRC2:TGID_Z_EN: 0
; COMPUTE_PGM_RSRC2:TIDIG_COMP_CNT: 0
; COMPUTE_PGM_RSRC3_GFX90A:ACCUM_OFFSET: 12
; COMPUTE_PGM_RSRC3_GFX90A:TG_SPLIT: 0
	.section	.text._Z19_skinny_gemm_kernelILi1ELi2ELi3ELi16ELi8EEvPKhS1_P6__halfPKfiiiiiiii,"axG",@progbits,_Z19_skinny_gemm_kernelILi1ELi2ELi3ELi16ELi8EEvPKhS1_P6__halfPKfiiiiiiii,comdat
	.protected	_Z19_skinny_gemm_kernelILi1ELi2ELi3ELi16ELi8EEvPKhS1_P6__halfPKfiiiiiiii ; -- Begin function _Z19_skinny_gemm_kernelILi1ELi2ELi3ELi16ELi8EEvPKhS1_P6__halfPKfiiiiiiii
	.globl	_Z19_skinny_gemm_kernelILi1ELi2ELi3ELi16ELi8EEvPKhS1_P6__halfPKfiiiiiiii
	.p2align	8
	.type	_Z19_skinny_gemm_kernelILi1ELi2ELi3ELi16ELi8EEvPKhS1_P6__halfPKfiiiiiiii,@function
_Z19_skinny_gemm_kernelILi1ELi2ELi3ELi16ELi8EEvPKhS1_P6__halfPKfiiiiiiii: ; @_Z19_skinny_gemm_kernelILi1ELi2ELi3ELi16ELi8EEvPKhS1_P6__halfPKfiiiiiiii
; %bb.0:
	v_cmp_gt_u32_e32 vcc, 9, v0
	v_lshlrev_b32_e32 v1, 2, v0
	s_and_saveexec_b64 s[4:5], vcc
; %bb.1:
	v_mov_b32_e32 v2, 0
	ds_write_b32 v1, v2 offset:36864
; %bb.2:
	s_or_b64 exec, exec, s[4:5]
	s_load_dwordx8 s[16:23], s[0:1], 0x20
	s_waitcnt lgkmcnt(0)
	s_barrier
	s_add_i32 s3, s16, 15
	s_ashr_i32 s5, s3, 31
	s_add_i32 s4, s17, 31
	s_lshr_b32 s5, s5, 28
	s_ashr_i32 s6, s4, 31
	s_add_i32 s3, s3, s5
	s_ashr_i32 s33, s3, 4
	s_lshr_b32 s3, s6, 27
	s_add_i32 s4, s4, s3
	s_ashr_i32 s44, s4, 5
	s_mul_i32 s3, s44, s33
	s_mul_i32 s3, s3, s20
	s_add_i32 s4, s3, 0x12f
	s_mul_hi_i32 s4, s4, 0x6bca1af3
	s_lshr_b32 s5, s4, 31
	s_ashr_i32 s4, s4, 7
	s_add_i32 s4, s4, s5
	s_add_i32 s5, s2, 1
	s_mul_i32 s5, s4, s5
	v_cvt_f64_i32_e32 v[2:3], s3
	v_cvt_f64_u32_e32 v[4:5], s5
	v_min_f64 v[2:3], v[2:3], v[4:5]
	v_cvt_i32_f64_e32 v17, v[2:3]
	s_mul_i32 s45, s4, s2
	v_cmp_ge_i32_e32 vcc, s45, v17
	s_cbranch_vccnz .LBB50_45
; %bb.3:
	v_lshrrev_b32_e32 v2, 6, v0
	s_add_i32 s4, s22, s21
	s_load_dwordx8 s[24:31], s[0:1], 0x0
	v_cmp_le_i32_e64 s[0:1], s4, v2
	v_mov_b32_e32 v3, s21
	v_cmp_le_i32_e64 s[2:3], s21, v2
	v_mov_b32_e32 v4, s22
	v_cndmask_b32_e64 v4, 0, v4, s[0:1]
	v_cndmask_b32_e64 v3, 0, v3, s[2:3]
	s_abs_i32 s5, s20
	v_add_u32_e32 v3, v3, v4
	v_cvt_f32_u32_e32 v4, s5
	v_sub_u32_e32 v8, v2, v3
	s_ashr_i32 s6, s18, 31
	s_lshr_b32 s6, s6, 24
	v_rcp_iflag_f32_e32 v3, v4
	s_sub_i32 s9, 0, s5
	s_add_i32 s6, s18, s6
	s_ashr_i32 s6, s6, 8
	v_mul_f32_e32 v3, 0x4f7ffffe, v3
	v_cvt_u32_f32_e32 v3, v3
	s_abs_i32 s8, s6
	s_xor_b32 s7, s6, s20
	s_ashr_i32 s7, s7, 31
	v_readfirstlane_b32 s10, v3
	s_mul_i32 s9, s9, s10
	s_mul_hi_u32 s9, s10, s9
	s_add_i32 s10, s10, s9
	s_mul_hi_u32 s9, s8, s10
	s_mul_i32 s10, s9, s5
	s_sub_i32 s8, s8, s10
	s_add_i32 s10, s9, 1
	s_sub_i32 s11, s8, s5
	s_cmp_ge_u32 s8, s5
	s_cselect_b32 s9, s10, s9
	s_cselect_b32 s8, s11, s8
	s_add_i32 s10, s9, 1
	s_cmp_ge_u32 s8, s5
	s_cselect_b32 s5, s10, s9
	s_xor_b32 s5, s5, s7
	s_sub_i32 s46, s5, s7
	s_add_i32 s20, s20, -1
	s_mul_i32 s5, s46, s20
	s_add_i32 s4, s4, s23
	s_sub_i32 s47, s6, s5
	v_cmp_gt_i32_e64 s[4:5], s4, v2
	v_lshlrev_b32_e32 v2, 1, v0
	v_lshlrev_b32_e32 v3, 4, v0
	v_and_b32_e32 v1, 60, v1
	v_and_b32_e32 v2, 64, v2
	;; [unrolled: 1-line block ×3, first 2 shown]
	s_abs_i32 s48, s33
	v_or3_b32 v43, v1, v2, v4
	v_and_b32_e32 v1, 1, v0
	v_cvt_f32_u32_e32 v6, s48
	v_lshlrev_b32_e32 v2, 1, v1
	v_lshrrev_b32_e32 v4, 2, v0
	v_and_b32_e32 v16, 14, v0
	v_sub_u32_e32 v2, v0, v2
	v_and_or_b32 v45, v4, 12, v1
	v_bitop3_b32 v46, v0, 1, v0 bitop3:0xc
	v_bitop3_b32 v47, v0, 3, 1 bitop3:0x6c
	v_and_b32_e32 v20, 48, v3
	v_bfe_u32 v1, v0, 2, 4
	v_and_b32_e32 v3, 60, v0
	v_lshlrev_b32_e32 v5, 8, v0
	v_lshlrev_b32_e32 v0, 6, v0
	v_and_b32_e32 v5, 0x200, v5
	v_and_b32_e32 v0, 64, v0
	v_or3_b32 v49, v3, v5, v0
	v_rcp_iflag_f32_e32 v0, v6
	s_abs_i32 s50, s44
	v_mul_lo_u32 v22, s19, v1
	v_mul_lo_u32 v51, s18, v1
	v_cvt_f32_u32_e32 v1, s50
	v_mul_f32_e32 v0, 0x4f7ffffe, v0
	v_cvt_u32_f32_e32 v0, v0
	v_mad_u64_u32 v[18:19], s[6:7], s17, v45, v[16:17]
	v_rcp_iflag_f32_e32 v1, v1
	v_readfirstlane_b32 s7, v0
	s_sub_i32 s6, 0, s48
	s_mul_i32 s6, s6, s7
	v_mul_f32_e32 v0, 0x4f7ffffe, v1
	v_cvt_u32_f32_e32 v0, v0
	s_mul_hi_u32 s6, s7, s6
	v_add_u32_e32 v2, 1, v2
	s_add_i32 s52, s7, s6
	s_sub_i32 s6, 0, s50
	v_readfirstlane_b32 s7, v0
	v_mbcnt_lo_u32_b32 v0, -1, 0
	v_and_b32_e32 v2, 63, v2
	s_mul_i32 s6, s6, s7
	v_mbcnt_hi_u32_b32 v0, -1, v0
	s_mul_hi_u32 s6, s7, s6
	v_and_or_b32 v0, v0, 64, v2
	v_cndmask_b32_e64 v42, 0, 1, s[0:1]
	v_or_b32_e32 v44, 0x6000, v43
	v_or_b32_e32 v48, 16, v16
	v_ashrrev_i32_e32 v19, 31, v18
	s_ashr_i32 s35, s17, 31
	s_mov_b32 s34, s17
	v_ashrrev_i32_e32 v23, 31, v22
	v_mov_b32_e32 v21, 0
	s_lshl_b32 s49, s19, 4
	v_bitop3_b32 v50, v4, 15, v4 bitop3:0xc
	v_or_b32_e32 v52, 0x6000, v49
	s_ashr_i32 s51, s33, 31
	s_ashr_i32 s53, s44, 31
	s_add_i32 s54, s7, s6
	v_lshlrev_b32_e32 v53, 2, v0
	v_mov_b32_e32 v54, v8
	s_branch .LBB50_7
.LBB50_4:                               ;   in Loop: Header=BB50_7 Depth=1
	s_or_b64 exec, exec, s[10:11]
.LBB50_5:                               ;   in Loop: Header=BB50_7 Depth=1
	s_or_b64 exec, exec, s[8:9]
	v_subrev_u32_e32 v54, s55, v54
.LBB50_6:                               ;   in Loop: Header=BB50_7 Depth=1
	s_or_b64 exec, exec, s[6:7]
	s_add_i32 s45, s45, 1
	v_cmp_ge_i32_e32 vcc, s45, v17
	s_cbranch_vccnz .LBB50_45
.LBB50_7:                               ; =>This Loop Header: Depth=1
                                        ;     Child Loop BB50_13 Depth 2
                                        ;       Child Loop BB50_15 Depth 3
                                        ;       Child Loop BB50_18 Depth 3
	;; [unrolled: 1-line block ×3, first 2 shown]
                                        ;     Child Loop BB50_32 Depth 2
                                        ;       Child Loop BB50_34 Depth 3
                                        ;     Child Loop BB50_42 Depth 2
                                        ;       Child Loop BB50_44 Depth 3
	s_abs_i32 s7, s45
	s_mul_hi_u32 s8, s7, s52
	s_mul_i32 s9, s8, s48
	s_ashr_i32 s6, s45, 31
	s_sub_i32 s7, s7, s9
	s_xor_b32 s6, s6, s51
	s_add_i32 s9, s8, 1
	s_sub_i32 s10, s7, s48
	s_cmp_ge_u32 s7, s48
	s_cselect_b32 s8, s9, s8
	s_cselect_b32 s7, s10, s7
	s_add_i32 s9, s8, 1
	s_cmp_ge_u32 s7, s48
	s_cselect_b32 s7, s9, s8
	s_xor_b32 s7, s7, s6
	s_sub_i32 s6, s7, s6
	s_abs_i32 s8, s6
	s_mul_i32 s7, s6, s33
	s_mul_hi_u32 s9, s8, s54
	s_sub_i32 s7, s45, s7
	s_mul_i32 s10, s9, s50
	s_lshl_b32 s56, s7, 4
	s_ashr_i32 s7, s6, 31
	s_sub_i32 s8, s8, s10
	s_xor_b32 s7, s7, s53
	s_add_i32 s10, s9, 1
	s_sub_i32 s11, s8, s50
	s_cmp_ge_u32 s8, s50
	s_cselect_b32 s9, s10, s9
	s_cselect_b32 s8, s11, s8
	s_add_i32 s10, s9, 1
	s_cmp_ge_u32 s8, s50
	s_cselect_b32 s8, s10, s9
	s_xor_b32 s8, s8, s7
	s_sub_i32 s7, s8, s7
	s_mul_i32 s8, s7, s46
	s_lshl_b32 s57, s8, 8
	s_cmp_eq_u32 s7, s20
	s_cselect_b32 s55, s47, s46
	s_sub_i32 s58, s56, s16
	s_add_i32 s58, s58, 16
	s_and_saveexec_b64 s[8:9], s[2:3]
	s_xor_b64 s[36:37], exec, s[8:9]
	s_cbranch_execz .LBB50_38
; %bb.8:                                ;   in Loop: Header=BB50_7 Depth=1
	s_mul_i32 s7, s7, s44
	s_sub_i32 s6, s6, s7
	s_lshl_b32 s6, s6, 5
	s_sub_i32 s14, s6, s17
	s_add_i32 s14, s14, 32
	s_max_i32 s7, s14, 0
	s_sub_i32 s38, s6, s7
	s_and_saveexec_b64 s[6:7], s[0:1]
	s_xor_b64 s[40:41], exec, s[6:7]
	s_cbranch_execz .LBB50_28
; %bb.9:                                ;   in Loop: Header=BB50_7 Depth=1
	s_and_saveexec_b64 s[42:43], s[4:5]
	s_cbranch_execz .LBB50_27
; %bb.10:                               ;   in Loop: Header=BB50_7 Depth=1
	s_waitcnt lgkmcnt(0)
	global_load_dword v55, v21, s[30:31]
	v_mov_b32_e32 v7, 0
	v_cmp_gt_i32_e32 vcc, s55, v54
	v_mov_b32_e32 v6, v7
	v_mov_b32_e32 v5, v7
	;; [unrolled: 1-line block ×7, first 2 shown]
	s_and_saveexec_b64 s[6:7], vcc
	s_cbranch_execz .LBB50_23
; %bb.11:                               ;   in Loop: Header=BB50_7 Depth=1
	v_mov_b32_e32 v0, 0
	s_mov_b64 s[8:9], 0
	v_mov_b32_e32 v1, v0
	v_mov_b32_e32 v2, v0
	;; [unrolled: 1-line block ×7, first 2 shown]
	s_branch .LBB50_13
.LBB50_12:                              ;   in Loop: Header=BB50_13 Depth=2
	s_or_b64 exec, exec, s[10:11]
	v_add_u32_e32 v28, v43, v59
	v_add_u32_e32 v29, 0x1000, v28
	ds_read2_b32 v[26:27], v29 offset1:32
	v_add_u32_e32 v54, s23, v54
	v_cmp_le_i32_e32 vcc, s55, v54
	s_or_b64 s[8:9], vcc, s[8:9]
	s_waitcnt lgkmcnt(0)
	v_mfma_f32_16x16x32_fp8_fp8 v[0:3], v[8:9], v[26:27], v[0:3]
	ds_read2_b32 v[8:9], v29 offset0:128 offset1:160
	v_add_u32_e32 v26, 0x1400, v28
	s_waitcnt lgkmcnt(0)
	v_mfma_f32_16x16x32_fp8_fp8 v[0:3], v[10:11], v[8:9], v[0:3]
	ds_read2_b32 v[8:9], v26 offset1:32
	v_add_u32_e32 v10, 0x1800, v28
	s_waitcnt lgkmcnt(0)
	v_mfma_f32_16x16x32_fp8_fp8 v[0:3], v[38:39], v[8:9], v[0:3]
	ds_read2_b32 v[8:9], v26 offset0:128 offset1:160
	v_add_u32_e32 v26, 0x1c00, v28
	s_waitcnt lgkmcnt(0)
	v_mfma_f32_16x16x32_fp8_fp8 v[0:3], v[36:37], v[8:9], v[0:3]
	ds_read2_b32 v[8:9], v10 offset1:32
	s_waitcnt lgkmcnt(0)
	v_mfma_f32_16x16x32_fp8_fp8 v[0:3], v[40:41], v[8:9], v[0:3]
	ds_read2_b32 v[8:9], v10 offset0:128 offset1:160
	ds_read2_b32 v[10:11], v26 offset1:32
	s_waitcnt lgkmcnt(1)
	v_mfma_f32_16x16x32_fp8_fp8 v[0:3], v[24:25], v[8:9], v[0:3]
	ds_read2_b32 v[24:25], v26 offset0:128 offset1:160
	v_add_u32_e32 v8, s23, v57
	v_add_u32_e32 v9, 2, v42
	s_waitcnt lgkmcnt(1)
	v_mfma_f32_16x16x32_fp8_fp8 v[0:3], v[14:15], v[10:11], v[0:3]
	v_cmp_lt_i32_e32 vcc, 2, v8
	;;#ASMSTART
	s_waitcnt lgkmcnt(0)
	;;#ASMEND
	ds_write_b32 v56, v58 offset:36880
	s_waitcnt lgkmcnt(1)
	v_mfma_f32_16x16x32_fp8_fp8 v[0:3], v[12:13], v[24:25], v[0:3]
	v_cndmask_b32_e32 v42, v42, v9, vcc
	s_andn2_b64 exec, exec, s[8:9]
	s_cbranch_execz .LBB50_22
.LBB50_13:                              ;   Parent Loop BB50_7 Depth=1
                                        ; =>  This Loop Header: Depth=2
                                        ;       Child Loop BB50_15 Depth 3
                                        ;       Child Loop BB50_18 Depth 3
	;; [unrolled: 1-line block ×3, first 2 shown]
	v_cmp_gt_i32_e32 vcc, 3, v8
	s_nop 1
	v_cndmask_b32_e64 v9, -3, 0, vcc
	v_add_u32_e32 v57, v9, v8
	v_lshlrev_b32_e32 v56, 3, v57
	ds_read_b32 v8, v56 offset:36876
	s_waitcnt lgkmcnt(0)
	v_cmp_ne_u32_e32 vcc, v8, v42
	s_and_saveexec_b64 s[10:11], vcc
	s_cbranch_execz .LBB50_16
; %bb.14:                               ;   in Loop: Header=BB50_13 Depth=2
	s_mov_b64 s[12:13], 0
.LBB50_15:                              ;   Parent Loop BB50_7 Depth=1
                                        ;     Parent Loop BB50_13 Depth=2
                                        ; =>    This Inner Loop Header: Depth=3
	;;#ASMSTART
	s_sleep 0
	;;#ASMEND
	ds_read_b32 v8, v56 offset:36876
	s_waitcnt lgkmcnt(0)
	v_cmp_eq_u32_e32 vcc, v8, v42
	s_or_b64 s[12:13], vcc, s[12:13]
	s_andn2_b64 exec, exec, s[12:13]
	s_cbranch_execnz .LBB50_15
.LBB50_16:                              ;   in Loop: Header=BB50_13 Depth=2
	s_or_b64 exec, exec, s[10:11]
	v_lshlrev_b32_e32 v59, 13, v57
	v_or_b32_e32 v8, v43, v59
	v_add_u32_e32 v9, 0x400, v8
	ds_read2_b32 v[12:13], v8 offset1:32
	ds_read2_b32 v[14:15], v8 offset0:128 offset1:160
	ds_read2_b32 v[24:25], v9 offset1:32
	ds_read2_b32 v[26:27], v9 offset0:128 offset1:160
	v_add_u32_e32 v9, 0x800, v8
	v_add_u32_e32 v8, 0xc00, v8
	;; [unrolled: 1-line block ×3, first 2 shown]
	ds_read2_b32 v[28:29], v9 offset1:32
	ds_read2_b32 v[30:31], v9 offset0:128 offset1:160
	ds_read2_b32 v[34:35], v8 offset1:32
	ds_read2_b32 v[32:33], v8 offset0:128 offset1:160
	;;#ASMSTART
	s_waitcnt lgkmcnt(0)
	;;#ASMEND
	ds_write_b32 v56, v58 offset:36876
	v_lshlrev_b32_e32 v8, 2, v57
	ds_read_b32 v9, v8 offset:36864
	v_add_u32_e32 v60, 0x9000, v8
	s_waitcnt lgkmcnt(0)
	v_cmp_ne_u32_e32 vcc, v9, v42
	s_and_saveexec_b64 s[10:11], vcc
	s_cbranch_execz .LBB50_19
; %bb.17:                               ;   in Loop: Header=BB50_13 Depth=2
	s_mov_b64 s[12:13], 0
.LBB50_18:                              ;   Parent Loop BB50_7 Depth=1
                                        ;     Parent Loop BB50_13 Depth=2
                                        ; =>    This Inner Loop Header: Depth=3
	;;#ASMSTART
	s_sleep 0
	;;#ASMEND
	ds_read_b32 v8, v60
	s_waitcnt lgkmcnt(0)
	v_cmp_eq_u32_e32 vcc, v8, v42
	s_or_b64 s[12:13], vcc, s[12:13]
	s_andn2_b64 exec, exec, s[12:13]
	s_cbranch_execnz .LBB50_18
.LBB50_19:                              ;   in Loop: Header=BB50_13 Depth=2
	s_or_b64 exec, exec, s[10:11]
	v_lshl_add_u32 v61, v57, 12, v44
	ds_read2_b32 v[8:9], v61 offset1:32
	ds_read2_b32 v[10:11], v61 offset0:128 offset1:160
	v_add_u32_e32 v36, 0x400, v61
	ds_read2_b32 v[38:39], v36 offset1:32
	ds_read2_b32 v[36:37], v36 offset0:128 offset1:160
	s_waitcnt lgkmcnt(3)
	v_mfma_f32_16x16x32_fp8_fp8 v[4:7], v[8:9], v[12:13], v[4:7]
	v_add_u32_e32 v12, 0x800, v61
	ds_read2_b32 v[40:41], v12 offset1:32
	ds_write_b32 v60, v58
	s_waitcnt lgkmcnt(4)
	v_mfma_f32_16x16x32_fp8_fp8 v[4:7], v[10:11], v[14:15], v[4:7]
	s_waitcnt lgkmcnt(3)
	v_mfma_f32_16x16x32_fp8_fp8 v[4:7], v[38:39], v[24:25], v[4:7]
	ds_read2_b32 v[24:25], v12 offset0:128 offset1:160
	v_add_u32_e32 v12, 0xc00, v61
	ds_read2_b32 v[14:15], v12 offset1:32
	s_waitcnt lgkmcnt(4)
	v_mfma_f32_16x16x32_fp8_fp8 v[4:7], v[36:37], v[26:27], v[4:7]
	ds_read2_b32 v[12:13], v12 offset0:128 offset1:160
	ds_read_b32 v26, v56 offset:36880
	s_waitcnt lgkmcnt(0)
	v_cmp_ne_u32_e32 vcc, v26, v42
	v_mfma_f32_16x16x32_fp8_fp8 v[4:7], v[40:41], v[28:29], v[4:7]
	v_mfma_f32_16x16x32_fp8_fp8 v[4:7], v[24:25], v[30:31], v[4:7]
	;; [unrolled: 1-line block ×4, first 2 shown]
	s_and_saveexec_b64 s[10:11], vcc
	s_cbranch_execz .LBB50_12
; %bb.20:                               ;   in Loop: Header=BB50_13 Depth=2
	s_mov_b64 s[12:13], 0
.LBB50_21:                              ;   Parent Loop BB50_7 Depth=1
                                        ;     Parent Loop BB50_13 Depth=2
                                        ; =>    This Inner Loop Header: Depth=3
	;;#ASMSTART
	s_sleep 0
	;;#ASMEND
	ds_read_b32 v26, v56 offset:36880
	s_waitcnt lgkmcnt(0)
	v_cmp_eq_u32_e32 vcc, v26, v42
	s_or_b64 s[12:13], vcc, s[12:13]
	s_andn2_b64 exec, exec, s[12:13]
	s_cbranch_execnz .LBB50_21
	s_branch .LBB50_12
.LBB50_22:                              ;   in Loop: Header=BB50_7 Depth=1
	s_or_b64 exec, exec, s[8:9]
.LBB50_23:                              ;   in Loop: Header=BB50_7 Depth=1
	s_or_b64 exec, exec, s[6:7]
	v_cmp_le_i32_e32 vcc, s14, v16
	v_cmp_eq_u32_e64 s[6:7], 2, v46
	v_cmp_eq_u32_e64 s[8:9], 3, v46
	s_waitcnt vmcnt(0)
	v_cndmask_b32_e32 v10, 0, v55, vcc
	v_pk_mul_f32 v[6:7], v[10:11], v[6:7] op_sel_hi:[0,1]
	v_pk_mul_f32 v[10:11], v[10:11], v[4:5] op_sel_hi:[0,1]
	v_cmp_eq_u32_e32 vcc, 1, v46
	v_cmp_eq_u32_e64 s[10:11], 0, v46
	v_cmp_eq_u32_e64 s[12:13], 1, v47
	v_cndmask_b32_e32 v4, v10, v11, vcc
	v_cndmask_b32_e64 v4, v4, v6, s[6:7]
	v_cndmask_b32_e64 v4, v4, v7, s[8:9]
	ds_bpermute_b32 v12, v53, v4
	v_cmp_le_i32_e64 s[14:15], s14, v48
	s_waitcnt lgkmcnt(0)
	v_cndmask_b32_e32 v9, v11, v12, vcc
	v_cndmask_b32_e64 v10, v10, v12, s[10:11]
	v_cndmask_b32_e64 v4, v7, v12, s[8:9]
	v_cndmask_b32_e64 v5, v6, v12, s[6:7]
	v_cndmask_b32_e64 v7, v10, v9, s[12:13]
	v_cndmask_b32_e64 v6, 0, v55, s[14:15]
	v_pk_mul_f32 v[14:15], v[6:7], v[0:1] op_sel_hi:[0,1]
	v_pk_mul_f32 v[12:13], v[6:7], v[2:3] op_sel_hi:[0,1]
	v_cndmask_b32_e32 v0, v14, v15, vcc
	v_cndmask_b32_e64 v0, v0, v12, s[6:7]
	v_cndmask_b32_e64 v0, v0, v13, s[8:9]
	ds_bpermute_b32 v1, v53, v0
	v_cmp_eq_u32_e32 vcc, 2, v47
	v_cmp_eq_u32_e64 s[14:15], 3, v47
	s_waitcnt lgkmcnt(0)
	v_cndmask_b32_e64 v6, v12, v1, s[6:7]
	v_cndmask_b32_e32 v0, v7, v5, vcc
	v_cndmask_b32_e64 v0, v0, v4, s[14:15]
	v_cmp_ne_u32_e64 s[6:7], 0, v46
	ds_bpermute_b32 v2, v53, v0
	v_cndmask_b32_e64 v3, v13, v1, s[8:9]
	v_cndmask_b32_e64 v0, v15, v1, s[6:7]
	;; [unrolled: 1-line block ×4, first 2 shown]
	v_cndmask_b32_e32 v7, v7, v6, vcc
	v_cndmask_b32_e64 v7, v7, v3, s[14:15]
	ds_bpermute_b32 v7, v53, v7
	s_max_i32 s6, s58, 0
	v_add_u32_e32 v11, s6, v45
	v_cmp_gt_u32_e32 vcc, 16, v11
	s_and_saveexec_b64 s[12:13], vcc
	s_cbranch_execz .LBB50_26
; %bb.24:                               ;   in Loop: Header=BB50_7 Depth=1
	v_cmp_eq_u32_e64 s[8:9], 1, v47
	v_cmp_eq_u32_e64 s[10:11], 0, v47
	v_cmp_eq_u32_e32 vcc, 3, v47
	s_waitcnt lgkmcnt(1)
	v_cndmask_b32_e64 v9, v9, v2, s[8:9]
	s_waitcnt lgkmcnt(0)
	v_cndmask_b32_e64 v12, v0, v7, s[8:9]
	s_mul_i32 s8, s56, s17
	s_ashr_i32 s9, s8, 31
	s_lshl_b64 s[8:9], s[8:9], 1
	v_cndmask_b32_e64 v10, v10, v2, s[10:11]
	v_cndmask_b32_e64 v13, v1, v7, s[10:11]
	s_add_u32 s10, s28, s8
	s_addc_u32 s11, s29, s9
	s_ashr_i32 s39, s38, 31
	v_cvt_f16_f32_e32 v10, v10
	v_cvt_f16_f32_sdwa v9, v9 dst_sel:WORD_1 dst_unused:UNUSED_PAD src0_sel:DWORD
	s_lshl_b64 s[8:9], s[38:39], 1
	v_cvt_f16_f32_e32 v14, v13
	v_cvt_f16_f32_sdwa v15, v12 dst_sel:WORD_1 dst_unused:UNUSED_PAD src0_sel:DWORD
	s_add_u32 s8, s10, s8
	s_addc_u32 s9, s11, s9
	v_cmp_eq_u32_e64 s[6:7], 2, v47
	v_lshl_add_u64 v[0:1], v[18:19], 1, s[8:9]
	v_or_b32_e32 v9, v9, v10
	v_cmp_gt_u32_e64 s[8:9], 14, v11
	;;#ASMSTART
	global_atomic_pk_add_f16 v[0:1], v9, off
	
	;;#ASMEND
	v_lshl_add_u64 v[12:13], v[0:1], 0, 32
	v_or_b32_e32 v9, v15, v14
	;;#ASMSTART
	global_atomic_pk_add_f16 v[12:13], v9, off
	
	;;#ASMEND
	s_and_b64 exec, exec, s[8:9]
	s_cbranch_execz .LBB50_26
; %bb.25:                               ;   in Loop: Header=BB50_7 Depth=1
	v_cndmask_b32_e32 v4, v4, v2, vcc
	v_cndmask_b32_e64 v2, v5, v2, s[6:7]
	v_cndmask_b32_e32 v3, v3, v7, vcc
	v_cndmask_b32_e64 v5, v6, v7, s[6:7]
	v_cvt_f16_f32_e32 v2, v2
	v_cvt_f16_f32_sdwa v4, v4 dst_sel:WORD_1 dst_unused:UNUSED_PAD src0_sel:DWORD
	v_cvt_f16_f32_e32 v5, v5
	v_cvt_f16_f32_sdwa v3, v3 dst_sel:WORD_1 dst_unused:UNUSED_PAD src0_sel:DWORD
	v_lshl_add_u64 v[0:1], s[34:35], 2, v[0:1]
	v_or_b32_e32 v2, v4, v2
	;;#ASMSTART
	global_atomic_pk_add_f16 v[0:1], v2, off
	
	;;#ASMEND
	v_lshl_add_u64 v[0:1], v[0:1], 0, 32
	v_or_b32_e32 v2, v3, v5
	;;#ASMSTART
	global_atomic_pk_add_f16 v[0:1], v2, off
	
	;;#ASMEND
.LBB50_26:                              ;   in Loop: Header=BB50_7 Depth=1
	s_or_b64 exec, exec, s[12:13]
	v_subrev_u32_e32 v54, s55, v54
.LBB50_27:                              ;   in Loop: Header=BB50_7 Depth=1
	s_or_b64 exec, exec, s[42:43]
.LBB50_28:                              ;   in Loop: Header=BB50_7 Depth=1
	s_andn2_saveexec_b64 s[6:7], s[40:41]
	s_cbranch_execz .LBB50_37
; %bb.29:                               ;   in Loop: Header=BB50_7 Depth=1
	s_lshl_b32 s39, s55, 1
	v_cmp_gt_i32_e32 vcc, s39, v54
	s_and_saveexec_b64 s[8:9], vcc
	s_cbranch_execz .LBB50_36
; %bb.30:                               ;   in Loop: Header=BB50_7 Depth=1
	s_mul_i32 s10, s38, s19
	s_ashr_i32 s11, s10, 31
	s_waitcnt lgkmcnt(0)
	s_add_u32 s10, s26, s10
	s_addc_u32 s11, s27, s11
	s_ashr_i32 s12, s57, 31
	s_add_u32 s10, s10, s57
	s_addc_u32 s11, s11, s12
	v_lshl_add_u64 v[0:1], s[10:11], 0, v[22:23]
	v_lshl_add_u64 v[24:25], v[0:1], 0, v[20:21]
	s_mov_b64 s[10:11], 0
	s_branch .LBB50_32
.LBB50_31:                              ;   in Loop: Header=BB50_32 Depth=2
	s_or_b64 exec, exec, s[12:13]
	v_lshl_or_b32 v28, v26, 12, v49
	;;#ASMSTART
	s_waitcnt vmcnt(3)
	;;#ASMEND
	ds_write2_b32 v28, v12, v13 offset1:32
	ds_write2_b32 v28, v14, v15 offset0:64 offset1:96
	v_add_u32_e32 v12, 0x400, v28
	;;#ASMSTART
	s_waitcnt vmcnt(2)
	;;#ASMEND
	ds_write2_b32 v12, v8, v9 offset1:32
	ds_write2_b32 v12, v10, v11 offset0:64 offset1:96
	v_add_u32_e32 v8, 0x800, v28
	;; [unrolled: 6-line block ×3, first 2 shown]
	v_add_u32_e32 v54, s22, v54
	;;#ASMSTART
	s_waitcnt vmcnt(0)
	;;#ASMEND
	ds_write2_b32 v4, v0, v1 offset1:32
	ds_write2_b32 v4, v2, v3 offset0:64 offset1:96
	v_add_u32_e32 v0, 1, v42
	v_add_u32_e32 v8, s22, v26
	v_cmp_le_i32_e32 vcc, s39, v54
	ds_write_b32 v27, v0 offset:12
	v_add_u32_e32 v0, 2, v42
	s_or_b64 s[10:11], vcc, s[10:11]
	v_cmp_lt_i32_e32 vcc, 5, v8
	s_nop 1
	v_cndmask_b32_e32 v42, v42, v0, vcc
	s_andn2_b64 exec, exec, s[10:11]
	s_cbranch_execz .LBB50_35
.LBB50_32:                              ;   Parent Loop BB50_7 Depth=1
                                        ; =>  This Loop Header: Depth=2
                                        ;       Child Loop BB50_34 Depth 3
	v_cmp_gt_i32_e32 vcc, 6, v8
	s_nop 1
	v_cndmask_b32_e64 v0, -6, 0, vcc
	v_add_u32_e32 v26, v0, v8
	v_lshrrev_b32_e32 v0, 31, v54
	v_add_u32_e32 v0, v54, v0
	v_and_b32_e32 v1, -2, v0
	v_lshlrev_b32_e32 v0, 7, v0
	v_sub_u32_e32 v2, v54, v1
	v_and_b32_e32 v0, 0xffffff00, v0
	v_ashrrev_i32_e32 v1, 31, v0
	v_mul_lo_u32 v2, s49, v2
	v_lshl_add_u64 v[0:1], v[24:25], 0, v[0:1]
	v_ashrrev_i32_e32 v3, 31, v2
	v_lshl_add_u64 v[0:1], v[0:1], 0, v[2:3]
	v_lshlrev_b32_e32 v27, 2, v26
	;;#ASMSTART
	global_load_dwordx4 v[12:15], v[0:1], off offset:0    sc0 sc1 nt  
	global_load_dwordx4 v[8:11], v[0:1], off offset:64   sc0 sc1 nt  
	global_load_dwordx4 v[4:7], v[0:1], off offset:128  sc0 sc1 nt  
	global_load_dwordx4 v[0:3], v[0:1], off offset:192  sc0 sc1 nt  
	
	;;#ASMEND
	ds_read_b32 v28, v27 offset:36876
	v_add_u32_e32 v27, 0x9000, v27
	s_waitcnt lgkmcnt(0)
	v_cmp_ne_u32_e32 vcc, v28, v42
	s_and_saveexec_b64 s[12:13], vcc
	s_cbranch_execz .LBB50_31
; %bb.33:                               ;   in Loop: Header=BB50_32 Depth=2
	s_mov_b64 s[14:15], 0
.LBB50_34:                              ;   Parent Loop BB50_7 Depth=1
                                        ;     Parent Loop BB50_32 Depth=2
                                        ; =>    This Inner Loop Header: Depth=3
	;;#ASMSTART
	s_sleep 0
	;;#ASMEND
	ds_read_b32 v28, v27 offset:12
	s_waitcnt lgkmcnt(0)
	v_cmp_eq_u32_e32 vcc, v28, v42
	s_or_b64 s[14:15], vcc, s[14:15]
	s_andn2_b64 exec, exec, s[14:15]
	s_cbranch_execnz .LBB50_34
	s_branch .LBB50_31
.LBB50_35:                              ;   in Loop: Header=BB50_7 Depth=1
	s_or_b64 exec, exec, s[10:11]
.LBB50_36:                              ;   in Loop: Header=BB50_7 Depth=1
	s_or_b64 exec, exec, s[8:9]
	v_subrev_u32_e32 v54, s39, v54
.LBB50_37:                              ;   in Loop: Header=BB50_7 Depth=1
	s_or_b64 exec, exec, s[6:7]
.LBB50_38:                              ;   in Loop: Header=BB50_7 Depth=1
	s_andn2_saveexec_b64 s[6:7], s[36:37]
	s_cbranch_execz .LBB50_6
; %bb.39:                               ;   in Loop: Header=BB50_7 Depth=1
	v_cmp_gt_i32_e32 vcc, s55, v54
	s_and_saveexec_b64 s[8:9], vcc
	s_cbranch_execz .LBB50_5
; %bb.40:                               ;   in Loop: Header=BB50_7 Depth=1
	s_mul_i32 s56, s56, s18
	s_ashr_i32 s10, s56, 31
	s_waitcnt lgkmcnt(0)
	s_add_u32 s11, s24, s56
	s_addc_u32 s12, s25, s10
	s_ashr_i32 s13, s57, 31
	v_cmp_le_i32_e32 vcc, s58, v50
	s_add_u32 s10, s11, s57
	s_addc_u32 s11, s12, s13
	v_cndmask_b32_e32 v0, 0, v51, vcc
	v_ashrrev_i32_e32 v1, 31, v0
	v_lshl_add_u64 v[0:1], s[10:11], 0, v[0:1]
	v_lshl_add_u64 v[24:25], v[0:1], 0, v[20:21]
	s_mov_b64 s[10:11], 0
	s_branch .LBB50_42
.LBB50_41:                              ;   in Loop: Header=BB50_42 Depth=2
	s_or_b64 exec, exec, s[12:13]
	v_lshl_add_u32 v28, v26, 12, v52
	;;#ASMSTART
	s_waitcnt vmcnt(3)
	;;#ASMEND
	ds_write2_b32 v28, v12, v13 offset1:32
	ds_write2_b32 v28, v14, v15 offset0:64 offset1:96
	v_add_u32_e32 v12, 0x400, v28
	;;#ASMSTART
	s_waitcnt vmcnt(2)
	;;#ASMEND
	ds_write2_b32 v12, v8, v9 offset1:32
	ds_write2_b32 v12, v10, v11 offset0:64 offset1:96
	v_add_u32_e32 v8, 0x800, v28
	;; [unrolled: 6-line block ×3, first 2 shown]
	v_add_u32_e32 v54, s21, v54
	;;#ASMSTART
	s_waitcnt vmcnt(0)
	;;#ASMEND
	ds_write2_b32 v4, v0, v1 offset1:32
	ds_write2_b32 v4, v2, v3 offset0:64 offset1:96
	v_add_u32_e32 v0, 1, v42
	v_add_u32_e32 v8, s21, v26
	v_cmp_le_i32_e32 vcc, s55, v54
	ds_write_b32 v27, v0
	v_add_u32_e32 v0, 2, v42
	s_or_b64 s[10:11], vcc, s[10:11]
	v_cmp_lt_i32_e32 vcc, 2, v8
	s_nop 1
	v_cndmask_b32_e32 v42, v42, v0, vcc
	s_andn2_b64 exec, exec, s[10:11]
	s_cbranch_execz .LBB50_4
.LBB50_42:                              ;   Parent Loop BB50_7 Depth=1
                                        ; =>  This Loop Header: Depth=2
                                        ;       Child Loop BB50_44 Depth 3
	v_cmp_gt_i32_e32 vcc, 3, v8
	s_nop 1
	v_cndmask_b32_e64 v0, -3, 0, vcc
	v_add_u32_e32 v26, v0, v8
	v_lshlrev_b32_e32 v0, 8, v54
	v_ashrrev_i32_e32 v1, 31, v0
	v_lshl_add_u64 v[0:1], v[24:25], 0, v[0:1]
	v_lshlrev_b32_e32 v27, 2, v26
	;;#ASMSTART
	global_load_dwordx4 v[12:15], v[0:1], off offset:0    
	global_load_dwordx4 v[8:11], v[0:1], off offset:64   
	;; [unrolled: 1-line block ×4, first 2 shown]
	
	;;#ASMEND
	ds_read_b32 v28, v27 offset:36864
	v_add_u32_e32 v27, 0x9000, v27
	s_waitcnt lgkmcnt(0)
	v_cmp_ne_u32_e32 vcc, v28, v42
	s_and_saveexec_b64 s[12:13], vcc
	s_cbranch_execz .LBB50_41
; %bb.43:                               ;   in Loop: Header=BB50_42 Depth=2
	s_mov_b64 s[14:15], 0
.LBB50_44:                              ;   Parent Loop BB50_7 Depth=1
                                        ;     Parent Loop BB50_42 Depth=2
                                        ; =>    This Inner Loop Header: Depth=3
	;;#ASMSTART
	s_sleep 0
	;;#ASMEND
	ds_read_b32 v28, v27
	s_waitcnt lgkmcnt(0)
	v_cmp_eq_u32_e32 vcc, v28, v42
	s_or_b64 s[14:15], vcc, s[14:15]
	s_andn2_b64 exec, exec, s[14:15]
	s_cbranch_execnz .LBB50_44
	s_branch .LBB50_41
.LBB50_45:
	s_endpgm
	.section	.rodata,"a",@progbits
	.p2align	6, 0x0
	.amdhsa_kernel _Z19_skinny_gemm_kernelILi1ELi2ELi3ELi16ELi8EEvPKhS1_P6__halfPKfiiiiiiii
		.amdhsa_group_segment_fixed_size 36900
		.amdhsa_private_segment_fixed_size 0
		.amdhsa_kernarg_size 64
		.amdhsa_user_sgpr_count 2
		.amdhsa_user_sgpr_dispatch_ptr 0
		.amdhsa_user_sgpr_queue_ptr 0
		.amdhsa_user_sgpr_kernarg_segment_ptr 1
		.amdhsa_user_sgpr_dispatch_id 0
		.amdhsa_user_sgpr_kernarg_preload_length 0
		.amdhsa_user_sgpr_kernarg_preload_offset 0
		.amdhsa_user_sgpr_private_segment_size 0
		.amdhsa_uses_dynamic_stack 0
		.amdhsa_enable_private_segment 0
		.amdhsa_system_sgpr_workgroup_id_x 1
		.amdhsa_system_sgpr_workgroup_id_y 0
		.amdhsa_system_sgpr_workgroup_id_z 0
		.amdhsa_system_sgpr_workgroup_info 0
		.amdhsa_system_vgpr_workitem_id 0
		.amdhsa_next_free_vgpr 62
		.amdhsa_next_free_sgpr 59
		.amdhsa_accum_offset 64
		.amdhsa_reserve_vcc 1
		.amdhsa_float_round_mode_32 0
		.amdhsa_float_round_mode_16_64 0
		.amdhsa_float_denorm_mode_32 3
		.amdhsa_float_denorm_mode_16_64 3
		.amdhsa_dx10_clamp 1
		.amdhsa_ieee_mode 1
		.amdhsa_fp16_overflow 0
		.amdhsa_tg_split 0
		.amdhsa_exception_fp_ieee_invalid_op 0
		.amdhsa_exception_fp_denorm_src 0
		.amdhsa_exception_fp_ieee_div_zero 0
		.amdhsa_exception_fp_ieee_overflow 0
		.amdhsa_exception_fp_ieee_underflow 0
		.amdhsa_exception_fp_ieee_inexact 0
		.amdhsa_exception_int_div_zero 0
	.end_amdhsa_kernel
	.section	.text._Z19_skinny_gemm_kernelILi1ELi2ELi3ELi16ELi8EEvPKhS1_P6__halfPKfiiiiiiii,"axG",@progbits,_Z19_skinny_gemm_kernelILi1ELi2ELi3ELi16ELi8EEvPKhS1_P6__halfPKfiiiiiiii,comdat
.Lfunc_end50:
	.size	_Z19_skinny_gemm_kernelILi1ELi2ELi3ELi16ELi8EEvPKhS1_P6__halfPKfiiiiiiii, .Lfunc_end50-_Z19_skinny_gemm_kernelILi1ELi2ELi3ELi16ELi8EEvPKhS1_P6__halfPKfiiiiiiii
                                        ; -- End function
	.set _Z19_skinny_gemm_kernelILi1ELi2ELi3ELi16ELi8EEvPKhS1_P6__halfPKfiiiiiiii.num_vgpr, 62
	.set _Z19_skinny_gemm_kernelILi1ELi2ELi3ELi16ELi8EEvPKhS1_P6__halfPKfiiiiiiii.num_agpr, 0
	.set _Z19_skinny_gemm_kernelILi1ELi2ELi3ELi16ELi8EEvPKhS1_P6__halfPKfiiiiiiii.numbered_sgpr, 59
	.set _Z19_skinny_gemm_kernelILi1ELi2ELi3ELi16ELi8EEvPKhS1_P6__halfPKfiiiiiiii.num_named_barrier, 0
	.set _Z19_skinny_gemm_kernelILi1ELi2ELi3ELi16ELi8EEvPKhS1_P6__halfPKfiiiiiiii.private_seg_size, 0
	.set _Z19_skinny_gemm_kernelILi1ELi2ELi3ELi16ELi8EEvPKhS1_P6__halfPKfiiiiiiii.uses_vcc, 1
	.set _Z19_skinny_gemm_kernelILi1ELi2ELi3ELi16ELi8EEvPKhS1_P6__halfPKfiiiiiiii.uses_flat_scratch, 0
	.set _Z19_skinny_gemm_kernelILi1ELi2ELi3ELi16ELi8EEvPKhS1_P6__halfPKfiiiiiiii.has_dyn_sized_stack, 0
	.set _Z19_skinny_gemm_kernelILi1ELi2ELi3ELi16ELi8EEvPKhS1_P6__halfPKfiiiiiiii.has_recursion, 0
	.set _Z19_skinny_gemm_kernelILi1ELi2ELi3ELi16ELi8EEvPKhS1_P6__halfPKfiiiiiiii.has_indirect_call, 0
	.section	.AMDGPU.csdata,"",@progbits
; Kernel info:
; codeLenInByte = 3576
; TotalNumSgprs: 65
; NumVgprs: 62
; NumAgprs: 0
; TotalNumVgprs: 62
; ScratchSize: 0
; MemoryBound: 0
; FloatMode: 240
; IeeeMode: 1
; LDSByteSize: 36900 bytes/workgroup (compile time only)
; SGPRBlocks: 8
; VGPRBlocks: 7
; NumSGPRsForWavesPerEU: 65
; NumVGPRsForWavesPerEU: 62
; AccumOffset: 64
; Occupancy: 8
; WaveLimiterHint : 0
; COMPUTE_PGM_RSRC2:SCRATCH_EN: 0
; COMPUTE_PGM_RSRC2:USER_SGPR: 2
; COMPUTE_PGM_RSRC2:TRAP_HANDLER: 0
; COMPUTE_PGM_RSRC2:TGID_X_EN: 1
; COMPUTE_PGM_RSRC2:TGID_Y_EN: 0
; COMPUTE_PGM_RSRC2:TGID_Z_EN: 0
; COMPUTE_PGM_RSRC2:TIDIG_COMP_CNT: 0
; COMPUTE_PGM_RSRC3_GFX90A:ACCUM_OFFSET: 15
; COMPUTE_PGM_RSRC3_GFX90A:TG_SPLIT: 0
	.section	.text._Z19_skinny_gemm_kernelILi1ELi2ELi3ELi32ELi4EEvPKhS1_P6__halfPKfiiiiiiii,"axG",@progbits,_Z19_skinny_gemm_kernelILi1ELi2ELi3ELi32ELi4EEvPKhS1_P6__halfPKfiiiiiiii,comdat
	.protected	_Z19_skinny_gemm_kernelILi1ELi2ELi3ELi32ELi4EEvPKhS1_P6__halfPKfiiiiiiii ; -- Begin function _Z19_skinny_gemm_kernelILi1ELi2ELi3ELi32ELi4EEvPKhS1_P6__halfPKfiiiiiiii
	.globl	_Z19_skinny_gemm_kernelILi1ELi2ELi3ELi32ELi4EEvPKhS1_P6__halfPKfiiiiiiii
	.p2align	8
	.type	_Z19_skinny_gemm_kernelILi1ELi2ELi3ELi32ELi4EEvPKhS1_P6__halfPKfiiiiiiii,@function
_Z19_skinny_gemm_kernelILi1ELi2ELi3ELi32ELi4EEvPKhS1_P6__halfPKfiiiiiiii: ; @_Z19_skinny_gemm_kernelILi1ELi2ELi3ELi32ELi4EEvPKhS1_P6__halfPKfiiiiiiii
; %bb.0:
	v_cmp_gt_u32_e32 vcc, 9, v0
	s_and_saveexec_b64 s[4:5], vcc
; %bb.1:
	v_lshlrev_b32_e32 v1, 2, v0
	v_mov_b32_e32 v2, 0
	ds_write_b32 v1, v2 offset:18432
; %bb.2:
	s_or_b64 exec, exec, s[4:5]
	s_load_dwordx8 s[16:23], s[0:1], 0x20
	s_waitcnt lgkmcnt(0)
	s_barrier
	s_add_i32 s3, s16, 31
	s_ashr_i32 s5, s3, 31
	s_add_i32 s4, s17, 63
	s_lshr_b32 s5, s5, 27
	s_ashr_i32 s6, s4, 31
	s_add_i32 s3, s3, s5
	s_ashr_i32 s11, s3, 5
	s_lshr_b32 s3, s6, 26
	s_add_i32 s4, s4, s3
	s_ashr_i32 s12, s4, 6
	s_mul_i32 s3, s12, s11
	s_mul_i32 s3, s3, s20
	s_add_i32 s4, s3, 0x12f
	s_mul_hi_i32 s4, s4, 0x6bca1af3
	s_lshr_b32 s5, s4, 31
	s_ashr_i32 s4, s4, 7
	s_add_i32 s4, s4, s5
	s_add_i32 s5, s2, 1
	s_mul_i32 s5, s4, s5
	v_cvt_f64_i32_e32 v[2:3], s3
	v_cvt_f64_u32_e32 v[4:5], s5
	v_min_f64 v[2:3], v[2:3], v[4:5]
	v_cvt_i32_f64_e32 v62, v[2:3]
	s_mul_i32 s33, s4, s2
	v_cmp_ge_i32_e32 vcc, s33, v62
	s_cbranch_vccnz .LBB51_51
; %bb.3:
	s_load_dwordx8 s[44:51], s[0:1], 0x0
	v_lshrrev_b32_e32 v1, 6, v0
	s_add_i32 s0, s22, s21
	v_cmp_le_i32_e64 s[14:15], s0, v1
	v_mov_b32_e32 v2, s21
	v_cmp_le_i32_e64 s[24:25], s21, v1
	v_mov_b32_e32 v3, s22
	v_cndmask_b32_e64 v3, 0, v3, s[14:15]
	v_cndmask_b32_e64 v2, 0, v2, s[24:25]
	s_abs_i32 s1, s20
	v_add_u32_e32 v2, v2, v3
	v_cvt_f32_u32_e32 v3, s1
	v_sub_u32_e32 v54, v1, v2
	s_ashr_i32 s2, s18, 31
	s_lshr_b32 s2, s2, 26
	v_rcp_iflag_f32_e32 v2, v3
	s_sub_i32 s5, 0, s1
	s_add_i32 s2, s18, s2
	s_ashr_i32 s2, s2, 6
	v_mul_f32_e32 v2, 0x4f7ffffe, v2
	v_cvt_u32_f32_e32 v2, v2
	s_abs_i32 s4, s2
	s_xor_b32 s3, s2, s20
	s_ashr_i32 s3, s3, 31
	v_readfirstlane_b32 s6, v2
	s_mul_i32 s5, s5, s6
	s_mul_hi_u32 s5, s6, s5
	s_add_i32 s6, s6, s5
	s_mul_hi_u32 s5, s4, s6
	s_mul_i32 s6, s5, s1
	s_sub_i32 s4, s4, s6
	s_add_i32 s6, s5, 1
	s_sub_i32 s7, s4, s1
	s_cmp_ge_u32 s4, s1
	s_cselect_b32 s5, s6, s5
	s_cselect_b32 s4, s7, s4
	s_add_i32 s6, s5, 1
	s_cmp_ge_u32 s4, s1
	s_cselect_b32 s1, s6, s5
	s_add_i32 s0, s0, s23
	v_and_b32_e32 v64, 31, v0
	v_lshrrev_b32_e32 v2, 3, v0
	v_cmp_gt_i32_e64 s[28:29], s0, v1
	v_lshlrev_b32_e32 v1, 2, v64
	v_and_b32_e32 v3, 4, v2
	v_and_b32_e32 v5, 1, v0
	v_lshlrev_b32_e32 v2, 6, v3
	v_or_b32_e32 v4, 0x3000, v1
	v_or_b32_e32 v3, v3, v5
	;; [unrolled: 1-line block ×4, first 2 shown]
	v_lshlrev_b32_e32 v2, 1, v5
	v_or_b32_e32 v5, 2, v3
	v_sub_u32_e32 v77, 32, v5
	v_or_b32_e32 v5, 8, v3
	v_sub_u32_e32 v78, 32, v5
	;; [unrolled: 2-line block ×4, first 2 shown]
	v_or_b32_e32 v5, 18, v3
	s_add_i32 s26, s20, -1
	v_sub_u32_e32 v81, 32, v5
	v_or_b32_e32 v5, 24, v3
	s_abs_i32 s20, s11
	v_sub_u32_e32 v76, 32, v3
	v_mul_lo_u32 v34, s17, v3
	v_sub_u32_e32 v82, 32, v5
	v_or_b32_e32 v3, 26, v3
	v_cvt_f32_u32_e32 v5, s20
	v_sub_u32_e32 v83, 32, v3
	v_lshrrev_b32_e32 v3, 1, v0
                                        ; implicit-def: $vgpr100 : SGPR spill to VGPR lane
	v_and_b32_e32 v50, 16, v3
	v_lshlrev_b32_e32 v3, 4, v0
	v_writelane_b32 v100, s11, 0
	v_and_b32_e32 v3, 0x200, v3
	v_writelane_b32 v100, s12, 1
	v_or_b32_e32 v84, v1, v3
	v_rcp_iflag_f32_e32 v1, v5
	s_waitcnt lgkmcnt(0)
	v_writelane_b32 v100, s44, 2
	v_sub_u32_e32 v2, v0, v2
	v_add_u32_e32 v2, 1, v2
	v_writelane_b32 v100, s45, 3
	v_writelane_b32 v100, s46, 4
	s_abs_i32 s98, s12
	v_writelane_b32 v100, s47, 5
	s_xor_b32 s1, s1, s3
	v_and_b32_e32 v6, 63, v2
	v_bitop3_b32 v67, v0, 1, v0 bitop3:0xc
	v_bitop3_b32 v68, v0, 3, 1 bitop3:0x6c
	;; [unrolled: 1-line block ×8, first 2 shown]
	v_and_b32_e32 v2, 30, v0
	v_bitop3_b32 v85, v0, 31, v0 bitop3:0xc
	v_mul_f32_e32 v0, 0x4f7ffffe, v1
	v_cvt_f32_u32_e32 v1, s98
	v_writelane_b32 v100, s48, 6
	s_sub_i32 s13, s1, s3
	v_writelane_b32 v100, s49, 7
	s_mul_i32 s1, s13, s26
	s_lshl_b32 s0, s17, 1
	v_writelane_b32 v100, s50, 8
	s_sub_i32 s27, s2, s1
	v_add_u32_e32 v36, s0, v34
	s_mul_i32 s1, s17, 6
	v_writelane_b32 v100, s51, 9
	v_cndmask_b32_e64 v63, 0, 1, s[14:15]
	v_add_u32_e32 v38, s1, v36
	v_cvt_u32_f32_e32 v0, v0
	v_rcp_iflag_f32_e32 v1, v1
	v_writelane_b32 v100, s14, 10
	v_add_u32_e32 v40, s0, v38
	v_add_u32_e32 v42, s1, v40
	v_writelane_b32 v100, s15, 11
	v_writelane_b32 v100, s24, 12
	v_add_u32_e32 v44, s0, v42
	v_add_u32_e32 v46, s1, v44
	v_writelane_b32 v100, s25, 13
	v_readfirstlane_b32 s1, v0
	v_mul_f32_e32 v0, 0x4f7ffffe, v1
	v_writelane_b32 v100, s13, 14
	v_cvt_u32_f32_e32 v0, v0
	v_writelane_b32 v100, s26, 15
	v_add_u32_e32 v48, s0, v46
	s_sub_i32 s0, 0, s20
	v_writelane_b32 v100, s27, 16
	s_mul_i32 s0, s0, s1
	v_writelane_b32 v100, s28, 17
	s_lshl_b32 s30, s19, 5
	s_mul_hi_u32 s0, s1, s0
	v_writelane_b32 v100, s29, 18
	s_ashr_i32 s31, s11, 31
	s_add_i32 s34, s1, s0
	s_sub_i32 s0, 0, s98
	v_readfirstlane_b32 s1, v0
	v_mbcnt_lo_u32_b32 v0, -1, 0
	v_writelane_b32 v100, s30, 19
	s_mul_i32 s0, s0, s1
	v_mbcnt_hi_u32_b32 v0, -1, v0
	v_writelane_b32 v100, s31, 20
	v_mov_b32_e32 v33, 0
	v_mul_lo_u32 v52, s19, v64
	s_ashr_i32 s35, s12, 31
	s_mul_hi_u32 s0, s1, s0
	v_and_or_b32 v0, v0, 64, v6
	v_writelane_b32 v100, s34, 21
	v_or_b32_e32 v75, 32, v64
	v_ashrrev_i32_e32 v35, 31, v34
	v_ashrrev_i32_e32 v37, 31, v36
	;; [unrolled: 1-line block ×9, first 2 shown]
	v_mov_b32_e32 v51, v33
	v_mul_lo_u32 v86, s18, v64
	v_or_b32_e32 v87, v4, v3
	s_add_i32 s36, s1, s0
	v_lshlrev_b32_e32 v32, 1, v2
	v_lshlrev_b32_e32 v88, 2, v0
	v_mov_b32_e32 v89, v54
	v_writelane_b32 v100, s35, 22
	v_writelane_b32 v100, s36, 23
	s_branch .LBB51_7
.LBB51_4:                               ;   in Loop: Header=BB51_7 Depth=1
	s_or_b64 exec, exec, s[4:5]
.LBB51_5:                               ;   in Loop: Header=BB51_7 Depth=1
	s_or_b64 exec, exec, s[2:3]
	v_subrev_u32_e32 v89, s99, v89
.LBB51_6:                               ;   in Loop: Header=BB51_7 Depth=1
	s_or_b64 exec, exec, s[0:1]
	s_add_i32 s33, s33, 1
	v_cmp_ge_i32_e32 vcc, s33, v62
	s_cbranch_vccnz .LBB51_51
.LBB51_7:                               ; =>This Loop Header: Depth=1
                                        ;     Child Loop BB51_13 Depth 2
                                        ;       Child Loop BB51_15 Depth 3
                                        ;       Child Loop BB51_18 Depth 3
	;; [unrolled: 1-line block ×3, first 2 shown]
                                        ;     Child Loop BB51_38 Depth 2
                                        ;       Child Loop BB51_40 Depth 3
                                        ;     Child Loop BB51_48 Depth 2
                                        ;       Child Loop BB51_50 Depth 3
	s_abs_i32 s1, s33
	s_mul_hi_u32 s2, s1, s34
	s_mul_i32 s3, s2, s20
	s_ashr_i32 s0, s33, 31
	s_sub_i32 s1, s1, s3
	s_xor_b32 s0, s0, s31
	s_add_i32 s3, s2, 1
	s_sub_i32 s4, s1, s20
	s_cmp_ge_u32 s1, s20
	s_cselect_b32 s2, s3, s2
	s_cselect_b32 s1, s4, s1
	s_add_i32 s3, s2, 1
	s_cmp_ge_u32 s1, s20
	s_cselect_b32 s1, s3, s2
	s_xor_b32 s1, s1, s0
	s_sub_i32 s0, s1, s0
	s_abs_i32 s2, s0
	s_mul_i32 s1, s0, s11
	s_mul_hi_u32 s3, s2, s36
	s_sub_i32 s1, s33, s1
	s_mul_i32 s4, s3, s98
	s_lshl_b32 s52, s1, 5
	s_ashr_i32 s1, s0, 31
	s_sub_i32 s2, s2, s4
	s_xor_b32 s1, s1, s35
	s_add_i32 s4, s3, 1
	s_sub_i32 s5, s2, s98
	s_cmp_ge_u32 s2, s98
	s_cselect_b32 s3, s4, s3
	s_cselect_b32 s2, s5, s2
	s_add_i32 s4, s3, 1
	s_cmp_ge_u32 s2, s98
	s_cselect_b32 s2, s4, s3
	s_xor_b32 s2, s2, s1
	s_sub_i32 s1, s2, s1
	s_mul_i32 s2, s1, s13
	s_lshl_b32 s37, s2, 6
	s_cmp_eq_u32 s1, s26
	s_cselect_b32 s99, s27, s13
	s_sub_i32 s2, s52, s16
	s_add_i32 s53, s2, 32
	s_and_saveexec_b64 s[2:3], s[24:25]
	s_xor_b64 s[38:39], exec, s[2:3]
	s_cbranch_execz .LBB51_44
; %bb.8:                                ;   in Loop: Header=BB51_7 Depth=1
	s_mul_i32 s1, s1, s12
	s_sub_i32 s0, s0, s1
	s_lshl_b32 s0, s0, 6
	s_sub_i32 s90, s0, s17
	s_add_i32 s90, s90, 64
	s_max_i32 s1, s90, 0
	s_sub_i32 s54, s0, s1
	s_and_saveexec_b64 s[0:1], s[14:15]
	s_xor_b64 s[4:5], exec, s[0:1]
	s_cbranch_execz .LBB51_34
; %bb.9:                                ;   in Loop: Header=BB51_7 Depth=1
	s_and_saveexec_b64 s[2:3], s[28:29]
	s_cbranch_execz .LBB51_33
; %bb.10:                               ;   in Loop: Header=BB51_7 Depth=1
	global_load_dword v90, v33, s[50:51]
	v_writelane_b32 v100, s2, 24
	v_mov_b32_e32 v31, 0
	v_cmp_gt_i32_e32 vcc, s99, v89
	v_writelane_b32 v100, s3, 25
	v_writelane_b32 v100, s4, 26
	v_mov_b32_e32 v30, v31
	v_mov_b32_e32 v29, v31
	;; [unrolled: 1-line block ×12, first 2 shown]
	s_waitcnt lgkmcnt(1)
	v_mov_b32_e32 v18, v31
	v_mov_b32_e32 v17, v31
	;; [unrolled: 1-line block ×19, first 2 shown]
	v_writelane_b32 v100, s5, 27
	s_and_saveexec_b64 s[0:1], vcc
	s_cbranch_execz .LBB51_23
; %bb.11:                               ;   in Loop: Header=BB51_7 Depth=1
	v_mov_b32_e32 v0, 0
	s_mov_b64 s[2:3], 0
	v_mov_b32_e32 v1, v0
	v_mov_b32_e32 v2, v0
	;; [unrolled: 1-line block ×31, first 2 shown]
	s_branch .LBB51_13
.LBB51_12:                              ;   in Loop: Header=BB51_13 Depth=2
	s_or_b64 exec, exec, s[4:5]
	v_add_u32_e32 v96, v66, v94
	v_add_u32_e32 v97, 0x800, v96
	ds_read2_b32 v[94:95], v97 offset1:32
	v_add_u32_e32 v89, s23, v89
	v_cmp_le_i32_e32 vcc, s99, v89
	s_or_b64 s[2:3], vcc, s[2:3]
	ds_write_b32 v92, v93 offset:18444
	s_waitcnt lgkmcnt(1)
	v_mfma_f32_32x32x16_fp8_fp8 v[0:15], v[58:59], v[94:95], v[0:15]
	ds_read2_b32 v[58:59], v97 offset0:128 offset1:160
	s_waitcnt lgkmcnt(0)
	v_mfma_f32_32x32x16_fp8_fp8 v[0:15], v[56:57], v[58:59], v[0:15]
	v_add_u32_e32 v58, 0xc00, v96
	ds_read2_b32 v[56:57], v58 offset1:32
	s_waitcnt lgkmcnt(0)
	v_mfma_f32_32x32x16_fp8_fp8 v[0:15], v[54:55], v[56:57], v[0:15]
	ds_read2_b32 v[54:55], v58 offset0:128 offset1:160
	s_waitcnt lgkmcnt(0)
	v_mfma_f32_32x32x16_fp8_fp8 v[0:15], v[60:61], v[54:55], v[0:15]
	v_add_u32_e32 v54, s23, v91
	v_add_u32_e32 v55, 2, v63
	v_cmp_lt_i32_e32 vcc, 2, v54
	s_nop 1
	v_cndmask_b32_e32 v63, v63, v55, vcc
	s_andn2_b64 exec, exec, s[2:3]
	s_cbranch_execz .LBB51_22
.LBB51_13:                              ;   Parent Loop BB51_7 Depth=1
                                        ; =>  This Loop Header: Depth=2
                                        ;       Child Loop BB51_15 Depth 3
                                        ;       Child Loop BB51_18 Depth 3
	;; [unrolled: 1-line block ×3, first 2 shown]
	v_cmp_gt_i32_e32 vcc, 3, v54
	s_nop 1
	v_cndmask_b32_e64 v55, -3, 0, vcc
	v_add_u32_e32 v91, v55, v54
	v_lshlrev_b32_e32 v92, 4, v91
	ds_read_b32 v54, v92 offset:18432
	s_waitcnt lgkmcnt(0)
	v_cmp_ne_u32_e32 vcc, v54, v63
	s_and_saveexec_b64 s[4:5], vcc
	s_cbranch_execz .LBB51_16
; %bb.14:                               ;   in Loop: Header=BB51_13 Depth=2
	s_mov_b64 s[6:7], 0
.LBB51_15:                              ;   Parent Loop BB51_7 Depth=1
                                        ;     Parent Loop BB51_13 Depth=2
                                        ; =>    This Inner Loop Header: Depth=3
	;;#ASMSTART
	s_sleep 0
	;;#ASMEND
	ds_read_b32 v54, v92 offset:18432
	s_waitcnt lgkmcnt(0)
	v_cmp_eq_u32_e32 vcc, v54, v63
	s_or_b64 s[6:7], vcc, s[6:7]
	s_andn2_b64 exec, exec, s[6:7]
	s_cbranch_execnz .LBB51_15
.LBB51_16:                              ;   in Loop: Header=BB51_13 Depth=2
	s_or_b64 exec, exec, s[4:5]
	v_lshl_add_u32 v54, v91, 11, v65
	v_add_u32_e32 v60, 0x400, v54
	ds_read2_b32 v[58:59], v54 offset1:32
	ds_read2_b32 v[56:57], v54 offset0:128 offset1:160
	ds_read2_b32 v[54:55], v60 offset1:32
	ds_read_b32 v94, v92 offset:18436
	ds_read2_b32 v[60:61], v60 offset0:128 offset1:160
	v_add_u32_e32 v93, 1, v63
	ds_write_b32 v92, v93 offset:18432
	s_waitcnt lgkmcnt(2)
	v_cmp_ne_u32_e32 vcc, v94, v63
	s_and_saveexec_b64 s[4:5], vcc
	s_cbranch_execz .LBB51_19
; %bb.17:                               ;   in Loop: Header=BB51_13 Depth=2
	s_mov_b64 s[6:7], 0
.LBB51_18:                              ;   Parent Loop BB51_7 Depth=1
                                        ;     Parent Loop BB51_13 Depth=2
                                        ; =>    This Inner Loop Header: Depth=3
	;;#ASMSTART
	s_sleep 0
	;;#ASMEND
	ds_read_b32 v94, v92 offset:18436
	s_waitcnt lgkmcnt(0)
	v_cmp_eq_u32_e32 vcc, v94, v63
	s_or_b64 s[6:7], vcc, s[6:7]
	s_andn2_b64 exec, exec, s[6:7]
	s_cbranch_execnz .LBB51_18
.LBB51_19:                              ;   in Loop: Header=BB51_13 Depth=2
	s_or_b64 exec, exec, s[4:5]
	v_lshlrev_b32_e32 v94, 12, v91
	v_or_b32_e32 v95, v66, v94
	ds_read2_b32 v[96:97], v95 offset1:32
	ds_write_b32 v92, v93 offset:18436
	s_waitcnt lgkmcnt(1)
	v_mfma_f32_32x32x16_fp8_fp8 v[16:31], v[58:59], v[96:97], v[16:31]
	ds_read2_b32 v[96:97], v95 offset0:128 offset1:160
	v_add_u32_e32 v95, 0x400, v95
	s_waitcnt lgkmcnt(0)
	v_mfma_f32_32x32x16_fp8_fp8 v[16:31], v[56:57], v[96:97], v[16:31]
	ds_read2_b32 v[96:97], v95 offset1:32
	s_waitcnt lgkmcnt(0)
	v_mfma_f32_32x32x16_fp8_fp8 v[16:31], v[54:55], v[96:97], v[16:31]
	ds_read2_b32 v[96:97], v95 offset0:128 offset1:160
	ds_read_b32 v95, v92 offset:18444
	s_waitcnt lgkmcnt(0)
	v_cmp_ne_u32_e32 vcc, v95, v63
	v_mfma_f32_32x32x16_fp8_fp8 v[16:31], v[60:61], v[96:97], v[16:31]
	s_and_saveexec_b64 s[4:5], vcc
	s_cbranch_execz .LBB51_12
; %bb.20:                               ;   in Loop: Header=BB51_13 Depth=2
	s_mov_b64 s[6:7], 0
.LBB51_21:                              ;   Parent Loop BB51_7 Depth=1
                                        ;     Parent Loop BB51_13 Depth=2
                                        ; =>    This Inner Loop Header: Depth=3
	;;#ASMSTART
	s_sleep 0
	;;#ASMEND
	ds_read_b32 v95, v92 offset:18444
	s_waitcnt lgkmcnt(0)
	v_cmp_eq_u32_e32 vcc, v95, v63
	s_or_b64 s[6:7], vcc, s[6:7]
	s_andn2_b64 exec, exec, s[6:7]
	s_cbranch_execnz .LBB51_21
	s_branch .LBB51_12
.LBB51_22:                              ;   in Loop: Header=BB51_7 Depth=1
	s_or_b64 exec, exec, s[2:3]
.LBB51_23:                              ;   in Loop: Header=BB51_7 Depth=1
	v_writelane_b32 v100, s54, 28
	s_nop 1
	v_writelane_b32 v100, s55, 29
	v_writelane_b32 v100, s38, 30
	s_nop 1
	v_writelane_b32 v100, s39, 31
	v_writelane_b32 v100, s53, 32
	;; [unrolled: 1-line block ×4, first 2 shown]
	s_or_b64 exec, exec, s[0:1]
	v_cmp_le_i32_e32 vcc, s90, v64
	v_cmp_eq_u32_e64 s[86:87], 1, v67
	v_cmp_eq_u32_e64 s[50:51], 2, v67
	s_waitcnt vmcnt(0)
	v_cndmask_b32_e32 v56, 0, v90, vcc
	v_pk_mul_f32 v[16:17], v[56:57], v[16:17] op_sel_hi:[0,1]
	v_pk_mul_f32 v[18:19], v[56:57], v[18:19] op_sel_hi:[0,1]
	v_cndmask_b32_e64 v55, v16, v17, s[86:87]
	v_cndmask_b32_e64 v55, v55, v18, s[50:51]
	v_cmp_eq_u32_e64 s[52:53], 3, v67
	v_pk_mul_f32 v[20:21], v[56:57], v[20:21] op_sel_hi:[0,1]
	v_cmp_eq_u32_e64 s[56:57], 4, v67
	v_cndmask_b32_e64 v55, v55, v19, s[52:53]
	v_cmp_eq_u32_e64 s[60:61], 5, v67
	v_cndmask_b32_e64 v55, v55, v20, s[56:57]
	v_pk_mul_f32 v[22:23], v[56:57], v[22:23] op_sel_hi:[0,1]
	v_cndmask_b32_e64 v55, v55, v21, s[60:61]
	v_cmp_eq_u32_e64 s[64:65], 6, v67
	v_cmp_eq_u32_e64 s[68:69], 7, v67
	v_pk_mul_f32 v[24:25], v[56:57], v[24:25] op_sel_hi:[0,1]
	v_cndmask_b32_e64 v55, v55, v22, s[64:65]
	v_cndmask_b32_e64 v55, v55, v23, s[68:69]
	v_cmp_eq_u32_e64 s[72:73], 8, v67
	v_cmp_eq_u32_e64 s[74:75], 9, v67
	v_pk_mul_f32 v[26:27], v[56:57], v[26:27] op_sel_hi:[0,1]
	v_cndmask_b32_e64 v55, v55, v24, s[72:73]
	;; [unrolled: 5-line block ×4, first 2 shown]
	v_cndmask_b32_e64 v55, v55, v29, s[82:83]
	v_cmp_eq_u32_e64 s[84:85], 14, v67
	v_cmp_eq_u32_e64 s[88:89], 15, v67
	;; [unrolled: 1-line block ×3, first 2 shown]
	v_cndmask_b32_e64 v55, v55, v30, s[84:85]
	v_cndmask_b32_e64 v55, v55, v31, s[88:89]
	ds_bpermute_b32 v55, v88, v55
	v_cmp_eq_u32_e64 s[24:25], 1, v68
	v_cmp_eq_u32_e64 s[26:27], 2, v68
	;; [unrolled: 1-line block ×4, first 2 shown]
	s_waitcnt lgkmcnt(0)
	v_cndmask_b32_e64 v17, v17, v55, s[86:87]
	v_cndmask_b32_e64 v16, v16, v55, s[70:71]
	;; [unrolled: 1-line block ×10, first 2 shown]
	v_cmp_eq_u32_e64 s[34:35], 5, v68
	v_cndmask_b32_e64 v58, v22, v55, s[64:65]
	v_cmp_eq_u32_e64 s[36:37], 6, v68
	v_cndmask_b32_e64 v18, v18, v59, s[34:35]
	v_cndmask_b32_e64 v57, v23, v55, s[68:69]
	v_cndmask_b32_e64 v18, v18, v58, s[36:37]
	v_cmp_eq_u32_e64 s[38:39], 7, v68
	v_cndmask_b32_e64 v56, v24, v55, s[72:73]
	v_cmp_eq_u32_e64 s[42:43], 8, v68
	v_cndmask_b32_e64 v18, v18, v57, s[38:39]
	v_cndmask_b32_e64 v25, v25, v55, s[74:75]
	v_cndmask_b32_e64 v18, v18, v56, s[42:43]
	;; [unrolled: 6-line block ×5, first 2 shown]
	v_cmp_eq_u32_e64 s[66:67], 15, v68
	v_cmp_le_i32_e64 s[90:91], s90, v75
	v_cmp_eq_u32_e64 s[40:41], 0, v68
	v_cndmask_b32_e64 v18, v18, v31, s[66:67]
	ds_bpermute_b32 v55, v88, v18
	v_cmp_eq_u32_e64 s[2:3], 1, v69
	v_cmp_eq_u32_e64 s[6:7], 2, v69
	;; [unrolled: 1-line block ×4, first 2 shown]
	s_waitcnt lgkmcnt(0)
	v_cndmask_b32_e64 v24, v25, v55, s[44:45]
	v_cndmask_b32_e64 v25, v56, v55, s[42:43]
	;; [unrolled: 1-line block ×3, first 2 shown]
	v_pk_mul_f32 v[0:1], v[56:57], v[0:1] op_sel_hi:[0,1]
	v_pk_mul_f32 v[14:15], v[56:57], v[14:15] op_sel_hi:[0,1]
	;; [unrolled: 1-line block ×8, first 2 shown]
	v_cndmask_b32_e64 v56, v0, v1, s[86:87]
	v_cndmask_b32_e64 v56, v56, v2, s[50:51]
	;; [unrolled: 1-line block ×32, first 2 shown]
	v_cmp_eq_u32_e64 s[12:13], 5, v69
	v_cndmask_b32_e64 v56, v56, v15, s[88:89]
	v_cmp_eq_u32_e64 s[14:15], 6, v69
	v_cndmask_b32_e64 v55, v55, v28, s[12:13]
	ds_bpermute_b32 v56, v88, v56
	v_cndmask_b32_e64 v55, v55, v27, s[14:15]
	v_cmp_eq_u32_e64 s[96:97], 7, v69
	v_cmp_eq_u32_e64 s[4:5], 8, v69
	v_cmp_eq_u32_e32 vcc, 9, v69
	v_cndmask_b32_e64 v55, v55, v26, s[96:97]
	v_cndmask_b32_e64 v55, v55, v25, s[4:5]
	v_cndmask_b32_e32 v55, v55, v24, vcc
	v_cmp_eq_u32_e64 s[0:1], 10, v69
	v_cmp_eq_u32_e64 s[86:87], 11, v69
	s_waitcnt lgkmcnt(0)
	v_cndmask_b32_e64 v2, v2, v56, s[50:51]
	v_cndmask_b32_e64 v55, v55, v23, s[0:1]
	v_cmp_ne_u32_e64 s[50:51], 0, v67
	v_cndmask_b32_e64 v55, v55, v22, s[86:87]
	v_cmp_eq_u32_e64 s[90:91], 12, v69
	v_cndmask_b32_e64 v1, v1, v56, s[50:51]
	v_cndmask_b32_e64 v0, v0, v56, s[70:71]
	;; [unrolled: 1-line block ×4, first 2 shown]
	v_cmp_eq_u32_e64 s[88:89], 13, v69
	v_cndmask_b32_e64 v14, v14, v56, s[84:85]
	v_cndmask_b32_e64 v13, v13, v56, s[82:83]
	;; [unrolled: 1-line block ×14, first 2 shown]
	v_cmp_eq_u32_e64 s[84:85], 14, v69
	v_cndmask_b32_e64 v56, v56, v2, s[26:27]
	v_cmp_eq_u32_e64 s[82:83], 15, v69
	v_cndmask_b32_e64 v55, v55, v19, s[84:85]
	v_cndmask_b32_e64 v56, v56, v3, s[28:29]
	;; [unrolled: 1-line block ×4, first 2 shown]
	ds_bpermute_b32 v55, v88, v55
	v_cndmask_b32_e64 v56, v56, v5, s[34:35]
	v_cndmask_b32_e64 v56, v56, v6, s[36:37]
	;; [unrolled: 1-line block ×4, first 2 shown]
	v_cmp_eq_u32_e64 s[80:81], 0, v69
	v_cndmask_b32_e64 v56, v56, v9, s[44:45]
	s_waitcnt lgkmcnt(0)
	v_cndmask_b32_e64 v17, v17, v55, s[2:3]
	v_cndmask_b32_e64 v16, v16, v55, s[80:81]
	v_cmp_eq_u32_e64 s[78:79], 1, v70
	v_cndmask_b32_e64 v56, v56, v10, s[46:47]
	v_cndmask_b32_e64 v18, v18, v55, s[82:83]
	v_cndmask_b32_e64 v19, v19, v55, s[84:85]
	v_cndmask_b32_e64 v20, v20, v55, s[88:89]
	v_cndmask_b32_e64 v21, v21, v55, s[90:91]
	v_cndmask_b32_e64 v22, v22, v55, s[86:87]
	v_cndmask_b32_e64 v23, v23, v55, s[0:1]
	v_cndmask_b32_e32 v24, v24, v55, vcc
	v_cndmask_b32_e64 v25, v25, v55, s[4:5]
	v_cndmask_b32_e64 v26, v26, v55, s[96:97]
	;; [unrolled: 1-line block ×8, first 2 shown]
	v_cmp_eq_u32_e64 s[76:77], 2, v70
	v_cndmask_b32_e64 v56, v56, v11, s[48:49]
	v_cmp_eq_u32_e64 s[74:75], 3, v70
	v_cndmask_b32_e64 v55, v55, v31, s[76:77]
	v_cndmask_b32_e64 v56, v56, v12, s[54:55]
	;; [unrolled: 1-line block ×3, first 2 shown]
	v_cmp_eq_u32_e64 s[72:73], 4, v70
	v_cndmask_b32_e64 v56, v56, v13, s[58:59]
	v_cmp_eq_u32_e64 s[68:69], 5, v70
	v_cndmask_b32_e64 v55, v55, v29, s[72:73]
	v_cndmask_b32_e64 v56, v56, v14, s[62:63]
	;; [unrolled: 1-line block ×3, first 2 shown]
	v_cmp_eq_u32_e64 s[64:65], 6, v70
	v_cndmask_b32_e64 v56, v56, v15, s[66:67]
	v_cmp_eq_u32_e64 s[60:61], 7, v70
	v_cndmask_b32_e64 v55, v55, v27, s[64:65]
	ds_bpermute_b32 v56, v88, v56
	v_cndmask_b32_e64 v55, v55, v26, s[60:61]
	v_cmp_eq_u32_e64 s[56:57], 8, v70
	v_cmp_eq_u32_e64 s[52:53], 9, v70
	;; [unrolled: 1-line block ×3, first 2 shown]
	v_cndmask_b32_e64 v55, v55, v25, s[56:57]
	v_cndmask_b32_e64 v55, v55, v24, s[52:53]
	;; [unrolled: 1-line block ×3, first 2 shown]
	v_cmp_eq_u32_e64 s[70:71], 11, v70
	s_waitcnt lgkmcnt(0)
	v_cndmask_b32_e64 v15, v15, v56, s[66:67]
	v_cmp_eq_u32_e64 s[66:67], 12, v70
	v_cndmask_b32_e64 v55, v55, v22, s[70:71]
	v_cndmask_b32_e64 v14, v14, v56, s[62:63]
	;; [unrolled: 1-line block ×3, first 2 shown]
	v_cmp_eq_u32_e64 s[62:63], 13, v70
	v_cndmask_b32_e64 v1, v1, v56, s[24:25]
	v_cndmask_b32_e64 v0, v0, v56, s[40:41]
	;; [unrolled: 1-line block ×4, first 2 shown]
	v_cmp_eq_u32_e64 s[92:93], 14, v70
	v_cndmask_b32_e64 v12, v12, v56, s[54:55]
	v_cndmask_b32_e64 v11, v11, v56, s[48:49]
	;; [unrolled: 1-line block ×13, first 2 shown]
	v_cmp_eq_u32_e64 s[94:95], 15, v70
	v_cndmask_b32_e64 v56, v56, v2, s[6:7]
	v_cndmask_b32_e64 v56, v56, v3, s[8:9]
	;; [unrolled: 1-line block ×3, first 2 shown]
	ds_bpermute_b32 v55, v88, v55
	v_cndmask_b32_e64 v56, v56, v4, s[10:11]
	v_cndmask_b32_e64 v56, v56, v5, s[12:13]
	;; [unrolled: 1-line block ×4, first 2 shown]
	v_cmp_eq_u32_e64 s[48:49], 0, v70
	v_cndmask_b32_e64 v56, v56, v8, s[4:5]
	s_waitcnt lgkmcnt(0)
	v_cndmask_b32_e64 v17, v17, v55, s[78:79]
	v_cndmask_b32_e64 v16, v16, v55, s[48:49]
	v_cmp_eq_u32_e64 s[46:47], 1, v71
	v_cndmask_b32_e32 v56, v56, v9, vcc
	v_cndmask_b32_e64 v18, v18, v55, s[94:95]
	v_cndmask_b32_e64 v19, v19, v55, s[92:93]
	v_cndmask_b32_e64 v20, v20, v55, s[62:63]
	v_cndmask_b32_e64 v21, v21, v55, s[66:67]
	v_cndmask_b32_e64 v22, v22, v55, s[70:71]
	v_cndmask_b32_e64 v23, v23, v55, s[50:51]
	v_cndmask_b32_e64 v24, v24, v55, s[52:53]
	v_cndmask_b32_e64 v25, v25, v55, s[56:57]
	v_cndmask_b32_e64 v26, v26, v55, s[60:61]
	v_cndmask_b32_e64 v27, v27, v55, s[64:65]
	v_cndmask_b32_e64 v28, v28, v55, s[68:69]
	v_cndmask_b32_e64 v29, v29, v55, s[72:73]
	v_cndmask_b32_e64 v30, v30, v55, s[74:75]
	v_cndmask_b32_e64 v31, v31, v55, s[76:77]
	v_cndmask_b32_e64 v55, v16, v17, s[46:47]
	v_cmp_eq_u32_e64 s[44:45], 2, v71
	v_cndmask_b32_e64 v56, v56, v10, s[0:1]
	v_cmp_eq_u32_e64 s[42:43], 3, v71
	v_cndmask_b32_e64 v55, v55, v31, s[44:45]
	v_cndmask_b32_e64 v56, v56, v11, s[86:87]
	v_cndmask_b32_e64 v55, v55, v30, s[42:43]
	v_cmp_eq_u32_e64 s[38:39], 4, v71
	v_cndmask_b32_e64 v56, v56, v12, s[90:91]
	v_cmp_eq_u32_e64 s[36:37], 5, v71
	v_cndmask_b32_e64 v55, v55, v29, s[38:39]
	v_cndmask_b32_e64 v56, v56, v13, s[88:89]
	v_cndmask_b32_e64 v55, v55, v28, s[36:37]
	;; [unrolled: 6-line block ×3, first 2 shown]
	v_cmp_eq_u32_e64 s[28:29], 8, v71
	ds_bpermute_b32 v56, v88, v56
	v_cmp_eq_u32_e64 s[26:27], 9, v71
	v_cndmask_b32_e64 v55, v55, v25, s[28:29]
	v_cmp_eq_u32_e64 s[24:25], 10, v71
	v_cndmask_b32_e64 v55, v55, v24, s[26:27]
	;; [unrolled: 2-line block ×4, first 2 shown]
	s_waitcnt lgkmcnt(0)
	v_cndmask_b32_e64 v15, v15, v56, s[82:83]
	v_cndmask_b32_e64 v55, v55, v21, s[58:59]
	v_cmp_eq_u32_e64 s[82:83], 13, v71
	v_cndmask_b32_e64 v14, v14, v56, s[84:85]
	v_cmp_eq_u32_e64 s[84:85], 14, v71
	v_cndmask_b32_e64 v55, v55, v20, s[82:83]
	v_cndmask_b32_e64 v1, v1, v56, s[2:3]
	;; [unrolled: 1-line block ×6, first 2 shown]
	v_cmp_eq_u32_e64 s[90:91], 15, v71
	v_cndmask_b32_e64 v11, v11, v56, s[86:87]
	v_cndmask_b32_e64 v10, v10, v56, s[0:1]
	v_cndmask_b32_e32 v9, v9, v56, vcc
	v_cndmask_b32_e64 v8, v8, v56, s[4:5]
	v_cndmask_b32_e64 v7, v7, v56, s[96:97]
	;; [unrolled: 1-line block ×10, first 2 shown]
	ds_bpermute_b32 v55, v88, v55
	v_cndmask_b32_e64 v56, v56, v3, s[74:75]
	v_cndmask_b32_e64 v56, v56, v4, s[72:73]
	;; [unrolled: 1-line block ×3, first 2 shown]
	v_cmp_eq_u32_e64 s[54:55], 0, v71
	v_cndmask_b32_e64 v56, v56, v6, s[64:65]
	v_cndmask_b32_e64 v56, v56, v7, s[60:61]
	v_writelane_b32 v100, s54, 35
	s_waitcnt lgkmcnt(0)
	v_cndmask_b32_e64 v17, v17, v55, s[46:47]
	v_cndmask_b32_e64 v56, v56, v8, s[56:57]
	v_writelane_b32 v100, s55, 36
	v_cndmask_b32_e64 v16, v16, v55, s[54:55]
	v_cmp_eq_u32_e64 s[54:55], 1, v72
	v_cndmask_b32_e64 v18, v18, v55, s[90:91]
	v_cndmask_b32_e64 v19, v19, v55, s[84:85]
	;; [unrolled: 1-line block ×15, first 2 shown]
	v_cmp_eq_u32_e64 s[0:1], 2, v72
	v_cndmask_b32_e64 v56, v56, v9, s[52:53]
	v_cmp_eq_u32_e64 s[4:5], 3, v72
	v_cndmask_b32_e64 v55, v55, v31, s[0:1]
	v_cndmask_b32_e64 v56, v56, v10, s[50:51]
	v_cndmask_b32_e64 v55, v55, v30, s[4:5]
	v_cmp_eq_u32_e64 s[96:97], 4, v72
	v_cndmask_b32_e64 v56, v56, v11, s[70:71]
	v_cmp_eq_u32_e64 s[14:15], 5, v72
	v_cndmask_b32_e64 v55, v55, v29, s[96:97]
	v_cndmask_b32_e64 v56, v56, v12, s[66:67]
	v_cndmask_b32_e64 v55, v55, v28, s[14:15]
	;; [unrolled: 6-line block ×3, first 2 shown]
	v_cmp_eq_u32_e64 s[8:9], 8, v72
	v_cndmask_b32_e64 v56, v56, v15, s[94:95]
	v_cmp_eq_u32_e64 s[6:7], 9, v72
	v_cndmask_b32_e64 v55, v55, v25, s[8:9]
	ds_bpermute_b32 v56, v88, v56
	v_cndmask_b32_e64 v55, v55, v24, s[6:7]
	v_cmp_eq_u32_e32 vcc, 10, v72
	v_cmp_eq_u32_e64 s[80:81], 11, v72
	v_cmp_eq_u32_e64 s[86:87], 12, v72
	v_cndmask_b32_e32 v55, v55, v23, vcc
	v_cndmask_b32_e64 v55, v55, v22, s[80:81]
	v_cndmask_b32_e64 v55, v55, v21, s[86:87]
	v_cmp_eq_u32_e64 s[88:89], 13, v72
	s_waitcnt lgkmcnt(0)
	v_cndmask_b32_e64 v13, v13, v56, s[62:63]
	v_cmp_eq_u32_e64 s[62:63], 14, v72
	v_cndmask_b32_e64 v55, v55, v20, s[88:89]
	v_cndmask_b32_e64 v12, v12, v56, s[66:67]
	;; [unrolled: 1-line block ×3, first 2 shown]
	v_cmp_eq_u32_e64 s[66:67], 15, v72
	v_cndmask_b32_e64 v57, v11, v56, s[70:71]
	v_cmp_eq_u32_e64 s[70:71], 0, v72
	v_cndmask_b32_e64 v55, v55, v18, s[66:67]
	ds_bpermute_b32 v55, v88, v55
	v_cndmask_b32_e64 v15, v15, v56, s[94:95]
	v_cndmask_b32_e64 v14, v14, v56, s[92:93]
	;; [unrolled: 1-line block ×4, first 2 shown]
	s_waitcnt lgkmcnt(0)
	v_cndmask_b32_e64 v18, v18, v55, s[66:67]
	v_cndmask_b32_e64 v19, v19, v55, s[62:63]
	;; [unrolled: 1-line block ×5, first 2 shown]
	v_cndmask_b32_e32 v23, v23, v55, vcc
	v_cndmask_b32_e64 v24, v24, v55, s[6:7]
	v_cndmask_b32_e64 v25, v25, v55, s[8:9]
	;; [unrolled: 1-line block ×28, first 2 shown]
	v_cmp_eq_u32_e64 s[50:51], 1, v73
	v_cndmask_b32_e64 v0, v0, v55, s[24:25]
	v_cmp_eq_u32_e64 s[52:53], 2, v73
	v_cndmask_b32_e64 v10, v16, v17, s[50:51]
	v_cndmask_b32_e64 v0, v0, v57, s[40:41]
	v_cndmask_b32_e64 v9, v10, v31, s[52:53]
	v_cmp_eq_u32_e64 s[56:57], 3, v73
	v_cndmask_b32_e64 v0, v0, v12, s[58:59]
	v_cmp_eq_u32_e64 s[60:61], 4, v73
	v_cndmask_b32_e64 v8, v9, v30, s[56:57]
	v_cndmask_b32_e64 v0, v0, v13, s[82:83]
	v_cndmask_b32_e64 v7, v8, v29, s[60:61]
	;; [unrolled: 6-line block ×3, first 2 shown]
	v_cmp_eq_u32_e64 s[72:73], 7, v73
	ds_bpermute_b32 v95, v88, v0
	v_cmp_eq_u32_e64 s[74:75], 8, v73
	v_cndmask_b32_e64 v4, v5, v26, s[72:73]
	v_cmp_eq_u32_e64 s[76:77], 9, v73
	v_cndmask_b32_e64 v3, v4, v25, s[74:75]
	;; [unrolled: 2-line block ×4, first 2 shown]
	s_waitcnt lgkmcnt(0)
	v_cndmask_b32_e64 v96, v15, v95, s[90:91]
	v_cndmask_b32_e64 v0, v0, v22, s[78:79]
	v_cmp_eq_u32_e64 s[90:91], 12, v73
	v_cndmask_b32_e64 v97, v14, v95, s[84:85]
	v_cmp_eq_u32_e64 s[84:85], 13, v73
	v_cndmask_b32_e64 v0, v0, v21, s[90:91]
	v_cndmask_b32_e64 v98, v13, v95, s[82:83]
	;; [unrolled: 1-line block ×3, first 2 shown]
	v_cmp_eq_u32_e64 s[82:83], 14, v73
	v_cndmask_b32_e64 v99, v12, v95, s[58:59]
	v_cmp_eq_u32_e64 s[58:59], 15, v73
	v_cndmask_b32_e64 v0, v0, v19, s[82:83]
	v_readlane_b32 s2, v100, 35
	v_cndmask_b32_e64 v0, v0, v18, s[58:59]
	ds_bpermute_b32 v1, v88, v0
	v_readlane_b32 s3, v100, 36
	s_waitcnt lgkmcnt(0)
	v_cndmask_b32_e64 v11, v27, v1, s[68:69]
	v_cndmask_b32_e64 v12, v28, v1, s[64:65]
	;; [unrolled: 1-line block ×4, first 2 shown]
	s_mov_b64 s[2:3], s[54:55]
	v_cndmask_b32_e64 v10, v26, v1, s[72:73]
	v_cndmask_b32_e64 v13, v29, v1, s[60:61]
	;; [unrolled: 1-line block ×25, first 2 shown]
	v_cmp_eq_u32_e64 s[40:41], 0, v73
	v_cndmask_b32_e64 v19, v58, v95, s[26:27]
	v_cndmask_b32_e64 v29, v29, v20, s[8:9]
	v_cndmask_b32_e64 v2, v18, v1, s[58:59]
	v_cndmask_b32_e64 v14, v30, v1, s[56:57]
	v_cndmask_b32_e64 v15, v31, v1, s[52:53]
	v_cndmask_b32_e64 v1, v16, v1, s[40:41]
	v_cndmask_b32_e64 v16, v55, v95, s[24:25]
	v_cndmask_b32_e64 v29, v29, v19, s[6:7]
	v_cndmask_b32_e32 v29, v29, v16, vcc
	v_cndmask_b32_e64 v29, v29, v17, s[80:81]
	v_cndmask_b32_e64 v29, v29, v99, s[86:87]
	;; [unrolled: 1-line block ×5, first 2 shown]
	ds_bpermute_b32 v29, v88, v29
	v_cmp_eq_u32_e64 s[24:25], 1, v74
	v_cmp_eq_u32_e64 s[26:27], 2, v74
	;; [unrolled: 1-line block ×3, first 2 shown]
	v_cndmask_b32_e64 v18, v1, v0, s[24:25]
	s_waitcnt lgkmcnt(0)
	v_cndmask_b32_e64 v93, v27, v29, s[2:3]
	v_cndmask_b32_e64 v94, v28, v29, s[70:71]
	;; [unrolled: 1-line block ×18, first 2 shown]
	v_cndmask_b32_e32 v16, v16, v29, vcc
	v_cndmask_b32_e64 v19, v19, v57, s[76:77]
	v_cndmask_b32_e64 v17, v17, v29, s[80:81]
	;; [unrolled: 1-line block ×12, first 2 shown]
	ds_bpermute_b32 v95, v88, v19
	v_cndmask_b32_e64 v18, v18, v15, s[26:27]
	v_cndmask_b32_e64 v18, v18, v14, s[28:29]
	v_cmp_eq_u32_e64 s[30:31], 4, v74
	v_cmp_eq_u32_e64 s[34:35], 5, v74
	s_waitcnt lgkmcnt(0)
	v_cndmask_b32_e64 v23, v17, v95, s[78:79]
	v_cndmask_b32_e64 v24, v16, v95, s[48:49]
	;; [unrolled: 1-line block ×18, first 2 shown]
	v_cmp_eq_u32_e64 s[36:37], 6, v74
	v_cndmask_b32_e64 v28, v60, v95, s[68:69]
	v_cndmask_b32_e64 v56, v56, v29, s[34:35]
	v_cndmask_b32_e64 v18, v18, v11, s[36:37]
	v_cmp_eq_u32_e64 s[38:39], 7, v74
	v_cndmask_b32_e64 v27, v59, v95, s[72:73]
	v_cndmask_b32_e64 v56, v56, v28, s[36:37]
	v_cndmask_b32_e64 v18, v18, v10, s[38:39]
	;; [unrolled: 4-line block ×4, first 2 shown]
	v_cmp_eq_u32_e64 s[46:47], 10, v74
	v_cndmask_b32_e64 v56, v56, v25, s[44:45]
	v_cmp_eq_u32_e64 s[54:55], 11, v74
	v_cndmask_b32_e64 v18, v18, v7, s[46:47]
	v_cndmask_b32_e64 v56, v56, v24, s[46:47]
	v_cndmask_b32_e64 v18, v18, v6, s[54:55]
	v_cmp_eq_u32_e64 s[66:67], 12, v74
	v_cndmask_b32_e64 v56, v56, v23, s[54:55]
	v_cmp_eq_u32_e64 s[62:63], 13, v74
	v_cndmask_b32_e64 v18, v18, v5, s[66:67]
	v_cndmask_b32_e64 v56, v56, v22, s[66:67]
	v_cndmask_b32_e64 v18, v18, v4, s[62:63]
	v_cmp_eq_u32_e32 vcc, 14, v74
	v_cndmask_b32_e64 v56, v56, v21, s[62:63]
	v_cmp_eq_u32_e64 s[6:7], 15, v74
	v_cndmask_b32_e32 v18, v18, v3, vcc
	v_cndmask_b32_e32 v56, v56, v20, vcc
	v_cndmask_b32_e64 v18, v18, v2, s[6:7]
	v_cndmask_b32_e64 v56, v56, v19, s[6:7]
	ds_bpermute_b32 v18, v88, v18
	ds_bpermute_b32 v58, v88, v56
	v_readlane_b32 s53, v100, 32
	s_nop 1
	v_cmp_lt_i32_e32 vcc, s53, v76
	s_and_saveexec_b64 s[40:41], vcc
	v_readlane_b32 s44, v100, 2
	v_readlane_b32 s45, v100, 3
	;; [unrolled: 1-line block ×11, first 2 shown]
	s_cbranch_execz .LBB51_32
; %bb.24:                               ;   in Loop: Header=BB51_7 Depth=1
	s_mul_i32 s0, s52, s17
	s_ashr_i32 s1, s0, 31
	s_lshl_b64 s[0:1], s[0:1], 1
	s_add_u32 s2, s48, s0
	v_cmp_eq_u32_e64 s[34:35], 1, v74
	v_cmp_eq_u32_e64 s[36:37], 0, v74
	s_addc_u32 s3, s49, s1
	s_ashr_i32 s55, s54, 31
	s_waitcnt lgkmcnt(1)
	v_cndmask_b32_e64 v56, v0, v18, s[34:35]
	v_cndmask_b32_e64 v57, v1, v18, s[36:37]
	s_lshl_b64 s[0:1], s[54:55], 1
	s_waitcnt lgkmcnt(0)
	v_cndmask_b32_e64 v59, v16, v58, s[34:35]
	v_cndmask_b32_e64 v60, v17, v58, s[36:37]
	v_cvt_f16_f32_e32 v57, v57
	v_cvt_f16_f32_sdwa v56, v56 dst_sel:WORD_1 dst_unused:UNUSED_PAD src0_sel:DWORD
	s_add_u32 s42, s2, s0
	v_cvt_f16_f32_e32 v60, v60
	v_cvt_f16_f32_sdwa v59, v59 dst_sel:WORD_1 dst_unused:UNUSED_PAD src0_sel:DWORD
	s_addc_u32 s43, s3, s1
	v_lshl_add_u64 v[0:1], s[42:43], 0, v[32:33]
	v_cmp_eq_u32_e32 vcc, 15, v74
	v_cmp_eq_u32_e64 s[6:7], 14, v74
	v_cmp_eq_u32_e64 s[8:9], 13, v74
	;; [unrolled: 1-line block ×13, first 2 shown]
	v_lshl_add_u64 v[16:17], v[34:35], 1, v[0:1]
	v_or_b32_e32 v56, v56, v57
	v_cmp_lt_i32_e64 s[34:35], s53, v77
	;;#ASMSTART
	global_atomic_pk_add_f16 v[16:17], v56, off
	
	;;#ASMEND
	v_lshl_add_u64 v[16:17], v[16:17], 0, 64
	v_or_b32_e32 v56, v59, v60
	;;#ASMSTART
	global_atomic_pk_add_f16 v[16:17], v56, off
	
	;;#ASMEND
	s_and_b64 exec, exec, s[34:35]
	s_cbranch_execz .LBB51_32
; %bb.25:                               ;   in Loop: Header=BB51_7 Depth=1
	v_cndmask_b32_e32 v2, v2, v18, vcc
	v_cndmask_b32_e64 v3, v3, v18, s[6:7]
	v_cndmask_b32_e64 v16, v4, v18, s[8:9]
	;; [unrolled: 1-line block ×19, first 2 shown]
	v_cvt_f16_f32_e32 v22, v18
	v_cvt_f16_f32_sdwa v23, v93 dst_sel:WORD_1 dst_unused:UNUSED_PAD src0_sel:DWORD
	v_cvt_f16_f32_e32 v21, v21
	v_cvt_f16_f32_sdwa v20, v20 dst_sel:WORD_1 dst_unused:UNUSED_PAD src0_sel:DWORD
	v_cndmask_b32_e32 v4, v19, v58, vcc
	v_cndmask_b32_e64 v9, v24, v58, s[14:15]
	v_cndmask_b32_e64 v10, v25, v58, s[0:1]
	;; [unrolled: 1-line block ×7, first 2 shown]
	v_lshl_add_u64 v[18:19], v[36:37], 1, v[0:1]
	v_cmp_lt_i32_e32 vcc, s53, v78
	v_or_b32_e32 v22, v23, v22
	;;#ASMSTART
	global_atomic_pk_add_f16 v[18:19], v22, off
	
	;;#ASMEND
	v_lshl_add_u64 v[18:19], v[18:19], 0, 64
	v_or_b32_e32 v20, v20, v21
	;;#ASMSTART
	global_atomic_pk_add_f16 v[18:19], v20, off
	
	;;#ASMEND
	s_and_b64 exec, exec, vcc
	s_cbranch_execz .LBB51_32
; %bb.26:                               ;   in Loop: Header=BB51_7 Depth=1
	v_cvt_f16_f32_e32 v20, v92
	v_cvt_f16_f32_sdwa v21, v91 dst_sel:WORD_1 dst_unused:UNUSED_PAD src0_sel:DWORD
	v_cvt_f16_f32_e32 v22, v15
	v_cvt_f16_f32_sdwa v23, v14 dst_sel:WORD_1 dst_unused:UNUSED_PAD src0_sel:DWORD
	v_lshl_add_u64 v[18:19], v[38:39], 1, v[0:1]
	v_or_b32_e32 v14, v21, v20
	v_cmp_lt_i32_e32 vcc, s53, v79
	;;#ASMSTART
	global_atomic_pk_add_f16 v[18:19], v14, off
	
	;;#ASMEND
	v_lshl_add_u64 v[14:15], v[18:19], 0, 64
	v_or_b32_e32 v18, v23, v22
	;;#ASMSTART
	global_atomic_pk_add_f16 v[14:15], v18, off
	
	;;#ASMEND
	s_and_b64 exec, exec, vcc
	s_cbranch_execz .LBB51_32
; %bb.27:                               ;   in Loop: Header=BB51_7 Depth=1
	v_cvt_f16_f32_e32 v18, v90
	v_cvt_f16_f32_sdwa v19, v61 dst_sel:WORD_1 dst_unused:UNUSED_PAD src0_sel:DWORD
	v_cvt_f16_f32_e32 v20, v13
	v_cvt_f16_f32_sdwa v21, v12 dst_sel:WORD_1 dst_unused:UNUSED_PAD src0_sel:DWORD
	v_lshl_add_u64 v[14:15], v[40:41], 1, v[0:1]
	v_or_b32_e32 v12, v19, v18
	v_cmp_lt_i32_e32 vcc, s53, v80
	;; [unrolled: 20-line block ×5, first 2 shown]
	;;#ASMSTART
	global_atomic_pk_add_f16 v[8:9], v6, off
	
	;;#ASMEND
	v_lshl_add_u64 v[6:7], v[8:9], 0, 64
	v_or_b32_e32 v8, v13, v12
	;;#ASMSTART
	global_atomic_pk_add_f16 v[6:7], v8, off
	
	;;#ASMEND
	s_and_b64 exec, exec, vcc
	s_cbranch_execz .LBB51_32
; %bb.31:                               ;   in Loop: Header=BB51_7 Depth=1
	v_cvt_f16_f32_e32 v3, v3
	v_cvt_f16_f32_sdwa v2, v2 dst_sel:WORD_1 dst_unused:UNUSED_PAD src0_sel:DWORD
	v_cvt_f16_f32_e32 v5, v5
	v_cvt_f16_f32_sdwa v4, v4 dst_sel:WORD_1 dst_unused:UNUSED_PAD src0_sel:DWORD
	v_lshl_add_u64 v[0:1], v[48:49], 1, v[0:1]
	v_or_b32_e32 v2, v2, v3
	;;#ASMSTART
	global_atomic_pk_add_f16 v[0:1], v2, off
	
	;;#ASMEND
	v_lshl_add_u64 v[0:1], v[0:1], 0, 64
	v_or_b32_e32 v2, v4, v5
	;;#ASMSTART
	global_atomic_pk_add_f16 v[0:1], v2, off
	
	;;#ASMEND
.LBB51_32:                              ;   in Loop: Header=BB51_7 Depth=1
	s_or_b64 exec, exec, s[40:41]
	v_readlane_b32 s14, v100, 10
	v_readlane_b32 s24, v100, 12
	;; [unrolled: 1-line block ×6, first 2 shown]
	v_subrev_u32_e32 v89, s99, v89
	v_readlane_b32 s11, v100, 0
	v_readlane_b32 s12, v100, 1
	v_readlane_b32 s15, v100, 11
	v_readlane_b32 s25, v100, 13
	v_readlane_b32 s13, v100, 14
	v_readlane_b32 s26, v100, 15
	v_readlane_b32 s27, v100, 16
	v_readlane_b32 s29, v100, 18
	v_readlane_b32 s30, v100, 19
	v_readlane_b32 s31, v100, 20
	v_readlane_b32 s34, v100, 21
	v_readlane_b32 s35, v100, 22
	v_readlane_b32 s36, v100, 23
	v_readlane_b32 s37, v100, 33
	v_readlane_b32 s39, v100, 31
	v_readlane_b32 s5, v100, 27
	v_readlane_b32 s3, v100, 25
.LBB51_33:                              ;   in Loop: Header=BB51_7 Depth=1
	s_or_b64 exec, exec, s[2:3]
.LBB51_34:                              ;   in Loop: Header=BB51_7 Depth=1
	s_andn2_saveexec_b64 s[0:1], s[4:5]
	s_cbranch_execz .LBB51_43
; %bb.35:                               ;   in Loop: Header=BB51_7 Depth=1
	s_lshl_b32 s10, s99, 1
	v_cmp_gt_i32_e32 vcc, s10, v89
	s_and_saveexec_b64 s[2:3], vcc
	s_cbranch_execz .LBB51_42
; %bb.36:                               ;   in Loop: Header=BB51_7 Depth=1
	s_mul_i32 s4, s54, s19
	s_ashr_i32 s5, s4, 31
	s_add_u32 s4, s46, s4
	s_addc_u32 s5, s47, s5
	s_ashr_i32 s6, s37, 31
	s_add_u32 s4, s4, s37
	s_addc_u32 s5, s5, s6
	v_lshl_add_u64 v[0:1], s[4:5], 0, v[52:53]
	v_lshl_add_u64 v[8:9], v[0:1], 0, v[50:51]
	s_mov_b64 s[4:5], 0
	s_branch .LBB51_38
.LBB51_37:                              ;   in Loop: Header=BB51_38 Depth=2
	s_or_b64 exec, exec, s[6:7]
	v_lshl_or_b32 v12, v10, 11, v84
	;;#ASMSTART
	s_waitcnt vmcnt(1)
	;;#ASMEND
	ds_write2_b32 v12, v4, v5 offset1:32
	ds_write2_b32 v12, v6, v7 offset0:64 offset1:96
	v_add_u32_e32 v4, 0x400, v12
	v_add_u32_e32 v89, s22, v89
	;;#ASMSTART
	s_waitcnt vmcnt(0)
	;;#ASMEND
	ds_write2_b32 v4, v0, v1 offset1:32
	ds_write2_b32 v4, v2, v3 offset0:64 offset1:96
	v_add_u32_e32 v0, 1, v63
	v_add_u32_e32 v54, s22, v10
	v_cmp_le_i32_e32 vcc, s10, v89
	ds_write_b32 v11, v0 offset:12
	v_add_u32_e32 v0, 2, v63
	s_or_b64 s[4:5], vcc, s[4:5]
	v_cmp_lt_i32_e32 vcc, 5, v54
	s_nop 1
	v_cndmask_b32_e32 v63, v63, v0, vcc
	s_andn2_b64 exec, exec, s[4:5]
	s_cbranch_execz .LBB51_41
.LBB51_38:                              ;   Parent Loop BB51_7 Depth=1
                                        ; =>  This Loop Header: Depth=2
                                        ;       Child Loop BB51_40 Depth 3
	v_cmp_gt_i32_e32 vcc, 6, v54
	s_nop 1
	v_cndmask_b32_e64 v0, -6, 0, vcc
	v_add_u32_e32 v10, v0, v54
	v_lshrrev_b32_e32 v0, 31, v89
	v_add_u32_e32 v0, v89, v0
	v_and_b32_e32 v1, -2, v0
	v_lshlrev_b32_e32 v0, 5, v0
	v_sub_u32_e32 v2, v89, v1
	v_and_b32_e32 v0, 0xffffffc0, v0
	v_ashrrev_i32_e32 v1, 31, v0
	v_mul_lo_u32 v2, s30, v2
	v_lshl_add_u64 v[0:1], v[8:9], 0, v[0:1]
	v_ashrrev_i32_e32 v3, 31, v2
	v_lshl_add_u64 v[0:1], v[0:1], 0, v[2:3]
	v_lshlrev_b32_e32 v11, 2, v10
	;;#ASMSTART
	global_load_dwordx4 v[4:7], v[0:1], off offset:0   sc0 sc1 nt  
	global_load_dwordx4 v[0:3], v[0:1], off offset:32  sc0 sc1 nt  
	
	;;#ASMEND
	ds_read_b32 v12, v11 offset:18444
	v_add_u32_e32 v11, 0x4800, v11
	s_waitcnt lgkmcnt(0)
	v_cmp_ne_u32_e32 vcc, v12, v63
	s_and_saveexec_b64 s[6:7], vcc
	s_cbranch_execz .LBB51_37
; %bb.39:                               ;   in Loop: Header=BB51_38 Depth=2
	s_mov_b64 s[8:9], 0
.LBB51_40:                              ;   Parent Loop BB51_7 Depth=1
                                        ;     Parent Loop BB51_38 Depth=2
                                        ; =>    This Inner Loop Header: Depth=3
	;;#ASMSTART
	s_sleep 0
	;;#ASMEND
	ds_read_b32 v12, v11 offset:12
	s_waitcnt lgkmcnt(0)
	v_cmp_eq_u32_e32 vcc, v12, v63
	s_or_b64 s[8:9], vcc, s[8:9]
	s_andn2_b64 exec, exec, s[8:9]
	s_cbranch_execnz .LBB51_40
	s_branch .LBB51_37
.LBB51_41:                              ;   in Loop: Header=BB51_7 Depth=1
	s_or_b64 exec, exec, s[4:5]
.LBB51_42:                              ;   in Loop: Header=BB51_7 Depth=1
	s_or_b64 exec, exec, s[2:3]
	v_subrev_u32_e32 v89, s10, v89
.LBB51_43:                              ;   in Loop: Header=BB51_7 Depth=1
	s_or_b64 exec, exec, s[0:1]
.LBB51_44:                              ;   in Loop: Header=BB51_7 Depth=1
	s_andn2_saveexec_b64 s[0:1], s[38:39]
	s_cbranch_execz .LBB51_6
; %bb.45:                               ;   in Loop: Header=BB51_7 Depth=1
	v_cmp_gt_i32_e32 vcc, s99, v89
	s_and_saveexec_b64 s[2:3], vcc
	s_cbranch_execz .LBB51_5
; %bb.46:                               ;   in Loop: Header=BB51_7 Depth=1
	s_mul_i32 s4, s52, s18
	s_ashr_i32 s5, s4, 31
	s_add_u32 s4, s44, s4
	s_addc_u32 s5, s45, s5
	s_ashr_i32 s6, s37, 31
	v_cmp_le_i32_e32 vcc, s53, v85
	s_add_u32 s4, s4, s37
	s_addc_u32 s5, s5, s6
	v_cndmask_b32_e32 v0, 0, v86, vcc
	v_ashrrev_i32_e32 v1, 31, v0
	v_lshl_add_u64 v[0:1], s[4:5], 0, v[0:1]
	v_lshl_add_u64 v[8:9], v[0:1], 0, v[50:51]
	s_mov_b64 s[4:5], 0
	s_branch .LBB51_48
.LBB51_47:                              ;   in Loop: Header=BB51_48 Depth=2
	s_or_b64 exec, exec, s[6:7]
	v_lshl_add_u32 v12, v10, 11, v87
	;;#ASMSTART
	s_waitcnt vmcnt(1)
	;;#ASMEND
	ds_write2_b32 v12, v4, v5 offset1:32
	ds_write2_b32 v12, v6, v7 offset0:64 offset1:96
	v_add_u32_e32 v4, 0x400, v12
	v_add_u32_e32 v89, s21, v89
	;;#ASMSTART
	s_waitcnt vmcnt(0)
	;;#ASMEND
	ds_write2_b32 v4, v0, v1 offset1:32
	ds_write2_b32 v4, v2, v3 offset0:64 offset1:96
	v_add_u32_e32 v0, 1, v63
	v_add_u32_e32 v54, s21, v10
	v_cmp_le_i32_e32 vcc, s99, v89
	ds_write_b32 v11, v0
	v_add_u32_e32 v0, 2, v63
	s_or_b64 s[4:5], vcc, s[4:5]
	v_cmp_lt_i32_e32 vcc, 2, v54
	s_nop 1
	v_cndmask_b32_e32 v63, v63, v0, vcc
	s_andn2_b64 exec, exec, s[4:5]
	s_cbranch_execz .LBB51_4
.LBB51_48:                              ;   Parent Loop BB51_7 Depth=1
                                        ; =>  This Loop Header: Depth=2
                                        ;       Child Loop BB51_50 Depth 3
	v_cmp_gt_i32_e32 vcc, 3, v54
	s_nop 1
	v_cndmask_b32_e64 v0, -3, 0, vcc
	v_add_u32_e32 v10, v0, v54
	v_lshlrev_b32_e32 v0, 6, v89
	v_ashrrev_i32_e32 v1, 31, v0
	v_lshl_add_u64 v[0:1], v[8:9], 0, v[0:1]
	v_lshlrev_b32_e32 v11, 2, v10
	;;#ASMSTART
	global_load_dwordx4 v[4:7], v[0:1], off offset:0   
	global_load_dwordx4 v[0:3], v[0:1], off offset:32  
	
	;;#ASMEND
	ds_read_b32 v12, v11 offset:18432
	v_add_u32_e32 v11, 0x4800, v11
	s_waitcnt lgkmcnt(0)
	v_cmp_ne_u32_e32 vcc, v12, v63
	s_and_saveexec_b64 s[6:7], vcc
	s_cbranch_execz .LBB51_47
; %bb.49:                               ;   in Loop: Header=BB51_48 Depth=2
	s_mov_b64 s[8:9], 0
.LBB51_50:                              ;   Parent Loop BB51_7 Depth=1
                                        ;     Parent Loop BB51_48 Depth=2
                                        ; =>    This Inner Loop Header: Depth=3
	;;#ASMSTART
	s_sleep 0
	;;#ASMEND
	ds_read_b32 v12, v11
	s_waitcnt lgkmcnt(0)
	v_cmp_eq_u32_e32 vcc, v12, v63
	s_or_b64 s[8:9], vcc, s[8:9]
	s_andn2_b64 exec, exec, s[8:9]
	s_cbranch_execnz .LBB51_50
	s_branch .LBB51_47
.LBB51_51:
	s_endpgm
	.section	.rodata,"a",@progbits
	.p2align	6, 0x0
	.amdhsa_kernel _Z19_skinny_gemm_kernelILi1ELi2ELi3ELi32ELi4EEvPKhS1_P6__halfPKfiiiiiiii
		.amdhsa_group_segment_fixed_size 18468
		.amdhsa_private_segment_fixed_size 0
		.amdhsa_kernarg_size 64
		.amdhsa_user_sgpr_count 2
		.amdhsa_user_sgpr_dispatch_ptr 0
		.amdhsa_user_sgpr_queue_ptr 0
		.amdhsa_user_sgpr_kernarg_segment_ptr 1
		.amdhsa_user_sgpr_dispatch_id 0
		.amdhsa_user_sgpr_kernarg_preload_length 0
		.amdhsa_user_sgpr_kernarg_preload_offset 0
		.amdhsa_user_sgpr_private_segment_size 0
		.amdhsa_uses_dynamic_stack 0
		.amdhsa_enable_private_segment 0
		.amdhsa_system_sgpr_workgroup_id_x 1
		.amdhsa_system_sgpr_workgroup_id_y 0
		.amdhsa_system_sgpr_workgroup_id_z 0
		.amdhsa_system_sgpr_workgroup_info 0
		.amdhsa_system_vgpr_workitem_id 0
		.amdhsa_next_free_vgpr 101
		.amdhsa_next_free_sgpr 100
		.amdhsa_accum_offset 104
		.amdhsa_reserve_vcc 1
		.amdhsa_float_round_mode_32 0
		.amdhsa_float_round_mode_16_64 0
		.amdhsa_float_denorm_mode_32 3
		.amdhsa_float_denorm_mode_16_64 3
		.amdhsa_dx10_clamp 1
		.amdhsa_ieee_mode 1
		.amdhsa_fp16_overflow 0
		.amdhsa_tg_split 0
		.amdhsa_exception_fp_ieee_invalid_op 0
		.amdhsa_exception_fp_denorm_src 0
		.amdhsa_exception_fp_ieee_div_zero 0
		.amdhsa_exception_fp_ieee_overflow 0
		.amdhsa_exception_fp_ieee_underflow 0
		.amdhsa_exception_fp_ieee_inexact 0
		.amdhsa_exception_int_div_zero 0
	.end_amdhsa_kernel
	.section	.text._Z19_skinny_gemm_kernelILi1ELi2ELi3ELi32ELi4EEvPKhS1_P6__halfPKfiiiiiiii,"axG",@progbits,_Z19_skinny_gemm_kernelILi1ELi2ELi3ELi32ELi4EEvPKhS1_P6__halfPKfiiiiiiii,comdat
.Lfunc_end51:
	.size	_Z19_skinny_gemm_kernelILi1ELi2ELi3ELi32ELi4EEvPKhS1_P6__halfPKfiiiiiiii, .Lfunc_end51-_Z19_skinny_gemm_kernelILi1ELi2ELi3ELi32ELi4EEvPKhS1_P6__halfPKfiiiiiiii
                                        ; -- End function
	.set _Z19_skinny_gemm_kernelILi1ELi2ELi3ELi32ELi4EEvPKhS1_P6__halfPKfiiiiiiii.num_vgpr, 101
	.set _Z19_skinny_gemm_kernelILi1ELi2ELi3ELi32ELi4EEvPKhS1_P6__halfPKfiiiiiiii.num_agpr, 0
	.set _Z19_skinny_gemm_kernelILi1ELi2ELi3ELi32ELi4EEvPKhS1_P6__halfPKfiiiiiiii.numbered_sgpr, 100
	.set _Z19_skinny_gemm_kernelILi1ELi2ELi3ELi32ELi4EEvPKhS1_P6__halfPKfiiiiiiii.num_named_barrier, 0
	.set _Z19_skinny_gemm_kernelILi1ELi2ELi3ELi32ELi4EEvPKhS1_P6__halfPKfiiiiiiii.private_seg_size, 0
	.set _Z19_skinny_gemm_kernelILi1ELi2ELi3ELi32ELi4EEvPKhS1_P6__halfPKfiiiiiiii.uses_vcc, 1
	.set _Z19_skinny_gemm_kernelILi1ELi2ELi3ELi32ELi4EEvPKhS1_P6__halfPKfiiiiiiii.uses_flat_scratch, 0
	.set _Z19_skinny_gemm_kernelILi1ELi2ELi3ELi32ELi4EEvPKhS1_P6__halfPKfiiiiiiii.has_dyn_sized_stack, 0
	.set _Z19_skinny_gemm_kernelILi1ELi2ELi3ELi32ELi4EEvPKhS1_P6__halfPKfiiiiiiii.has_recursion, 0
	.set _Z19_skinny_gemm_kernelILi1ELi2ELi3ELi32ELi4EEvPKhS1_P6__halfPKfiiiiiiii.has_indirect_call, 0
	.section	.AMDGPU.csdata,"",@progbits
; Kernel info:
; codeLenInByte = 9584
; TotalNumSgprs: 106
; NumVgprs: 101
; NumAgprs: 0
; TotalNumVgprs: 101
; ScratchSize: 0
; MemoryBound: 0
; FloatMode: 240
; IeeeMode: 1
; LDSByteSize: 18468 bytes/workgroup (compile time only)
; SGPRBlocks: 13
; VGPRBlocks: 12
; NumSGPRsForWavesPerEU: 106
; NumVGPRsForWavesPerEU: 101
; AccumOffset: 104
; Occupancy: 4
; WaveLimiterHint : 0
; COMPUTE_PGM_RSRC2:SCRATCH_EN: 0
; COMPUTE_PGM_RSRC2:USER_SGPR: 2
; COMPUTE_PGM_RSRC2:TRAP_HANDLER: 0
; COMPUTE_PGM_RSRC2:TGID_X_EN: 1
; COMPUTE_PGM_RSRC2:TGID_Y_EN: 0
; COMPUTE_PGM_RSRC2:TGID_Z_EN: 0
; COMPUTE_PGM_RSRC2:TIDIG_COMP_CNT: 0
; COMPUTE_PGM_RSRC3_GFX90A:ACCUM_OFFSET: 25
; COMPUTE_PGM_RSRC3_GFX90A:TG_SPLIT: 0
	.section	.text._Z19_skinny_gemm_kernelILi1ELi2ELi3ELi32ELi8EEvPKhS1_P6__halfPKfiiiiiiii,"axG",@progbits,_Z19_skinny_gemm_kernelILi1ELi2ELi3ELi32ELi8EEvPKhS1_P6__halfPKfiiiiiiii,comdat
	.protected	_Z19_skinny_gemm_kernelILi1ELi2ELi3ELi32ELi8EEvPKhS1_P6__halfPKfiiiiiiii ; -- Begin function _Z19_skinny_gemm_kernelILi1ELi2ELi3ELi32ELi8EEvPKhS1_P6__halfPKfiiiiiiii
	.globl	_Z19_skinny_gemm_kernelILi1ELi2ELi3ELi32ELi8EEvPKhS1_P6__halfPKfiiiiiiii
	.p2align	8
	.type	_Z19_skinny_gemm_kernelILi1ELi2ELi3ELi32ELi8EEvPKhS1_P6__halfPKfiiiiiiii,@function
_Z19_skinny_gemm_kernelILi1ELi2ELi3ELi32ELi8EEvPKhS1_P6__halfPKfiiiiiiii: ; @_Z19_skinny_gemm_kernelILi1ELi2ELi3ELi32ELi8EEvPKhS1_P6__halfPKfiiiiiiii
; %bb.0:
	v_cmp_gt_u32_e32 vcc, 9, v0
	s_and_saveexec_b64 s[4:5], vcc
; %bb.1:
	v_lshlrev_b32_e32 v1, 2, v0
	v_mov_b32_e32 v2, 0
	ds_write_b32 v1, v2 offset:36864
; %bb.2:
	s_or_b64 exec, exec, s[4:5]
	s_load_dwordx8 s[16:23], s[0:1], 0x20
	s_waitcnt lgkmcnt(0)
	s_barrier
	s_add_i32 s3, s16, 31
	s_ashr_i32 s5, s3, 31
	s_add_i32 s4, s17, 63
	s_lshr_b32 s5, s5, 27
	s_ashr_i32 s6, s4, 31
	s_add_i32 s3, s3, s5
	s_ashr_i32 s11, s3, 5
	s_lshr_b32 s3, s6, 26
	s_add_i32 s4, s4, s3
	s_ashr_i32 s12, s4, 6
	s_mul_i32 s3, s12, s11
	s_mul_i32 s3, s3, s20
	s_add_i32 s4, s3, 0x12f
	s_mul_hi_i32 s4, s4, 0x6bca1af3
	s_lshr_b32 s5, s4, 31
	s_ashr_i32 s4, s4, 7
	s_add_i32 s4, s4, s5
	s_add_i32 s5, s2, 1
	s_mul_i32 s5, s4, s5
	v_cvt_f64_i32_e32 v[2:3], s3
	v_cvt_f64_u32_e32 v[4:5], s5
	v_min_f64 v[2:3], v[2:3], v[4:5]
	v_cvt_i32_f64_e32 v70, v[2:3]
	s_mul_i32 s33, s4, s2
	v_cmp_ge_i32_e32 vcc, s33, v70
	s_cbranch_vccnz .LBB52_51
; %bb.3:
	s_load_dwordx8 s[44:51], s[0:1], 0x0
	v_lshrrev_b32_e32 v1, 6, v0
	s_add_i32 s0, s22, s21
	v_cmp_le_i32_e64 s[14:15], s0, v1
	v_mov_b32_e32 v2, s21
	v_cmp_le_i32_e64 s[24:25], s21, v1
	v_mov_b32_e32 v3, s22
	v_cndmask_b32_e64 v3, 0, v3, s[14:15]
	v_cndmask_b32_e64 v2, 0, v2, s[24:25]
	s_abs_i32 s1, s20
	v_add_u32_e32 v2, v2, v3
	v_cvt_f32_u32_e32 v3, s1
	v_sub_u32_e32 v54, v1, v2
	s_ashr_i32 s2, s18, 31
	s_lshr_b32 s2, s2, 25
	v_rcp_iflag_f32_e32 v2, v3
	s_sub_i32 s5, 0, s1
	s_add_i32 s2, s18, s2
	s_ashr_i32 s2, s2, 7
	v_mul_f32_e32 v2, 0x4f7ffffe, v2
	v_cvt_u32_f32_e32 v2, v2
	s_abs_i32 s4, s2
	s_xor_b32 s3, s2, s20
	s_ashr_i32 s3, s3, 31
	v_readfirstlane_b32 s6, v2
	s_mul_i32 s5, s5, s6
	s_mul_hi_u32 s5, s6, s5
	s_add_i32 s6, s6, s5
	s_mul_hi_u32 s5, s4, s6
	s_mul_i32 s6, s5, s1
	s_sub_i32 s4, s4, s6
	s_add_i32 s6, s5, 1
	s_sub_i32 s7, s4, s1
	s_cmp_ge_u32 s4, s1
	s_cselect_b32 s5, s6, s5
	s_cselect_b32 s4, s7, s4
	s_add_i32 s6, s5, 1
	s_cmp_ge_u32 s4, s1
	s_cselect_b32 s1, s6, s5
	s_add_i32 s0, s0, s23
	v_and_b32_e32 v72, 31, v0
	v_lshrrev_b32_e32 v2, 3, v0
	v_cmp_gt_i32_e64 s[28:29], s0, v1
	v_lshlrev_b32_e32 v1, 2, v72
	v_and_b32_e32 v3, 4, v2
	v_and_b32_e32 v5, 1, v0
	v_lshlrev_b32_e32 v2, 6, v3
	v_or_b32_e32 v4, 0x6000, v1
	v_or_b32_e32 v3, v3, v5
	;; [unrolled: 1-line block ×4, first 2 shown]
	v_lshlrev_b32_e32 v2, 1, v5
	v_or_b32_e32 v5, 2, v3
	v_sub_u32_e32 v85, 32, v5
	v_or_b32_e32 v5, 8, v3
	v_sub_u32_e32 v86, 32, v5
	;; [unrolled: 2-line block ×5, first 2 shown]
	v_or_b32_e32 v5, 24, v3
	s_abs_i32 s30, s11
                                        ; implicit-def: $vgpr107 : SGPR spill to VGPR lane
	v_sub_u32_e32 v84, 32, v3
	v_mul_lo_u32 v34, s17, v3
	v_sub_u32_e32 v90, 32, v5
	v_or_b32_e32 v3, 26, v3
	v_cvt_f32_u32_e32 v5, s30
	v_writelane_b32 v107, s11, 0
	v_sub_u32_e32 v91, 32, v3
	v_lshrrev_b32_e32 v3, 1, v0
	v_writelane_b32 v107, s12, 1
	v_and_b32_e32 v50, 16, v3
	v_lshlrev_b32_e32 v3, 4, v0
	s_waitcnt lgkmcnt(0)
	v_writelane_b32 v107, s44, 2
	v_and_b32_e32 v3, 0x200, v3
	v_or_b32_e32 v92, v1, v3
	v_writelane_b32 v107, s45, 3
	v_rcp_iflag_f32_e32 v1, v5
	v_writelane_b32 v107, s46, 4
	v_writelane_b32 v107, s47, 5
	v_sub_u32_e32 v2, v0, v2
	v_writelane_b32 v107, s48, 6
	v_add_u32_e32 v2, 1, v2
	s_abs_i32 s34, s12
	v_writelane_b32 v107, s49, 7
	s_xor_b32 s1, s1, s3
	v_and_b32_e32 v6, 63, v2
	v_bitop3_b32 v75, v0, 1, v0 bitop3:0xc
	v_bitop3_b32 v76, v0, 3, 1 bitop3:0x6c
	;; [unrolled: 1-line block ×8, first 2 shown]
	v_and_b32_e32 v2, 30, v0
	v_bitop3_b32 v93, v0, 31, v0 bitop3:0xc
	v_mul_f32_e32 v0, 0x4f7ffffe, v1
	v_cvt_f32_u32_e32 v1, s34
	v_writelane_b32 v107, s50, 8
	s_sub_i32 s13, s1, s3
	s_add_i32 s26, s20, -1
	v_writelane_b32 v107, s51, 9
	v_cndmask_b32_e64 v71, 0, 1, s[14:15]
	s_mul_i32 s1, s13, s26
	s_lshl_b32 s0, s17, 1
	v_writelane_b32 v107, s14, 10
	s_sub_i32 s27, s2, s1
	v_add_u32_e32 v36, s0, v34
	s_mul_i32 s1, s17, 6
	v_writelane_b32 v107, s15, 11
	v_add_u32_e32 v38, s1, v36
	v_cvt_u32_f32_e32 v0, v0
	v_rcp_iflag_f32_e32 v1, v1
	v_writelane_b32 v107, s24, 12
	v_add_u32_e32 v40, s0, v38
	v_add_u32_e32 v42, s1, v40
	v_writelane_b32 v107, s25, 13
	v_writelane_b32 v107, s13, 14
	v_add_u32_e32 v44, s0, v42
	v_writelane_b32 v107, s26, 15
	v_add_u32_e32 v46, s1, v44
	v_readfirstlane_b32 s1, v0
	v_mul_f32_e32 v0, 0x4f7ffffe, v1
	v_writelane_b32 v107, s27, 16
	v_cvt_u32_f32_e32 v0, v0
	v_writelane_b32 v107, s28, 17
	v_add_u32_e32 v48, s0, v46
	s_sub_i32 s0, 0, s30
	v_writelane_b32 v107, s29, 18
	s_lshl_b32 s31, s19, 5
	s_mul_i32 s0, s0, s1
	v_writelane_b32 v107, s30, 19
	s_mul_hi_u32 s0, s1, s0
	v_writelane_b32 v107, s31, 20
	s_ashr_i32 s35, s11, 31
	s_add_i32 s36, s1, s0
	s_sub_i32 s0, 0, s34
	v_readfirstlane_b32 s1, v0
	v_mbcnt_lo_u32_b32 v0, -1, 0
	v_writelane_b32 v107, s34, 21
	s_mul_i32 s0, s0, s1
	v_mbcnt_hi_u32_b32 v0, -1, v0
	v_writelane_b32 v107, s35, 22
	v_mov_b32_e32 v33, 0
	v_mul_lo_u32 v52, s19, v72
	s_ashr_i32 s37, s12, 31
	s_mul_hi_u32 s0, s1, s0
	v_and_or_b32 v0, v0, 64, v6
	v_writelane_b32 v107, s36, 23
	v_or_b32_e32 v83, 32, v72
	v_ashrrev_i32_e32 v35, 31, v34
	v_ashrrev_i32_e32 v37, 31, v36
	;; [unrolled: 1-line block ×9, first 2 shown]
	v_mov_b32_e32 v51, v33
	v_mul_lo_u32 v94, s18, v72
	v_or_b32_e32 v95, v4, v3
	s_add_i32 s38, s1, s0
	v_lshlrev_b32_e32 v32, 1, v2
	v_lshlrev_b32_e32 v96, 2, v0
	v_mov_b32_e32 v97, v54
	v_writelane_b32 v107, s37, 24
	v_writelane_b32 v107, s38, 25
	s_branch .LBB52_7
.LBB52_4:                               ;   in Loop: Header=BB52_7 Depth=1
	s_or_b64 exec, exec, s[4:5]
.LBB52_5:                               ;   in Loop: Header=BB52_7 Depth=1
	s_or_b64 exec, exec, s[2:3]
	v_subrev_u32_e32 v97, s20, v97
.LBB52_6:                               ;   in Loop: Header=BB52_7 Depth=1
	s_or_b64 exec, exec, s[0:1]
	s_add_i32 s33, s33, 1
	v_cmp_ge_i32_e32 vcc, s33, v70
	s_cbranch_vccnz .LBB52_51
.LBB52_7:                               ; =>This Loop Header: Depth=1
                                        ;     Child Loop BB52_13 Depth 2
                                        ;       Child Loop BB52_15 Depth 3
                                        ;       Child Loop BB52_18 Depth 3
	;; [unrolled: 1-line block ×3, first 2 shown]
                                        ;     Child Loop BB52_38 Depth 2
                                        ;       Child Loop BB52_40 Depth 3
                                        ;     Child Loop BB52_48 Depth 2
                                        ;       Child Loop BB52_50 Depth 3
	s_abs_i32 s1, s33
	s_mul_hi_u32 s2, s1, s36
	s_mul_i32 s3, s2, s30
	s_ashr_i32 s0, s33, 31
	s_sub_i32 s1, s1, s3
	s_xor_b32 s0, s0, s35
	s_add_i32 s3, s2, 1
	s_sub_i32 s4, s1, s30
	s_cmp_ge_u32 s1, s30
	s_cselect_b32 s2, s3, s2
	s_cselect_b32 s1, s4, s1
	s_add_i32 s3, s2, 1
	s_cmp_ge_u32 s1, s30
	s_cselect_b32 s1, s3, s2
	s_xor_b32 s1, s1, s0
	s_sub_i32 s0, s1, s0
	s_abs_i32 s2, s0
	s_mul_i32 s1, s0, s11
	s_mul_hi_u32 s3, s2, s38
	s_sub_i32 s1, s33, s1
	s_mul_i32 s4, s3, s34
	s_lshl_b32 s52, s1, 5
	s_ashr_i32 s1, s0, 31
	s_sub_i32 s2, s2, s4
	s_xor_b32 s1, s1, s37
	s_add_i32 s4, s3, 1
	s_sub_i32 s5, s2, s34
	s_cmp_ge_u32 s2, s34
	s_cselect_b32 s3, s4, s3
	s_cselect_b32 s2, s5, s2
	s_add_i32 s4, s3, 1
	s_cmp_ge_u32 s2, s34
	s_cselect_b32 s2, s4, s3
	s_xor_b32 s2, s2, s1
	s_sub_i32 s1, s2, s1
	s_mul_i32 s2, s1, s13
	s_lshl_b32 s39, s2, 7
	s_cmp_eq_u32 s1, s26
	s_cselect_b32 s20, s27, s13
	s_sub_i32 s2, s52, s16
	s_add_i32 s53, s2, 32
	s_and_saveexec_b64 s[2:3], s[24:25]
	s_xor_b64 s[40:41], exec, s[2:3]
	s_cbranch_execz .LBB52_44
; %bb.8:                                ;   in Loop: Header=BB52_7 Depth=1
	s_mul_i32 s1, s1, s12
	s_sub_i32 s0, s0, s1
	s_lshl_b32 s0, s0, 6
	s_sub_i32 s90, s0, s17
	s_add_i32 s90, s90, 64
	s_max_i32 s1, s90, 0
	s_sub_i32 s54, s0, s1
	s_and_saveexec_b64 s[0:1], s[14:15]
	s_xor_b64 s[4:5], exec, s[0:1]
	s_cbranch_execz .LBB52_34
; %bb.9:                                ;   in Loop: Header=BB52_7 Depth=1
	s_and_saveexec_b64 s[2:3], s[28:29]
	s_cbranch_execz .LBB52_33
; %bb.10:                               ;   in Loop: Header=BB52_7 Depth=1
	global_load_dword v98, v33, s[50:51]
	v_writelane_b32 v107, s2, 26
	v_mov_b32_e32 v31, 0
	v_cmp_gt_i32_e32 vcc, s20, v97
	v_writelane_b32 v107, s3, 27
	v_writelane_b32 v107, s4, 28
	v_mov_b32_e32 v30, v31
	v_mov_b32_e32 v29, v31
	;; [unrolled: 1-line block ×12, first 2 shown]
	s_waitcnt lgkmcnt(1)
	v_mov_b32_e32 v18, v31
	v_mov_b32_e32 v17, v31
	;; [unrolled: 1-line block ×19, first 2 shown]
	v_writelane_b32 v107, s5, 29
	s_and_saveexec_b64 s[0:1], vcc
	s_cbranch_execz .LBB52_23
; %bb.11:                               ;   in Loop: Header=BB52_7 Depth=1
	v_mov_b32_e32 v0, 0
	s_mov_b64 s[2:3], 0
	v_mov_b32_e32 v1, v0
	v_mov_b32_e32 v2, v0
	;; [unrolled: 1-line block ×31, first 2 shown]
	s_branch .LBB52_13
.LBB52_12:                              ;   in Loop: Header=BB52_13 Depth=2
	s_or_b64 exec, exec, s[4:5]
	v_add_u32_e32 v104, v74, v102
	v_add_u32_e32 v105, 0x1000, v104
	ds_read2_b32 v[102:103], v105 offset1:32
	v_add_u32_e32 v97, s23, v97
	v_cmp_le_i32_e32 vcc, s20, v97
	s_or_b64 s[2:3], vcc, s[2:3]
	ds_write_b32 v100, v101 offset:36876
	s_waitcnt lgkmcnt(1)
	v_mfma_f32_32x32x16_fp8_fp8 v[0:15], v[66:67], v[102:103], v[0:15]
	ds_read2_b32 v[66:67], v105 offset0:128 offset1:160
	s_waitcnt lgkmcnt(0)
	v_mfma_f32_32x32x16_fp8_fp8 v[0:15], v[64:65], v[66:67], v[0:15]
	v_add_u32_e32 v66, 0x1400, v104
	ds_read2_b32 v[64:65], v66 offset1:32
	s_waitcnt lgkmcnt(0)
	v_mfma_f32_32x32x16_fp8_fp8 v[0:15], v[62:63], v[64:65], v[0:15]
	ds_read2_b32 v[62:63], v66 offset0:128 offset1:160
	s_waitcnt lgkmcnt(0)
	v_mfma_f32_32x32x16_fp8_fp8 v[0:15], v[60:61], v[62:63], v[0:15]
	v_add_u32_e32 v62, 0x1800, v104
	ds_read2_b32 v[60:61], v62 offset1:32
	;; [unrolled: 7-line block ×3, first 2 shown]
	s_waitcnt lgkmcnt(0)
	v_mfma_f32_32x32x16_fp8_fp8 v[0:15], v[54:55], v[56:57], v[0:15]
	ds_read2_b32 v[54:55], v58 offset0:128 offset1:160
	s_waitcnt lgkmcnt(0)
	v_mfma_f32_32x32x16_fp8_fp8 v[0:15], v[68:69], v[54:55], v[0:15]
	v_add_u32_e32 v54, s23, v99
	v_add_u32_e32 v55, 2, v71
	v_cmp_lt_i32_e32 vcc, 2, v54
	s_nop 1
	v_cndmask_b32_e32 v71, v71, v55, vcc
	s_andn2_b64 exec, exec, s[2:3]
	s_cbranch_execz .LBB52_22
.LBB52_13:                              ;   Parent Loop BB52_7 Depth=1
                                        ; =>  This Loop Header: Depth=2
                                        ;       Child Loop BB52_15 Depth 3
                                        ;       Child Loop BB52_18 Depth 3
	;; [unrolled: 1-line block ×3, first 2 shown]
	v_cmp_gt_i32_e32 vcc, 3, v54
	s_nop 1
	v_cndmask_b32_e64 v55, -3, 0, vcc
	v_add_u32_e32 v99, v55, v54
	v_lshlrev_b32_e32 v100, 4, v99
	ds_read_b32 v54, v100 offset:36864
	s_waitcnt lgkmcnt(0)
	v_cmp_ne_u32_e32 vcc, v54, v71
	s_and_saveexec_b64 s[4:5], vcc
	s_cbranch_execz .LBB52_16
; %bb.14:                               ;   in Loop: Header=BB52_13 Depth=2
	s_mov_b64 s[6:7], 0
.LBB52_15:                              ;   Parent Loop BB52_7 Depth=1
                                        ;     Parent Loop BB52_13 Depth=2
                                        ; =>    This Inner Loop Header: Depth=3
	;;#ASMSTART
	s_sleep 0
	;;#ASMEND
	ds_read_b32 v54, v100 offset:36864
	s_waitcnt lgkmcnt(0)
	v_cmp_eq_u32_e32 vcc, v54, v71
	s_or_b64 s[6:7], vcc, s[6:7]
	s_andn2_b64 exec, exec, s[6:7]
	s_cbranch_execnz .LBB52_15
.LBB52_16:                              ;   in Loop: Header=BB52_13 Depth=2
	s_or_b64 exec, exec, s[4:5]
	v_lshl_add_u32 v54, v99, 12, v73
	v_add_u32_e32 v55, 0x400, v54
	ds_read2_b32 v[66:67], v54 offset1:32
	ds_read2_b32 v[64:65], v54 offset0:128 offset1:160
	ds_read2_b32 v[62:63], v55 offset1:32
	ds_read2_b32 v[60:61], v55 offset0:128 offset1:160
	v_add_u32_e32 v55, 0x800, v54
	v_add_u32_e32 v68, 0xc00, v54
	ds_read2_b32 v[58:59], v55 offset1:32
	ds_read2_b32 v[56:57], v55 offset0:128 offset1:160
	ds_read2_b32 v[54:55], v68 offset1:32
	ds_read_b32 v102, v100 offset:36868
	ds_read2_b32 v[68:69], v68 offset0:128 offset1:160
	v_add_u32_e32 v101, 1, v71
	ds_write_b32 v100, v101 offset:36864
	s_waitcnt lgkmcnt(2)
	v_cmp_ne_u32_e32 vcc, v102, v71
	s_and_saveexec_b64 s[4:5], vcc
	s_cbranch_execz .LBB52_19
; %bb.17:                               ;   in Loop: Header=BB52_13 Depth=2
	s_mov_b64 s[6:7], 0
.LBB52_18:                              ;   Parent Loop BB52_7 Depth=1
                                        ;     Parent Loop BB52_13 Depth=2
                                        ; =>    This Inner Loop Header: Depth=3
	;;#ASMSTART
	s_sleep 0
	;;#ASMEND
	ds_read_b32 v102, v100 offset:36868
	s_waitcnt lgkmcnt(0)
	v_cmp_eq_u32_e32 vcc, v102, v71
	s_or_b64 s[6:7], vcc, s[6:7]
	s_andn2_b64 exec, exec, s[6:7]
	s_cbranch_execnz .LBB52_18
.LBB52_19:                              ;   in Loop: Header=BB52_13 Depth=2
	s_or_b64 exec, exec, s[4:5]
	v_lshlrev_b32_e32 v102, 13, v99
	v_or_b32_e32 v103, v74, v102
	ds_read2_b32 v[104:105], v103 offset1:32
	v_add_u32_e32 v106, 0x400, v103
	ds_write_b32 v100, v101 offset:36868
	s_waitcnt lgkmcnt(1)
	v_mfma_f32_32x32x16_fp8_fp8 v[16:31], v[66:67], v[104:105], v[16:31]
	ds_read2_b32 v[104:105], v103 offset0:128 offset1:160
	s_waitcnt lgkmcnt(0)
	v_mfma_f32_32x32x16_fp8_fp8 v[16:31], v[64:65], v[104:105], v[16:31]
	ds_read2_b32 v[104:105], v106 offset1:32
	s_waitcnt lgkmcnt(0)
	v_mfma_f32_32x32x16_fp8_fp8 v[16:31], v[62:63], v[104:105], v[16:31]
	ds_read2_b32 v[104:105], v106 offset0:128 offset1:160
	v_add_u32_e32 v106, 0x800, v103
	v_add_u32_e32 v103, 0xc00, v103
	s_waitcnt lgkmcnt(0)
	v_mfma_f32_32x32x16_fp8_fp8 v[16:31], v[60:61], v[104:105], v[16:31]
	ds_read2_b32 v[104:105], v106 offset1:32
	s_waitcnt lgkmcnt(0)
	v_mfma_f32_32x32x16_fp8_fp8 v[16:31], v[58:59], v[104:105], v[16:31]
	ds_read2_b32 v[104:105], v106 offset0:128 offset1:160
	s_waitcnt lgkmcnt(0)
	v_mfma_f32_32x32x16_fp8_fp8 v[16:31], v[56:57], v[104:105], v[16:31]
	ds_read2_b32 v[104:105], v103 offset1:32
	s_waitcnt lgkmcnt(0)
	v_mfma_f32_32x32x16_fp8_fp8 v[16:31], v[54:55], v[104:105], v[16:31]
	ds_read2_b32 v[104:105], v103 offset0:128 offset1:160
	ds_read_b32 v103, v100 offset:36876
	s_waitcnt lgkmcnt(0)
	v_cmp_ne_u32_e32 vcc, v103, v71
	v_mfma_f32_32x32x16_fp8_fp8 v[16:31], v[68:69], v[104:105], v[16:31]
	s_and_saveexec_b64 s[4:5], vcc
	s_cbranch_execz .LBB52_12
; %bb.20:                               ;   in Loop: Header=BB52_13 Depth=2
	s_mov_b64 s[6:7], 0
.LBB52_21:                              ;   Parent Loop BB52_7 Depth=1
                                        ;     Parent Loop BB52_13 Depth=2
                                        ; =>    This Inner Loop Header: Depth=3
	;;#ASMSTART
	s_sleep 0
	;;#ASMEND
	ds_read_b32 v103, v100 offset:36876
	s_waitcnt lgkmcnt(0)
	v_cmp_eq_u32_e32 vcc, v103, v71
	s_or_b64 s[6:7], vcc, s[6:7]
	s_andn2_b64 exec, exec, s[6:7]
	s_cbranch_execnz .LBB52_21
	s_branch .LBB52_12
.LBB52_22:                              ;   in Loop: Header=BB52_7 Depth=1
	s_or_b64 exec, exec, s[2:3]
.LBB52_23:                              ;   in Loop: Header=BB52_7 Depth=1
	v_writelane_b32 v107, s54, 30
	s_nop 1
	v_writelane_b32 v107, s55, 31
	v_writelane_b32 v107, s40, 32
	s_nop 1
	v_writelane_b32 v107, s41, 33
	v_writelane_b32 v107, s53, 34
	;; [unrolled: 1-line block ×4, first 2 shown]
	s_or_b64 exec, exec, s[0:1]
	v_cmp_le_i32_e32 vcc, s90, v72
	v_cmp_eq_u32_e64 s[86:87], 1, v75
	v_cmp_eq_u32_e64 s[50:51], 2, v75
	s_waitcnt vmcnt(0)
	v_cndmask_b32_e32 v56, 0, v98, vcc
	v_pk_mul_f32 v[16:17], v[56:57], v[16:17] op_sel_hi:[0,1]
	v_pk_mul_f32 v[18:19], v[56:57], v[18:19] op_sel_hi:[0,1]
	v_cndmask_b32_e64 v55, v16, v17, s[86:87]
	v_cndmask_b32_e64 v55, v55, v18, s[50:51]
	v_cmp_eq_u32_e64 s[52:53], 3, v75
	v_pk_mul_f32 v[20:21], v[56:57], v[20:21] op_sel_hi:[0,1]
	v_cmp_eq_u32_e64 s[56:57], 4, v75
	v_cndmask_b32_e64 v55, v55, v19, s[52:53]
	v_cmp_eq_u32_e64 s[60:61], 5, v75
	v_cndmask_b32_e64 v55, v55, v20, s[56:57]
	v_pk_mul_f32 v[22:23], v[56:57], v[22:23] op_sel_hi:[0,1]
	v_cndmask_b32_e64 v55, v55, v21, s[60:61]
	v_cmp_eq_u32_e64 s[64:65], 6, v75
	v_cmp_eq_u32_e64 s[68:69], 7, v75
	v_pk_mul_f32 v[24:25], v[56:57], v[24:25] op_sel_hi:[0,1]
	v_cndmask_b32_e64 v55, v55, v22, s[64:65]
	v_cndmask_b32_e64 v55, v55, v23, s[68:69]
	v_cmp_eq_u32_e64 s[72:73], 8, v75
	v_cmp_eq_u32_e64 s[74:75], 9, v75
	v_pk_mul_f32 v[26:27], v[56:57], v[26:27] op_sel_hi:[0,1]
	v_cndmask_b32_e64 v55, v55, v24, s[72:73]
	v_cndmask_b32_e64 v55, v55, v25, s[74:75]
	v_cmp_eq_u32_e64 s[76:77], 10, v75
	v_cmp_eq_u32_e64 s[78:79], 11, v75
	v_pk_mul_f32 v[28:29], v[56:57], v[28:29] op_sel_hi:[0,1]
	v_cndmask_b32_e64 v55, v55, v26, s[76:77]
	v_cndmask_b32_e64 v55, v55, v27, s[78:79]
	v_cmp_eq_u32_e64 s[80:81], 12, v75
	v_cmp_eq_u32_e64 s[82:83], 13, v75
	v_pk_mul_f32 v[30:31], v[56:57], v[30:31] op_sel_hi:[0,1]
	v_cndmask_b32_e64 v55, v55, v28, s[80:81]
	v_cndmask_b32_e64 v55, v55, v29, s[82:83]
	v_cmp_eq_u32_e64 s[84:85], 14, v75
	v_cmp_eq_u32_e64 s[88:89], 15, v75
	;; [unrolled: 1-line block ×3, first 2 shown]
	v_cndmask_b32_e64 v55, v55, v30, s[84:85]
	v_cndmask_b32_e64 v55, v55, v31, s[88:89]
	ds_bpermute_b32 v55, v96, v55
	v_cmp_eq_u32_e64 s[24:25], 1, v76
	v_cmp_eq_u32_e64 s[26:27], 2, v76
	;; [unrolled: 1-line block ×4, first 2 shown]
	s_waitcnt lgkmcnt(0)
	v_cndmask_b32_e64 v62, v17, v55, s[86:87]
	v_cndmask_b32_e64 v16, v16, v55, s[70:71]
	;; [unrolled: 1-line block ×10, first 2 shown]
	v_cmp_eq_u32_e64 s[34:35], 5, v76
	v_cndmask_b32_e64 v57, v22, v55, s[64:65]
	v_cmp_eq_u32_e64 s[36:37], 6, v76
	v_cndmask_b32_e64 v17, v17, v58, s[34:35]
	v_cndmask_b32_e64 v56, v23, v55, s[68:69]
	v_cndmask_b32_e64 v17, v17, v57, s[36:37]
	v_cmp_eq_u32_e64 s[38:39], 7, v76
	v_cndmask_b32_e64 v24, v24, v55, s[72:73]
	v_cmp_eq_u32_e64 s[42:43], 8, v76
	v_cndmask_b32_e64 v17, v17, v56, s[38:39]
	v_cndmask_b32_e64 v25, v25, v55, s[74:75]
	v_cndmask_b32_e64 v17, v17, v24, s[42:43]
	;; [unrolled: 6-line block ×5, first 2 shown]
	v_cmp_eq_u32_e64 s[66:67], 15, v76
	v_cmp_le_i32_e64 s[90:91], s90, v83
	v_cmp_eq_u32_e64 s[40:41], 0, v76
	v_cndmask_b32_e64 v17, v17, v31, s[66:67]
	ds_bpermute_b32 v55, v96, v17
	v_cmp_eq_u32_e64 s[4:5], 1, v77
	v_cmp_eq_u32_e64 s[6:7], 2, v77
	;; [unrolled: 1-line block ×4, first 2 shown]
	s_waitcnt lgkmcnt(0)
	v_cndmask_b32_e64 v23, v25, v55, s[44:45]
	v_cndmask_b32_e64 v25, v56, v55, s[38:39]
	v_cndmask_b32_e64 v56, 0, v98, s[90:91]
	v_pk_mul_f32 v[0:1], v[56:57], v[0:1] op_sel_hi:[0,1]
	v_pk_mul_f32 v[14:15], v[56:57], v[14:15] op_sel_hi:[0,1]
	;; [unrolled: 1-line block ×8, first 2 shown]
	v_cndmask_b32_e64 v56, v0, v1, s[86:87]
	v_cndmask_b32_e64 v56, v56, v2, s[50:51]
	;; [unrolled: 1-line block ×32, first 2 shown]
	v_cmp_eq_u32_e64 s[12:13], 5, v77
	v_cndmask_b32_e64 v56, v56, v15, s[88:89]
	v_cmp_eq_u32_e64 s[14:15], 6, v77
	v_cndmask_b32_e64 v55, v55, v27, s[12:13]
	ds_bpermute_b32 v56, v96, v56
	v_cndmask_b32_e64 v55, v55, v26, s[14:15]
	v_cmp_eq_u32_e64 s[96:97], 7, v77
	v_cmp_eq_u32_e64 s[98:99], 8, v77
	v_cmp_eq_u32_e32 vcc, 9, v77
	v_cndmask_b32_e64 v55, v55, v25, s[96:97]
	v_cndmask_b32_e64 v55, v55, v24, s[98:99]
	v_cndmask_b32_e32 v55, v55, v23, vcc
	v_cmp_eq_u32_e64 s[0:1], 10, v77
	v_cmp_eq_u32_e64 s[86:87], 11, v77
	s_waitcnt lgkmcnt(0)
	v_cndmask_b32_e64 v2, v2, v56, s[50:51]
	v_cndmask_b32_e64 v55, v55, v22, s[0:1]
	v_cmp_ne_u32_e64 s[50:51], 0, v75
	v_cndmask_b32_e64 v55, v55, v21, s[86:87]
	v_cmp_eq_u32_e64 s[90:91], 12, v77
	v_cndmask_b32_e64 v1, v1, v56, s[50:51]
	v_cndmask_b32_e64 v0, v0, v56, s[70:71]
	;; [unrolled: 1-line block ×4, first 2 shown]
	v_cmp_eq_u32_e64 s[88:89], 13, v77
	v_cndmask_b32_e64 v14, v14, v56, s[84:85]
	v_cndmask_b32_e64 v13, v13, v56, s[82:83]
	v_cndmask_b32_e64 v12, v12, v56, s[80:81]
	v_cndmask_b32_e64 v11, v11, v56, s[78:79]
	v_cndmask_b32_e64 v10, v10, v56, s[76:77]
	v_cndmask_b32_e64 v9, v9, v56, s[74:75]
	v_cndmask_b32_e64 v8, v8, v56, s[72:73]
	v_cndmask_b32_e64 v7, v7, v56, s[68:69]
	v_cndmask_b32_e64 v6, v6, v56, s[64:65]
	v_cndmask_b32_e64 v5, v5, v56, s[60:61]
	v_cndmask_b32_e64 v4, v4, v56, s[56:57]
	v_cndmask_b32_e64 v3, v3, v56, s[52:53]
	v_cndmask_b32_e64 v56, v0, v1, s[24:25]
	v_cndmask_b32_e64 v55, v55, v19, s[88:89]
	v_cmp_eq_u32_e64 s[84:85], 14, v77
	v_cndmask_b32_e64 v56, v56, v2, s[26:27]
	v_cmp_eq_u32_e64 s[82:83], 15, v77
	v_cndmask_b32_e64 v55, v55, v18, s[84:85]
	v_cndmask_b32_e64 v56, v56, v3, s[28:29]
	;; [unrolled: 1-line block ×4, first 2 shown]
	ds_bpermute_b32 v55, v96, v55
	v_cndmask_b32_e64 v56, v56, v5, s[34:35]
	v_cndmask_b32_e64 v56, v56, v6, s[36:37]
	;; [unrolled: 1-line block ×4, first 2 shown]
	v_cmp_eq_u32_e64 s[80:81], 0, v77
	v_cndmask_b32_e64 v56, v56, v9, s[44:45]
	s_waitcnt lgkmcnt(0)
	v_cndmask_b32_e64 v31, v31, v55, s[4:5]
	v_cndmask_b32_e64 v16, v16, v55, s[80:81]
	v_cmp_eq_u32_e64 s[78:79], 1, v78
	v_cndmask_b32_e64 v56, v56, v10, s[46:47]
	v_cndmask_b32_e64 v17, v17, v55, s[82:83]
	;; [unrolled: 1-line block ×7, first 2 shown]
	v_cndmask_b32_e32 v23, v23, v55, vcc
	v_cndmask_b32_e64 v24, v24, v55, s[98:99]
	v_cndmask_b32_e64 v25, v25, v55, s[96:97]
	;; [unrolled: 1-line block ×8, first 2 shown]
	v_cmp_eq_u32_e64 s[76:77], 2, v78
	v_cndmask_b32_e64 v56, v56, v11, s[48:49]
	v_cmp_eq_u32_e64 s[74:75], 3, v78
	v_cndmask_b32_e64 v55, v55, v30, s[76:77]
	v_cndmask_b32_e64 v56, v56, v12, s[54:55]
	;; [unrolled: 1-line block ×3, first 2 shown]
	v_cmp_eq_u32_e64 s[72:73], 4, v78
	v_cndmask_b32_e64 v56, v56, v13, s[58:59]
	v_cmp_eq_u32_e64 s[68:69], 5, v78
	v_cndmask_b32_e64 v55, v55, v28, s[72:73]
	v_cndmask_b32_e64 v56, v56, v14, s[62:63]
	;; [unrolled: 1-line block ×3, first 2 shown]
	v_cmp_eq_u32_e64 s[64:65], 6, v78
	v_cndmask_b32_e64 v56, v56, v15, s[66:67]
	v_cmp_eq_u32_e64 s[60:61], 7, v78
	v_cndmask_b32_e64 v55, v55, v26, s[64:65]
	ds_bpermute_b32 v56, v96, v56
	v_cndmask_b32_e64 v55, v55, v25, s[60:61]
	v_cmp_eq_u32_e64 s[56:57], 8, v78
	v_cmp_eq_u32_e64 s[52:53], 9, v78
	;; [unrolled: 1-line block ×3, first 2 shown]
	v_cndmask_b32_e64 v55, v55, v24, s[56:57]
	v_cndmask_b32_e64 v55, v55, v23, s[52:53]
	;; [unrolled: 1-line block ×3, first 2 shown]
	v_cmp_eq_u32_e64 s[70:71], 11, v78
	s_waitcnt lgkmcnt(0)
	v_cndmask_b32_e64 v15, v15, v56, s[66:67]
	v_cmp_eq_u32_e64 s[66:67], 12, v78
	v_cndmask_b32_e64 v55, v55, v21, s[70:71]
	v_cndmask_b32_e64 v14, v14, v56, s[62:63]
	;; [unrolled: 1-line block ×3, first 2 shown]
	v_cmp_eq_u32_e64 s[62:63], 13, v78
	v_cndmask_b32_e64 v1, v1, v56, s[24:25]
	v_cndmask_b32_e64 v0, v0, v56, s[40:41]
	;; [unrolled: 1-line block ×4, first 2 shown]
	v_cmp_eq_u32_e64 s[92:93], 14, v78
	v_cndmask_b32_e64 v12, v12, v56, s[54:55]
	v_cndmask_b32_e64 v11, v11, v56, s[48:49]
	;; [unrolled: 1-line block ×13, first 2 shown]
	v_cmp_eq_u32_e64 s[94:95], 15, v78
	v_cndmask_b32_e64 v56, v56, v2, s[6:7]
	v_cndmask_b32_e64 v56, v56, v3, s[8:9]
	;; [unrolled: 1-line block ×3, first 2 shown]
	ds_bpermute_b32 v55, v96, v55
	v_cndmask_b32_e64 v56, v56, v4, s[10:11]
	v_cndmask_b32_e64 v56, v56, v5, s[12:13]
	;; [unrolled: 1-line block ×4, first 2 shown]
	v_cmp_eq_u32_e64 s[48:49], 0, v78
	v_cndmask_b32_e64 v56, v56, v8, s[98:99]
	s_waitcnt lgkmcnt(0)
	v_cndmask_b32_e64 v31, v31, v55, s[78:79]
	v_cndmask_b32_e64 v16, v16, v55, s[48:49]
	v_cmp_eq_u32_e64 s[46:47], 1, v79
	v_cndmask_b32_e32 v56, v56, v9, vcc
	v_cndmask_b32_e64 v17, v17, v55, s[94:95]
	v_cndmask_b32_e64 v18, v18, v55, s[92:93]
	;; [unrolled: 1-line block ×15, first 2 shown]
	v_cmp_eq_u32_e64 s[44:45], 2, v79
	v_cndmask_b32_e64 v56, v56, v10, s[0:1]
	v_cmp_eq_u32_e64 s[42:43], 3, v79
	v_cndmask_b32_e64 v55, v55, v30, s[44:45]
	v_cndmask_b32_e64 v56, v56, v11, s[86:87]
	v_cndmask_b32_e64 v55, v55, v29, s[42:43]
	v_cmp_eq_u32_e64 s[38:39], 4, v79
	v_cndmask_b32_e64 v56, v56, v12, s[90:91]
	v_cmp_eq_u32_e64 s[36:37], 5, v79
	v_cndmask_b32_e64 v55, v55, v28, s[38:39]
	v_cndmask_b32_e64 v56, v56, v13, s[88:89]
	v_cndmask_b32_e64 v55, v55, v27, s[36:37]
	;; [unrolled: 6-line block ×3, first 2 shown]
	v_cmp_eq_u32_e64 s[28:29], 8, v79
	ds_bpermute_b32 v56, v96, v56
	v_cmp_eq_u32_e64 s[26:27], 9, v79
	v_cndmask_b32_e64 v55, v55, v24, s[28:29]
	v_cmp_eq_u32_e64 s[24:25], 10, v79
	v_cndmask_b32_e64 v55, v55, v23, s[26:27]
	;; [unrolled: 2-line block ×4, first 2 shown]
	s_waitcnt lgkmcnt(0)
	v_cndmask_b32_e64 v15, v15, v56, s[82:83]
	v_cndmask_b32_e64 v55, v55, v20, s[58:59]
	v_cmp_eq_u32_e64 s[82:83], 13, v79
	v_cndmask_b32_e64 v14, v14, v56, s[84:85]
	v_cmp_eq_u32_e64 s[84:85], 14, v79
	v_cndmask_b32_e64 v55, v55, v19, s[82:83]
	v_cndmask_b32_e64 v1, v1, v56, s[4:5]
	;; [unrolled: 1-line block ×6, first 2 shown]
	v_cmp_eq_u32_e64 s[90:91], 15, v79
	v_cndmask_b32_e64 v11, v11, v56, s[86:87]
	v_cndmask_b32_e64 v10, v10, v56, s[0:1]
	v_cndmask_b32_e32 v9, v9, v56, vcc
	v_cndmask_b32_e64 v8, v8, v56, s[98:99]
	v_cndmask_b32_e64 v7, v7, v56, s[96:97]
	;; [unrolled: 1-line block ×10, first 2 shown]
	ds_bpermute_b32 v55, v96, v55
	v_cndmask_b32_e64 v56, v56, v3, s[74:75]
	v_cndmask_b32_e64 v56, v56, v4, s[72:73]
	;; [unrolled: 1-line block ×4, first 2 shown]
	v_cmp_eq_u32_e64 s[54:55], 0, v79
	v_cndmask_b32_e64 v56, v56, v7, s[60:61]
	s_waitcnt lgkmcnt(0)
	v_cndmask_b32_e64 v31, v31, v55, s[46:47]
	v_cndmask_b32_e64 v16, v16, v55, s[54:55]
	v_cmp_eq_u32_e64 s[0:1], 1, v80
	v_cndmask_b32_e64 v56, v56, v8, s[56:57]
	v_cndmask_b32_e64 v17, v17, v55, s[90:91]
	;; [unrolled: 1-line block ×16, first 2 shown]
	v_cmp_eq_u32_e64 s[2:3], 2, v80
	v_cndmask_b32_e64 v56, v56, v9, s[52:53]
	v_cmp_eq_u32_e64 s[98:99], 3, v80
	v_cndmask_b32_e64 v55, v55, v30, s[2:3]
	v_cndmask_b32_e64 v56, v56, v10, s[50:51]
	v_cndmask_b32_e64 v55, v55, v29, s[98:99]
	v_cmp_eq_u32_e64 s[96:97], 4, v80
	v_cndmask_b32_e64 v56, v56, v11, s[70:71]
	v_cmp_eq_u32_e64 s[14:15], 5, v80
	v_cndmask_b32_e64 v55, v55, v28, s[96:97]
	v_cndmask_b32_e64 v56, v56, v12, s[66:67]
	v_cndmask_b32_e64 v55, v55, v27, s[14:15]
	;; [unrolled: 6-line block ×3, first 2 shown]
	v_cmp_eq_u32_e64 s[8:9], 8, v80
	v_cndmask_b32_e64 v56, v56, v15, s[94:95]
	v_cmp_eq_u32_e64 s[6:7], 9, v80
	v_cndmask_b32_e64 v55, v55, v24, s[8:9]
	ds_bpermute_b32 v56, v96, v56
	v_cndmask_b32_e64 v55, v55, v23, s[6:7]
	v_cmp_eq_u32_e32 vcc, 10, v80
	v_cmp_eq_u32_e64 s[80:81], 11, v80
	v_cmp_eq_u32_e64 s[86:87], 12, v80
	v_cndmask_b32_e32 v55, v55, v22, vcc
	v_cndmask_b32_e64 v55, v55, v21, s[80:81]
	v_cndmask_b32_e64 v55, v55, v20, s[86:87]
	v_cmp_eq_u32_e64 s[88:89], 13, v80
	s_waitcnt lgkmcnt(0)
	v_cndmask_b32_e64 v13, v13, v56, s[62:63]
	v_cmp_eq_u32_e64 s[62:63], 14, v80
	v_cndmask_b32_e64 v55, v55, v19, s[88:89]
	v_cndmask_b32_e64 v12, v12, v56, s[66:67]
	;; [unrolled: 1-line block ×3, first 2 shown]
	v_cmp_eq_u32_e64 s[66:67], 15, v80
	v_cndmask_b32_e64 v57, v11, v56, s[70:71]
	v_cmp_eq_u32_e64 s[70:71], 0, v80
	v_cndmask_b32_e64 v55, v55, v17, s[66:67]
	ds_bpermute_b32 v55, v96, v55
	v_cndmask_b32_e64 v15, v15, v56, s[94:95]
	v_cndmask_b32_e64 v14, v14, v56, s[92:93]
	;; [unrolled: 1-line block ×4, first 2 shown]
	s_waitcnt lgkmcnt(0)
	v_cndmask_b32_e64 v17, v17, v55, s[66:67]
	v_cndmask_b32_e64 v18, v18, v55, s[62:63]
	;; [unrolled: 1-line block ×5, first 2 shown]
	v_cndmask_b32_e32 v22, v22, v55, vcc
	v_cndmask_b32_e64 v23, v23, v55, s[6:7]
	v_cndmask_b32_e64 v24, v24, v55, s[8:9]
	;; [unrolled: 1-line block ×28, first 2 shown]
	v_cmp_eq_u32_e64 s[50:51], 1, v81
	v_cndmask_b32_e64 v0, v0, v55, s[24:25]
	v_cmp_eq_u32_e64 s[52:53], 2, v81
	v_cndmask_b32_e64 v10, v16, v31, s[50:51]
	v_cndmask_b32_e64 v0, v0, v57, s[40:41]
	v_cndmask_b32_e64 v9, v10, v30, s[52:53]
	v_cmp_eq_u32_e64 s[56:57], 3, v81
	v_cndmask_b32_e64 v0, v0, v12, s[58:59]
	v_cmp_eq_u32_e64 s[60:61], 4, v81
	v_cndmask_b32_e64 v8, v9, v29, s[56:57]
	v_cndmask_b32_e64 v0, v0, v13, s[82:83]
	v_cndmask_b32_e64 v7, v8, v28, s[60:61]
	;; [unrolled: 6-line block ×3, first 2 shown]
	v_cmp_eq_u32_e64 s[72:73], 7, v81
	ds_bpermute_b32 v67, v96, v0
	v_cmp_eq_u32_e64 s[74:75], 8, v81
	v_cndmask_b32_e64 v4, v5, v25, s[72:73]
	v_cmp_eq_u32_e64 s[76:77], 9, v81
	v_cndmask_b32_e64 v3, v4, v24, s[74:75]
	;; [unrolled: 2-line block ×4, first 2 shown]
	s_waitcnt lgkmcnt(0)
	v_cndmask_b32_e64 v68, v15, v67, s[90:91]
	v_cndmask_b32_e64 v0, v0, v21, s[78:79]
	v_cmp_eq_u32_e64 s[90:91], 12, v81
	v_cndmask_b32_e64 v69, v14, v67, s[84:85]
	v_cmp_eq_u32_e64 s[84:85], 13, v81
	v_cndmask_b32_e64 v0, v0, v20, s[90:91]
	v_cndmask_b32_e64 v98, v13, v67, s[82:83]
	;; [unrolled: 1-line block ×3, first 2 shown]
	v_cmp_eq_u32_e64 s[82:83], 14, v81
	v_cndmask_b32_e64 v99, v12, v67, s[58:59]
	v_cmp_eq_u32_e64 s[58:59], 15, v81
	v_cndmask_b32_e64 v0, v0, v18, s[82:83]
	s_nop 0
	v_cndmask_b32_e64 v0, v0, v17, s[58:59]
	ds_bpermute_b32 v1, v96, v0
	s_waitcnt lgkmcnt(0)
	v_cndmask_b32_e64 v12, v27, v1, s[64:65]
	v_cndmask_b32_e64 v13, v28, v1, s[60:61]
	;; [unrolled: 1-line block ×29, first 2 shown]
	v_cmp_eq_u32_e64 s[40:41], 0, v81
	v_cndmask_b32_e64 v19, v58, v67, s[26:27]
	v_cndmask_b32_e64 v29, v29, v20, s[8:9]
	;; [unrolled: 1-line block ×8, first 2 shown]
	v_cndmask_b32_e32 v29, v29, v16, vcc
	v_cndmask_b32_e64 v29, v29, v17, s[80:81]
	v_cndmask_b32_e64 v29, v29, v99, s[86:87]
	;; [unrolled: 1-line block ×5, first 2 shown]
	ds_bpermute_b32 v29, v96, v29
	v_cmp_eq_u32_e64 s[24:25], 1, v82
	v_cmp_eq_u32_e64 s[26:27], 2, v82
	;; [unrolled: 1-line block ×3, first 2 shown]
	v_cndmask_b32_e64 v18, v1, v0, s[24:25]
	s_waitcnt lgkmcnt(0)
	v_cndmask_b32_e64 v65, v27, v29, s[0:1]
	v_cndmask_b32_e64 v66, v28, v29, s[70:71]
	;; [unrolled: 1-line block ×18, first 2 shown]
	v_cndmask_b32_e32 v16, v16, v29, vcc
	v_cndmask_b32_e64 v19, v19, v57, s[76:77]
	v_cndmask_b32_e64 v17, v17, v29, s[80:81]
	v_cndmask_b32_e64 v19, v19, v16, s[48:49]
	v_cndmask_b32_e64 v56, v99, v29, s[86:87]
	v_cndmask_b32_e64 v19, v19, v17, s[78:79]
	v_cndmask_b32_e64 v55, v98, v29, s[88:89]
	v_cndmask_b32_e64 v19, v19, v56, s[90:91]
	v_cndmask_b32_e64 v31, v69, v29, s[62:63]
	v_cndmask_b32_e64 v19, v19, v55, s[84:85]
	v_cndmask_b32_e64 v30, v68, v29, s[66:67]
	v_cndmask_b32_e64 v19, v19, v31, s[82:83]
	v_cndmask_b32_e64 v19, v19, v30, s[58:59]
	ds_bpermute_b32 v67, v96, v19
	v_cndmask_b32_e64 v18, v18, v15, s[26:27]
	v_cndmask_b32_e64 v18, v18, v14, s[28:29]
	v_cmp_eq_u32_e64 s[30:31], 4, v82
	v_cmp_eq_u32_e64 s[34:35], 5, v82
	s_waitcnt lgkmcnt(0)
	v_cndmask_b32_e64 v23, v17, v67, s[78:79]
	v_cndmask_b32_e64 v24, v16, v67, s[48:49]
	;; [unrolled: 1-line block ×18, first 2 shown]
	v_cmp_eq_u32_e64 s[36:37], 6, v82
	v_cndmask_b32_e64 v28, v60, v67, s[68:69]
	v_cndmask_b32_e64 v56, v56, v29, s[34:35]
	v_cndmask_b32_e64 v18, v18, v11, s[36:37]
	v_cmp_eq_u32_e64 s[38:39], 7, v82
	v_cndmask_b32_e64 v27, v59, v67, s[72:73]
	v_cndmask_b32_e64 v56, v56, v28, s[36:37]
	v_cndmask_b32_e64 v18, v18, v10, s[38:39]
	v_cmp_eq_u32_e64 s[42:43], 8, v82
	v_cndmask_b32_e64 v26, v58, v67, s[74:75]
	v_cndmask_b32_e64 v56, v56, v27, s[38:39]
	v_cndmask_b32_e64 v18, v18, v9, s[42:43]
	v_cmp_eq_u32_e64 s[44:45], 9, v82
	v_cndmask_b32_e64 v25, v57, v67, s[76:77]
	v_cndmask_b32_e64 v56, v56, v26, s[42:43]
	v_cndmask_b32_e64 v18, v18, v8, s[44:45]
	v_cmp_eq_u32_e64 s[46:47], 10, v82
	v_cndmask_b32_e64 v56, v56, v25, s[44:45]
	v_cmp_eq_u32_e64 s[54:55], 11, v82
	v_cndmask_b32_e64 v18, v18, v7, s[46:47]
	v_cndmask_b32_e64 v56, v56, v24, s[46:47]
	;; [unrolled: 1-line block ×3, first 2 shown]
	v_cmp_eq_u32_e64 s[66:67], 12, v82
	v_cndmask_b32_e64 v56, v56, v23, s[54:55]
	v_cmp_eq_u32_e64 s[62:63], 13, v82
	v_cndmask_b32_e64 v18, v18, v5, s[66:67]
	v_cndmask_b32_e64 v56, v56, v22, s[66:67]
	v_cndmask_b32_e64 v18, v18, v4, s[62:63]
	v_cmp_eq_u32_e32 vcc, 14, v82
	v_cndmask_b32_e64 v56, v56, v21, s[62:63]
	v_cmp_eq_u32_e64 s[6:7], 15, v82
	v_cndmask_b32_e32 v18, v18, v3, vcc
	v_cndmask_b32_e32 v56, v56, v20, vcc
	v_cndmask_b32_e64 v18, v18, v2, s[6:7]
	v_cndmask_b32_e64 v56, v56, v19, s[6:7]
	ds_bpermute_b32 v18, v96, v18
	ds_bpermute_b32 v58, v96, v56
	v_readlane_b32 s53, v107, 34
	s_nop 1
	v_cmp_lt_i32_e32 vcc, s53, v84
	s_and_saveexec_b64 s[40:41], vcc
	v_readlane_b32 s44, v107, 2
	v_readlane_b32 s45, v107, 3
	v_readlane_b32 s46, v107, 4
	v_readlane_b32 s47, v107, 5
	v_readlane_b32 s48, v107, 6
	v_readlane_b32 s49, v107, 7
	v_readlane_b32 s50, v107, 8
	v_readlane_b32 s51, v107, 9
	v_readlane_b32 s52, v107, 36
	v_readlane_b32 s54, v107, 30
	v_readlane_b32 s55, v107, 31
	s_cbranch_execz .LBB52_32
; %bb.24:                               ;   in Loop: Header=BB52_7 Depth=1
	s_mul_i32 s0, s52, s17
	s_ashr_i32 s1, s0, 31
	s_lshl_b64 s[0:1], s[0:1], 1
	s_add_u32 s2, s48, s0
	v_cmp_eq_u32_e64 s[34:35], 1, v82
	v_cmp_eq_u32_e64 s[36:37], 0, v82
	s_addc_u32 s3, s49, s1
	s_ashr_i32 s55, s54, 31
	s_waitcnt lgkmcnt(1)
	v_cndmask_b32_e64 v56, v0, v18, s[34:35]
	v_cndmask_b32_e64 v57, v1, v18, s[36:37]
	s_lshl_b64 s[0:1], s[54:55], 1
	s_waitcnt lgkmcnt(0)
	v_cndmask_b32_e64 v59, v16, v58, s[34:35]
	v_cndmask_b32_e64 v60, v17, v58, s[36:37]
	v_cvt_f16_f32_e32 v57, v57
	v_cvt_f16_f32_sdwa v56, v56 dst_sel:WORD_1 dst_unused:UNUSED_PAD src0_sel:DWORD
	s_add_u32 s42, s2, s0
	v_cvt_f16_f32_e32 v60, v60
	v_cvt_f16_f32_sdwa v59, v59 dst_sel:WORD_1 dst_unused:UNUSED_PAD src0_sel:DWORD
	s_addc_u32 s43, s3, s1
	v_lshl_add_u64 v[0:1], s[42:43], 0, v[32:33]
	v_cmp_eq_u32_e32 vcc, 15, v82
	v_cmp_eq_u32_e64 s[6:7], 14, v82
	v_cmp_eq_u32_e64 s[8:9], 13, v82
	;; [unrolled: 1-line block ×13, first 2 shown]
	v_lshl_add_u64 v[16:17], v[34:35], 1, v[0:1]
	v_or_b32_e32 v56, v56, v57
	v_cmp_lt_i32_e64 s[34:35], s53, v85
	;;#ASMSTART
	global_atomic_pk_add_f16 v[16:17], v56, off
	
	;;#ASMEND
	v_lshl_add_u64 v[16:17], v[16:17], 0, 64
	v_or_b32_e32 v56, v59, v60
	;;#ASMSTART
	global_atomic_pk_add_f16 v[16:17], v56, off
	
	;;#ASMEND
	s_and_b64 exec, exec, s[34:35]
	s_cbranch_execz .LBB52_32
; %bb.25:                               ;   in Loop: Header=BB52_7 Depth=1
	v_cndmask_b32_e32 v2, v2, v18, vcc
	v_cndmask_b32_e64 v3, v3, v18, s[6:7]
	v_cndmask_b32_e64 v16, v4, v18, s[8:9]
	;; [unrolled: 1-line block ×19, first 2 shown]
	v_cvt_f16_f32_e32 v22, v18
	v_cvt_f16_f32_sdwa v23, v65 dst_sel:WORD_1 dst_unused:UNUSED_PAD src0_sel:DWORD
	v_cvt_f16_f32_e32 v21, v21
	v_cvt_f16_f32_sdwa v20, v20 dst_sel:WORD_1 dst_unused:UNUSED_PAD src0_sel:DWORD
	v_cndmask_b32_e32 v4, v19, v58, vcc
	v_cndmask_b32_e64 v9, v24, v58, s[14:15]
	v_cndmask_b32_e64 v10, v25, v58, s[0:1]
	;; [unrolled: 1-line block ×7, first 2 shown]
	v_lshl_add_u64 v[18:19], v[36:37], 1, v[0:1]
	v_cmp_lt_i32_e32 vcc, s53, v86
	v_or_b32_e32 v22, v23, v22
	;;#ASMSTART
	global_atomic_pk_add_f16 v[18:19], v22, off
	
	;;#ASMEND
	v_lshl_add_u64 v[18:19], v[18:19], 0, 64
	v_or_b32_e32 v20, v20, v21
	;;#ASMSTART
	global_atomic_pk_add_f16 v[18:19], v20, off
	
	;;#ASMEND
	s_and_b64 exec, exec, vcc
	s_cbranch_execz .LBB52_32
; %bb.26:                               ;   in Loop: Header=BB52_7 Depth=1
	v_cvt_f16_f32_e32 v20, v64
	v_cvt_f16_f32_sdwa v21, v63 dst_sel:WORD_1 dst_unused:UNUSED_PAD src0_sel:DWORD
	v_cvt_f16_f32_e32 v22, v15
	v_cvt_f16_f32_sdwa v23, v14 dst_sel:WORD_1 dst_unused:UNUSED_PAD src0_sel:DWORD
	v_lshl_add_u64 v[18:19], v[38:39], 1, v[0:1]
	v_or_b32_e32 v14, v21, v20
	v_cmp_lt_i32_e32 vcc, s53, v87
	;;#ASMSTART
	global_atomic_pk_add_f16 v[18:19], v14, off
	
	;;#ASMEND
	v_lshl_add_u64 v[14:15], v[18:19], 0, 64
	v_or_b32_e32 v18, v23, v22
	;;#ASMSTART
	global_atomic_pk_add_f16 v[14:15], v18, off
	
	;;#ASMEND
	s_and_b64 exec, exec, vcc
	s_cbranch_execz .LBB52_32
; %bb.27:                               ;   in Loop: Header=BB52_7 Depth=1
	v_cvt_f16_f32_e32 v18, v62
	v_cvt_f16_f32_sdwa v19, v61 dst_sel:WORD_1 dst_unused:UNUSED_PAD src0_sel:DWORD
	v_cvt_f16_f32_e32 v20, v13
	v_cvt_f16_f32_sdwa v21, v12 dst_sel:WORD_1 dst_unused:UNUSED_PAD src0_sel:DWORD
	v_lshl_add_u64 v[14:15], v[40:41], 1, v[0:1]
	v_or_b32_e32 v12, v19, v18
	v_cmp_lt_i32_e32 vcc, s53, v88
	;; [unrolled: 20-line block ×5, first 2 shown]
	;;#ASMSTART
	global_atomic_pk_add_f16 v[8:9], v6, off
	
	;;#ASMEND
	v_lshl_add_u64 v[6:7], v[8:9], 0, 64
	v_or_b32_e32 v8, v13, v12
	;;#ASMSTART
	global_atomic_pk_add_f16 v[6:7], v8, off
	
	;;#ASMEND
	s_and_b64 exec, exec, vcc
	s_cbranch_execz .LBB52_32
; %bb.31:                               ;   in Loop: Header=BB52_7 Depth=1
	v_cvt_f16_f32_e32 v3, v3
	v_cvt_f16_f32_sdwa v2, v2 dst_sel:WORD_1 dst_unused:UNUSED_PAD src0_sel:DWORD
	v_cvt_f16_f32_e32 v5, v5
	v_cvt_f16_f32_sdwa v4, v4 dst_sel:WORD_1 dst_unused:UNUSED_PAD src0_sel:DWORD
	v_lshl_add_u64 v[0:1], v[48:49], 1, v[0:1]
	v_or_b32_e32 v2, v2, v3
	;;#ASMSTART
	global_atomic_pk_add_f16 v[0:1], v2, off
	
	;;#ASMEND
	v_lshl_add_u64 v[0:1], v[0:1], 0, 64
	v_or_b32_e32 v2, v4, v5
	;;#ASMSTART
	global_atomic_pk_add_f16 v[0:1], v2, off
	
	;;#ASMEND
.LBB52_32:                              ;   in Loop: Header=BB52_7 Depth=1
	s_or_b64 exec, exec, s[40:41]
	v_readlane_b32 s14, v107, 10
	v_readlane_b32 s24, v107, 12
	;; [unrolled: 1-line block ×6, first 2 shown]
	v_subrev_u32_e32 v97, s20, v97
	v_readlane_b32 s11, v107, 0
	v_readlane_b32 s12, v107, 1
	;; [unrolled: 1-line block ×19, first 2 shown]
.LBB52_33:                              ;   in Loop: Header=BB52_7 Depth=1
	s_or_b64 exec, exec, s[2:3]
.LBB52_34:                              ;   in Loop: Header=BB52_7 Depth=1
	s_andn2_saveexec_b64 s[0:1], s[4:5]
	s_cbranch_execz .LBB52_43
; %bb.35:                               ;   in Loop: Header=BB52_7 Depth=1
	s_lshl_b32 s10, s20, 1
	v_cmp_gt_i32_e32 vcc, s10, v97
	s_and_saveexec_b64 s[2:3], vcc
	s_cbranch_execz .LBB52_42
; %bb.36:                               ;   in Loop: Header=BB52_7 Depth=1
	s_mul_i32 s4, s54, s19
	s_ashr_i32 s5, s4, 31
	s_add_u32 s4, s46, s4
	s_addc_u32 s5, s47, s5
	s_ashr_i32 s6, s39, 31
	s_add_u32 s4, s4, s39
	s_addc_u32 s5, s5, s6
	v_lshl_add_u64 v[0:1], s[4:5], 0, v[52:53]
	v_lshl_add_u64 v[16:17], v[0:1], 0, v[50:51]
	s_mov_b64 s[4:5], 0
	s_branch .LBB52_38
.LBB52_37:                              ;   in Loop: Header=BB52_38 Depth=2
	s_or_b64 exec, exec, s[6:7]
	v_lshl_or_b32 v20, v18, 12, v92
	;;#ASMSTART
	s_waitcnt vmcnt(3)
	;;#ASMEND
	ds_write2_b32 v20, v12, v13 offset1:32
	ds_write2_b32 v20, v14, v15 offset0:64 offset1:96
	v_add_u32_e32 v12, 0x400, v20
	;;#ASMSTART
	s_waitcnt vmcnt(2)
	;;#ASMEND
	ds_write2_b32 v12, v8, v9 offset1:32
	ds_write2_b32 v12, v10, v11 offset0:64 offset1:96
	v_add_u32_e32 v8, 0x800, v20
	;; [unrolled: 6-line block ×3, first 2 shown]
	v_add_u32_e32 v97, s22, v97
	;;#ASMSTART
	s_waitcnt vmcnt(0)
	;;#ASMEND
	ds_write2_b32 v4, v0, v1 offset1:32
	ds_write2_b32 v4, v2, v3 offset0:64 offset1:96
	v_add_u32_e32 v0, 1, v71
	v_add_u32_e32 v54, s22, v18
	v_cmp_le_i32_e32 vcc, s10, v97
	ds_write_b32 v19, v0 offset:12
	v_add_u32_e32 v0, 2, v71
	s_or_b64 s[4:5], vcc, s[4:5]
	v_cmp_lt_i32_e32 vcc, 5, v54
	s_nop 1
	v_cndmask_b32_e32 v71, v71, v0, vcc
	s_andn2_b64 exec, exec, s[4:5]
	s_cbranch_execz .LBB52_41
.LBB52_38:                              ;   Parent Loop BB52_7 Depth=1
                                        ; =>  This Loop Header: Depth=2
                                        ;       Child Loop BB52_40 Depth 3
	v_cmp_gt_i32_e32 vcc, 6, v54
	s_nop 1
	v_cndmask_b32_e64 v0, -6, 0, vcc
	s_waitcnt lgkmcnt(1)
	v_add_u32_e32 v18, v0, v54
	v_lshrrev_b32_e32 v0, 31, v97
	v_add_u32_e32 v0, v97, v0
	v_and_b32_e32 v1, -2, v0
	v_lshlrev_b32_e32 v0, 6, v0
	v_sub_u32_e32 v2, v97, v1
	v_and_b32_e32 v0, 0xffffff80, v0
	v_ashrrev_i32_e32 v1, 31, v0
	v_mul_lo_u32 v2, s31, v2
	v_lshl_add_u64 v[0:1], v[16:17], 0, v[0:1]
	v_ashrrev_i32_e32 v3, 31, v2
	v_lshl_add_u64 v[0:1], v[0:1], 0, v[2:3]
	v_lshlrev_b32_e32 v19, 2, v18
	;;#ASMSTART
	global_load_dwordx4 v[12:15], v[0:1], off offset:0   sc0 sc1 nt  
	global_load_dwordx4 v[8:11], v[0:1], off offset:32  sc0 sc1 nt  
	global_load_dwordx4 v[4:7], v[0:1], off offset:64  sc0 sc1 nt  
	;; [unrolled: 1-line block ×3, first 2 shown]
	
	;;#ASMEND
	ds_read_b32 v20, v19 offset:36876
	v_add_u32_e32 v19, 0x9000, v19
	s_waitcnt lgkmcnt(0)
	v_cmp_ne_u32_e32 vcc, v20, v71
	s_and_saveexec_b64 s[6:7], vcc
	s_cbranch_execz .LBB52_37
; %bb.39:                               ;   in Loop: Header=BB52_38 Depth=2
	s_mov_b64 s[8:9], 0
.LBB52_40:                              ;   Parent Loop BB52_7 Depth=1
                                        ;     Parent Loop BB52_38 Depth=2
                                        ; =>    This Inner Loop Header: Depth=3
	;;#ASMSTART
	s_sleep 0
	;;#ASMEND
	ds_read_b32 v20, v19 offset:12
	s_waitcnt lgkmcnt(0)
	v_cmp_eq_u32_e32 vcc, v20, v71
	s_or_b64 s[8:9], vcc, s[8:9]
	s_andn2_b64 exec, exec, s[8:9]
	s_cbranch_execnz .LBB52_40
	s_branch .LBB52_37
.LBB52_41:                              ;   in Loop: Header=BB52_7 Depth=1
	s_or_b64 exec, exec, s[4:5]
.LBB52_42:                              ;   in Loop: Header=BB52_7 Depth=1
	s_or_b64 exec, exec, s[2:3]
	v_subrev_u32_e32 v97, s10, v97
.LBB52_43:                              ;   in Loop: Header=BB52_7 Depth=1
	s_or_b64 exec, exec, s[0:1]
.LBB52_44:                              ;   in Loop: Header=BB52_7 Depth=1
	s_andn2_saveexec_b64 s[0:1], s[40:41]
	s_cbranch_execz .LBB52_6
; %bb.45:                               ;   in Loop: Header=BB52_7 Depth=1
	v_cmp_gt_i32_e32 vcc, s20, v97
	s_and_saveexec_b64 s[2:3], vcc
	s_cbranch_execz .LBB52_5
; %bb.46:                               ;   in Loop: Header=BB52_7 Depth=1
	s_mul_i32 s4, s52, s18
	s_ashr_i32 s5, s4, 31
	s_add_u32 s4, s44, s4
	s_addc_u32 s5, s45, s5
	s_ashr_i32 s6, s39, 31
	v_cmp_le_i32_e32 vcc, s53, v93
	s_add_u32 s4, s4, s39
	s_addc_u32 s5, s5, s6
	v_cndmask_b32_e32 v0, 0, v94, vcc
	v_ashrrev_i32_e32 v1, 31, v0
	v_lshl_add_u64 v[0:1], s[4:5], 0, v[0:1]
	v_lshl_add_u64 v[16:17], v[0:1], 0, v[50:51]
	s_mov_b64 s[4:5], 0
	s_branch .LBB52_48
.LBB52_47:                              ;   in Loop: Header=BB52_48 Depth=2
	s_or_b64 exec, exec, s[6:7]
	v_lshl_add_u32 v20, v18, 12, v95
	;;#ASMSTART
	s_waitcnt vmcnt(3)
	;;#ASMEND
	ds_write2_b32 v20, v12, v13 offset1:32
	ds_write2_b32 v20, v14, v15 offset0:64 offset1:96
	v_add_u32_e32 v12, 0x400, v20
	;;#ASMSTART
	s_waitcnt vmcnt(2)
	;;#ASMEND
	ds_write2_b32 v12, v8, v9 offset1:32
	ds_write2_b32 v12, v10, v11 offset0:64 offset1:96
	v_add_u32_e32 v8, 0x800, v20
	;; [unrolled: 6-line block ×3, first 2 shown]
	v_add_u32_e32 v97, s21, v97
	;;#ASMSTART
	s_waitcnt vmcnt(0)
	;;#ASMEND
	ds_write2_b32 v4, v0, v1 offset1:32
	ds_write2_b32 v4, v2, v3 offset0:64 offset1:96
	v_add_u32_e32 v0, 1, v71
	v_add_u32_e32 v54, s21, v18
	v_cmp_le_i32_e32 vcc, s20, v97
	ds_write_b32 v19, v0
	v_add_u32_e32 v0, 2, v71
	s_or_b64 s[4:5], vcc, s[4:5]
	v_cmp_lt_i32_e32 vcc, 2, v54
	s_nop 1
	v_cndmask_b32_e32 v71, v71, v0, vcc
	s_andn2_b64 exec, exec, s[4:5]
	s_cbranch_execz .LBB52_4
.LBB52_48:                              ;   Parent Loop BB52_7 Depth=1
                                        ; =>  This Loop Header: Depth=2
                                        ;       Child Loop BB52_50 Depth 3
	v_cmp_gt_i32_e32 vcc, 3, v54
	s_nop 1
	v_cndmask_b32_e64 v0, -3, 0, vcc
	s_waitcnt lgkmcnt(1)
	v_add_u32_e32 v18, v0, v54
	v_lshlrev_b32_e32 v0, 7, v97
	v_ashrrev_i32_e32 v1, 31, v0
	v_lshl_add_u64 v[0:1], v[16:17], 0, v[0:1]
	v_lshlrev_b32_e32 v19, 2, v18
	;;#ASMSTART
	global_load_dwordx4 v[12:15], v[0:1], off offset:0   
	global_load_dwordx4 v[8:11], v[0:1], off offset:32  
	;; [unrolled: 1-line block ×4, first 2 shown]
	
	;;#ASMEND
	ds_read_b32 v20, v19 offset:36864
	v_add_u32_e32 v19, 0x9000, v19
	s_waitcnt lgkmcnt(0)
	v_cmp_ne_u32_e32 vcc, v20, v71
	s_and_saveexec_b64 s[6:7], vcc
	s_cbranch_execz .LBB52_47
; %bb.49:                               ;   in Loop: Header=BB52_48 Depth=2
	s_mov_b64 s[8:9], 0
.LBB52_50:                              ;   Parent Loop BB52_7 Depth=1
                                        ;     Parent Loop BB52_48 Depth=2
                                        ; =>    This Inner Loop Header: Depth=3
	;;#ASMSTART
	s_sleep 0
	;;#ASMEND
	ds_read_b32 v20, v19
	s_waitcnt lgkmcnt(0)
	v_cmp_eq_u32_e32 vcc, v20, v71
	s_or_b64 s[8:9], vcc, s[8:9]
	s_andn2_b64 exec, exec, s[8:9]
	s_cbranch_execnz .LBB52_50
	s_branch .LBB52_47
.LBB52_51:
	s_endpgm
	.section	.rodata,"a",@progbits
	.p2align	6, 0x0
	.amdhsa_kernel _Z19_skinny_gemm_kernelILi1ELi2ELi3ELi32ELi8EEvPKhS1_P6__halfPKfiiiiiiii
		.amdhsa_group_segment_fixed_size 36900
		.amdhsa_private_segment_fixed_size 0
		.amdhsa_kernarg_size 64
		.amdhsa_user_sgpr_count 2
		.amdhsa_user_sgpr_dispatch_ptr 0
		.amdhsa_user_sgpr_queue_ptr 0
		.amdhsa_user_sgpr_kernarg_segment_ptr 1
		.amdhsa_user_sgpr_dispatch_id 0
		.amdhsa_user_sgpr_kernarg_preload_length 0
		.amdhsa_user_sgpr_kernarg_preload_offset 0
		.amdhsa_user_sgpr_private_segment_size 0
		.amdhsa_uses_dynamic_stack 0
		.amdhsa_enable_private_segment 0
		.amdhsa_system_sgpr_workgroup_id_x 1
		.amdhsa_system_sgpr_workgroup_id_y 0
		.amdhsa_system_sgpr_workgroup_id_z 0
		.amdhsa_system_sgpr_workgroup_info 0
		.amdhsa_system_vgpr_workitem_id 0
		.amdhsa_next_free_vgpr 108
		.amdhsa_next_free_sgpr 100
		.amdhsa_accum_offset 108
		.amdhsa_reserve_vcc 1
		.amdhsa_float_round_mode_32 0
		.amdhsa_float_round_mode_16_64 0
		.amdhsa_float_denorm_mode_32 3
		.amdhsa_float_denorm_mode_16_64 3
		.amdhsa_dx10_clamp 1
		.amdhsa_ieee_mode 1
		.amdhsa_fp16_overflow 0
		.amdhsa_tg_split 0
		.amdhsa_exception_fp_ieee_invalid_op 0
		.amdhsa_exception_fp_denorm_src 0
		.amdhsa_exception_fp_ieee_div_zero 0
		.amdhsa_exception_fp_ieee_overflow 0
		.amdhsa_exception_fp_ieee_underflow 0
		.amdhsa_exception_fp_ieee_inexact 0
		.amdhsa_exception_int_div_zero 0
	.end_amdhsa_kernel
	.section	.text._Z19_skinny_gemm_kernelILi1ELi2ELi3ELi32ELi8EEvPKhS1_P6__halfPKfiiiiiiii,"axG",@progbits,_Z19_skinny_gemm_kernelILi1ELi2ELi3ELi32ELi8EEvPKhS1_P6__halfPKfiiiiiiii,comdat
.Lfunc_end52:
	.size	_Z19_skinny_gemm_kernelILi1ELi2ELi3ELi32ELi8EEvPKhS1_P6__halfPKfiiiiiiii, .Lfunc_end52-_Z19_skinny_gemm_kernelILi1ELi2ELi3ELi32ELi8EEvPKhS1_P6__halfPKfiiiiiiii
                                        ; -- End function
	.set _Z19_skinny_gemm_kernelILi1ELi2ELi3ELi32ELi8EEvPKhS1_P6__halfPKfiiiiiiii.num_vgpr, 108
	.set _Z19_skinny_gemm_kernelILi1ELi2ELi3ELi32ELi8EEvPKhS1_P6__halfPKfiiiiiiii.num_agpr, 0
	.set _Z19_skinny_gemm_kernelILi1ELi2ELi3ELi32ELi8EEvPKhS1_P6__halfPKfiiiiiiii.numbered_sgpr, 100
	.set _Z19_skinny_gemm_kernelILi1ELi2ELi3ELi32ELi8EEvPKhS1_P6__halfPKfiiiiiiii.num_named_barrier, 0
	.set _Z19_skinny_gemm_kernelILi1ELi2ELi3ELi32ELi8EEvPKhS1_P6__halfPKfiiiiiiii.private_seg_size, 0
	.set _Z19_skinny_gemm_kernelILi1ELi2ELi3ELi32ELi8EEvPKhS1_P6__halfPKfiiiiiiii.uses_vcc, 1
	.set _Z19_skinny_gemm_kernelILi1ELi2ELi3ELi32ELi8EEvPKhS1_P6__halfPKfiiiiiiii.uses_flat_scratch, 0
	.set _Z19_skinny_gemm_kernelILi1ELi2ELi3ELi32ELi8EEvPKhS1_P6__halfPKfiiiiiiii.has_dyn_sized_stack, 0
	.set _Z19_skinny_gemm_kernelILi1ELi2ELi3ELi32ELi8EEvPKhS1_P6__halfPKfiiiiiiii.has_recursion, 0
	.set _Z19_skinny_gemm_kernelILi1ELi2ELi3ELi32ELi8EEvPKhS1_P6__halfPKfiiiiiiii.has_indirect_call, 0
	.section	.AMDGPU.csdata,"",@progbits
; Kernel info:
; codeLenInByte = 10056
; TotalNumSgprs: 106
; NumVgprs: 108
; NumAgprs: 0
; TotalNumVgprs: 108
; ScratchSize: 0
; MemoryBound: 0
; FloatMode: 240
; IeeeMode: 1
; LDSByteSize: 36900 bytes/workgroup (compile time only)
; SGPRBlocks: 13
; VGPRBlocks: 13
; NumSGPRsForWavesPerEU: 106
; NumVGPRsForWavesPerEU: 108
; AccumOffset: 108
; Occupancy: 4
; WaveLimiterHint : 0
; COMPUTE_PGM_RSRC2:SCRATCH_EN: 0
; COMPUTE_PGM_RSRC2:USER_SGPR: 2
; COMPUTE_PGM_RSRC2:TRAP_HANDLER: 0
; COMPUTE_PGM_RSRC2:TGID_X_EN: 1
; COMPUTE_PGM_RSRC2:TGID_Y_EN: 0
; COMPUTE_PGM_RSRC2:TGID_Z_EN: 0
; COMPUTE_PGM_RSRC2:TIDIG_COMP_CNT: 0
; COMPUTE_PGM_RSRC3_GFX90A:ACCUM_OFFSET: 26
; COMPUTE_PGM_RSRC3_GFX90A:TG_SPLIT: 0
	.section	.text._Z19_skinny_gemm_kernelILi1ELi2ELi4ELi8ELi4EEvPKhS1_P6__halfPKfiiiiiiii,"axG",@progbits,_Z19_skinny_gemm_kernelILi1ELi2ELi4ELi8ELi4EEvPKhS1_P6__halfPKfiiiiiiii,comdat
	.protected	_Z19_skinny_gemm_kernelILi1ELi2ELi4ELi8ELi4EEvPKhS1_P6__halfPKfiiiiiiii ; -- Begin function _Z19_skinny_gemm_kernelILi1ELi2ELi4ELi8ELi4EEvPKhS1_P6__halfPKfiiiiiiii
	.globl	_Z19_skinny_gemm_kernelILi1ELi2ELi4ELi8ELi4EEvPKhS1_P6__halfPKfiiiiiiii
	.p2align	8
	.type	_Z19_skinny_gemm_kernelILi1ELi2ELi4ELi8ELi4EEvPKhS1_P6__halfPKfiiiiiiii,@function
_Z19_skinny_gemm_kernelILi1ELi2ELi4ELi8ELi4EEvPKhS1_P6__halfPKfiiiiiiii: ; @_Z19_skinny_gemm_kernelILi1ELi2ELi4ELi8ELi4EEvPKhS1_P6__halfPKfiiiiiiii
; %bb.0:
	v_cmp_gt_u32_e32 vcc, 12, v0
	v_lshlrev_b32_e32 v1, 2, v0
	s_and_saveexec_b64 s[4:5], vcc
; %bb.1:
	v_mov_b32_e32 v2, 0
	ds_write_b32 v1, v2 offset:40960
; %bb.2:
	s_or_b64 exec, exec, s[4:5]
	s_load_dwordx8 s[12:19], s[0:1], 0x20
	s_waitcnt lgkmcnt(0)
	s_barrier
	s_add_i32 s3, s12, 7
	s_ashr_i32 s5, s3, 31
	s_add_i32 s4, s13, 31
	s_lshr_b32 s5, s5, 29
	s_ashr_i32 s6, s4, 31
	s_add_i32 s3, s3, s5
	s_ashr_i32 s33, s3, 3
	s_lshr_b32 s3, s6, 27
	s_add_i32 s4, s4, s3
	s_ashr_i32 s42, s4, 5
	s_mul_i32 s3, s42, s33
	s_mul_i32 s3, s3, s16
	s_add_i32 s4, s3, 0x12f
	s_mul_hi_i32 s4, s4, 0x6bca1af3
	s_lshr_b32 s5, s4, 31
	s_ashr_i32 s4, s4, 7
	s_add_i32 s4, s4, s5
	s_add_i32 s5, s2, 1
	s_mul_i32 s5, s4, s5
	v_cvt_f64_i32_e32 v[2:3], s3
	v_cvt_f64_u32_e32 v[4:5], s5
	v_min_f64 v[2:3], v[2:3], v[4:5]
	v_cvt_i32_f64_e32 v17, v[2:3]
	s_mul_i32 s43, s4, s2
	v_cmp_ge_i32_e32 vcc, s43, v17
	s_cbranch_vccnz .LBB53_44
; %bb.3:
	v_lshrrev_b32_e32 v2, 6, v0
	s_add_i32 s4, s18, s17
	s_load_dwordx8 s[20:27], s[0:1], 0x0
	v_cmp_le_i32_e64 s[0:1], s4, v2
	v_mov_b32_e32 v3, s17
	v_cmp_le_i32_e64 s[2:3], s17, v2
	v_mov_b32_e32 v4, s18
	v_cndmask_b32_e64 v4, 0, v4, s[0:1]
	v_cndmask_b32_e64 v3, 0, v3, s[2:3]
	s_abs_i32 s5, s16
	v_add_u32_e32 v3, v3, v4
	v_cvt_f32_u32_e32 v4, s5
	v_sub_u32_e32 v10, v2, v3
	s_ashr_i32 s6, s14, 31
	s_lshr_b32 s6, s6, 24
	v_rcp_iflag_f32_e32 v3, v4
	s_sub_i32 s9, 0, s5
	s_add_i32 s6, s14, s6
	s_ashr_i32 s6, s6, 8
	v_mul_f32_e32 v3, 0x4f7ffffe, v3
	v_cvt_u32_f32_e32 v3, v3
	s_abs_i32 s8, s6
	s_xor_b32 s7, s6, s16
	s_ashr_i32 s7, s7, 31
	v_readfirstlane_b32 s10, v3
	s_mul_i32 s9, s9, s10
	s_mul_hi_u32 s9, s10, s9
	s_add_i32 s10, s10, s9
	s_mul_hi_u32 s9, s8, s10
	s_mul_i32 s10, s9, s5
	s_sub_i32 s8, s8, s10
	s_add_i32 s10, s9, 1
	s_sub_i32 s28, s8, s5
	s_cmp_ge_u32 s8, s5
	s_cselect_b32 s9, s10, s9
	s_cselect_b32 s8, s28, s8
	s_add_i32 s10, s9, 1
	s_cmp_ge_u32 s8, s5
	s_cselect_b32 s5, s10, s9
	s_xor_b32 s5, s5, s7
	s_sub_i32 s44, s5, s7
	s_add_i32 s16, s16, -1
	s_mul_i32 s5, s44, s16
	s_add_i32 s4, s4, s19
	s_sub_i32 s45, s6, s5
	v_cmp_gt_i32_e64 s[4:5], s4, v2
	v_and_b32_e32 v2, 1, v0
	v_lshlrev_b32_e32 v3, 1, v0
	v_and_b32_e32 v3, 0x7c, v3
	v_lshlrev_b32_e32 v4, 8, v2
	v_lshlrev_b32_e32 v5, 4, v0
	s_mov_b32 s7, 0x8000
	s_movk_i32 s6, 0x7c
	v_and_b32_e32 v6, 0x200, v5
	v_or3_b32 v32, v3, v4, s7
	v_lshrrev_b32_e32 v3, 3, v0
	v_cmp_eq_u32_e32 vcc, 0, v2
	v_and_or_b32 v33, v1, s6, v6
	v_lshlrev_b32_e32 v1, 1, v2
	v_and_or_b32 v2, v3, 6, v2
	v_sub_u32_e32 v36, 8, v2
	v_mul_lo_u32 v18, s13, v2
	v_bfe_u32 v2, v0, 2, 4
	v_lshlrev_b32_e32 v4, 8, v0
	v_lshlrev_b32_e32 v6, 6, v0
	v_mul_lo_u32 v24, s15, v2
	v_and_b32_e32 v2, 60, v0
	v_and_b32_e32 v4, 0x200, v4
	;; [unrolled: 1-line block ×3, first 2 shown]
	s_abs_i32 s47, s33
	v_or3_b32 v37, v2, v4, v6
	v_cvt_f32_u32_e32 v6, s47
	v_lshlrev_b32_e32 v4, 7, v0
	v_and_b32_e32 v16, 14, v0
	v_bitop3_b32 v34, v0, 1, v0 bitop3:0xc
	v_sub_u32_e32 v1, v0, v1
	v_bfe_u32 v2, v0, 3, 3
	v_and_b32_e32 v4, 0x200, v4
	v_lshlrev_b32_e32 v0, 5, v0
	v_lshl_or_b32 v4, v2, 2, v4
	v_and_b32_e32 v0, 0x60, v0
	v_or3_b32 v38, v4, v0, s7
	v_rcp_iflag_f32_e32 v0, v6
	s_abs_i32 s48, s42
	v_mul_lo_u32 v40, s14, v2
	v_cvt_f32_u32_e32 v2, s48
	v_mul_f32_e32 v0, 0x4f7ffffe, v0
	v_cvt_u32_f32_e32 v0, v0
	s_sub_i32 s6, 0, s47
	v_rcp_iflag_f32_e32 v2, v2
	v_add_u32_e32 v1, 1, v1
	v_readfirstlane_b32 s7, v0
	s_mul_i32 s6, s6, s7
	v_mul_f32_e32 v0, 0x4f7ffffe, v2
	v_cvt_u32_f32_e32 v0, v0
	s_mul_hi_u32 s6, s7, s6
	s_add_i32 s50, s7, s6
	s_sub_i32 s6, 0, s48
	v_readfirstlane_b32 s7, v0
	v_mbcnt_lo_u32_b32 v0, -1, 0
	v_and_b32_e32 v1, 63, v1
	s_mul_i32 s6, s6, s7
	v_mbcnt_hi_u32_b32 v0, -1, v0
	v_mov_b32_e32 v7, 0xeeee
	v_mov_b32_e32 v8, 0x4444
	;; [unrolled: 1-line block ×3, first 2 shown]
	s_mul_hi_u32 s6, s7, s6
	v_and_or_b32 v0, v0, 64, v1
	v_cndmask_b32_e64 v30, 0, 1, s[0:1]
	s_mov_b32 s11, 0
	v_cndmask_b32_e32 v31, v7, v8, vcc
	v_or_b32_e32 v35, 16, v16
	v_ashrrev_i32_e32 v19, 31, v18
	v_and_b32_e32 v22, 48, v5
	v_ashrrev_i32_e32 v25, 31, v24
	v_mov_b32_e32 v23, v21
	s_lshl_b32 s46, s15, 4
	v_bitop3_b32 v39, v3, 7, v3 bitop3:0xc
	v_and_b32_e32 v26, 0x70, v5
	v_mov_b32_e32 v27, v21
	s_lshl_b32 s10, s17, 8
	s_ashr_i32 s49, s33, 31
	s_ashr_i32 s51, s42, 31
	s_add_i32 s52, s7, s6
	v_lshlrev_b32_e32 v41, 2, v0
	v_lshlrev_b32_e32 v20, 1, v16
	v_mov_b32_e32 v42, v10
	s_branch .LBB53_7
.LBB53_4:                               ;   in Loop: Header=BB53_7 Depth=1
	s_or_b64 exec, exec, s[28:29]
.LBB53_5:                               ;   in Loop: Header=BB53_7 Depth=1
	s_or_b64 exec, exec, s[8:9]
	v_subrev_u32_e32 v42, s53, v42
.LBB53_6:                               ;   in Loop: Header=BB53_7 Depth=1
	s_or_b64 exec, exec, s[6:7]
	s_add_i32 s43, s43, 1
	v_cmp_ge_i32_e32 vcc, s43, v17
	s_cbranch_vccnz .LBB53_44
.LBB53_7:                               ; =>This Loop Header: Depth=1
                                        ;     Child Loop BB53_13 Depth 2
                                        ;       Child Loop BB53_15 Depth 3
                                        ;       Child Loop BB53_18 Depth 3
	;; [unrolled: 1-line block ×3, first 2 shown]
                                        ;     Child Loop BB53_31 Depth 2
                                        ;       Child Loop BB53_33 Depth 3
                                        ;     Child Loop BB53_41 Depth 2
                                        ;       Child Loop BB53_43 Depth 3
	s_abs_i32 s7, s43
	s_mul_hi_u32 s8, s7, s50
	s_mul_i32 s9, s8, s47
	s_ashr_i32 s6, s43, 31
	s_sub_i32 s7, s7, s9
	s_xor_b32 s6, s6, s49
	s_add_i32 s9, s8, 1
	s_sub_i32 s28, s7, s47
	s_cmp_ge_u32 s7, s47
	s_cselect_b32 s8, s9, s8
	s_cselect_b32 s7, s28, s7
	s_add_i32 s9, s8, 1
	s_cmp_ge_u32 s7, s47
	s_cselect_b32 s7, s9, s8
	s_xor_b32 s7, s7, s6
	s_sub_i32 s6, s7, s6
	s_abs_i32 s8, s6
	s_mul_i32 s7, s6, s33
	s_mul_hi_u32 s9, s8, s52
	s_sub_i32 s7, s43, s7
	s_mul_i32 s28, s9, s48
	s_lshl_b32 s54, s7, 3
	s_ashr_i32 s7, s6, 31
	s_sub_i32 s8, s8, s28
	s_xor_b32 s7, s7, s51
	s_add_i32 s28, s9, 1
	s_sub_i32 s29, s8, s48
	s_cmp_ge_u32 s8, s48
	s_cselect_b32 s9, s28, s9
	s_cselect_b32 s8, s29, s8
	s_add_i32 s28, s9, 1
	s_cmp_ge_u32 s8, s48
	s_cselect_b32 s8, s28, s9
	s_xor_b32 s8, s8, s7
	s_sub_i32 s7, s8, s7
	s_mul_i32 s8, s7, s44
	s_lshl_b32 s55, s8, 8
	s_cmp_eq_u32 s7, s16
	s_cselect_b32 s53, s45, s44
	s_sub_i32 s56, s54, s12
	s_add_i32 s56, s56, 8
	s_and_saveexec_b64 s[8:9], s[2:3]
	s_xor_b64 s[28:29], exec, s[8:9]
	s_cbranch_execz .LBB53_37
; %bb.8:                                ;   in Loop: Header=BB53_7 Depth=1
	s_mul_i32 s7, s7, s42
	s_sub_i32 s6, s6, s7
	s_lshl_b32 s6, s6, 5
	s_sub_i32 s31, s6, s13
	s_add_i32 s31, s31, 32
	s_max_i32 s7, s31, 0
	s_sub_i32 s30, s6, s7
	s_and_saveexec_b64 s[6:7], s[0:1]
	s_xor_b64 s[34:35], exec, s[6:7]
	s_cbranch_execz .LBB53_27
; %bb.9:                                ;   in Loop: Header=BB53_7 Depth=1
	s_and_saveexec_b64 s[36:37], s[4:5]
	s_cbranch_execz .LBB53_26
; %bb.10:                               ;   in Loop: Header=BB53_7 Depth=1
	s_waitcnt lgkmcnt(0)
	global_load_dword v28, v21, s[26:27]
	v_mov_b32_e32 v7, 0
	v_cmp_gt_i32_e32 vcc, s53, v42
	v_mov_b32_e32 v6, v7
	v_mov_b32_e32 v5, v7
	;; [unrolled: 1-line block ×7, first 2 shown]
	s_and_saveexec_b64 s[6:7], vcc
	s_cbranch_execz .LBB53_23
; %bb.11:                               ;   in Loop: Header=BB53_7 Depth=1
	v_mov_b32_e32 v0, 0
	s_mov_b64 s[8:9], 0
	v_mov_b32_e32 v1, v0
	v_mov_b32_e32 v2, v0
	;; [unrolled: 1-line block ×7, first 2 shown]
	s_branch .LBB53_13
.LBB53_12:                              ;   in Loop: Header=BB53_13 Depth=2
	s_or_b64 exec, exec, s[38:39]
	v_add_u32_e32 v45, v33, v45
	v_add_u32_e32 v48, 0x1000, v45
	ds_read2_b32 v[46:47], v48 offset1:32
	ds_read2_b32 v[48:49], v48 offset0:64 offset1:96
	v_add_u32_e32 v52, 0x1400, v45
	ds_read2_b32 v[50:51], v52 offset1:32
	ds_read2_b32 v[52:53], v52 offset0:64 offset1:96
	v_add_u32_e32 v42, s19, v42
	v_cmp_le_i32_e32 vcc, s53, v42
	s_waitcnt lgkmcnt(2)
	v_smfmac_f32_16x16x64_fp8_fp8 v[0:3], v[14:15], v[46:49], v31 cbsz:7 abid:1
	v_add_u32_e32 v14, 0x1800, v45
	ds_read2_b32 v[46:47], v14 offset1:32
	ds_read2_b32 v[48:49], v14 offset0:64 offset1:96
	v_add_u32_e32 v14, 0x1c00, v45
	s_waitcnt lgkmcnt(2)
	v_smfmac_f32_16x16x64_fp8_fp8 v[0:3], v[12:13], v[50:53], v31 cbsz:7 abid:1
	ds_read2_b32 v[12:13], v14 offset1:32
	ds_read2_b32 v[14:15], v14 offset0:64 offset1:96
	s_or_b64 s[8:9], vcc, s[8:9]
	ds_write_b32 v44, v43 offset:40980
	s_waitcnt lgkmcnt(3)
	v_smfmac_f32_16x16x64_fp8_fp8 v[0:3], v[10:11], v[46:49], v31 cbsz:7 abid:1
	v_add_u32_e32 v10, s19, v29
	v_add_u32_e32 v11, 2, v30
	v_cmp_lt_i32_e32 vcc, 3, v10
	s_waitcnt lgkmcnt(1)
	v_smfmac_f32_16x16x64_fp8_fp8 v[0:3], v[8:9], v[12:15], v31 cbsz:7 abid:1
	v_cndmask_b32_e32 v30, v30, v11, vcc
	s_andn2_b64 exec, exec, s[8:9]
	s_cbranch_execz .LBB53_22
.LBB53_13:                              ;   Parent Loop BB53_7 Depth=1
                                        ; =>  This Loop Header: Depth=2
                                        ;       Child Loop BB53_15 Depth 3
                                        ;       Child Loop BB53_18 Depth 3
                                        ;       Child Loop BB53_21 Depth 3
	v_cmp_gt_i32_e32 vcc, 4, v10
	s_nop 1
	v_cndmask_b32_e64 v8, -4, 0, vcc
	v_add_u32_e32 v29, v8, v10
	v_lshlrev_b32_e32 v8, 2, v29
	ds_read_b32 v9, v8 offset:40960
	v_add_u32_e32 v44, 0xa000, v8
	s_waitcnt lgkmcnt(0)
	v_cmp_ne_u32_e32 vcc, v9, v30
	s_and_saveexec_b64 s[38:39], vcc
	s_cbranch_execz .LBB53_16
; %bb.14:                               ;   in Loop: Header=BB53_13 Depth=2
	s_mov_b64 s[40:41], 0
.LBB53_15:                              ;   Parent Loop BB53_7 Depth=1
                                        ;     Parent Loop BB53_13 Depth=2
                                        ; =>    This Inner Loop Header: Depth=3
	;;#ASMSTART
	s_sleep 0
	;;#ASMEND
	ds_read_b32 v8, v44
	s_waitcnt lgkmcnt(0)
	v_cmp_eq_u32_e32 vcc, v8, v30
	s_or_b64 s[40:41], vcc, s[40:41]
	s_andn2_b64 exec, exec, s[40:41]
	s_cbranch_execnz .LBB53_15
.LBB53_16:                              ;   in Loop: Header=BB53_13 Depth=2
	s_or_b64 exec, exec, s[38:39]
	v_lshl_add_u32 v8, v29, 11, v32
	ds_read2_b32 v[14:15], v8 offset1:32
	ds_read2_b32 v[12:13], v8 offset0:128 offset1:160
	v_add_u32_e32 v8, 0x400, v8
	v_add_u32_e32 v43, 1, v30
	ds_read2_b32 v[10:11], v8 offset1:32
	ds_read2_b32 v[8:9], v8 offset0:128 offset1:160
	;;#ASMSTART
	s_waitcnt lgkmcnt(0)
	;;#ASMEND
	ds_write_b32 v44, v43
	v_lshlrev_b32_e32 v44, 3, v29
	ds_read_b32 v45, v44 offset:40976
	s_waitcnt lgkmcnt(0)
	v_cmp_ne_u32_e32 vcc, v45, v30
	s_and_saveexec_b64 s[38:39], vcc
	s_cbranch_execz .LBB53_19
; %bb.17:                               ;   in Loop: Header=BB53_13 Depth=2
	s_mov_b64 s[40:41], 0
.LBB53_18:                              ;   Parent Loop BB53_7 Depth=1
                                        ;     Parent Loop BB53_13 Depth=2
                                        ; =>    This Inner Loop Header: Depth=3
	;;#ASMSTART
	s_sleep 0
	;;#ASMEND
	ds_read_b32 v45, v44 offset:40976
	s_waitcnt lgkmcnt(0)
	v_cmp_eq_u32_e32 vcc, v45, v30
	s_or_b64 s[40:41], vcc, s[40:41]
	s_andn2_b64 exec, exec, s[40:41]
	s_cbranch_execnz .LBB53_18
.LBB53_19:                              ;   in Loop: Header=BB53_13 Depth=2
	s_or_b64 exec, exec, s[38:39]
	v_lshlrev_b32_e32 v45, 13, v29
	v_or_b32_e32 v54, v33, v45
	ds_read2_b32 v[46:47], v54 offset1:32
	ds_read2_b32 v[48:49], v54 offset0:64 offset1:96
	v_add_u32_e32 v52, 0x400, v54
	ds_read2_b32 v[50:51], v52 offset1:32
	ds_read2_b32 v[52:53], v52 offset0:64 offset1:96
	s_waitcnt lgkmcnt(2)
	v_smfmac_f32_16x16x64_fp8_fp8 v[4:7], v[14:15], v[46:49], v31 cbsz:7 abid:1
	v_add_u32_e32 v48, 0x800, v54
	ds_read2_b32 v[46:47], v48 offset1:32
	ds_read2_b32 v[48:49], v48 offset0:64 offset1:96
	s_waitcnt lgkmcnt(2)
	v_smfmac_f32_16x16x64_fp8_fp8 v[4:7], v[12:13], v[50:53], v31 cbsz:7 abid:1
	v_add_u32_e32 v52, 0xc00, v54
	ds_read2_b32 v[50:51], v52 offset1:32
	s_waitcnt lgkmcnt(1)
	v_smfmac_f32_16x16x64_fp8_fp8 v[4:7], v[10:11], v[46:49], v31 cbsz:7 abid:1
	ds_read2_b32 v[52:53], v52 offset0:64 offset1:96
	ds_read_b32 v46, v44 offset:40980
	ds_write_b32 v44, v43 offset:40976
	s_waitcnt lgkmcnt(1)
	v_cmp_ne_u32_e32 vcc, v46, v30
	v_smfmac_f32_16x16x64_fp8_fp8 v[4:7], v[8:9], v[50:53], v31 cbsz:7 abid:1
	s_and_saveexec_b64 s[38:39], vcc
	s_cbranch_execz .LBB53_12
; %bb.20:                               ;   in Loop: Header=BB53_13 Depth=2
	s_mov_b64 s[40:41], 0
.LBB53_21:                              ;   Parent Loop BB53_7 Depth=1
                                        ;     Parent Loop BB53_13 Depth=2
                                        ; =>    This Inner Loop Header: Depth=3
	;;#ASMSTART
	s_sleep 0
	;;#ASMEND
	ds_read_b32 v46, v44 offset:40980
	s_waitcnt lgkmcnt(0)
	v_cmp_eq_u32_e32 vcc, v46, v30
	s_or_b64 s[40:41], vcc, s[40:41]
	s_andn2_b64 exec, exec, s[40:41]
	s_cbranch_execnz .LBB53_21
	s_branch .LBB53_12
.LBB53_22:                              ;   in Loop: Header=BB53_7 Depth=1
	s_or_b64 exec, exec, s[8:9]
.LBB53_23:                              ;   in Loop: Header=BB53_7 Depth=1
	s_or_b64 exec, exec, s[6:7]
	v_cmp_le_i32_e32 vcc, s31, v16
	v_mov_b32_e32 v12, v5
	v_mov_b32_e32 v13, v6
	;; [unrolled: 1-line block ×3, first 2 shown]
	s_waitcnt vmcnt(0)
	v_cndmask_b32_e32 v8, 0, v28, vcc
	v_pk_add_f32 v[4:5], v[12:13], v[4:5]
	v_cmp_eq_u32_e32 vcc, 1, v34
	v_pk_mul_f32 v[4:5], v[8:9], v[4:5] op_sel_hi:[0,1]
	v_cmp_le_i32_e64 s[8:9], s31, v35
	v_cndmask_b32_e32 v8, v4, v5, vcc
	v_cmp_eq_u32_e32 vcc, 2, v34
	v_mov_b32_e32 v12, v1
	v_mov_b32_e32 v13, v2
	;; [unrolled: 1-line block ×3, first 2 shown]
	v_cndmask_b32_e32 v6, v8, v6, vcc
	v_cndmask_b32_e64 v8, 0, v28, s[8:9]
	v_pk_add_f32 v[0:1], v[12:13], v[0:1]
	v_cmp_eq_u32_e64 s[6:7], 3, v34
	v_pk_mul_f32 v[0:1], v[8:9], v[0:1] op_sel_hi:[0,1]
	v_cmp_ne_u32_e64 s[8:9], 0, v34
	v_cndmask_b32_e64 v6, v6, v7, s[6:7]
	ds_bpermute_b32 v6, v41, v6
	v_cndmask_b32_e64 v7, v0, v1, s[8:9]
	v_cndmask_b32_e32 v2, v7, v2, vcc
	v_cndmask_b32_e64 v2, v2, v3, s[6:7]
	ds_bpermute_b32 v2, v41, v2
	v_cmp_lt_i32_e32 vcc, s56, v36
	s_and_saveexec_b64 s[8:9], vcc
	s_cbranch_execz .LBB53_25
; %bb.24:                               ;   in Loop: Header=BB53_7 Depth=1
	s_mul_i32 s6, s54, s13
	s_ashr_i32 s7, s6, 31
	s_lshl_b64 s[6:7], s[6:7], 1
	s_add_u32 s38, s24, s6
	s_addc_u32 s39, s25, s7
	s_ashr_i32 s31, s30, 31
	s_lshl_b64 s[6:7], s[30:31], 1
	s_add_u32 s38, s38, s6
	s_addc_u32 s39, s39, s7
	v_cmp_ne_u32_e32 vcc, 0, v34
	v_cmp_eq_u32_e64 s[6:7], 0, v34
	s_waitcnt lgkmcnt(0)
	v_cndmask_b32_e32 v3, v1, v2, vcc
	v_cndmask_b32_e64 v2, v0, v2, s[6:7]
	v_cndmask_b32_e32 v5, v5, v6, vcc
	v_cndmask_b32_e64 v4, v4, v6, s[6:7]
	v_cvt_f16_f32_e32 v4, v4
	v_cvt_f16_f32_sdwa v5, v5 dst_sel:WORD_1 dst_unused:UNUSED_PAD src0_sel:DWORD
	v_cvt_f16_f32_e32 v2, v2
	v_cvt_f16_f32_sdwa v3, v3 dst_sel:WORD_1 dst_unused:UNUSED_PAD src0_sel:DWORD
	v_lshl_add_u64 v[0:1], v[18:19], 1, s[38:39]
	v_lshl_add_u64 v[0:1], v[0:1], 0, v[20:21]
	v_or_b32_e32 v4, v5, v4
	;;#ASMSTART
	global_atomic_pk_add_f16 v[0:1], v4, off
	
	;;#ASMEND
	v_lshl_add_u64 v[0:1], v[0:1], 0, 32
	v_or_b32_e32 v2, v3, v2
	;;#ASMSTART
	global_atomic_pk_add_f16 v[0:1], v2, off
	
	;;#ASMEND
.LBB53_25:                              ;   in Loop: Header=BB53_7 Depth=1
	s_or_b64 exec, exec, s[8:9]
	v_subrev_u32_e32 v42, s53, v42
.LBB53_26:                              ;   in Loop: Header=BB53_7 Depth=1
	s_or_b64 exec, exec, s[36:37]
.LBB53_27:                              ;   in Loop: Header=BB53_7 Depth=1
	s_andn2_saveexec_b64 s[6:7], s[34:35]
	s_cbranch_execz .LBB53_36
; %bb.28:                               ;   in Loop: Header=BB53_7 Depth=1
	s_lshl_b32 s38, s53, 1
	v_cmp_gt_i32_e32 vcc, s38, v42
	s_and_saveexec_b64 s[8:9], vcc
	s_cbranch_execz .LBB53_35
; %bb.29:                               ;   in Loop: Header=BB53_7 Depth=1
	s_mul_i32 s30, s30, s15
	s_ashr_i32 s31, s30, 31
	s_waitcnt lgkmcnt(0)
	s_add_u32 s30, s22, s30
	s_addc_u32 s31, s23, s31
	s_ashr_i32 s34, s55, 31
	s_add_u32 s30, s30, s55
	s_addc_u32 s31, s31, s34
	v_lshl_add_u64 v[0:1], s[30:31], 0, v[24:25]
	v_lshl_add_u64 v[28:29], v[0:1], 0, v[22:23]
	s_mov_b64 s[30:31], 0
	s_branch .LBB53_31
.LBB53_30:                              ;   in Loop: Header=BB53_31 Depth=2
	s_or_b64 exec, exec, s[34:35]
	v_lshl_or_b32 v45, v43, 12, v37
	;;#ASMSTART
	s_waitcnt vmcnt(3)
	;;#ASMEND
	ds_write2_b32 v45, v12, v13 offset1:32
	ds_write2_b32 v45, v14, v15 offset0:64 offset1:96
	v_add_u32_e32 v12, 0x400, v45
	;;#ASMSTART
	s_waitcnt vmcnt(2)
	;;#ASMEND
	ds_write2_b32 v12, v8, v9 offset1:32
	ds_write2_b32 v12, v10, v11 offset0:64 offset1:96
	v_add_u32_e32 v8, 0x800, v45
	;; [unrolled: 6-line block ×3, first 2 shown]
	v_add_u32_e32 v42, s18, v42
	;;#ASMSTART
	s_waitcnt vmcnt(0)
	;;#ASMEND
	ds_write2_b32 v4, v0, v1 offset1:32
	ds_write2_b32 v4, v2, v3 offset0:64 offset1:96
	v_add_u32_e32 v0, 1, v30
	v_add_u32_e32 v10, s18, v43
	v_cmp_le_i32_e32 vcc, s38, v42
	ds_write_b32 v44, v0 offset:16
	v_add_u32_e32 v0, 2, v30
	s_or_b64 s[30:31], vcc, s[30:31]
	v_cmp_lt_i32_e32 vcc, 7, v10
	s_nop 1
	v_cndmask_b32_e32 v30, v30, v0, vcc
	s_andn2_b64 exec, exec, s[30:31]
	s_cbranch_execz .LBB53_34
.LBB53_31:                              ;   Parent Loop BB53_7 Depth=1
                                        ; =>  This Loop Header: Depth=2
                                        ;       Child Loop BB53_33 Depth 3
	v_cmp_gt_i32_e32 vcc, 8, v10
	s_nop 1
	v_cndmask_b32_e64 v0, -8, 0, vcc
	v_add_u32_e32 v43, v0, v10
	v_lshrrev_b32_e32 v0, 31, v42
	v_add_u32_e32 v0, v42, v0
	v_and_b32_e32 v1, -2, v0
	v_lshlrev_b32_e32 v0, 7, v0
	v_sub_u32_e32 v2, v42, v1
	v_and_b32_e32 v0, 0xffffff00, v0
	v_ashrrev_i32_e32 v1, 31, v0
	v_mul_lo_u32 v2, s46, v2
	v_lshl_add_u64 v[0:1], v[28:29], 0, v[0:1]
	v_ashrrev_i32_e32 v3, 31, v2
	v_lshl_add_u64 v[0:1], v[0:1], 0, v[2:3]
	v_lshlrev_b32_e32 v44, 2, v43
	;;#ASMSTART
	global_load_dwordx4 v[12:15], v[0:1], off offset:0    sc0 sc1 nt  
	global_load_dwordx4 v[8:11], v[0:1], off offset:64   sc0 sc1 nt  
	global_load_dwordx4 v[4:7], v[0:1], off offset:128  sc0 sc1 nt  
	global_load_dwordx4 v[0:3], v[0:1], off offset:192  sc0 sc1 nt  
	
	;;#ASMEND
	ds_read_b32 v45, v44 offset:40976
	v_add_u32_e32 v44, 0xa000, v44
	s_waitcnt lgkmcnt(0)
	v_cmp_ne_u32_e32 vcc, v45, v30
	s_and_saveexec_b64 s[34:35], vcc
	s_cbranch_execz .LBB53_30
; %bb.32:                               ;   in Loop: Header=BB53_31 Depth=2
	s_mov_b64 s[36:37], 0
.LBB53_33:                              ;   Parent Loop BB53_7 Depth=1
                                        ;     Parent Loop BB53_31 Depth=2
                                        ; =>    This Inner Loop Header: Depth=3
	;;#ASMSTART
	s_sleep 0
	;;#ASMEND
	ds_read_b32 v45, v44 offset:16
	s_waitcnt lgkmcnt(0)
	v_cmp_eq_u32_e32 vcc, v45, v30
	s_or_b64 s[36:37], vcc, s[36:37]
	s_andn2_b64 exec, exec, s[36:37]
	s_cbranch_execnz .LBB53_33
	s_branch .LBB53_30
.LBB53_34:                              ;   in Loop: Header=BB53_7 Depth=1
	s_or_b64 exec, exec, s[30:31]
.LBB53_35:                              ;   in Loop: Header=BB53_7 Depth=1
	s_or_b64 exec, exec, s[8:9]
	v_subrev_u32_e32 v42, s38, v42
.LBB53_36:                              ;   in Loop: Header=BB53_7 Depth=1
	s_or_b64 exec, exec, s[6:7]
.LBB53_37:                              ;   in Loop: Header=BB53_7 Depth=1
	s_andn2_saveexec_b64 s[6:7], s[28:29]
	s_cbranch_execz .LBB53_6
; %bb.38:                               ;   in Loop: Header=BB53_7 Depth=1
	v_cmp_gt_i32_e32 vcc, s53, v42
	s_and_saveexec_b64 s[8:9], vcc
	s_cbranch_execz .LBB53_5
; %bb.39:                               ;   in Loop: Header=BB53_7 Depth=1
	s_mul_i32 s54, s54, s14
	s_ashr_i32 s28, s54, 31
	s_waitcnt lgkmcnt(0)
	s_add_u32 s29, s20, s54
	s_addc_u32 s30, s21, s28
	s_ashr_i32 s31, s55, 31
	v_cmp_le_i32_e32 vcc, s56, v39
	s_add_u32 s28, s29, s55
	s_addc_u32 s29, s30, s31
	v_cndmask_b32_e32 v0, 0, v40, vcc
	v_ashrrev_i32_e32 v1, 31, v0
	v_lshl_add_u64 v[0:1], s[28:29], 0, v[0:1]
	v_lshlrev_b32_e32 v2, 8, v42
	v_lshl_add_u64 v[0:1], v[0:1], 0, v[26:27]
	v_ashrrev_i32_e32 v3, 31, v2
	v_lshl_add_u64 v[8:9], v[0:1], 0, v[2:3]
	s_mov_b64 s[28:29], 0
	s_branch .LBB53_41
.LBB53_40:                              ;   in Loop: Header=BB53_41 Depth=2
	s_or_b64 exec, exec, s[30:31]
	;;#ASMSTART
	s_waitcnt vmcnt(1)
	v_pack_b32_f16 v12, v4, v5, op_sel:[0,0]
	v_pack_b32_f16 v13, v4, v5, op_sel:[1,1]
	;; [unrolled: 1-line block ×4, first 2 shown]
	v_swap_b32 v12, v4
	v_swap_b32 v13, v6
	;; [unrolled: 1-line block ×4, first 2 shown]
	;;#ASMEND
	v_add_u32_e32 v42, s17, v42
	v_lshl_add_u32 v12, v10, 11, v38
	ds_write2_b32 v12, v4, v5 offset1:32
	ds_write2_b32 v12, v6, v7 offset0:64 offset1:96
	;;#ASMSTART
	s_waitcnt vmcnt(0)
	v_pack_b32_f16 v4, v0, v1, op_sel:[0,0]
	v_pack_b32_f16 v5, v0, v1, op_sel:[1,1]
	;; [unrolled: 1-line block ×4, first 2 shown]
	v_swap_b32 v4, v0
	v_swap_b32 v5, v2
	;; [unrolled: 1-line block ×4, first 2 shown]
	;;#ASMEND
	v_add_u32_e32 v10, s17, v10
	v_add_u32_e32 v4, 0x400, v12
	ds_write2_b32 v4, v0, v1 offset1:32
	ds_write2_b32 v4, v2, v3 offset0:64 offset1:96
	v_add_u32_e32 v0, 1, v30
	v_cmp_le_i32_e32 vcc, s53, v42
	ds_write_b32 v11, v0
	v_add_u32_e32 v0, 2, v30
	s_or_b64 s[28:29], vcc, s[28:29]
	v_cmp_lt_i32_e32 vcc, 3, v10
	v_lshl_add_u64 v[8:9], v[8:9], 0, s[10:11]
	s_nop 0
	v_cndmask_b32_e32 v30, v30, v0, vcc
	s_andn2_b64 exec, exec, s[28:29]
	s_cbranch_execz .LBB53_4
.LBB53_41:                              ;   Parent Loop BB53_7 Depth=1
                                        ; =>  This Loop Header: Depth=2
                                        ;       Child Loop BB53_43 Depth 3
	v_cmp_gt_i32_e32 vcc, 4, v10
	s_nop 1
	v_cndmask_b32_e64 v0, -4, 0, vcc
	v_add_u32_e32 v10, v0, v10
	v_lshlrev_b32_e32 v11, 2, v10
	;;#ASMSTART
	global_load_dwordx4 v[4:7], v[8:9], off offset:0  
	global_load_dwordx4 v[0:3], v[8:9], off offset:128
	
	;;#ASMEND
	ds_read_b32 v12, v11 offset:40960
	v_add_u32_e32 v11, 0xa000, v11
	s_waitcnt lgkmcnt(0)
	v_cmp_ne_u32_e32 vcc, v12, v30
	s_and_saveexec_b64 s[30:31], vcc
	s_cbranch_execz .LBB53_40
; %bb.42:                               ;   in Loop: Header=BB53_41 Depth=2
	s_mov_b64 s[34:35], 0
.LBB53_43:                              ;   Parent Loop BB53_7 Depth=1
                                        ;     Parent Loop BB53_41 Depth=2
                                        ; =>    This Inner Loop Header: Depth=3
	;;#ASMSTART
	s_sleep 0
	;;#ASMEND
	ds_read_b32 v12, v11
	s_waitcnt lgkmcnt(0)
	v_cmp_eq_u32_e32 vcc, v12, v30
	s_or_b64 s[34:35], vcc, s[34:35]
	s_andn2_b64 exec, exec, s[34:35]
	s_cbranch_execnz .LBB53_43
	s_branch .LBB53_40
.LBB53_44:
	s_endpgm
	.section	.rodata,"a",@progbits
	.p2align	6, 0x0
	.amdhsa_kernel _Z19_skinny_gemm_kernelILi1ELi2ELi4ELi8ELi4EEvPKhS1_P6__halfPKfiiiiiiii
		.amdhsa_group_segment_fixed_size 41008
		.amdhsa_private_segment_fixed_size 0
		.amdhsa_kernarg_size 64
		.amdhsa_user_sgpr_count 2
		.amdhsa_user_sgpr_dispatch_ptr 0
		.amdhsa_user_sgpr_queue_ptr 0
		.amdhsa_user_sgpr_kernarg_segment_ptr 1
		.amdhsa_user_sgpr_dispatch_id 0
		.amdhsa_user_sgpr_kernarg_preload_length 0
		.amdhsa_user_sgpr_kernarg_preload_offset 0
		.amdhsa_user_sgpr_private_segment_size 0
		.amdhsa_uses_dynamic_stack 0
		.amdhsa_enable_private_segment 0
		.amdhsa_system_sgpr_workgroup_id_x 1
		.amdhsa_system_sgpr_workgroup_id_y 0
		.amdhsa_system_sgpr_workgroup_id_z 0
		.amdhsa_system_sgpr_workgroup_info 0
		.amdhsa_system_vgpr_workitem_id 0
		.amdhsa_next_free_vgpr 55
		.amdhsa_next_free_sgpr 57
		.amdhsa_accum_offset 56
		.amdhsa_reserve_vcc 1
		.amdhsa_float_round_mode_32 0
		.amdhsa_float_round_mode_16_64 0
		.amdhsa_float_denorm_mode_32 3
		.amdhsa_float_denorm_mode_16_64 3
		.amdhsa_dx10_clamp 1
		.amdhsa_ieee_mode 1
		.amdhsa_fp16_overflow 0
		.amdhsa_tg_split 0
		.amdhsa_exception_fp_ieee_invalid_op 0
		.amdhsa_exception_fp_denorm_src 0
		.amdhsa_exception_fp_ieee_div_zero 0
		.amdhsa_exception_fp_ieee_overflow 0
		.amdhsa_exception_fp_ieee_underflow 0
		.amdhsa_exception_fp_ieee_inexact 0
		.amdhsa_exception_int_div_zero 0
	.end_amdhsa_kernel
	.section	.text._Z19_skinny_gemm_kernelILi1ELi2ELi4ELi8ELi4EEvPKhS1_P6__halfPKfiiiiiiii,"axG",@progbits,_Z19_skinny_gemm_kernelILi1ELi2ELi4ELi8ELi4EEvPKhS1_P6__halfPKfiiiiiiii,comdat
.Lfunc_end53:
	.size	_Z19_skinny_gemm_kernelILi1ELi2ELi4ELi8ELi4EEvPKhS1_P6__halfPKfiiiiiiii, .Lfunc_end53-_Z19_skinny_gemm_kernelILi1ELi2ELi4ELi8ELi4EEvPKhS1_P6__halfPKfiiiiiiii
                                        ; -- End function
	.set _Z19_skinny_gemm_kernelILi1ELi2ELi4ELi8ELi4EEvPKhS1_P6__halfPKfiiiiiiii.num_vgpr, 55
	.set _Z19_skinny_gemm_kernelILi1ELi2ELi4ELi8ELi4EEvPKhS1_P6__halfPKfiiiiiiii.num_agpr, 0
	.set _Z19_skinny_gemm_kernelILi1ELi2ELi4ELi8ELi4EEvPKhS1_P6__halfPKfiiiiiiii.numbered_sgpr, 57
	.set _Z19_skinny_gemm_kernelILi1ELi2ELi4ELi8ELi4EEvPKhS1_P6__halfPKfiiiiiiii.num_named_barrier, 0
	.set _Z19_skinny_gemm_kernelILi1ELi2ELi4ELi8ELi4EEvPKhS1_P6__halfPKfiiiiiiii.private_seg_size, 0
	.set _Z19_skinny_gemm_kernelILi1ELi2ELi4ELi8ELi4EEvPKhS1_P6__halfPKfiiiiiiii.uses_vcc, 1
	.set _Z19_skinny_gemm_kernelILi1ELi2ELi4ELi8ELi4EEvPKhS1_P6__halfPKfiiiiiiii.uses_flat_scratch, 0
	.set _Z19_skinny_gemm_kernelILi1ELi2ELi4ELi8ELi4EEvPKhS1_P6__halfPKfiiiiiiii.has_dyn_sized_stack, 0
	.set _Z19_skinny_gemm_kernelILi1ELi2ELi4ELi8ELi4EEvPKhS1_P6__halfPKfiiiiiiii.has_recursion, 0
	.set _Z19_skinny_gemm_kernelILi1ELi2ELi4ELi8ELi4EEvPKhS1_P6__halfPKfiiiiiiii.has_indirect_call, 0
	.section	.AMDGPU.csdata,"",@progbits
; Kernel info:
; codeLenInByte = 3392
; TotalNumSgprs: 63
; NumVgprs: 55
; NumAgprs: 0
; TotalNumVgprs: 55
; ScratchSize: 0
; MemoryBound: 0
; FloatMode: 240
; IeeeMode: 1
; LDSByteSize: 41008 bytes/workgroup (compile time only)
; SGPRBlocks: 7
; VGPRBlocks: 6
; NumSGPRsForWavesPerEU: 63
; NumVGPRsForWavesPerEU: 55
; AccumOffset: 56
; Occupancy: 8
; WaveLimiterHint : 0
; COMPUTE_PGM_RSRC2:SCRATCH_EN: 0
; COMPUTE_PGM_RSRC2:USER_SGPR: 2
; COMPUTE_PGM_RSRC2:TRAP_HANDLER: 0
; COMPUTE_PGM_RSRC2:TGID_X_EN: 1
; COMPUTE_PGM_RSRC2:TGID_Y_EN: 0
; COMPUTE_PGM_RSRC2:TGID_Z_EN: 0
; COMPUTE_PGM_RSRC2:TIDIG_COMP_CNT: 0
; COMPUTE_PGM_RSRC3_GFX90A:ACCUM_OFFSET: 13
; COMPUTE_PGM_RSRC3_GFX90A:TG_SPLIT: 0
	.section	.text._Z19_skinny_gemm_kernelILi1ELi2ELi4ELi16ELi4EEvPKhS1_P6__halfPKfiiiiiiii,"axG",@progbits,_Z19_skinny_gemm_kernelILi1ELi2ELi4ELi16ELi4EEvPKhS1_P6__halfPKfiiiiiiii,comdat
	.protected	_Z19_skinny_gemm_kernelILi1ELi2ELi4ELi16ELi4EEvPKhS1_P6__halfPKfiiiiiiii ; -- Begin function _Z19_skinny_gemm_kernelILi1ELi2ELi4ELi16ELi4EEvPKhS1_P6__halfPKfiiiiiiii
	.globl	_Z19_skinny_gemm_kernelILi1ELi2ELi4ELi16ELi4EEvPKhS1_P6__halfPKfiiiiiiii
	.p2align	8
	.type	_Z19_skinny_gemm_kernelILi1ELi2ELi4ELi16ELi4EEvPKhS1_P6__halfPKfiiiiiiii,@function
_Z19_skinny_gemm_kernelILi1ELi2ELi4ELi16ELi4EEvPKhS1_P6__halfPKfiiiiiiii: ; @_Z19_skinny_gemm_kernelILi1ELi2ELi4ELi16ELi4EEvPKhS1_P6__halfPKfiiiiiiii
; %bb.0:
	v_cmp_gt_u32_e32 vcc, 12, v0
	v_lshlrev_b32_e32 v1, 2, v0
	s_and_saveexec_b64 s[4:5], vcc
; %bb.1:
	v_mov_b32_e32 v2, 0
	ds_write_b32 v1, v2 offset:24576
; %bb.2:
	s_or_b64 exec, exec, s[4:5]
	s_load_dwordx8 s[24:31], s[0:1], 0x20
	s_waitcnt lgkmcnt(0)
	s_barrier
	s_add_i32 s3, s24, 15
	s_ashr_i32 s5, s3, 31
	s_add_i32 s4, s25, 31
	s_lshr_b32 s5, s5, 28
	s_ashr_i32 s6, s4, 31
	s_add_i32 s3, s3, s5
	s_ashr_i32 s33, s3, 4
	s_lshr_b32 s3, s6, 27
	s_add_i32 s4, s4, s3
	s_ashr_i32 s50, s4, 5
	s_mul_i32 s3, s50, s33
	s_mul_i32 s3, s3, s28
	s_add_i32 s4, s3, 0x12f
	s_mul_hi_i32 s4, s4, 0x6bca1af3
	s_lshr_b32 s5, s4, 31
	s_ashr_i32 s4, s4, 7
	s_add_i32 s4, s4, s5
	s_add_i32 s5, s2, 1
	s_mul_i32 s5, s4, s5
	v_cvt_f64_i32_e32 v[2:3], s3
	v_cvt_f64_u32_e32 v[4:5], s5
	v_min_f64 v[2:3], v[2:3], v[4:5]
	v_cvt_i32_f64_e32 v9, v[2:3]
	s_mul_i32 s51, s4, s2
	v_cmp_ge_i32_e32 vcc, s51, v9
	s_cbranch_vccnz .LBB54_45
; %bb.3:
	v_lshrrev_b32_e32 v2, 6, v0
	s_add_i32 s4, s30, s29
	s_load_dwordx8 s[36:43], s[0:1], 0x0
	v_cmp_le_i32_e64 s[0:1], s4, v2
	v_mov_b32_e32 v3, s29
	v_cmp_le_i32_e64 s[2:3], s29, v2
	v_mov_b32_e32 v4, s30
	v_cndmask_b32_e64 v4, 0, v4, s[0:1]
	v_cndmask_b32_e64 v3, 0, v3, s[2:3]
	s_abs_i32 s5, s28
	v_add_u32_e32 v3, v3, v4
	v_cvt_f32_u32_e32 v4, s5
	v_sub_u32_e32 v18, v2, v3
	s_ashr_i32 s6, s26, 31
	s_lshr_b32 s6, s6, 25
	v_rcp_iflag_f32_e32 v3, v4
	s_sub_i32 s9, 0, s5
	s_add_i32 s6, s26, s6
	s_ashr_i32 s6, s6, 7
	v_mul_f32_e32 v3, 0x4f7ffffe, v3
	v_cvt_u32_f32_e32 v3, v3
	s_abs_i32 s8, s6
	s_xor_b32 s7, s6, s28
	s_ashr_i32 s7, s7, 31
	v_readfirstlane_b32 s10, v3
	s_mul_i32 s9, s9, s10
	s_mul_hi_u32 s9, s10, s9
	s_add_i32 s10, s10, s9
	s_mul_hi_u32 s9, s8, s10
	s_mul_i32 s10, s9, s5
	s_sub_i32 s8, s8, s10
	s_add_i32 s10, s9, 1
	s_sub_i32 s11, s8, s5
	s_cmp_ge_u32 s8, s5
	s_cselect_b32 s9, s10, s9
	s_cselect_b32 s8, s11, s8
	s_add_i32 s10, s9, 1
	s_cmp_ge_u32 s8, s5
	s_cselect_b32 s5, s10, s9
	s_xor_b32 s5, s5, s7
	s_sub_i32 s52, s5, s7
	s_add_i32 s28, s28, -1
	s_mul_i32 s5, s52, s28
	s_add_i32 s4, s4, s31
	s_sub_i32 s53, s6, s5
	v_cmp_gt_i32_e64 s[4:5], s4, v2
	v_lshlrev_b32_e32 v2, 1, v0
	v_lshlrev_b32_e32 v3, 4, v0
	v_and_b32_e32 v1, 60, v1
	v_and_b32_e32 v2, 64, v2
	;; [unrolled: 1-line block ×3, first 2 shown]
	s_abs_i32 s54, s33
	v_or3_b32 v31, v1, v2, v4
	v_and_b32_e32 v1, 1, v0
	v_cvt_f32_u32_e32 v6, s54
	v_lshlrev_b32_e32 v2, 1, v1
	v_lshrrev_b32_e32 v4, 2, v0
	v_and_b32_e32 v8, 14, v0
	v_sub_u32_e32 v2, v0, v2
	v_and_or_b32 v33, v4, 12, v1
	v_bitop3_b32 v34, v0, 1, v0 bitop3:0xc
	v_bitop3_b32 v35, v0, 3, 1 bitop3:0x6c
	v_and_b32_e32 v12, 48, v3
	v_bfe_u32 v1, v0, 2, 4
	v_and_b32_e32 v3, 60, v0
	v_lshlrev_b32_e32 v5, 8, v0
	v_lshlrev_b32_e32 v0, 6, v0
	v_and_b32_e32 v5, 0x200, v5
	v_and_b32_e32 v0, 64, v0
	v_or3_b32 v37, v3, v5, v0
	v_rcp_iflag_f32_e32 v0, v6
	s_abs_i32 s56, s50
	v_mul_lo_u32 v14, s27, v1
	v_mul_lo_u32 v39, s26, v1
	v_cvt_f32_u32_e32 v1, s56
	v_mul_f32_e32 v0, 0x4f7ffffe, v0
	v_cvt_u32_f32_e32 v0, v0
	v_mad_u64_u32 v[10:11], s[6:7], s25, v33, v[8:9]
	v_rcp_iflag_f32_e32 v1, v1
	v_readfirstlane_b32 s7, v0
	s_sub_i32 s6, 0, s54
	s_mul_i32 s6, s6, s7
	v_mul_f32_e32 v0, 0x4f7ffffe, v1
	v_cvt_u32_f32_e32 v0, v0
	s_mul_hi_u32 s6, s7, s6
	v_add_u32_e32 v2, 1, v2
	s_add_i32 s58, s7, s6
	s_sub_i32 s6, 0, s56
	v_readfirstlane_b32 s7, v0
	v_mbcnt_lo_u32_b32 v0, -1, 0
	v_and_b32_e32 v2, 63, v2
	s_mul_i32 s6, s6, s7
	v_mbcnt_hi_u32_b32 v0, -1, v0
	s_mul_hi_u32 s6, s7, s6
	v_and_or_b32 v0, v0, 64, v2
	v_cndmask_b32_e64 v30, 0, 1, s[0:1]
	v_or_b32_e32 v32, 0x4000, v31
	v_or_b32_e32 v36, 16, v8
	v_ashrrev_i32_e32 v11, 31, v10
	s_ashr_i32 s23, s25, 31
	s_mov_b32 s22, s25
	v_ashrrev_i32_e32 v15, 31, v14
	v_mov_b32_e32 v13, 0
	s_lshl_b32 s55, s27, 4
	v_bitop3_b32 v38, v4, 15, v4 bitop3:0xc
	v_or_b32_e32 v40, 0x4000, v37
	s_ashr_i32 s57, s33, 31
	s_ashr_i32 s59, s50, 31
	s_add_i32 s60, s7, s6
	v_lshlrev_b32_e32 v41, 2, v0
	v_mov_b32_e32 v42, v18
	s_branch .LBB54_7
.LBB54_4:                               ;   in Loop: Header=BB54_7 Depth=1
	s_or_b64 exec, exec, s[10:11]
.LBB54_5:                               ;   in Loop: Header=BB54_7 Depth=1
	s_or_b64 exec, exec, s[8:9]
	v_subrev_u32_e32 v42, s61, v42
.LBB54_6:                               ;   in Loop: Header=BB54_7 Depth=1
	s_or_b64 exec, exec, s[6:7]
	s_add_i32 s51, s51, 1
	v_cmp_ge_i32_e32 vcc, s51, v9
	s_cbranch_vccnz .LBB54_45
.LBB54_7:                               ; =>This Loop Header: Depth=1
                                        ;     Child Loop BB54_13 Depth 2
                                        ;       Child Loop BB54_15 Depth 3
                                        ;       Child Loop BB54_18 Depth 3
	;; [unrolled: 1-line block ×3, first 2 shown]
                                        ;     Child Loop BB54_32 Depth 2
                                        ;       Child Loop BB54_34 Depth 3
                                        ;     Child Loop BB54_42 Depth 2
                                        ;       Child Loop BB54_44 Depth 3
	s_abs_i32 s7, s51
	s_mul_hi_u32 s8, s7, s58
	s_mul_i32 s9, s8, s54
	s_ashr_i32 s6, s51, 31
	s_sub_i32 s7, s7, s9
	s_xor_b32 s6, s6, s57
	s_add_i32 s9, s8, 1
	s_sub_i32 s10, s7, s54
	s_cmp_ge_u32 s7, s54
	s_cselect_b32 s8, s9, s8
	s_cselect_b32 s7, s10, s7
	s_add_i32 s9, s8, 1
	s_cmp_ge_u32 s7, s54
	s_cselect_b32 s7, s9, s8
	s_xor_b32 s7, s7, s6
	s_sub_i32 s6, s7, s6
	s_abs_i32 s8, s6
	s_mul_i32 s7, s6, s33
	s_mul_hi_u32 s9, s8, s60
	s_sub_i32 s7, s51, s7
	s_mul_i32 s10, s9, s56
	s_lshl_b32 s62, s7, 4
	s_ashr_i32 s7, s6, 31
	s_sub_i32 s8, s8, s10
	s_xor_b32 s7, s7, s59
	s_add_i32 s10, s9, 1
	s_sub_i32 s11, s8, s56
	s_cmp_ge_u32 s8, s56
	s_cselect_b32 s9, s10, s9
	s_cselect_b32 s8, s11, s8
	s_add_i32 s10, s9, 1
	s_cmp_ge_u32 s8, s56
	s_cselect_b32 s8, s10, s9
	s_xor_b32 s8, s8, s7
	s_sub_i32 s7, s8, s7
	s_mul_i32 s8, s7, s52
	s_lshl_b32 s63, s8, 7
	s_cmp_eq_u32 s7, s28
	s_cselect_b32 s61, s53, s52
	s_sub_i32 s64, s62, s24
	s_add_i32 s64, s64, 16
	s_and_saveexec_b64 s[8:9], s[2:3]
	s_xor_b64 s[34:35], exec, s[8:9]
	s_cbranch_execz .LBB54_38
; %bb.8:                                ;   in Loop: Header=BB54_7 Depth=1
	s_mul_i32 s7, s7, s50
	s_sub_i32 s6, s6, s7
	s_lshl_b32 s6, s6, 5
	s_sub_i32 s45, s6, s25
	s_add_i32 s45, s45, 32
	s_max_i32 s7, s45, 0
	s_sub_i32 s44, s6, s7
	s_and_saveexec_b64 s[6:7], s[0:1]
	s_xor_b64 s[46:47], exec, s[6:7]
	s_cbranch_execz .LBB54_28
; %bb.9:                                ;   in Loop: Header=BB54_7 Depth=1
	s_and_saveexec_b64 s[48:49], s[4:5]
	s_cbranch_execz .LBB54_27
; %bb.10:                               ;   in Loop: Header=BB54_7 Depth=1
	s_waitcnt lgkmcnt(0)
	global_load_dword v43, v13, s[42:43]
	v_cmp_gt_i32_e32 vcc, s61, v42
	v_mov_b32_e32 v3, 0
	v_mov_b32_e32 v2, 0
	;; [unrolled: 1-line block ×8, first 2 shown]
	s_and_saveexec_b64 s[6:7], vcc
	s_cbranch_execz .LBB54_23
; %bb.11:                               ;   in Loop: Header=BB54_7 Depth=1
	v_mov_b32_e32 v4, 0
	s_mov_b64 s[8:9], 0
	v_mov_b32_e32 v5, v4
	v_mov_b32_e32 v6, v4
	;; [unrolled: 1-line block ×7, first 2 shown]
	s_branch .LBB54_13
.LBB54_12:                              ;   in Loop: Header=BB54_13 Depth=2
	s_or_b64 exec, exec, s[10:11]
	v_add_u32_e32 v24, v31, v47
	v_add_u32_e32 v25, 0x800, v24
	ds_read2_b32 v[22:23], v25 offset1:32
	v_add_u32_e32 v24, 0xc00, v24
	v_add_u32_e32 v42, s31, v42
	v_cmp_le_i32_e32 vcc, s61, v42
	s_or_b64 s[8:9], vcc, s[8:9]
	s_waitcnt lgkmcnt(0)
	v_mfma_f32_16x16x32_fp8_fp8 v[0:3], v[18:19], v[22:23], v[0:3]
	ds_read2_b32 v[18:19], v25 offset0:128 offset1:160
	ds_read2_b32 v[22:23], v24 offset1:32
	s_waitcnt lgkmcnt(1)
	v_mfma_f32_16x16x32_fp8_fp8 v[0:3], v[16:17], v[18:19], v[0:3]
	ds_read2_b32 v[16:17], v24 offset0:128 offset1:160
	v_add_u32_e32 v18, s31, v45
	v_add_u32_e32 v19, 2, v30
	s_waitcnt lgkmcnt(1)
	v_mfma_f32_16x16x32_fp8_fp8 v[0:3], v[28:29], v[22:23], v[0:3]
	v_cmp_lt_i32_e32 vcc, 3, v18
	;;#ASMSTART
	s_waitcnt lgkmcnt(0)
	;;#ASMEND
	ds_write_b32 v44, v46 offset:24596
	s_waitcnt lgkmcnt(1)
	v_mfma_f32_16x16x32_fp8_fp8 v[0:3], v[20:21], v[16:17], v[0:3]
	v_cndmask_b32_e32 v30, v30, v19, vcc
	s_andn2_b64 exec, exec, s[8:9]
	s_cbranch_execz .LBB54_22
.LBB54_13:                              ;   Parent Loop BB54_7 Depth=1
                                        ; =>  This Loop Header: Depth=2
                                        ;       Child Loop BB54_15 Depth 3
                                        ;       Child Loop BB54_18 Depth 3
	;; [unrolled: 1-line block ×3, first 2 shown]
	v_cmp_gt_i32_e32 vcc, 4, v18
	s_nop 1
	v_cndmask_b32_e64 v16, -4, 0, vcc
	v_add_u32_e32 v45, v16, v18
	v_lshlrev_b32_e32 v44, 3, v45
	ds_read_b32 v16, v44 offset:24592
	s_waitcnt lgkmcnt(0)
	v_cmp_ne_u32_e32 vcc, v16, v30
	s_and_saveexec_b64 s[10:11], vcc
	s_cbranch_execz .LBB54_16
; %bb.14:                               ;   in Loop: Header=BB54_13 Depth=2
	s_mov_b64 s[12:13], 0
.LBB54_15:                              ;   Parent Loop BB54_7 Depth=1
                                        ;     Parent Loop BB54_13 Depth=2
                                        ; =>    This Inner Loop Header: Depth=3
	;;#ASMSTART
	s_sleep 0
	;;#ASMEND
	ds_read_b32 v16, v44 offset:24592
	s_waitcnt lgkmcnt(0)
	v_cmp_eq_u32_e32 vcc, v16, v30
	s_or_b64 s[12:13], vcc, s[12:13]
	s_andn2_b64 exec, exec, s[12:13]
	s_cbranch_execnz .LBB54_15
.LBB54_16:                              ;   in Loop: Header=BB54_13 Depth=2
	s_or_b64 exec, exec, s[10:11]
	v_lshlrev_b32_e32 v47, 12, v45
	v_or_b32_e32 v16, v31, v47
	ds_read2_b32 v[20:21], v16 offset1:32
	ds_read2_b32 v[22:23], v16 offset0:128 offset1:160
	v_add_u32_e32 v16, 0x400, v16
	v_add_u32_e32 v46, 1, v30
	ds_read2_b32 v[26:27], v16 offset1:32
	ds_read2_b32 v[24:25], v16 offset0:128 offset1:160
	;;#ASMSTART
	s_waitcnt lgkmcnt(0)
	;;#ASMEND
	ds_write_b32 v44, v46 offset:24592
	v_lshlrev_b32_e32 v16, 2, v45
	ds_read_b32 v17, v16 offset:24576
	v_add_u32_e32 v48, 0x6000, v16
	s_waitcnt lgkmcnt(0)
	v_cmp_ne_u32_e32 vcc, v17, v30
	s_and_saveexec_b64 s[10:11], vcc
	s_cbranch_execz .LBB54_19
; %bb.17:                               ;   in Loop: Header=BB54_13 Depth=2
	s_mov_b64 s[12:13], 0
.LBB54_18:                              ;   Parent Loop BB54_7 Depth=1
                                        ;     Parent Loop BB54_13 Depth=2
                                        ; =>    This Inner Loop Header: Depth=3
	;;#ASMSTART
	s_sleep 0
	;;#ASMEND
	ds_read_b32 v16, v48
	s_waitcnt lgkmcnt(0)
	v_cmp_eq_u32_e32 vcc, v16, v30
	s_or_b64 s[12:13], vcc, s[12:13]
	s_andn2_b64 exec, exec, s[12:13]
	s_cbranch_execnz .LBB54_18
.LBB54_19:                              ;   in Loop: Header=BB54_13 Depth=2
	s_or_b64 exec, exec, s[10:11]
	v_lshl_add_u32 v28, v45, 11, v32
	ds_read2_b32 v[18:19], v28 offset1:32
	ds_read2_b32 v[16:17], v28 offset0:128 offset1:160
	v_add_u32_e32 v49, 0x400, v28
	ds_read2_b32 v[28:29], v49 offset1:32
	ds_write_b32 v48, v46
	s_waitcnt lgkmcnt(3)
	v_mfma_f32_16x16x32_fp8_fp8 v[4:7], v[18:19], v[20:21], v[4:7]
	ds_read2_b32 v[20:21], v49 offset0:128 offset1:160
	s_waitcnt lgkmcnt(3)
	v_mfma_f32_16x16x32_fp8_fp8 v[4:7], v[16:17], v[22:23], v[4:7]
	ds_read_b32 v22, v44 offset:24596
	s_waitcnt lgkmcnt(0)
	v_cmp_ne_u32_e32 vcc, v22, v30
	v_mfma_f32_16x16x32_fp8_fp8 v[4:7], v[28:29], v[26:27], v[4:7]
	v_mfma_f32_16x16x32_fp8_fp8 v[4:7], v[20:21], v[24:25], v[4:7]
	s_and_saveexec_b64 s[10:11], vcc
	s_cbranch_execz .LBB54_12
; %bb.20:                               ;   in Loop: Header=BB54_13 Depth=2
	s_mov_b64 s[12:13], 0
.LBB54_21:                              ;   Parent Loop BB54_7 Depth=1
                                        ;     Parent Loop BB54_13 Depth=2
                                        ; =>    This Inner Loop Header: Depth=3
	;;#ASMSTART
	s_sleep 0
	;;#ASMEND
	ds_read_b32 v22, v44 offset:24596
	s_waitcnt lgkmcnt(0)
	v_cmp_eq_u32_e32 vcc, v22, v30
	s_or_b64 s[12:13], vcc, s[12:13]
	s_andn2_b64 exec, exec, s[12:13]
	s_cbranch_execnz .LBB54_21
	s_branch .LBB54_12
.LBB54_22:                              ;   in Loop: Header=BB54_7 Depth=1
	s_or_b64 exec, exec, s[8:9]
.LBB54_23:                              ;   in Loop: Header=BB54_7 Depth=1
	s_or_b64 exec, exec, s[6:7]
	v_cmp_le_i32_e32 vcc, s45, v8
	v_cmp_eq_u32_e64 s[6:7], 2, v34
	v_cmp_eq_u32_e64 s[8:9], 3, v34
	s_waitcnt vmcnt(0)
	v_cndmask_b32_e32 v16, 0, v43, vcc
	v_pk_mul_f32 v[20:21], v[16:17], v[4:5] op_sel_hi:[0,1]
	v_cmp_eq_u32_e32 vcc, 1, v34
	v_pk_mul_f32 v[6:7], v[16:17], v[6:7] op_sel_hi:[0,1]
	v_cmp_eq_u32_e64 s[10:11], 0, v34
	v_cndmask_b32_e32 v4, v20, v21, vcc
	v_cndmask_b32_e64 v4, v4, v6, s[6:7]
	v_cndmask_b32_e64 v4, v4, v7, s[8:9]
	ds_bpermute_b32 v17, v41, v4
	v_cmp_eq_u32_e64 s[12:13], 1, v35
	v_cmp_eq_u32_e64 s[18:19], 4, v35
	;; [unrolled: 1-line block ×4, first 2 shown]
	s_waitcnt lgkmcnt(0)
	v_cndmask_b32_e64 v4, v7, v17, s[8:9]
	v_cndmask_b32_e64 v5, v6, v17, s[6:7]
	v_cndmask_b32_e32 v16, v21, v17, vcc
	v_cndmask_b32_e64 v17, v20, v17, s[10:11]
	v_cndmask_b32_e64 v6, v17, v16, s[12:13]
	s_or_b64 s[20:21], s[20:21], s[18:19]
	v_cmp_eq_u32_e64 s[18:19], 6, v35
	v_cndmask_b32_e64 v6, v6, v5, s[14:15]
	v_cmp_eq_u32_e64 s[16:17], 3, v35
	s_or_b64 s[20:21], s[18:19], s[20:21]
	v_cmp_le_i32_e64 s[18:19], s45, v36
	v_cndmask_b32_e64 v7, v6, v4, s[16:17]
	s_nop 0
	v_cndmask_b32_e64 v6, 0, v43, s[18:19]
	v_pk_mul_f32 v[20:21], v[6:7], v[0:1] op_sel_hi:[0,1]
	v_pk_mul_f32 v[0:1], v[6:7], v[2:3] op_sel_hi:[0,1]
	v_cndmask_b32_e32 v2, v20, v21, vcc
	v_cndmask_b32_e64 v2, v2, v0, s[6:7]
	v_cndmask_b32_e64 v2, v2, v1, s[8:9]
	ds_bpermute_b32 v19, v41, v2
	v_cmp_eq_u32_e32 vcc, 7, v35
	s_or_b64 vcc, vcc, s[20:21]
	s_waitcnt lgkmcnt(0)
	v_cndmask_b32_e64 v3, v1, v19, s[8:9]
	v_cndmask_b32_e32 v2, v7, v0, vcc
	v_cmp_ne_u32_e32 vcc, 0, v34
	v_cndmask_b32_e64 v6, v0, v19, s[6:7]
	v_cndmask_b32_e64 v1, v20, v19, s[10:11]
	v_cndmask_b32_e32 v0, v21, v19, vcc
	v_cndmask_b32_e64 v7, v1, v0, s[12:13]
	v_cndmask_b32_e64 v7, v7, v6, s[14:15]
	v_cndmask_b32_e64 v7, v7, v3, s[16:17]
	ds_bpermute_b32 v2, v41, v2
	ds_bpermute_b32 v7, v41, v7
	s_max_i32 s6, s64, 0
	v_add_u32_e32 v19, s6, v33
	v_cmp_gt_u32_e32 vcc, 16, v19
	s_and_saveexec_b64 s[12:13], vcc
	s_cbranch_execz .LBB54_26
; %bb.24:                               ;   in Loop: Header=BB54_7 Depth=1
	v_cmp_eq_u32_e64 s[8:9], 1, v35
	v_cmp_eq_u32_e64 s[10:11], 0, v35
	v_cmp_eq_u32_e32 vcc, 3, v35
	s_waitcnt lgkmcnt(1)
	v_cndmask_b32_e64 v16, v16, v2, s[8:9]
	s_waitcnt lgkmcnt(0)
	v_cndmask_b32_e64 v20, v0, v7, s[8:9]
	s_mul_i32 s8, s62, s25
	s_ashr_i32 s9, s8, 31
	s_lshl_b64 s[8:9], s[8:9], 1
	v_cndmask_b32_e64 v17, v17, v2, s[10:11]
	v_cndmask_b32_e64 v21, v1, v7, s[10:11]
	s_add_u32 s10, s40, s8
	s_addc_u32 s11, s41, s9
	s_ashr_i32 s45, s44, 31
	v_cvt_f16_f32_e32 v17, v17
	v_cvt_f16_f32_sdwa v16, v16 dst_sel:WORD_1 dst_unused:UNUSED_PAD src0_sel:DWORD
	s_lshl_b64 s[8:9], s[44:45], 1
	v_cvt_f16_f32_e32 v21, v21
	v_cvt_f16_f32_sdwa v20, v20 dst_sel:WORD_1 dst_unused:UNUSED_PAD src0_sel:DWORD
	s_add_u32 s8, s10, s8
	s_addc_u32 s9, s11, s9
	v_cmp_eq_u32_e64 s[6:7], 2, v35
	v_lshl_add_u64 v[0:1], v[10:11], 1, s[8:9]
	v_or_b32_e32 v16, v16, v17
	v_cmp_gt_u32_e64 s[8:9], 14, v19
	;;#ASMSTART
	global_atomic_pk_add_f16 v[0:1], v16, off
	
	;;#ASMEND
	v_lshl_add_u64 v[16:17], v[0:1], 0, 32
	v_or_b32_e32 v20, v20, v21
	;;#ASMSTART
	global_atomic_pk_add_f16 v[16:17], v20, off
	
	;;#ASMEND
	s_and_b64 exec, exec, s[8:9]
	s_cbranch_execz .LBB54_26
; %bb.25:                               ;   in Loop: Header=BB54_7 Depth=1
	v_cndmask_b32_e32 v4, v4, v2, vcc
	v_cndmask_b32_e64 v2, v5, v2, s[6:7]
	v_cndmask_b32_e32 v3, v3, v7, vcc
	v_cndmask_b32_e64 v5, v6, v7, s[6:7]
	v_cvt_f16_f32_e32 v2, v2
	v_cvt_f16_f32_sdwa v4, v4 dst_sel:WORD_1 dst_unused:UNUSED_PAD src0_sel:DWORD
	v_cvt_f16_f32_e32 v5, v5
	v_cvt_f16_f32_sdwa v3, v3 dst_sel:WORD_1 dst_unused:UNUSED_PAD src0_sel:DWORD
	v_lshl_add_u64 v[0:1], s[22:23], 2, v[0:1]
	v_or_b32_e32 v2, v4, v2
	;;#ASMSTART
	global_atomic_pk_add_f16 v[0:1], v2, off
	
	;;#ASMEND
	v_lshl_add_u64 v[0:1], v[0:1], 0, 32
	v_or_b32_e32 v2, v3, v5
	;;#ASMSTART
	global_atomic_pk_add_f16 v[0:1], v2, off
	
	;;#ASMEND
.LBB54_26:                              ;   in Loop: Header=BB54_7 Depth=1
	s_or_b64 exec, exec, s[12:13]
	v_subrev_u32_e32 v42, s61, v42
.LBB54_27:                              ;   in Loop: Header=BB54_7 Depth=1
	s_or_b64 exec, exec, s[48:49]
.LBB54_28:                              ;   in Loop: Header=BB54_7 Depth=1
	s_andn2_saveexec_b64 s[6:7], s[46:47]
	s_cbranch_execz .LBB54_37
; %bb.29:                               ;   in Loop: Header=BB54_7 Depth=1
	s_lshl_b32 s16, s61, 1
	v_cmp_gt_i32_e32 vcc, s16, v42
	s_and_saveexec_b64 s[8:9], vcc
	s_cbranch_execz .LBB54_36
; %bb.30:                               ;   in Loop: Header=BB54_7 Depth=1
	s_mul_i32 s10, s44, s27
	s_ashr_i32 s11, s10, 31
	s_waitcnt lgkmcnt(0)
	s_add_u32 s10, s38, s10
	s_addc_u32 s11, s39, s11
	s_ashr_i32 s12, s63, 31
	s_add_u32 s10, s10, s63
	s_addc_u32 s11, s11, s12
	v_lshl_add_u64 v[0:1], s[10:11], 0, v[14:15]
	v_lshl_add_u64 v[16:17], v[0:1], 0, v[12:13]
	s_mov_b64 s[10:11], 0
	s_branch .LBB54_32
.LBB54_31:                              ;   in Loop: Header=BB54_32 Depth=2
	s_or_b64 exec, exec, s[12:13]
	v_lshl_or_b32 v20, v18, 11, v37
	;;#ASMSTART
	s_waitcnt vmcnt(1)
	;;#ASMEND
	ds_write2_b32 v20, v4, v5 offset1:32
	ds_write2_b32 v20, v6, v7 offset0:64 offset1:96
	v_add_u32_e32 v4, 0x400, v20
	v_add_u32_e32 v42, s30, v42
	;;#ASMSTART
	s_waitcnt vmcnt(0)
	;;#ASMEND
	ds_write2_b32 v4, v0, v1 offset1:32
	ds_write2_b32 v4, v2, v3 offset0:64 offset1:96
	v_add_u32_e32 v0, 1, v30
	v_add_u32_e32 v18, s30, v18
	v_cmp_le_i32_e32 vcc, s16, v42
	ds_write_b32 v19, v0 offset:16
	v_add_u32_e32 v0, 2, v30
	s_or_b64 s[10:11], vcc, s[10:11]
	v_cmp_lt_i32_e32 vcc, 7, v18
	s_nop 1
	v_cndmask_b32_e32 v30, v30, v0, vcc
	s_andn2_b64 exec, exec, s[10:11]
	s_cbranch_execz .LBB54_35
.LBB54_32:                              ;   Parent Loop BB54_7 Depth=1
                                        ; =>  This Loop Header: Depth=2
                                        ;       Child Loop BB54_34 Depth 3
	v_cmp_gt_i32_e32 vcc, 8, v18
	s_nop 1
	v_cndmask_b32_e64 v0, -8, 0, vcc
	v_add_u32_e32 v18, v0, v18
	v_lshrrev_b32_e32 v0, 31, v42
	v_add_u32_e32 v0, v42, v0
	v_and_b32_e32 v1, -2, v0
	v_lshlrev_b32_e32 v0, 6, v0
	v_sub_u32_e32 v2, v42, v1
	v_and_b32_e32 v0, 0xffffff80, v0
	v_ashrrev_i32_e32 v1, 31, v0
	v_mul_lo_u32 v2, s55, v2
	v_lshl_add_u64 v[0:1], v[16:17], 0, v[0:1]
	v_ashrrev_i32_e32 v3, 31, v2
	v_lshl_add_u64 v[0:1], v[0:1], 0, v[2:3]
	v_lshlrev_b32_e32 v19, 2, v18
	;;#ASMSTART
	global_load_dwordx4 v[4:7], v[0:1], off offset:0   sc0 sc1 nt  
	global_load_dwordx4 v[0:3], v[0:1], off offset:64  sc0 sc1 nt  
	
	;;#ASMEND
	ds_read_b32 v20, v19 offset:24592
	v_add_u32_e32 v19, 0x6000, v19
	s_waitcnt lgkmcnt(0)
	v_cmp_ne_u32_e32 vcc, v20, v30
	s_and_saveexec_b64 s[12:13], vcc
	s_cbranch_execz .LBB54_31
; %bb.33:                               ;   in Loop: Header=BB54_32 Depth=2
	s_mov_b64 s[14:15], 0
.LBB54_34:                              ;   Parent Loop BB54_7 Depth=1
                                        ;     Parent Loop BB54_32 Depth=2
                                        ; =>    This Inner Loop Header: Depth=3
	;;#ASMSTART
	s_sleep 0
	;;#ASMEND
	ds_read_b32 v20, v19 offset:16
	s_waitcnt lgkmcnt(0)
	v_cmp_eq_u32_e32 vcc, v20, v30
	s_or_b64 s[14:15], vcc, s[14:15]
	s_andn2_b64 exec, exec, s[14:15]
	s_cbranch_execnz .LBB54_34
	s_branch .LBB54_31
.LBB54_35:                              ;   in Loop: Header=BB54_7 Depth=1
	s_or_b64 exec, exec, s[10:11]
.LBB54_36:                              ;   in Loop: Header=BB54_7 Depth=1
	s_or_b64 exec, exec, s[8:9]
	v_subrev_u32_e32 v42, s16, v42
.LBB54_37:                              ;   in Loop: Header=BB54_7 Depth=1
	s_or_b64 exec, exec, s[6:7]
.LBB54_38:                              ;   in Loop: Header=BB54_7 Depth=1
	s_andn2_saveexec_b64 s[6:7], s[34:35]
	s_cbranch_execz .LBB54_6
; %bb.39:                               ;   in Loop: Header=BB54_7 Depth=1
	v_cmp_gt_i32_e32 vcc, s61, v42
	s_and_saveexec_b64 s[8:9], vcc
	s_cbranch_execz .LBB54_5
; %bb.40:                               ;   in Loop: Header=BB54_7 Depth=1
	s_mul_i32 s62, s62, s26
	s_ashr_i32 s10, s62, 31
	s_waitcnt lgkmcnt(0)
	s_add_u32 s11, s36, s62
	s_addc_u32 s12, s37, s10
	s_ashr_i32 s13, s63, 31
	v_cmp_le_i32_e32 vcc, s64, v38
	s_add_u32 s10, s11, s63
	s_addc_u32 s11, s12, s13
	v_cndmask_b32_e32 v0, 0, v39, vcc
	v_ashrrev_i32_e32 v1, 31, v0
	v_lshl_add_u64 v[0:1], s[10:11], 0, v[0:1]
	v_lshl_add_u64 v[16:17], v[0:1], 0, v[12:13]
	s_mov_b64 s[10:11], 0
	s_branch .LBB54_42
.LBB54_41:                              ;   in Loop: Header=BB54_42 Depth=2
	s_or_b64 exec, exec, s[12:13]
	v_lshl_add_u32 v20, v18, 11, v40
	;;#ASMSTART
	s_waitcnt vmcnt(1)
	;;#ASMEND
	ds_write2_b32 v20, v4, v5 offset1:32
	ds_write2_b32 v20, v6, v7 offset0:64 offset1:96
	v_add_u32_e32 v4, 0x400, v20
	v_add_u32_e32 v42, s29, v42
	;;#ASMSTART
	s_waitcnt vmcnt(0)
	;;#ASMEND
	ds_write2_b32 v4, v0, v1 offset1:32
	ds_write2_b32 v4, v2, v3 offset0:64 offset1:96
	v_add_u32_e32 v0, 1, v30
	v_add_u32_e32 v18, s29, v18
	v_cmp_le_i32_e32 vcc, s61, v42
	ds_write_b32 v19, v0
	v_add_u32_e32 v0, 2, v30
	s_or_b64 s[10:11], vcc, s[10:11]
	v_cmp_lt_i32_e32 vcc, 3, v18
	s_nop 1
	v_cndmask_b32_e32 v30, v30, v0, vcc
	s_andn2_b64 exec, exec, s[10:11]
	s_cbranch_execz .LBB54_4
.LBB54_42:                              ;   Parent Loop BB54_7 Depth=1
                                        ; =>  This Loop Header: Depth=2
                                        ;       Child Loop BB54_44 Depth 3
	v_cmp_gt_i32_e32 vcc, 4, v18
	s_nop 1
	v_cndmask_b32_e64 v0, -4, 0, vcc
	v_add_u32_e32 v18, v0, v18
	v_lshlrev_b32_e32 v0, 7, v42
	v_ashrrev_i32_e32 v1, 31, v0
	v_lshl_add_u64 v[0:1], v[16:17], 0, v[0:1]
	v_lshlrev_b32_e32 v19, 2, v18
	;;#ASMSTART
	global_load_dwordx4 v[4:7], v[0:1], off offset:0   
	global_load_dwordx4 v[0:3], v[0:1], off offset:64  
	
	;;#ASMEND
	ds_read_b32 v20, v19 offset:24576
	v_add_u32_e32 v19, 0x6000, v19
	s_waitcnt lgkmcnt(0)
	v_cmp_ne_u32_e32 vcc, v20, v30
	s_and_saveexec_b64 s[12:13], vcc
	s_cbranch_execz .LBB54_41
; %bb.43:                               ;   in Loop: Header=BB54_42 Depth=2
	s_mov_b64 s[14:15], 0
.LBB54_44:                              ;   Parent Loop BB54_7 Depth=1
                                        ;     Parent Loop BB54_42 Depth=2
                                        ; =>    This Inner Loop Header: Depth=3
	;;#ASMSTART
	s_sleep 0
	;;#ASMEND
	ds_read_b32 v20, v19
	s_waitcnt lgkmcnt(0)
	v_cmp_eq_u32_e32 vcc, v20, v30
	s_or_b64 s[14:15], vcc, s[14:15]
	s_andn2_b64 exec, exec, s[14:15]
	s_cbranch_execnz .LBB54_44
	s_branch .LBB54_41
.LBB54_45:
	s_endpgm
	.section	.rodata,"a",@progbits
	.p2align	6, 0x0
	.amdhsa_kernel _Z19_skinny_gemm_kernelILi1ELi2ELi4ELi16ELi4EEvPKhS1_P6__halfPKfiiiiiiii
		.amdhsa_group_segment_fixed_size 24624
		.amdhsa_private_segment_fixed_size 0
		.amdhsa_kernarg_size 64
		.amdhsa_user_sgpr_count 2
		.amdhsa_user_sgpr_dispatch_ptr 0
		.amdhsa_user_sgpr_queue_ptr 0
		.amdhsa_user_sgpr_kernarg_segment_ptr 1
		.amdhsa_user_sgpr_dispatch_id 0
		.amdhsa_user_sgpr_kernarg_preload_length 0
		.amdhsa_user_sgpr_kernarg_preload_offset 0
		.amdhsa_user_sgpr_private_segment_size 0
		.amdhsa_uses_dynamic_stack 0
		.amdhsa_enable_private_segment 0
		.amdhsa_system_sgpr_workgroup_id_x 1
		.amdhsa_system_sgpr_workgroup_id_y 0
		.amdhsa_system_sgpr_workgroup_id_z 0
		.amdhsa_system_sgpr_workgroup_info 0
		.amdhsa_system_vgpr_workitem_id 0
		.amdhsa_next_free_vgpr 50
		.amdhsa_next_free_sgpr 65
		.amdhsa_accum_offset 52
		.amdhsa_reserve_vcc 1
		.amdhsa_float_round_mode_32 0
		.amdhsa_float_round_mode_16_64 0
		.amdhsa_float_denorm_mode_32 3
		.amdhsa_float_denorm_mode_16_64 3
		.amdhsa_dx10_clamp 1
		.amdhsa_ieee_mode 1
		.amdhsa_fp16_overflow 0
		.amdhsa_tg_split 0
		.amdhsa_exception_fp_ieee_invalid_op 0
		.amdhsa_exception_fp_denorm_src 0
		.amdhsa_exception_fp_ieee_div_zero 0
		.amdhsa_exception_fp_ieee_overflow 0
		.amdhsa_exception_fp_ieee_underflow 0
		.amdhsa_exception_fp_ieee_inexact 0
		.amdhsa_exception_int_div_zero 0
	.end_amdhsa_kernel
	.section	.text._Z19_skinny_gemm_kernelILi1ELi2ELi4ELi16ELi4EEvPKhS1_P6__halfPKfiiiiiiii,"axG",@progbits,_Z19_skinny_gemm_kernelILi1ELi2ELi4ELi16ELi4EEvPKhS1_P6__halfPKfiiiiiiii,comdat
.Lfunc_end54:
	.size	_Z19_skinny_gemm_kernelILi1ELi2ELi4ELi16ELi4EEvPKhS1_P6__halfPKfiiiiiiii, .Lfunc_end54-_Z19_skinny_gemm_kernelILi1ELi2ELi4ELi16ELi4EEvPKhS1_P6__halfPKfiiiiiiii
                                        ; -- End function
	.set _Z19_skinny_gemm_kernelILi1ELi2ELi4ELi16ELi4EEvPKhS1_P6__halfPKfiiiiiiii.num_vgpr, 50
	.set _Z19_skinny_gemm_kernelILi1ELi2ELi4ELi16ELi4EEvPKhS1_P6__halfPKfiiiiiiii.num_agpr, 0
	.set _Z19_skinny_gemm_kernelILi1ELi2ELi4ELi16ELi4EEvPKhS1_P6__halfPKfiiiiiiii.numbered_sgpr, 65
	.set _Z19_skinny_gemm_kernelILi1ELi2ELi4ELi16ELi4EEvPKhS1_P6__halfPKfiiiiiiii.num_named_barrier, 0
	.set _Z19_skinny_gemm_kernelILi1ELi2ELi4ELi16ELi4EEvPKhS1_P6__halfPKfiiiiiiii.private_seg_size, 0
	.set _Z19_skinny_gemm_kernelILi1ELi2ELi4ELi16ELi4EEvPKhS1_P6__halfPKfiiiiiiii.uses_vcc, 1
	.set _Z19_skinny_gemm_kernelILi1ELi2ELi4ELi16ELi4EEvPKhS1_P6__halfPKfiiiiiiii.uses_flat_scratch, 0
	.set _Z19_skinny_gemm_kernelILi1ELi2ELi4ELi16ELi4EEvPKhS1_P6__halfPKfiiiiiiii.has_dyn_sized_stack, 0
	.set _Z19_skinny_gemm_kernelILi1ELi2ELi4ELi16ELi4EEvPKhS1_P6__halfPKfiiiiiiii.has_recursion, 0
	.set _Z19_skinny_gemm_kernelILi1ELi2ELi4ELi16ELi4EEvPKhS1_P6__halfPKfiiiiiiii.has_indirect_call, 0
	.section	.AMDGPU.csdata,"",@progbits
; Kernel info:
; codeLenInByte = 3172
; TotalNumSgprs: 71
; NumVgprs: 50
; NumAgprs: 0
; TotalNumVgprs: 50
; ScratchSize: 0
; MemoryBound: 0
; FloatMode: 240
; IeeeMode: 1
; LDSByteSize: 24624 bytes/workgroup (compile time only)
; SGPRBlocks: 8
; VGPRBlocks: 6
; NumSGPRsForWavesPerEU: 71
; NumVGPRsForWavesPerEU: 50
; AccumOffset: 52
; Occupancy: 8
; WaveLimiterHint : 0
; COMPUTE_PGM_RSRC2:SCRATCH_EN: 0
; COMPUTE_PGM_RSRC2:USER_SGPR: 2
; COMPUTE_PGM_RSRC2:TRAP_HANDLER: 0
; COMPUTE_PGM_RSRC2:TGID_X_EN: 1
; COMPUTE_PGM_RSRC2:TGID_Y_EN: 0
; COMPUTE_PGM_RSRC2:TGID_Z_EN: 0
; COMPUTE_PGM_RSRC2:TIDIG_COMP_CNT: 0
; COMPUTE_PGM_RSRC3_GFX90A:ACCUM_OFFSET: 12
; COMPUTE_PGM_RSRC3_GFX90A:TG_SPLIT: 0
	.section	.text._Z19_skinny_gemm_kernelILi1ELi2ELi4ELi16ELi8EEvPKhS1_P6__halfPKfiiiiiiii,"axG",@progbits,_Z19_skinny_gemm_kernelILi1ELi2ELi4ELi16ELi8EEvPKhS1_P6__halfPKfiiiiiiii,comdat
	.protected	_Z19_skinny_gemm_kernelILi1ELi2ELi4ELi16ELi8EEvPKhS1_P6__halfPKfiiiiiiii ; -- Begin function _Z19_skinny_gemm_kernelILi1ELi2ELi4ELi16ELi8EEvPKhS1_P6__halfPKfiiiiiiii
	.globl	_Z19_skinny_gemm_kernelILi1ELi2ELi4ELi16ELi8EEvPKhS1_P6__halfPKfiiiiiiii
	.p2align	8
	.type	_Z19_skinny_gemm_kernelILi1ELi2ELi4ELi16ELi8EEvPKhS1_P6__halfPKfiiiiiiii,@function
_Z19_skinny_gemm_kernelILi1ELi2ELi4ELi16ELi8EEvPKhS1_P6__halfPKfiiiiiiii: ; @_Z19_skinny_gemm_kernelILi1ELi2ELi4ELi16ELi8EEvPKhS1_P6__halfPKfiiiiiiii
; %bb.0:
	v_cmp_gt_u32_e32 vcc, 12, v0
	v_lshlrev_b32_e32 v1, 2, v0
	s_and_saveexec_b64 s[4:5], vcc
; %bb.1:
	v_mov_b32_e32 v2, 0
	ds_write_b32 v1, v2 offset:49152
; %bb.2:
	s_or_b64 exec, exec, s[4:5]
	s_load_dwordx8 s[16:23], s[0:1], 0x20
	s_waitcnt lgkmcnt(0)
	s_barrier
	s_add_i32 s3, s16, 15
	s_ashr_i32 s5, s3, 31
	s_add_i32 s4, s17, 31
	s_lshr_b32 s5, s5, 28
	s_ashr_i32 s6, s4, 31
	s_add_i32 s3, s3, s5
	s_ashr_i32 s33, s3, 4
	s_lshr_b32 s3, s6, 27
	s_add_i32 s4, s4, s3
	s_ashr_i32 s44, s4, 5
	s_mul_i32 s3, s44, s33
	s_mul_i32 s3, s3, s20
	s_add_i32 s4, s3, 0x12f
	s_mul_hi_i32 s4, s4, 0x6bca1af3
	s_lshr_b32 s5, s4, 31
	s_ashr_i32 s4, s4, 7
	s_add_i32 s4, s4, s5
	s_add_i32 s5, s2, 1
	s_mul_i32 s5, s4, s5
	v_cvt_f64_i32_e32 v[2:3], s3
	v_cvt_f64_u32_e32 v[4:5], s5
	v_min_f64 v[2:3], v[2:3], v[4:5]
	v_cvt_i32_f64_e32 v17, v[2:3]
	s_mul_i32 s45, s4, s2
	v_cmp_ge_i32_e32 vcc, s45, v17
	s_cbranch_vccnz .LBB55_45
; %bb.3:
	v_lshrrev_b32_e32 v2, 6, v0
	s_add_i32 s4, s22, s21
	s_load_dwordx8 s[24:31], s[0:1], 0x0
	v_cmp_le_i32_e64 s[0:1], s4, v2
	v_mov_b32_e32 v3, s21
	v_cmp_le_i32_e64 s[2:3], s21, v2
	v_mov_b32_e32 v4, s22
	v_cndmask_b32_e64 v4, 0, v4, s[0:1]
	v_cndmask_b32_e64 v3, 0, v3, s[2:3]
	s_abs_i32 s5, s20
	v_add_u32_e32 v3, v3, v4
	v_cvt_f32_u32_e32 v4, s5
	v_sub_u32_e32 v8, v2, v3
	s_ashr_i32 s6, s18, 31
	s_lshr_b32 s6, s6, 24
	v_rcp_iflag_f32_e32 v3, v4
	s_sub_i32 s9, 0, s5
	s_add_i32 s6, s18, s6
	s_ashr_i32 s6, s6, 8
	v_mul_f32_e32 v3, 0x4f7ffffe, v3
	v_cvt_u32_f32_e32 v3, v3
	s_abs_i32 s8, s6
	s_xor_b32 s7, s6, s20
	s_ashr_i32 s7, s7, 31
	v_readfirstlane_b32 s10, v3
	s_mul_i32 s9, s9, s10
	s_mul_hi_u32 s9, s10, s9
	s_add_i32 s10, s10, s9
	s_mul_hi_u32 s9, s8, s10
	s_mul_i32 s10, s9, s5
	s_sub_i32 s8, s8, s10
	s_add_i32 s10, s9, 1
	s_sub_i32 s11, s8, s5
	s_cmp_ge_u32 s8, s5
	s_cselect_b32 s9, s10, s9
	s_cselect_b32 s8, s11, s8
	s_add_i32 s10, s9, 1
	s_cmp_ge_u32 s8, s5
	s_cselect_b32 s5, s10, s9
	s_xor_b32 s5, s5, s7
	s_sub_i32 s46, s5, s7
	s_add_i32 s20, s20, -1
	s_mul_i32 s5, s46, s20
	s_add_i32 s4, s4, s23
	s_sub_i32 s47, s6, s5
	v_cmp_gt_i32_e64 s[4:5], s4, v2
	v_lshlrev_b32_e32 v2, 1, v0
	v_lshlrev_b32_e32 v3, 4, v0
	v_and_b32_e32 v1, 60, v1
	v_and_b32_e32 v2, 64, v2
	;; [unrolled: 1-line block ×3, first 2 shown]
	s_abs_i32 s48, s33
	v_or3_b32 v43, v1, v2, v4
	v_and_b32_e32 v1, 1, v0
	v_cvt_f32_u32_e32 v6, s48
	v_lshlrev_b32_e32 v2, 1, v1
	v_lshrrev_b32_e32 v4, 2, v0
	v_and_b32_e32 v16, 14, v0
	v_sub_u32_e32 v2, v0, v2
	v_and_or_b32 v45, v4, 12, v1
	v_bitop3_b32 v46, v0, 1, v0 bitop3:0xc
	v_bitop3_b32 v47, v0, 3, 1 bitop3:0x6c
	v_and_b32_e32 v20, 48, v3
	v_bfe_u32 v1, v0, 2, 4
	v_and_b32_e32 v3, 60, v0
	v_lshlrev_b32_e32 v5, 8, v0
	v_lshlrev_b32_e32 v0, 6, v0
	v_and_b32_e32 v5, 0x200, v5
	v_and_b32_e32 v0, 64, v0
	v_or3_b32 v49, v3, v5, v0
	v_rcp_iflag_f32_e32 v0, v6
	s_abs_i32 s50, s44
	v_mul_lo_u32 v22, s19, v1
	v_mul_lo_u32 v51, s18, v1
	v_cvt_f32_u32_e32 v1, s50
	v_mul_f32_e32 v0, 0x4f7ffffe, v0
	v_cvt_u32_f32_e32 v0, v0
	v_mad_u64_u32 v[18:19], s[6:7], s17, v45, v[16:17]
	v_rcp_iflag_f32_e32 v1, v1
	v_readfirstlane_b32 s7, v0
	s_sub_i32 s6, 0, s48
	s_mul_i32 s6, s6, s7
	v_mul_f32_e32 v0, 0x4f7ffffe, v1
	v_cvt_u32_f32_e32 v0, v0
	s_mul_hi_u32 s6, s7, s6
	v_add_u32_e32 v2, 1, v2
	s_add_i32 s52, s7, s6
	s_sub_i32 s6, 0, s50
	v_readfirstlane_b32 s7, v0
	v_mbcnt_lo_u32_b32 v0, -1, 0
	v_and_b32_e32 v2, 63, v2
	s_mul_i32 s6, s6, s7
	v_mbcnt_hi_u32_b32 v0, -1, v0
	s_mul_hi_u32 s6, s7, s6
	v_and_or_b32 v0, v0, 64, v2
	v_cndmask_b32_e64 v42, 0, 1, s[0:1]
	v_or_b32_e32 v44, 0x8000, v43
	v_or_b32_e32 v48, 16, v16
	v_ashrrev_i32_e32 v19, 31, v18
	s_ashr_i32 s35, s17, 31
	s_mov_b32 s34, s17
	v_ashrrev_i32_e32 v23, 31, v22
	v_mov_b32_e32 v21, 0
	s_lshl_b32 s49, s19, 4
	v_bitop3_b32 v50, v4, 15, v4 bitop3:0xc
	v_or_b32_e32 v52, 0x8000, v49
	s_ashr_i32 s51, s33, 31
	s_ashr_i32 s53, s44, 31
	s_add_i32 s54, s7, s6
	v_lshlrev_b32_e32 v53, 2, v0
	v_mov_b32_e32 v54, v8
	s_branch .LBB55_7
.LBB55_4:                               ;   in Loop: Header=BB55_7 Depth=1
	s_or_b64 exec, exec, s[10:11]
.LBB55_5:                               ;   in Loop: Header=BB55_7 Depth=1
	s_or_b64 exec, exec, s[8:9]
	v_subrev_u32_e32 v54, s55, v54
.LBB55_6:                               ;   in Loop: Header=BB55_7 Depth=1
	s_or_b64 exec, exec, s[6:7]
	s_add_i32 s45, s45, 1
	v_cmp_ge_i32_e32 vcc, s45, v17
	s_cbranch_vccnz .LBB55_45
.LBB55_7:                               ; =>This Loop Header: Depth=1
                                        ;     Child Loop BB55_13 Depth 2
                                        ;       Child Loop BB55_15 Depth 3
                                        ;       Child Loop BB55_18 Depth 3
                                        ;       Child Loop BB55_21 Depth 3
                                        ;     Child Loop BB55_32 Depth 2
                                        ;       Child Loop BB55_34 Depth 3
                                        ;     Child Loop BB55_42 Depth 2
                                        ;       Child Loop BB55_44 Depth 3
	s_abs_i32 s7, s45
	s_mul_hi_u32 s8, s7, s52
	s_mul_i32 s9, s8, s48
	s_ashr_i32 s6, s45, 31
	s_sub_i32 s7, s7, s9
	s_xor_b32 s6, s6, s51
	s_add_i32 s9, s8, 1
	s_sub_i32 s10, s7, s48
	s_cmp_ge_u32 s7, s48
	s_cselect_b32 s8, s9, s8
	s_cselect_b32 s7, s10, s7
	s_add_i32 s9, s8, 1
	s_cmp_ge_u32 s7, s48
	s_cselect_b32 s7, s9, s8
	s_xor_b32 s7, s7, s6
	s_sub_i32 s6, s7, s6
	s_abs_i32 s8, s6
	s_mul_i32 s7, s6, s33
	s_mul_hi_u32 s9, s8, s54
	s_sub_i32 s7, s45, s7
	s_mul_i32 s10, s9, s50
	s_lshl_b32 s56, s7, 4
	s_ashr_i32 s7, s6, 31
	s_sub_i32 s8, s8, s10
	s_xor_b32 s7, s7, s53
	s_add_i32 s10, s9, 1
	s_sub_i32 s11, s8, s50
	s_cmp_ge_u32 s8, s50
	s_cselect_b32 s9, s10, s9
	s_cselect_b32 s8, s11, s8
	s_add_i32 s10, s9, 1
	s_cmp_ge_u32 s8, s50
	s_cselect_b32 s8, s10, s9
	s_xor_b32 s8, s8, s7
	s_sub_i32 s7, s8, s7
	s_mul_i32 s8, s7, s46
	s_lshl_b32 s57, s8, 8
	s_cmp_eq_u32 s7, s20
	s_cselect_b32 s55, s47, s46
	s_sub_i32 s58, s56, s16
	s_add_i32 s58, s58, 16
	s_and_saveexec_b64 s[8:9], s[2:3]
	s_xor_b64 s[36:37], exec, s[8:9]
	s_cbranch_execz .LBB55_38
; %bb.8:                                ;   in Loop: Header=BB55_7 Depth=1
	s_mul_i32 s7, s7, s44
	s_sub_i32 s6, s6, s7
	s_lshl_b32 s6, s6, 5
	s_sub_i32 s14, s6, s17
	s_add_i32 s14, s14, 32
	s_max_i32 s7, s14, 0
	s_sub_i32 s38, s6, s7
	s_and_saveexec_b64 s[6:7], s[0:1]
	s_xor_b64 s[40:41], exec, s[6:7]
	s_cbranch_execz .LBB55_28
; %bb.9:                                ;   in Loop: Header=BB55_7 Depth=1
	s_and_saveexec_b64 s[42:43], s[4:5]
	s_cbranch_execz .LBB55_27
; %bb.10:                               ;   in Loop: Header=BB55_7 Depth=1
	s_waitcnt lgkmcnt(0)
	global_load_dword v55, v21, s[30:31]
	v_mov_b32_e32 v7, 0
	v_cmp_gt_i32_e32 vcc, s55, v54
	v_mov_b32_e32 v6, v7
	v_mov_b32_e32 v5, v7
	;; [unrolled: 1-line block ×7, first 2 shown]
	s_and_saveexec_b64 s[6:7], vcc
	s_cbranch_execz .LBB55_23
; %bb.11:                               ;   in Loop: Header=BB55_7 Depth=1
	v_mov_b32_e32 v0, 0
	s_mov_b64 s[8:9], 0
	v_mov_b32_e32 v1, v0
	v_mov_b32_e32 v2, v0
	;; [unrolled: 1-line block ×7, first 2 shown]
	s_branch .LBB55_13
.LBB55_12:                              ;   in Loop: Header=BB55_13 Depth=2
	s_or_b64 exec, exec, s[10:11]
	v_add_u32_e32 v28, v43, v59
	v_add_u32_e32 v29, 0x1000, v28
	ds_read2_b32 v[26:27], v29 offset1:32
	v_add_u32_e32 v54, s23, v54
	v_cmp_le_i32_e32 vcc, s55, v54
	s_or_b64 s[8:9], vcc, s[8:9]
	s_waitcnt lgkmcnt(0)
	v_mfma_f32_16x16x32_fp8_fp8 v[0:3], v[8:9], v[26:27], v[0:3]
	ds_read2_b32 v[8:9], v29 offset0:128 offset1:160
	v_add_u32_e32 v26, 0x1400, v28
	s_waitcnt lgkmcnt(0)
	v_mfma_f32_16x16x32_fp8_fp8 v[0:3], v[10:11], v[8:9], v[0:3]
	ds_read2_b32 v[8:9], v26 offset1:32
	v_add_u32_e32 v10, 0x1800, v28
	s_waitcnt lgkmcnt(0)
	v_mfma_f32_16x16x32_fp8_fp8 v[0:3], v[38:39], v[8:9], v[0:3]
	ds_read2_b32 v[8:9], v26 offset0:128 offset1:160
	v_add_u32_e32 v26, 0x1c00, v28
	s_waitcnt lgkmcnt(0)
	v_mfma_f32_16x16x32_fp8_fp8 v[0:3], v[36:37], v[8:9], v[0:3]
	ds_read2_b32 v[8:9], v10 offset1:32
	s_waitcnt lgkmcnt(0)
	v_mfma_f32_16x16x32_fp8_fp8 v[0:3], v[40:41], v[8:9], v[0:3]
	ds_read2_b32 v[8:9], v10 offset0:128 offset1:160
	ds_read2_b32 v[10:11], v26 offset1:32
	s_waitcnt lgkmcnt(1)
	v_mfma_f32_16x16x32_fp8_fp8 v[0:3], v[24:25], v[8:9], v[0:3]
	ds_read2_b32 v[24:25], v26 offset0:128 offset1:160
	v_add_u32_e32 v8, s23, v57
	v_add_u32_e32 v9, 2, v42
	s_waitcnt lgkmcnt(1)
	v_mfma_f32_16x16x32_fp8_fp8 v[0:3], v[14:15], v[10:11], v[0:3]
	v_cmp_lt_i32_e32 vcc, 3, v8
	;;#ASMSTART
	s_waitcnt lgkmcnt(0)
	;;#ASMEND
	ds_write_b32 v56, v58 offset:49172
	s_waitcnt lgkmcnt(1)
	v_mfma_f32_16x16x32_fp8_fp8 v[0:3], v[12:13], v[24:25], v[0:3]
	v_cndmask_b32_e32 v42, v42, v9, vcc
	s_andn2_b64 exec, exec, s[8:9]
	s_cbranch_execz .LBB55_22
.LBB55_13:                              ;   Parent Loop BB55_7 Depth=1
                                        ; =>  This Loop Header: Depth=2
                                        ;       Child Loop BB55_15 Depth 3
                                        ;       Child Loop BB55_18 Depth 3
	;; [unrolled: 1-line block ×3, first 2 shown]
	v_cmp_gt_i32_e32 vcc, 4, v8
	s_nop 1
	v_cndmask_b32_e64 v9, -4, 0, vcc
	v_add_u32_e32 v57, v9, v8
	v_lshlrev_b32_e32 v56, 3, v57
	ds_read_b32 v8, v56 offset:49168
	s_waitcnt lgkmcnt(0)
	v_cmp_ne_u32_e32 vcc, v8, v42
	s_and_saveexec_b64 s[10:11], vcc
	s_cbranch_execz .LBB55_16
; %bb.14:                               ;   in Loop: Header=BB55_13 Depth=2
	s_mov_b64 s[12:13], 0
.LBB55_15:                              ;   Parent Loop BB55_7 Depth=1
                                        ;     Parent Loop BB55_13 Depth=2
                                        ; =>    This Inner Loop Header: Depth=3
	;;#ASMSTART
	s_sleep 0
	;;#ASMEND
	ds_read_b32 v8, v56 offset:49168
	s_waitcnt lgkmcnt(0)
	v_cmp_eq_u32_e32 vcc, v8, v42
	s_or_b64 s[12:13], vcc, s[12:13]
	s_andn2_b64 exec, exec, s[12:13]
	s_cbranch_execnz .LBB55_15
.LBB55_16:                              ;   in Loop: Header=BB55_13 Depth=2
	s_or_b64 exec, exec, s[10:11]
	v_lshlrev_b32_e32 v59, 13, v57
	v_or_b32_e32 v8, v43, v59
	v_add_u32_e32 v9, 0x400, v8
	ds_read2_b32 v[12:13], v8 offset1:32
	ds_read2_b32 v[14:15], v8 offset0:128 offset1:160
	ds_read2_b32 v[24:25], v9 offset1:32
	ds_read2_b32 v[26:27], v9 offset0:128 offset1:160
	v_add_u32_e32 v9, 0x800, v8
	v_add_u32_e32 v8, 0xc00, v8
	;; [unrolled: 1-line block ×3, first 2 shown]
	ds_read2_b32 v[28:29], v9 offset1:32
	ds_read2_b32 v[30:31], v9 offset0:128 offset1:160
	ds_read2_b32 v[34:35], v8 offset1:32
	ds_read2_b32 v[32:33], v8 offset0:128 offset1:160
	;;#ASMSTART
	s_waitcnt lgkmcnt(0)
	;;#ASMEND
	ds_write_b32 v56, v58 offset:49168
	v_lshlrev_b32_e32 v8, 2, v57
	ds_read_b32 v9, v8 offset:49152
	v_add_u32_e32 v60, 0xc000, v8
	s_waitcnt lgkmcnt(0)
	v_cmp_ne_u32_e32 vcc, v9, v42
	s_and_saveexec_b64 s[10:11], vcc
	s_cbranch_execz .LBB55_19
; %bb.17:                               ;   in Loop: Header=BB55_13 Depth=2
	s_mov_b64 s[12:13], 0
.LBB55_18:                              ;   Parent Loop BB55_7 Depth=1
                                        ;     Parent Loop BB55_13 Depth=2
                                        ; =>    This Inner Loop Header: Depth=3
	;;#ASMSTART
	s_sleep 0
	;;#ASMEND
	ds_read_b32 v8, v60
	s_waitcnt lgkmcnt(0)
	v_cmp_eq_u32_e32 vcc, v8, v42
	s_or_b64 s[12:13], vcc, s[12:13]
	s_andn2_b64 exec, exec, s[12:13]
	s_cbranch_execnz .LBB55_18
.LBB55_19:                              ;   in Loop: Header=BB55_13 Depth=2
	s_or_b64 exec, exec, s[10:11]
	v_lshl_add_u32 v61, v57, 12, v44
	ds_read2_b32 v[8:9], v61 offset1:32
	ds_read2_b32 v[10:11], v61 offset0:128 offset1:160
	v_add_u32_e32 v36, 0x400, v61
	ds_read2_b32 v[38:39], v36 offset1:32
	ds_read2_b32 v[36:37], v36 offset0:128 offset1:160
	s_waitcnt lgkmcnt(3)
	v_mfma_f32_16x16x32_fp8_fp8 v[4:7], v[8:9], v[12:13], v[4:7]
	v_add_u32_e32 v12, 0x800, v61
	ds_read2_b32 v[40:41], v12 offset1:32
	ds_write_b32 v60, v58
	s_waitcnt lgkmcnt(4)
	v_mfma_f32_16x16x32_fp8_fp8 v[4:7], v[10:11], v[14:15], v[4:7]
	s_waitcnt lgkmcnt(3)
	v_mfma_f32_16x16x32_fp8_fp8 v[4:7], v[38:39], v[24:25], v[4:7]
	ds_read2_b32 v[24:25], v12 offset0:128 offset1:160
	v_add_u32_e32 v12, 0xc00, v61
	ds_read2_b32 v[14:15], v12 offset1:32
	s_waitcnt lgkmcnt(4)
	v_mfma_f32_16x16x32_fp8_fp8 v[4:7], v[36:37], v[26:27], v[4:7]
	ds_read2_b32 v[12:13], v12 offset0:128 offset1:160
	ds_read_b32 v26, v56 offset:49172
	s_waitcnt lgkmcnt(0)
	v_cmp_ne_u32_e32 vcc, v26, v42
	v_mfma_f32_16x16x32_fp8_fp8 v[4:7], v[40:41], v[28:29], v[4:7]
	v_mfma_f32_16x16x32_fp8_fp8 v[4:7], v[24:25], v[30:31], v[4:7]
	;; [unrolled: 1-line block ×4, first 2 shown]
	s_and_saveexec_b64 s[10:11], vcc
	s_cbranch_execz .LBB55_12
; %bb.20:                               ;   in Loop: Header=BB55_13 Depth=2
	s_mov_b64 s[12:13], 0
.LBB55_21:                              ;   Parent Loop BB55_7 Depth=1
                                        ;     Parent Loop BB55_13 Depth=2
                                        ; =>    This Inner Loop Header: Depth=3
	;;#ASMSTART
	s_sleep 0
	;;#ASMEND
	ds_read_b32 v26, v56 offset:49172
	s_waitcnt lgkmcnt(0)
	v_cmp_eq_u32_e32 vcc, v26, v42
	s_or_b64 s[12:13], vcc, s[12:13]
	s_andn2_b64 exec, exec, s[12:13]
	s_cbranch_execnz .LBB55_21
	s_branch .LBB55_12
.LBB55_22:                              ;   in Loop: Header=BB55_7 Depth=1
	s_or_b64 exec, exec, s[8:9]
.LBB55_23:                              ;   in Loop: Header=BB55_7 Depth=1
	s_or_b64 exec, exec, s[6:7]
	v_cmp_le_i32_e32 vcc, s14, v16
	v_cmp_eq_u32_e64 s[6:7], 2, v46
	v_cmp_eq_u32_e64 s[8:9], 3, v46
	s_waitcnt vmcnt(0)
	v_cndmask_b32_e32 v10, 0, v55, vcc
	v_pk_mul_f32 v[6:7], v[10:11], v[6:7] op_sel_hi:[0,1]
	v_pk_mul_f32 v[10:11], v[10:11], v[4:5] op_sel_hi:[0,1]
	v_cmp_eq_u32_e32 vcc, 1, v46
	v_cmp_eq_u32_e64 s[10:11], 0, v46
	v_cmp_eq_u32_e64 s[12:13], 1, v47
	v_cndmask_b32_e32 v4, v10, v11, vcc
	v_cndmask_b32_e64 v4, v4, v6, s[6:7]
	v_cndmask_b32_e64 v4, v4, v7, s[8:9]
	ds_bpermute_b32 v12, v53, v4
	v_cmp_le_i32_e64 s[14:15], s14, v48
	s_waitcnt lgkmcnt(0)
	v_cndmask_b32_e32 v9, v11, v12, vcc
	v_cndmask_b32_e64 v10, v10, v12, s[10:11]
	v_cndmask_b32_e64 v4, v7, v12, s[8:9]
	;; [unrolled: 1-line block ×5, first 2 shown]
	v_pk_mul_f32 v[14:15], v[6:7], v[0:1] op_sel_hi:[0,1]
	v_pk_mul_f32 v[12:13], v[6:7], v[2:3] op_sel_hi:[0,1]
	v_cndmask_b32_e32 v0, v14, v15, vcc
	v_cndmask_b32_e64 v0, v0, v12, s[6:7]
	v_cndmask_b32_e64 v0, v0, v13, s[8:9]
	ds_bpermute_b32 v1, v53, v0
	v_cmp_eq_u32_e32 vcc, 2, v47
	v_cmp_eq_u32_e64 s[14:15], 3, v47
	s_waitcnt lgkmcnt(0)
	v_cndmask_b32_e64 v6, v12, v1, s[6:7]
	v_cndmask_b32_e32 v0, v7, v5, vcc
	v_cndmask_b32_e64 v0, v0, v4, s[14:15]
	v_cmp_ne_u32_e64 s[6:7], 0, v46
	ds_bpermute_b32 v2, v53, v0
	v_cndmask_b32_e64 v3, v13, v1, s[8:9]
	v_cndmask_b32_e64 v0, v15, v1, s[6:7]
	v_cndmask_b32_e64 v1, v14, v1, s[10:11]
	v_cndmask_b32_e64 v7, v1, v0, s[12:13]
	v_cndmask_b32_e32 v7, v7, v6, vcc
	v_cndmask_b32_e64 v7, v7, v3, s[14:15]
	ds_bpermute_b32 v7, v53, v7
	s_max_i32 s6, s58, 0
	v_add_u32_e32 v11, s6, v45
	v_cmp_gt_u32_e32 vcc, 16, v11
	s_and_saveexec_b64 s[12:13], vcc
	s_cbranch_execz .LBB55_26
; %bb.24:                               ;   in Loop: Header=BB55_7 Depth=1
	v_cmp_eq_u32_e64 s[8:9], 1, v47
	v_cmp_eq_u32_e64 s[10:11], 0, v47
	v_cmp_eq_u32_e32 vcc, 3, v47
	s_waitcnt lgkmcnt(1)
	v_cndmask_b32_e64 v9, v9, v2, s[8:9]
	s_waitcnt lgkmcnt(0)
	v_cndmask_b32_e64 v12, v0, v7, s[8:9]
	s_mul_i32 s8, s56, s17
	s_ashr_i32 s9, s8, 31
	s_lshl_b64 s[8:9], s[8:9], 1
	v_cndmask_b32_e64 v10, v10, v2, s[10:11]
	v_cndmask_b32_e64 v13, v1, v7, s[10:11]
	s_add_u32 s10, s28, s8
	s_addc_u32 s11, s29, s9
	s_ashr_i32 s39, s38, 31
	v_cvt_f16_f32_e32 v10, v10
	v_cvt_f16_f32_sdwa v9, v9 dst_sel:WORD_1 dst_unused:UNUSED_PAD src0_sel:DWORD
	s_lshl_b64 s[8:9], s[38:39], 1
	v_cvt_f16_f32_e32 v14, v13
	v_cvt_f16_f32_sdwa v15, v12 dst_sel:WORD_1 dst_unused:UNUSED_PAD src0_sel:DWORD
	s_add_u32 s8, s10, s8
	s_addc_u32 s9, s11, s9
	v_cmp_eq_u32_e64 s[6:7], 2, v47
	v_lshl_add_u64 v[0:1], v[18:19], 1, s[8:9]
	v_or_b32_e32 v9, v9, v10
	v_cmp_gt_u32_e64 s[8:9], 14, v11
	;;#ASMSTART
	global_atomic_pk_add_f16 v[0:1], v9, off
	
	;;#ASMEND
	v_lshl_add_u64 v[12:13], v[0:1], 0, 32
	v_or_b32_e32 v9, v15, v14
	;;#ASMSTART
	global_atomic_pk_add_f16 v[12:13], v9, off
	
	;;#ASMEND
	s_and_b64 exec, exec, s[8:9]
	s_cbranch_execz .LBB55_26
; %bb.25:                               ;   in Loop: Header=BB55_7 Depth=1
	v_cndmask_b32_e32 v4, v4, v2, vcc
	v_cndmask_b32_e64 v2, v5, v2, s[6:7]
	v_cndmask_b32_e32 v3, v3, v7, vcc
	v_cndmask_b32_e64 v5, v6, v7, s[6:7]
	v_cvt_f16_f32_e32 v2, v2
	v_cvt_f16_f32_sdwa v4, v4 dst_sel:WORD_1 dst_unused:UNUSED_PAD src0_sel:DWORD
	v_cvt_f16_f32_e32 v5, v5
	v_cvt_f16_f32_sdwa v3, v3 dst_sel:WORD_1 dst_unused:UNUSED_PAD src0_sel:DWORD
	v_lshl_add_u64 v[0:1], s[34:35], 2, v[0:1]
	v_or_b32_e32 v2, v4, v2
	;;#ASMSTART
	global_atomic_pk_add_f16 v[0:1], v2, off
	
	;;#ASMEND
	v_lshl_add_u64 v[0:1], v[0:1], 0, 32
	v_or_b32_e32 v2, v3, v5
	;;#ASMSTART
	global_atomic_pk_add_f16 v[0:1], v2, off
	
	;;#ASMEND
.LBB55_26:                              ;   in Loop: Header=BB55_7 Depth=1
	s_or_b64 exec, exec, s[12:13]
	v_subrev_u32_e32 v54, s55, v54
.LBB55_27:                              ;   in Loop: Header=BB55_7 Depth=1
	s_or_b64 exec, exec, s[42:43]
.LBB55_28:                              ;   in Loop: Header=BB55_7 Depth=1
	s_andn2_saveexec_b64 s[6:7], s[40:41]
	s_cbranch_execz .LBB55_37
; %bb.29:                               ;   in Loop: Header=BB55_7 Depth=1
	s_lshl_b32 s39, s55, 1
	v_cmp_gt_i32_e32 vcc, s39, v54
	s_and_saveexec_b64 s[8:9], vcc
	s_cbranch_execz .LBB55_36
; %bb.30:                               ;   in Loop: Header=BB55_7 Depth=1
	s_mul_i32 s10, s38, s19
	s_ashr_i32 s11, s10, 31
	s_waitcnt lgkmcnt(0)
	s_add_u32 s10, s26, s10
	s_addc_u32 s11, s27, s11
	s_ashr_i32 s12, s57, 31
	s_add_u32 s10, s10, s57
	s_addc_u32 s11, s11, s12
	v_lshl_add_u64 v[0:1], s[10:11], 0, v[22:23]
	v_lshl_add_u64 v[24:25], v[0:1], 0, v[20:21]
	s_mov_b64 s[10:11], 0
	s_branch .LBB55_32
.LBB55_31:                              ;   in Loop: Header=BB55_32 Depth=2
	s_or_b64 exec, exec, s[12:13]
	v_lshl_or_b32 v28, v26, 12, v49
	;;#ASMSTART
	s_waitcnt vmcnt(3)
	;;#ASMEND
	ds_write2_b32 v28, v12, v13 offset1:32
	ds_write2_b32 v28, v14, v15 offset0:64 offset1:96
	v_add_u32_e32 v12, 0x400, v28
	;;#ASMSTART
	s_waitcnt vmcnt(2)
	;;#ASMEND
	ds_write2_b32 v12, v8, v9 offset1:32
	ds_write2_b32 v12, v10, v11 offset0:64 offset1:96
	v_add_u32_e32 v8, 0x800, v28
	;;#ASMSTART
	s_waitcnt vmcnt(1)
	;;#ASMEND
	ds_write2_b32 v8, v4, v5 offset1:32
	ds_write2_b32 v8, v6, v7 offset0:64 offset1:96
	v_add_u32_e32 v4, 0xc00, v28
	v_add_u32_e32 v54, s22, v54
	;;#ASMSTART
	s_waitcnt vmcnt(0)
	;;#ASMEND
	ds_write2_b32 v4, v0, v1 offset1:32
	ds_write2_b32 v4, v2, v3 offset0:64 offset1:96
	v_add_u32_e32 v0, 1, v42
	v_add_u32_e32 v8, s22, v26
	v_cmp_le_i32_e32 vcc, s39, v54
	ds_write_b32 v27, v0 offset:16
	v_add_u32_e32 v0, 2, v42
	s_or_b64 s[10:11], vcc, s[10:11]
	v_cmp_lt_i32_e32 vcc, 7, v8
	s_nop 1
	v_cndmask_b32_e32 v42, v42, v0, vcc
	s_andn2_b64 exec, exec, s[10:11]
	s_cbranch_execz .LBB55_35
.LBB55_32:                              ;   Parent Loop BB55_7 Depth=1
                                        ; =>  This Loop Header: Depth=2
                                        ;       Child Loop BB55_34 Depth 3
	v_cmp_gt_i32_e32 vcc, 8, v8
	s_nop 1
	v_cndmask_b32_e64 v0, -8, 0, vcc
	v_add_u32_e32 v26, v0, v8
	v_lshrrev_b32_e32 v0, 31, v54
	v_add_u32_e32 v0, v54, v0
	v_and_b32_e32 v1, -2, v0
	v_lshlrev_b32_e32 v0, 7, v0
	v_sub_u32_e32 v2, v54, v1
	v_and_b32_e32 v0, 0xffffff00, v0
	v_ashrrev_i32_e32 v1, 31, v0
	v_mul_lo_u32 v2, s49, v2
	v_lshl_add_u64 v[0:1], v[24:25], 0, v[0:1]
	v_ashrrev_i32_e32 v3, 31, v2
	v_lshl_add_u64 v[0:1], v[0:1], 0, v[2:3]
	v_lshlrev_b32_e32 v27, 2, v26
	;;#ASMSTART
	global_load_dwordx4 v[12:15], v[0:1], off offset:0    sc0 sc1 nt  
	global_load_dwordx4 v[8:11], v[0:1], off offset:64   sc0 sc1 nt  
	global_load_dwordx4 v[4:7], v[0:1], off offset:128  sc0 sc1 nt  
	global_load_dwordx4 v[0:3], v[0:1], off offset:192  sc0 sc1 nt  
	
	;;#ASMEND
	ds_read_b32 v28, v27 offset:49168
	v_add_u32_e32 v27, 0xc000, v27
	s_waitcnt lgkmcnt(0)
	v_cmp_ne_u32_e32 vcc, v28, v42
	s_and_saveexec_b64 s[12:13], vcc
	s_cbranch_execz .LBB55_31
; %bb.33:                               ;   in Loop: Header=BB55_32 Depth=2
	s_mov_b64 s[14:15], 0
.LBB55_34:                              ;   Parent Loop BB55_7 Depth=1
                                        ;     Parent Loop BB55_32 Depth=2
                                        ; =>    This Inner Loop Header: Depth=3
	;;#ASMSTART
	s_sleep 0
	;;#ASMEND
	ds_read_b32 v28, v27 offset:16
	s_waitcnt lgkmcnt(0)
	v_cmp_eq_u32_e32 vcc, v28, v42
	s_or_b64 s[14:15], vcc, s[14:15]
	s_andn2_b64 exec, exec, s[14:15]
	s_cbranch_execnz .LBB55_34
	s_branch .LBB55_31
.LBB55_35:                              ;   in Loop: Header=BB55_7 Depth=1
	s_or_b64 exec, exec, s[10:11]
.LBB55_36:                              ;   in Loop: Header=BB55_7 Depth=1
	s_or_b64 exec, exec, s[8:9]
	v_subrev_u32_e32 v54, s39, v54
.LBB55_37:                              ;   in Loop: Header=BB55_7 Depth=1
	s_or_b64 exec, exec, s[6:7]
.LBB55_38:                              ;   in Loop: Header=BB55_7 Depth=1
	s_andn2_saveexec_b64 s[6:7], s[36:37]
	s_cbranch_execz .LBB55_6
; %bb.39:                               ;   in Loop: Header=BB55_7 Depth=1
	v_cmp_gt_i32_e32 vcc, s55, v54
	s_and_saveexec_b64 s[8:9], vcc
	s_cbranch_execz .LBB55_5
; %bb.40:                               ;   in Loop: Header=BB55_7 Depth=1
	s_mul_i32 s56, s56, s18
	s_ashr_i32 s10, s56, 31
	s_waitcnt lgkmcnt(0)
	s_add_u32 s11, s24, s56
	s_addc_u32 s12, s25, s10
	s_ashr_i32 s13, s57, 31
	v_cmp_le_i32_e32 vcc, s58, v50
	s_add_u32 s10, s11, s57
	s_addc_u32 s11, s12, s13
	v_cndmask_b32_e32 v0, 0, v51, vcc
	v_ashrrev_i32_e32 v1, 31, v0
	v_lshl_add_u64 v[0:1], s[10:11], 0, v[0:1]
	v_lshl_add_u64 v[24:25], v[0:1], 0, v[20:21]
	s_mov_b64 s[10:11], 0
	s_branch .LBB55_42
.LBB55_41:                              ;   in Loop: Header=BB55_42 Depth=2
	s_or_b64 exec, exec, s[12:13]
	v_lshl_add_u32 v28, v26, 12, v52
	;;#ASMSTART
	s_waitcnt vmcnt(3)
	;;#ASMEND
	ds_write2_b32 v28, v12, v13 offset1:32
	ds_write2_b32 v28, v14, v15 offset0:64 offset1:96
	v_add_u32_e32 v12, 0x400, v28
	;;#ASMSTART
	s_waitcnt vmcnt(2)
	;;#ASMEND
	ds_write2_b32 v12, v8, v9 offset1:32
	ds_write2_b32 v12, v10, v11 offset0:64 offset1:96
	v_add_u32_e32 v8, 0x800, v28
	;; [unrolled: 6-line block ×3, first 2 shown]
	v_add_u32_e32 v54, s21, v54
	;;#ASMSTART
	s_waitcnt vmcnt(0)
	;;#ASMEND
	ds_write2_b32 v4, v0, v1 offset1:32
	ds_write2_b32 v4, v2, v3 offset0:64 offset1:96
	v_add_u32_e32 v0, 1, v42
	v_add_u32_e32 v8, s21, v26
	v_cmp_le_i32_e32 vcc, s55, v54
	ds_write_b32 v27, v0
	v_add_u32_e32 v0, 2, v42
	s_or_b64 s[10:11], vcc, s[10:11]
	v_cmp_lt_i32_e32 vcc, 3, v8
	s_nop 1
	v_cndmask_b32_e32 v42, v42, v0, vcc
	s_andn2_b64 exec, exec, s[10:11]
	s_cbranch_execz .LBB55_4
.LBB55_42:                              ;   Parent Loop BB55_7 Depth=1
                                        ; =>  This Loop Header: Depth=2
                                        ;       Child Loop BB55_44 Depth 3
	v_cmp_gt_i32_e32 vcc, 4, v8
	s_nop 1
	v_cndmask_b32_e64 v0, -4, 0, vcc
	v_add_u32_e32 v26, v0, v8
	v_lshlrev_b32_e32 v0, 8, v54
	v_ashrrev_i32_e32 v1, 31, v0
	v_lshl_add_u64 v[0:1], v[24:25], 0, v[0:1]
	v_lshlrev_b32_e32 v27, 2, v26
	;;#ASMSTART
	global_load_dwordx4 v[12:15], v[0:1], off offset:0    
	global_load_dwordx4 v[8:11], v[0:1], off offset:64   
	;; [unrolled: 1-line block ×4, first 2 shown]
	
	;;#ASMEND
	ds_read_b32 v28, v27 offset:49152
	v_add_u32_e32 v27, 0xc000, v27
	s_waitcnt lgkmcnt(0)
	v_cmp_ne_u32_e32 vcc, v28, v42
	s_and_saveexec_b64 s[12:13], vcc
	s_cbranch_execz .LBB55_41
; %bb.43:                               ;   in Loop: Header=BB55_42 Depth=2
	s_mov_b64 s[14:15], 0
.LBB55_44:                              ;   Parent Loop BB55_7 Depth=1
                                        ;     Parent Loop BB55_42 Depth=2
                                        ; =>    This Inner Loop Header: Depth=3
	;;#ASMSTART
	s_sleep 0
	;;#ASMEND
	ds_read_b32 v28, v27
	s_waitcnt lgkmcnt(0)
	v_cmp_eq_u32_e32 vcc, v28, v42
	s_or_b64 s[14:15], vcc, s[14:15]
	s_andn2_b64 exec, exec, s[14:15]
	s_cbranch_execnz .LBB55_44
	s_branch .LBB55_41
.LBB55_45:
	s_endpgm
	.section	.rodata,"a",@progbits
	.p2align	6, 0x0
	.amdhsa_kernel _Z19_skinny_gemm_kernelILi1ELi2ELi4ELi16ELi8EEvPKhS1_P6__halfPKfiiiiiiii
		.amdhsa_group_segment_fixed_size 49200
		.amdhsa_private_segment_fixed_size 0
		.amdhsa_kernarg_size 64
		.amdhsa_user_sgpr_count 2
		.amdhsa_user_sgpr_dispatch_ptr 0
		.amdhsa_user_sgpr_queue_ptr 0
		.amdhsa_user_sgpr_kernarg_segment_ptr 1
		.amdhsa_user_sgpr_dispatch_id 0
		.amdhsa_user_sgpr_kernarg_preload_length 0
		.amdhsa_user_sgpr_kernarg_preload_offset 0
		.amdhsa_user_sgpr_private_segment_size 0
		.amdhsa_uses_dynamic_stack 0
		.amdhsa_enable_private_segment 0
		.amdhsa_system_sgpr_workgroup_id_x 1
		.amdhsa_system_sgpr_workgroup_id_y 0
		.amdhsa_system_sgpr_workgroup_id_z 0
		.amdhsa_system_sgpr_workgroup_info 0
		.amdhsa_system_vgpr_workitem_id 0
		.amdhsa_next_free_vgpr 62
		.amdhsa_next_free_sgpr 59
		.amdhsa_accum_offset 64
		.amdhsa_reserve_vcc 1
		.amdhsa_float_round_mode_32 0
		.amdhsa_float_round_mode_16_64 0
		.amdhsa_float_denorm_mode_32 3
		.amdhsa_float_denorm_mode_16_64 3
		.amdhsa_dx10_clamp 1
		.amdhsa_ieee_mode 1
		.amdhsa_fp16_overflow 0
		.amdhsa_tg_split 0
		.amdhsa_exception_fp_ieee_invalid_op 0
		.amdhsa_exception_fp_denorm_src 0
		.amdhsa_exception_fp_ieee_div_zero 0
		.amdhsa_exception_fp_ieee_overflow 0
		.amdhsa_exception_fp_ieee_underflow 0
		.amdhsa_exception_fp_ieee_inexact 0
		.amdhsa_exception_int_div_zero 0
	.end_amdhsa_kernel
	.section	.text._Z19_skinny_gemm_kernelILi1ELi2ELi4ELi16ELi8EEvPKhS1_P6__halfPKfiiiiiiii,"axG",@progbits,_Z19_skinny_gemm_kernelILi1ELi2ELi4ELi16ELi8EEvPKhS1_P6__halfPKfiiiiiiii,comdat
.Lfunc_end55:
	.size	_Z19_skinny_gemm_kernelILi1ELi2ELi4ELi16ELi8EEvPKhS1_P6__halfPKfiiiiiiii, .Lfunc_end55-_Z19_skinny_gemm_kernelILi1ELi2ELi4ELi16ELi8EEvPKhS1_P6__halfPKfiiiiiiii
                                        ; -- End function
	.set _Z19_skinny_gemm_kernelILi1ELi2ELi4ELi16ELi8EEvPKhS1_P6__halfPKfiiiiiiii.num_vgpr, 62
	.set _Z19_skinny_gemm_kernelILi1ELi2ELi4ELi16ELi8EEvPKhS1_P6__halfPKfiiiiiiii.num_agpr, 0
	.set _Z19_skinny_gemm_kernelILi1ELi2ELi4ELi16ELi8EEvPKhS1_P6__halfPKfiiiiiiii.numbered_sgpr, 59
	.set _Z19_skinny_gemm_kernelILi1ELi2ELi4ELi16ELi8EEvPKhS1_P6__halfPKfiiiiiiii.num_named_barrier, 0
	.set _Z19_skinny_gemm_kernelILi1ELi2ELi4ELi16ELi8EEvPKhS1_P6__halfPKfiiiiiiii.private_seg_size, 0
	.set _Z19_skinny_gemm_kernelILi1ELi2ELi4ELi16ELi8EEvPKhS1_P6__halfPKfiiiiiiii.uses_vcc, 1
	.set _Z19_skinny_gemm_kernelILi1ELi2ELi4ELi16ELi8EEvPKhS1_P6__halfPKfiiiiiiii.uses_flat_scratch, 0
	.set _Z19_skinny_gemm_kernelILi1ELi2ELi4ELi16ELi8EEvPKhS1_P6__halfPKfiiiiiiii.has_dyn_sized_stack, 0
	.set _Z19_skinny_gemm_kernelILi1ELi2ELi4ELi16ELi8EEvPKhS1_P6__halfPKfiiiiiiii.has_recursion, 0
	.set _Z19_skinny_gemm_kernelILi1ELi2ELi4ELi16ELi8EEvPKhS1_P6__halfPKfiiiiiiii.has_indirect_call, 0
	.section	.AMDGPU.csdata,"",@progbits
; Kernel info:
; codeLenInByte = 3576
; TotalNumSgprs: 65
; NumVgprs: 62
; NumAgprs: 0
; TotalNumVgprs: 62
; ScratchSize: 0
; MemoryBound: 0
; FloatMode: 240
; IeeeMode: 1
; LDSByteSize: 49200 bytes/workgroup (compile time only)
; SGPRBlocks: 8
; VGPRBlocks: 7
; NumSGPRsForWavesPerEU: 65
; NumVGPRsForWavesPerEU: 62
; AccumOffset: 64
; Occupancy: 8
; WaveLimiterHint : 0
; COMPUTE_PGM_RSRC2:SCRATCH_EN: 0
; COMPUTE_PGM_RSRC2:USER_SGPR: 2
; COMPUTE_PGM_RSRC2:TRAP_HANDLER: 0
; COMPUTE_PGM_RSRC2:TGID_X_EN: 1
; COMPUTE_PGM_RSRC2:TGID_Y_EN: 0
; COMPUTE_PGM_RSRC2:TGID_Z_EN: 0
; COMPUTE_PGM_RSRC2:TIDIG_COMP_CNT: 0
; COMPUTE_PGM_RSRC3_GFX90A:ACCUM_OFFSET: 15
; COMPUTE_PGM_RSRC3_GFX90A:TG_SPLIT: 0
	.section	.text._Z19_skinny_gemm_kernelILi1ELi2ELi4ELi32ELi4EEvPKhS1_P6__halfPKfiiiiiiii,"axG",@progbits,_Z19_skinny_gemm_kernelILi1ELi2ELi4ELi32ELi4EEvPKhS1_P6__halfPKfiiiiiiii,comdat
	.protected	_Z19_skinny_gemm_kernelILi1ELi2ELi4ELi32ELi4EEvPKhS1_P6__halfPKfiiiiiiii ; -- Begin function _Z19_skinny_gemm_kernelILi1ELi2ELi4ELi32ELi4EEvPKhS1_P6__halfPKfiiiiiiii
	.globl	_Z19_skinny_gemm_kernelILi1ELi2ELi4ELi32ELi4EEvPKhS1_P6__halfPKfiiiiiiii
	.p2align	8
	.type	_Z19_skinny_gemm_kernelILi1ELi2ELi4ELi32ELi4EEvPKhS1_P6__halfPKfiiiiiiii,@function
_Z19_skinny_gemm_kernelILi1ELi2ELi4ELi32ELi4EEvPKhS1_P6__halfPKfiiiiiiii: ; @_Z19_skinny_gemm_kernelILi1ELi2ELi4ELi32ELi4EEvPKhS1_P6__halfPKfiiiiiiii
; %bb.0:
	v_cmp_gt_u32_e32 vcc, 12, v0
	s_and_saveexec_b64 s[4:5], vcc
; %bb.1:
	v_lshlrev_b32_e32 v1, 2, v0
	v_mov_b32_e32 v2, 0
	ds_write_b32 v1, v2 offset:24576
; %bb.2:
	s_or_b64 exec, exec, s[4:5]
	s_load_dwordx8 s[16:23], s[0:1], 0x20
	s_waitcnt lgkmcnt(0)
	s_barrier
	s_add_i32 s3, s16, 31
	s_ashr_i32 s5, s3, 31
	s_add_i32 s4, s17, 63
	s_lshr_b32 s5, s5, 27
	s_ashr_i32 s6, s4, 31
	s_add_i32 s3, s3, s5
	s_ashr_i32 s11, s3, 5
	s_lshr_b32 s3, s6, 26
	s_add_i32 s4, s4, s3
	s_ashr_i32 s12, s4, 6
	s_mul_i32 s3, s12, s11
	s_mul_i32 s3, s3, s20
	s_add_i32 s4, s3, 0x12f
	s_mul_hi_i32 s4, s4, 0x6bca1af3
	s_lshr_b32 s5, s4, 31
	s_ashr_i32 s4, s4, 7
	s_add_i32 s4, s4, s5
	s_add_i32 s5, s2, 1
	s_mul_i32 s5, s4, s5
	v_cvt_f64_i32_e32 v[2:3], s3
	v_cvt_f64_u32_e32 v[4:5], s5
	v_min_f64 v[2:3], v[2:3], v[4:5]
	v_cvt_i32_f64_e32 v62, v[2:3]
	s_mul_i32 s33, s4, s2
	v_cmp_ge_i32_e32 vcc, s33, v62
	s_cbranch_vccnz .LBB56_51
; %bb.3:
	s_load_dwordx8 s[44:51], s[0:1], 0x0
	v_lshrrev_b32_e32 v1, 6, v0
	s_add_i32 s0, s22, s21
	v_cmp_le_i32_e64 s[14:15], s0, v1
	v_mov_b32_e32 v2, s21
	v_cmp_le_i32_e64 s[24:25], s21, v1
	v_mov_b32_e32 v3, s22
	v_cndmask_b32_e64 v3, 0, v3, s[14:15]
	v_cndmask_b32_e64 v2, 0, v2, s[24:25]
	s_abs_i32 s1, s20
	v_add_u32_e32 v2, v2, v3
	v_cvt_f32_u32_e32 v3, s1
	v_sub_u32_e32 v54, v1, v2
	s_ashr_i32 s2, s18, 31
	s_lshr_b32 s2, s2, 26
	v_rcp_iflag_f32_e32 v2, v3
	s_sub_i32 s5, 0, s1
	s_add_i32 s2, s18, s2
	s_ashr_i32 s2, s2, 6
	v_mul_f32_e32 v2, 0x4f7ffffe, v2
	v_cvt_u32_f32_e32 v2, v2
	s_abs_i32 s4, s2
	s_xor_b32 s3, s2, s20
	s_ashr_i32 s3, s3, 31
	v_readfirstlane_b32 s6, v2
	s_mul_i32 s5, s5, s6
	s_mul_hi_u32 s5, s6, s5
	s_add_i32 s6, s6, s5
	s_mul_hi_u32 s5, s4, s6
	s_mul_i32 s6, s5, s1
	s_sub_i32 s4, s4, s6
	s_add_i32 s6, s5, 1
	s_sub_i32 s7, s4, s1
	s_cmp_ge_u32 s4, s1
	s_cselect_b32 s5, s6, s5
	s_cselect_b32 s4, s7, s4
	s_add_i32 s6, s5, 1
	s_cmp_ge_u32 s4, s1
	s_cselect_b32 s1, s6, s5
	s_add_i32 s0, s0, s23
	v_and_b32_e32 v64, 31, v0
	v_lshrrev_b32_e32 v2, 3, v0
	v_cmp_gt_i32_e64 s[28:29], s0, v1
	v_lshlrev_b32_e32 v1, 2, v64
	v_and_b32_e32 v3, 4, v2
	v_and_b32_e32 v5, 1, v0
	v_lshlrev_b32_e32 v2, 6, v3
	v_or_b32_e32 v4, 0x4000, v1
	v_or_b32_e32 v3, v3, v5
	;; [unrolled: 1-line block ×4, first 2 shown]
	v_lshlrev_b32_e32 v2, 1, v5
	v_or_b32_e32 v5, 2, v3
	v_sub_u32_e32 v77, 32, v5
	v_or_b32_e32 v5, 8, v3
	v_sub_u32_e32 v78, 32, v5
	;; [unrolled: 2-line block ×4, first 2 shown]
	v_or_b32_e32 v5, 18, v3
	s_add_i32 s26, s20, -1
	v_sub_u32_e32 v81, 32, v5
	v_or_b32_e32 v5, 24, v3
	s_abs_i32 s20, s11
	v_sub_u32_e32 v76, 32, v3
	v_mul_lo_u32 v34, s17, v3
	v_sub_u32_e32 v82, 32, v5
	v_or_b32_e32 v3, 26, v3
	v_cvt_f32_u32_e32 v5, s20
	v_sub_u32_e32 v83, 32, v3
	v_lshrrev_b32_e32 v3, 1, v0
                                        ; implicit-def: $vgpr100 : SGPR spill to VGPR lane
	v_and_b32_e32 v50, 16, v3
	v_lshlrev_b32_e32 v3, 4, v0
	v_writelane_b32 v100, s11, 0
	v_and_b32_e32 v3, 0x200, v3
	v_writelane_b32 v100, s12, 1
	v_or_b32_e32 v84, v1, v3
	v_rcp_iflag_f32_e32 v1, v5
	s_waitcnt lgkmcnt(0)
	v_writelane_b32 v100, s44, 2
	v_sub_u32_e32 v2, v0, v2
	v_add_u32_e32 v2, 1, v2
	v_writelane_b32 v100, s45, 3
	v_writelane_b32 v100, s46, 4
	s_abs_i32 s98, s12
	v_writelane_b32 v100, s47, 5
	s_xor_b32 s1, s1, s3
	v_and_b32_e32 v6, 63, v2
	v_bitop3_b32 v67, v0, 1, v0 bitop3:0xc
	v_bitop3_b32 v68, v0, 3, 1 bitop3:0x6c
	;; [unrolled: 1-line block ×8, first 2 shown]
	v_and_b32_e32 v2, 30, v0
	v_bitop3_b32 v85, v0, 31, v0 bitop3:0xc
	v_mul_f32_e32 v0, 0x4f7ffffe, v1
	v_cvt_f32_u32_e32 v1, s98
	v_writelane_b32 v100, s48, 6
	s_sub_i32 s13, s1, s3
	v_writelane_b32 v100, s49, 7
	s_mul_i32 s1, s13, s26
	s_lshl_b32 s0, s17, 1
	v_writelane_b32 v100, s50, 8
	s_sub_i32 s27, s2, s1
	v_add_u32_e32 v36, s0, v34
	s_mul_i32 s1, s17, 6
	v_writelane_b32 v100, s51, 9
	v_cndmask_b32_e64 v63, 0, 1, s[14:15]
	v_add_u32_e32 v38, s1, v36
	v_cvt_u32_f32_e32 v0, v0
	v_rcp_iflag_f32_e32 v1, v1
	v_writelane_b32 v100, s14, 10
	v_add_u32_e32 v40, s0, v38
	v_add_u32_e32 v42, s1, v40
	v_writelane_b32 v100, s15, 11
	v_writelane_b32 v100, s24, 12
	v_add_u32_e32 v44, s0, v42
	v_add_u32_e32 v46, s1, v44
	v_writelane_b32 v100, s25, 13
	v_readfirstlane_b32 s1, v0
	v_mul_f32_e32 v0, 0x4f7ffffe, v1
	v_writelane_b32 v100, s13, 14
	v_cvt_u32_f32_e32 v0, v0
	v_writelane_b32 v100, s26, 15
	v_add_u32_e32 v48, s0, v46
	s_sub_i32 s0, 0, s20
	v_writelane_b32 v100, s27, 16
	s_mul_i32 s0, s0, s1
	v_writelane_b32 v100, s28, 17
	s_lshl_b32 s30, s19, 5
	s_mul_hi_u32 s0, s1, s0
	v_writelane_b32 v100, s29, 18
	s_ashr_i32 s31, s11, 31
	s_add_i32 s34, s1, s0
	s_sub_i32 s0, 0, s98
	v_readfirstlane_b32 s1, v0
	v_mbcnt_lo_u32_b32 v0, -1, 0
	v_writelane_b32 v100, s30, 19
	s_mul_i32 s0, s0, s1
	v_mbcnt_hi_u32_b32 v0, -1, v0
	v_writelane_b32 v100, s31, 20
	v_mov_b32_e32 v33, 0
	v_mul_lo_u32 v52, s19, v64
	s_ashr_i32 s35, s12, 31
	s_mul_hi_u32 s0, s1, s0
	v_and_or_b32 v0, v0, 64, v6
	v_writelane_b32 v100, s34, 21
	v_or_b32_e32 v75, 32, v64
	v_ashrrev_i32_e32 v35, 31, v34
	v_ashrrev_i32_e32 v37, 31, v36
	;; [unrolled: 1-line block ×9, first 2 shown]
	v_mov_b32_e32 v51, v33
	v_mul_lo_u32 v86, s18, v64
	v_or_b32_e32 v87, v4, v3
	s_add_i32 s36, s1, s0
	v_lshlrev_b32_e32 v32, 1, v2
	v_lshlrev_b32_e32 v88, 2, v0
	v_mov_b32_e32 v89, v54
	v_writelane_b32 v100, s35, 22
	v_writelane_b32 v100, s36, 23
	s_branch .LBB56_7
.LBB56_4:                               ;   in Loop: Header=BB56_7 Depth=1
	s_or_b64 exec, exec, s[4:5]
.LBB56_5:                               ;   in Loop: Header=BB56_7 Depth=1
	s_or_b64 exec, exec, s[2:3]
	v_subrev_u32_e32 v89, s99, v89
.LBB56_6:                               ;   in Loop: Header=BB56_7 Depth=1
	s_or_b64 exec, exec, s[0:1]
	s_add_i32 s33, s33, 1
	v_cmp_ge_i32_e32 vcc, s33, v62
	s_cbranch_vccnz .LBB56_51
.LBB56_7:                               ; =>This Loop Header: Depth=1
                                        ;     Child Loop BB56_13 Depth 2
                                        ;       Child Loop BB56_15 Depth 3
                                        ;       Child Loop BB56_18 Depth 3
	;; [unrolled: 1-line block ×3, first 2 shown]
                                        ;     Child Loop BB56_38 Depth 2
                                        ;       Child Loop BB56_40 Depth 3
                                        ;     Child Loop BB56_48 Depth 2
                                        ;       Child Loop BB56_50 Depth 3
	s_abs_i32 s1, s33
	s_mul_hi_u32 s2, s1, s34
	s_mul_i32 s3, s2, s20
	s_ashr_i32 s0, s33, 31
	s_sub_i32 s1, s1, s3
	s_xor_b32 s0, s0, s31
	s_add_i32 s3, s2, 1
	s_sub_i32 s4, s1, s20
	s_cmp_ge_u32 s1, s20
	s_cselect_b32 s2, s3, s2
	s_cselect_b32 s1, s4, s1
	s_add_i32 s3, s2, 1
	s_cmp_ge_u32 s1, s20
	s_cselect_b32 s1, s3, s2
	s_xor_b32 s1, s1, s0
	s_sub_i32 s0, s1, s0
	s_abs_i32 s2, s0
	s_mul_i32 s1, s0, s11
	s_mul_hi_u32 s3, s2, s36
	s_sub_i32 s1, s33, s1
	s_mul_i32 s4, s3, s98
	s_lshl_b32 s52, s1, 5
	s_ashr_i32 s1, s0, 31
	s_sub_i32 s2, s2, s4
	s_xor_b32 s1, s1, s35
	s_add_i32 s4, s3, 1
	s_sub_i32 s5, s2, s98
	s_cmp_ge_u32 s2, s98
	s_cselect_b32 s3, s4, s3
	s_cselect_b32 s2, s5, s2
	s_add_i32 s4, s3, 1
	s_cmp_ge_u32 s2, s98
	s_cselect_b32 s2, s4, s3
	s_xor_b32 s2, s2, s1
	s_sub_i32 s1, s2, s1
	s_mul_i32 s2, s1, s13
	s_lshl_b32 s37, s2, 6
	s_cmp_eq_u32 s1, s26
	s_cselect_b32 s99, s27, s13
	s_sub_i32 s2, s52, s16
	s_add_i32 s53, s2, 32
	s_and_saveexec_b64 s[2:3], s[24:25]
	s_xor_b64 s[38:39], exec, s[2:3]
	s_cbranch_execz .LBB56_44
; %bb.8:                                ;   in Loop: Header=BB56_7 Depth=1
	s_mul_i32 s1, s1, s12
	s_sub_i32 s0, s0, s1
	s_lshl_b32 s0, s0, 6
	s_sub_i32 s90, s0, s17
	s_add_i32 s90, s90, 64
	s_max_i32 s1, s90, 0
	s_sub_i32 s54, s0, s1
	s_and_saveexec_b64 s[0:1], s[14:15]
	s_xor_b64 s[4:5], exec, s[0:1]
	s_cbranch_execz .LBB56_34
; %bb.9:                                ;   in Loop: Header=BB56_7 Depth=1
	s_and_saveexec_b64 s[2:3], s[28:29]
	s_cbranch_execz .LBB56_33
; %bb.10:                               ;   in Loop: Header=BB56_7 Depth=1
	global_load_dword v90, v33, s[50:51]
	v_writelane_b32 v100, s2, 24
	v_mov_b32_e32 v31, 0
	v_cmp_gt_i32_e32 vcc, s99, v89
	v_writelane_b32 v100, s3, 25
	v_writelane_b32 v100, s4, 26
	v_mov_b32_e32 v30, v31
	v_mov_b32_e32 v29, v31
	;; [unrolled: 1-line block ×12, first 2 shown]
	s_waitcnt lgkmcnt(1)
	v_mov_b32_e32 v18, v31
	v_mov_b32_e32 v17, v31
	;; [unrolled: 1-line block ×19, first 2 shown]
	v_writelane_b32 v100, s5, 27
	s_and_saveexec_b64 s[0:1], vcc
	s_cbranch_execz .LBB56_23
; %bb.11:                               ;   in Loop: Header=BB56_7 Depth=1
	v_mov_b32_e32 v0, 0
	s_mov_b64 s[2:3], 0
	v_mov_b32_e32 v1, v0
	v_mov_b32_e32 v2, v0
	v_mov_b32_e32 v3, v0
	v_mov_b32_e32 v4, v0
	v_mov_b32_e32 v5, v0
	v_mov_b32_e32 v6, v0
	v_mov_b32_e32 v7, v0
	v_mov_b32_e32 v8, v0
	v_mov_b32_e32 v9, v0
	v_mov_b32_e32 v10, v0
	v_mov_b32_e32 v11, v0
	v_mov_b32_e32 v12, v0
	v_mov_b32_e32 v13, v0
	v_mov_b32_e32 v14, v0
	v_mov_b32_e32 v15, v0
	v_mov_b32_e32 v16, v0
	v_mov_b32_e32 v17, v0
	v_mov_b32_e32 v18, v0
	v_mov_b32_e32 v19, v0
	v_mov_b32_e32 v20, v0
	v_mov_b32_e32 v21, v0
	v_mov_b32_e32 v22, v0
	v_mov_b32_e32 v23, v0
	v_mov_b32_e32 v24, v0
	v_mov_b32_e32 v25, v0
	v_mov_b32_e32 v26, v0
	v_mov_b32_e32 v27, v0
	v_mov_b32_e32 v28, v0
	v_mov_b32_e32 v29, v0
	v_mov_b32_e32 v30, v0
	v_mov_b32_e32 v31, v0
	s_branch .LBB56_13
.LBB56_12:                              ;   in Loop: Header=BB56_13 Depth=2
	s_or_b64 exec, exec, s[4:5]
	v_add_u32_e32 v96, v66, v94
	v_add_u32_e32 v97, 0x800, v96
	ds_read2_b32 v[94:95], v97 offset1:32
	v_add_u32_e32 v89, s23, v89
	v_cmp_le_i32_e32 vcc, s99, v89
	s_or_b64 s[2:3], vcc, s[2:3]
	ds_write_b32 v92, v93 offset:24588
	s_waitcnt lgkmcnt(1)
	v_mfma_f32_32x32x16_fp8_fp8 v[0:15], v[58:59], v[94:95], v[0:15]
	ds_read2_b32 v[58:59], v97 offset0:128 offset1:160
	s_waitcnt lgkmcnt(0)
	v_mfma_f32_32x32x16_fp8_fp8 v[0:15], v[56:57], v[58:59], v[0:15]
	v_add_u32_e32 v58, 0xc00, v96
	ds_read2_b32 v[56:57], v58 offset1:32
	s_waitcnt lgkmcnt(0)
	v_mfma_f32_32x32x16_fp8_fp8 v[0:15], v[54:55], v[56:57], v[0:15]
	ds_read2_b32 v[54:55], v58 offset0:128 offset1:160
	s_waitcnt lgkmcnt(0)
	v_mfma_f32_32x32x16_fp8_fp8 v[0:15], v[60:61], v[54:55], v[0:15]
	v_add_u32_e32 v54, s23, v91
	v_add_u32_e32 v55, 2, v63
	v_cmp_lt_i32_e32 vcc, 3, v54
	s_nop 1
	v_cndmask_b32_e32 v63, v63, v55, vcc
	s_andn2_b64 exec, exec, s[2:3]
	s_cbranch_execz .LBB56_22
.LBB56_13:                              ;   Parent Loop BB56_7 Depth=1
                                        ; =>  This Loop Header: Depth=2
                                        ;       Child Loop BB56_15 Depth 3
                                        ;       Child Loop BB56_18 Depth 3
	;; [unrolled: 1-line block ×3, first 2 shown]
	v_cmp_gt_i32_e32 vcc, 4, v54
	s_nop 1
	v_cndmask_b32_e64 v55, -4, 0, vcc
	v_add_u32_e32 v91, v55, v54
	v_lshlrev_b32_e32 v92, 4, v91
	ds_read_b32 v54, v92 offset:24576
	s_waitcnt lgkmcnt(0)
	v_cmp_ne_u32_e32 vcc, v54, v63
	s_and_saveexec_b64 s[4:5], vcc
	s_cbranch_execz .LBB56_16
; %bb.14:                               ;   in Loop: Header=BB56_13 Depth=2
	s_mov_b64 s[6:7], 0
.LBB56_15:                              ;   Parent Loop BB56_7 Depth=1
                                        ;     Parent Loop BB56_13 Depth=2
                                        ; =>    This Inner Loop Header: Depth=3
	;;#ASMSTART
	s_sleep 0
	;;#ASMEND
	ds_read_b32 v54, v92 offset:24576
	s_waitcnt lgkmcnt(0)
	v_cmp_eq_u32_e32 vcc, v54, v63
	s_or_b64 s[6:7], vcc, s[6:7]
	s_andn2_b64 exec, exec, s[6:7]
	s_cbranch_execnz .LBB56_15
.LBB56_16:                              ;   in Loop: Header=BB56_13 Depth=2
	s_or_b64 exec, exec, s[4:5]
	v_lshl_add_u32 v54, v91, 11, v65
	v_add_u32_e32 v60, 0x400, v54
	ds_read2_b32 v[58:59], v54 offset1:32
	ds_read2_b32 v[56:57], v54 offset0:128 offset1:160
	ds_read2_b32 v[54:55], v60 offset1:32
	ds_read_b32 v94, v92 offset:24580
	ds_read2_b32 v[60:61], v60 offset0:128 offset1:160
	v_add_u32_e32 v93, 1, v63
	ds_write_b32 v92, v93 offset:24576
	s_waitcnt lgkmcnt(2)
	v_cmp_ne_u32_e32 vcc, v94, v63
	s_and_saveexec_b64 s[4:5], vcc
	s_cbranch_execz .LBB56_19
; %bb.17:                               ;   in Loop: Header=BB56_13 Depth=2
	s_mov_b64 s[6:7], 0
.LBB56_18:                              ;   Parent Loop BB56_7 Depth=1
                                        ;     Parent Loop BB56_13 Depth=2
                                        ; =>    This Inner Loop Header: Depth=3
	;;#ASMSTART
	s_sleep 0
	;;#ASMEND
	ds_read_b32 v94, v92 offset:24580
	s_waitcnt lgkmcnt(0)
	v_cmp_eq_u32_e32 vcc, v94, v63
	s_or_b64 s[6:7], vcc, s[6:7]
	s_andn2_b64 exec, exec, s[6:7]
	s_cbranch_execnz .LBB56_18
.LBB56_19:                              ;   in Loop: Header=BB56_13 Depth=2
	s_or_b64 exec, exec, s[4:5]
	v_lshlrev_b32_e32 v94, 12, v91
	v_or_b32_e32 v95, v66, v94
	ds_read2_b32 v[96:97], v95 offset1:32
	ds_write_b32 v92, v93 offset:24580
	s_waitcnt lgkmcnt(1)
	v_mfma_f32_32x32x16_fp8_fp8 v[16:31], v[58:59], v[96:97], v[16:31]
	ds_read2_b32 v[96:97], v95 offset0:128 offset1:160
	v_add_u32_e32 v95, 0x400, v95
	s_waitcnt lgkmcnt(0)
	v_mfma_f32_32x32x16_fp8_fp8 v[16:31], v[56:57], v[96:97], v[16:31]
	ds_read2_b32 v[96:97], v95 offset1:32
	s_waitcnt lgkmcnt(0)
	v_mfma_f32_32x32x16_fp8_fp8 v[16:31], v[54:55], v[96:97], v[16:31]
	ds_read2_b32 v[96:97], v95 offset0:128 offset1:160
	ds_read_b32 v95, v92 offset:24588
	s_waitcnt lgkmcnt(0)
	v_cmp_ne_u32_e32 vcc, v95, v63
	v_mfma_f32_32x32x16_fp8_fp8 v[16:31], v[60:61], v[96:97], v[16:31]
	s_and_saveexec_b64 s[4:5], vcc
	s_cbranch_execz .LBB56_12
; %bb.20:                               ;   in Loop: Header=BB56_13 Depth=2
	s_mov_b64 s[6:7], 0
.LBB56_21:                              ;   Parent Loop BB56_7 Depth=1
                                        ;     Parent Loop BB56_13 Depth=2
                                        ; =>    This Inner Loop Header: Depth=3
	;;#ASMSTART
	s_sleep 0
	;;#ASMEND
	ds_read_b32 v95, v92 offset:24588
	s_waitcnt lgkmcnt(0)
	v_cmp_eq_u32_e32 vcc, v95, v63
	s_or_b64 s[6:7], vcc, s[6:7]
	s_andn2_b64 exec, exec, s[6:7]
	s_cbranch_execnz .LBB56_21
	s_branch .LBB56_12
.LBB56_22:                              ;   in Loop: Header=BB56_7 Depth=1
	s_or_b64 exec, exec, s[2:3]
.LBB56_23:                              ;   in Loop: Header=BB56_7 Depth=1
	v_writelane_b32 v100, s54, 28
	s_nop 1
	v_writelane_b32 v100, s55, 29
	v_writelane_b32 v100, s38, 30
	s_nop 1
	v_writelane_b32 v100, s39, 31
	v_writelane_b32 v100, s53, 32
	;; [unrolled: 1-line block ×4, first 2 shown]
	s_or_b64 exec, exec, s[0:1]
	v_cmp_le_i32_e32 vcc, s90, v64
	v_cmp_eq_u32_e64 s[86:87], 1, v67
	v_cmp_eq_u32_e64 s[50:51], 2, v67
	s_waitcnt vmcnt(0)
	v_cndmask_b32_e32 v56, 0, v90, vcc
	v_pk_mul_f32 v[16:17], v[56:57], v[16:17] op_sel_hi:[0,1]
	v_pk_mul_f32 v[18:19], v[56:57], v[18:19] op_sel_hi:[0,1]
	v_cndmask_b32_e64 v55, v16, v17, s[86:87]
	v_cndmask_b32_e64 v55, v55, v18, s[50:51]
	v_cmp_eq_u32_e64 s[52:53], 3, v67
	v_pk_mul_f32 v[20:21], v[56:57], v[20:21] op_sel_hi:[0,1]
	v_cmp_eq_u32_e64 s[56:57], 4, v67
	v_cndmask_b32_e64 v55, v55, v19, s[52:53]
	v_cmp_eq_u32_e64 s[60:61], 5, v67
	v_cndmask_b32_e64 v55, v55, v20, s[56:57]
	v_pk_mul_f32 v[22:23], v[56:57], v[22:23] op_sel_hi:[0,1]
	v_cndmask_b32_e64 v55, v55, v21, s[60:61]
	v_cmp_eq_u32_e64 s[64:65], 6, v67
	v_cmp_eq_u32_e64 s[68:69], 7, v67
	v_pk_mul_f32 v[24:25], v[56:57], v[24:25] op_sel_hi:[0,1]
	v_cndmask_b32_e64 v55, v55, v22, s[64:65]
	v_cndmask_b32_e64 v55, v55, v23, s[68:69]
	v_cmp_eq_u32_e64 s[72:73], 8, v67
	v_cmp_eq_u32_e64 s[74:75], 9, v67
	v_pk_mul_f32 v[26:27], v[56:57], v[26:27] op_sel_hi:[0,1]
	v_cndmask_b32_e64 v55, v55, v24, s[72:73]
	;; [unrolled: 5-line block ×4, first 2 shown]
	v_cndmask_b32_e64 v55, v55, v29, s[82:83]
	v_cmp_eq_u32_e64 s[84:85], 14, v67
	v_cmp_eq_u32_e64 s[88:89], 15, v67
	;; [unrolled: 1-line block ×3, first 2 shown]
	v_cndmask_b32_e64 v55, v55, v30, s[84:85]
	v_cndmask_b32_e64 v55, v55, v31, s[88:89]
	ds_bpermute_b32 v55, v88, v55
	v_cmp_eq_u32_e64 s[24:25], 1, v68
	v_cmp_eq_u32_e64 s[26:27], 2, v68
	;; [unrolled: 1-line block ×4, first 2 shown]
	s_waitcnt lgkmcnt(0)
	v_cndmask_b32_e64 v17, v17, v55, s[86:87]
	v_cndmask_b32_e64 v16, v16, v55, s[70:71]
	;; [unrolled: 1-line block ×10, first 2 shown]
	v_cmp_eq_u32_e64 s[34:35], 5, v68
	v_cndmask_b32_e64 v58, v22, v55, s[64:65]
	v_cmp_eq_u32_e64 s[36:37], 6, v68
	v_cndmask_b32_e64 v18, v18, v59, s[34:35]
	v_cndmask_b32_e64 v57, v23, v55, s[68:69]
	v_cndmask_b32_e64 v18, v18, v58, s[36:37]
	v_cmp_eq_u32_e64 s[38:39], 7, v68
	v_cndmask_b32_e64 v56, v24, v55, s[72:73]
	v_cmp_eq_u32_e64 s[42:43], 8, v68
	v_cndmask_b32_e64 v18, v18, v57, s[38:39]
	v_cndmask_b32_e64 v25, v25, v55, s[74:75]
	v_cndmask_b32_e64 v18, v18, v56, s[42:43]
	v_cmp_eq_u32_e64 s[44:45], 9, v68
	v_cndmask_b32_e64 v26, v26, v55, s[76:77]
	v_cmp_eq_u32_e64 s[46:47], 10, v68
	v_cndmask_b32_e64 v18, v18, v25, s[44:45]
	v_cndmask_b32_e64 v27, v27, v55, s[78:79]
	v_cndmask_b32_e64 v18, v18, v26, s[46:47]
	v_cmp_eq_u32_e64 s[48:49], 11, v68
	v_cndmask_b32_e64 v28, v28, v55, s[80:81]
	v_cmp_eq_u32_e64 s[54:55], 12, v68
	v_cndmask_b32_e64 v18, v18, v27, s[48:49]
	v_cndmask_b32_e64 v29, v29, v55, s[82:83]
	v_cndmask_b32_e64 v18, v18, v28, s[54:55]
	v_cmp_eq_u32_e64 s[58:59], 13, v68
	v_cndmask_b32_e64 v30, v30, v55, s[84:85]
	v_cmp_eq_u32_e64 s[62:63], 14, v68
	v_cndmask_b32_e64 v18, v18, v29, s[58:59]
	v_cndmask_b32_e64 v31, v31, v55, s[88:89]
	v_cndmask_b32_e64 v18, v18, v30, s[62:63]
	v_cmp_eq_u32_e64 s[66:67], 15, v68
	v_cmp_le_i32_e64 s[90:91], s90, v75
	v_cmp_eq_u32_e64 s[40:41], 0, v68
	v_cndmask_b32_e64 v18, v18, v31, s[66:67]
	ds_bpermute_b32 v55, v88, v18
	v_cmp_eq_u32_e64 s[2:3], 1, v69
	v_cmp_eq_u32_e64 s[6:7], 2, v69
	;; [unrolled: 1-line block ×4, first 2 shown]
	s_waitcnt lgkmcnt(0)
	v_cndmask_b32_e64 v24, v25, v55, s[44:45]
	v_cndmask_b32_e64 v25, v56, v55, s[42:43]
	v_cndmask_b32_e64 v56, 0, v90, s[90:91]
	v_pk_mul_f32 v[0:1], v[56:57], v[0:1] op_sel_hi:[0,1]
	v_pk_mul_f32 v[14:15], v[56:57], v[14:15] op_sel_hi:[0,1]
	;; [unrolled: 1-line block ×8, first 2 shown]
	v_cndmask_b32_e64 v56, v0, v1, s[86:87]
	v_cndmask_b32_e64 v56, v56, v2, s[50:51]
	;; [unrolled: 1-line block ×32, first 2 shown]
	v_cmp_eq_u32_e64 s[12:13], 5, v69
	v_cndmask_b32_e64 v56, v56, v15, s[88:89]
	v_cmp_eq_u32_e64 s[14:15], 6, v69
	v_cndmask_b32_e64 v55, v55, v28, s[12:13]
	ds_bpermute_b32 v56, v88, v56
	v_cndmask_b32_e64 v55, v55, v27, s[14:15]
	v_cmp_eq_u32_e64 s[96:97], 7, v69
	v_cmp_eq_u32_e64 s[4:5], 8, v69
	v_cmp_eq_u32_e32 vcc, 9, v69
	v_cndmask_b32_e64 v55, v55, v26, s[96:97]
	v_cndmask_b32_e64 v55, v55, v25, s[4:5]
	v_cndmask_b32_e32 v55, v55, v24, vcc
	v_cmp_eq_u32_e64 s[0:1], 10, v69
	v_cmp_eq_u32_e64 s[86:87], 11, v69
	s_waitcnt lgkmcnt(0)
	v_cndmask_b32_e64 v2, v2, v56, s[50:51]
	v_cndmask_b32_e64 v55, v55, v23, s[0:1]
	v_cmp_ne_u32_e64 s[50:51], 0, v67
	v_cndmask_b32_e64 v55, v55, v22, s[86:87]
	v_cmp_eq_u32_e64 s[90:91], 12, v69
	v_cndmask_b32_e64 v1, v1, v56, s[50:51]
	v_cndmask_b32_e64 v0, v0, v56, s[70:71]
	;; [unrolled: 1-line block ×4, first 2 shown]
	v_cmp_eq_u32_e64 s[88:89], 13, v69
	v_cndmask_b32_e64 v14, v14, v56, s[84:85]
	v_cndmask_b32_e64 v13, v13, v56, s[82:83]
	;; [unrolled: 1-line block ×14, first 2 shown]
	v_cmp_eq_u32_e64 s[84:85], 14, v69
	v_cndmask_b32_e64 v56, v56, v2, s[26:27]
	v_cmp_eq_u32_e64 s[82:83], 15, v69
	v_cndmask_b32_e64 v55, v55, v19, s[84:85]
	v_cndmask_b32_e64 v56, v56, v3, s[28:29]
	;; [unrolled: 1-line block ×4, first 2 shown]
	ds_bpermute_b32 v55, v88, v55
	v_cndmask_b32_e64 v56, v56, v5, s[34:35]
	v_cndmask_b32_e64 v56, v56, v6, s[36:37]
	;; [unrolled: 1-line block ×4, first 2 shown]
	v_cmp_eq_u32_e64 s[80:81], 0, v69
	v_cndmask_b32_e64 v56, v56, v9, s[44:45]
	s_waitcnt lgkmcnt(0)
	v_cndmask_b32_e64 v17, v17, v55, s[2:3]
	v_cndmask_b32_e64 v16, v16, v55, s[80:81]
	v_cmp_eq_u32_e64 s[78:79], 1, v70
	v_cndmask_b32_e64 v56, v56, v10, s[46:47]
	v_cndmask_b32_e64 v18, v18, v55, s[82:83]
	;; [unrolled: 1-line block ×7, first 2 shown]
	v_cndmask_b32_e32 v24, v24, v55, vcc
	v_cndmask_b32_e64 v25, v25, v55, s[4:5]
	v_cndmask_b32_e64 v26, v26, v55, s[96:97]
	;; [unrolled: 1-line block ×8, first 2 shown]
	v_cmp_eq_u32_e64 s[76:77], 2, v70
	v_cndmask_b32_e64 v56, v56, v11, s[48:49]
	v_cmp_eq_u32_e64 s[74:75], 3, v70
	v_cndmask_b32_e64 v55, v55, v31, s[76:77]
	v_cndmask_b32_e64 v56, v56, v12, s[54:55]
	;; [unrolled: 1-line block ×3, first 2 shown]
	v_cmp_eq_u32_e64 s[72:73], 4, v70
	v_cndmask_b32_e64 v56, v56, v13, s[58:59]
	v_cmp_eq_u32_e64 s[68:69], 5, v70
	v_cndmask_b32_e64 v55, v55, v29, s[72:73]
	v_cndmask_b32_e64 v56, v56, v14, s[62:63]
	;; [unrolled: 1-line block ×3, first 2 shown]
	v_cmp_eq_u32_e64 s[64:65], 6, v70
	v_cndmask_b32_e64 v56, v56, v15, s[66:67]
	v_cmp_eq_u32_e64 s[60:61], 7, v70
	v_cndmask_b32_e64 v55, v55, v27, s[64:65]
	ds_bpermute_b32 v56, v88, v56
	v_cndmask_b32_e64 v55, v55, v26, s[60:61]
	v_cmp_eq_u32_e64 s[56:57], 8, v70
	v_cmp_eq_u32_e64 s[52:53], 9, v70
	;; [unrolled: 1-line block ×3, first 2 shown]
	v_cndmask_b32_e64 v55, v55, v25, s[56:57]
	v_cndmask_b32_e64 v55, v55, v24, s[52:53]
	;; [unrolled: 1-line block ×3, first 2 shown]
	v_cmp_eq_u32_e64 s[70:71], 11, v70
	s_waitcnt lgkmcnt(0)
	v_cndmask_b32_e64 v15, v15, v56, s[66:67]
	v_cmp_eq_u32_e64 s[66:67], 12, v70
	v_cndmask_b32_e64 v55, v55, v22, s[70:71]
	v_cndmask_b32_e64 v14, v14, v56, s[62:63]
	;; [unrolled: 1-line block ×3, first 2 shown]
	v_cmp_eq_u32_e64 s[62:63], 13, v70
	v_cndmask_b32_e64 v1, v1, v56, s[24:25]
	v_cndmask_b32_e64 v0, v0, v56, s[40:41]
	;; [unrolled: 1-line block ×4, first 2 shown]
	v_cmp_eq_u32_e64 s[92:93], 14, v70
	v_cndmask_b32_e64 v12, v12, v56, s[54:55]
	v_cndmask_b32_e64 v11, v11, v56, s[48:49]
	;; [unrolled: 1-line block ×13, first 2 shown]
	v_cmp_eq_u32_e64 s[94:95], 15, v70
	v_cndmask_b32_e64 v56, v56, v2, s[6:7]
	v_cndmask_b32_e64 v56, v56, v3, s[8:9]
	;; [unrolled: 1-line block ×3, first 2 shown]
	ds_bpermute_b32 v55, v88, v55
	v_cndmask_b32_e64 v56, v56, v4, s[10:11]
	v_cndmask_b32_e64 v56, v56, v5, s[12:13]
	;; [unrolled: 1-line block ×4, first 2 shown]
	v_cmp_eq_u32_e64 s[48:49], 0, v70
	v_cndmask_b32_e64 v56, v56, v8, s[4:5]
	s_waitcnt lgkmcnt(0)
	v_cndmask_b32_e64 v17, v17, v55, s[78:79]
	v_cndmask_b32_e64 v16, v16, v55, s[48:49]
	v_cmp_eq_u32_e64 s[46:47], 1, v71
	v_cndmask_b32_e32 v56, v56, v9, vcc
	v_cndmask_b32_e64 v18, v18, v55, s[94:95]
	v_cndmask_b32_e64 v19, v19, v55, s[92:93]
	v_cndmask_b32_e64 v20, v20, v55, s[62:63]
	v_cndmask_b32_e64 v21, v21, v55, s[66:67]
	v_cndmask_b32_e64 v22, v22, v55, s[70:71]
	v_cndmask_b32_e64 v23, v23, v55, s[50:51]
	v_cndmask_b32_e64 v24, v24, v55, s[52:53]
	v_cndmask_b32_e64 v25, v25, v55, s[56:57]
	v_cndmask_b32_e64 v26, v26, v55, s[60:61]
	v_cndmask_b32_e64 v27, v27, v55, s[64:65]
	v_cndmask_b32_e64 v28, v28, v55, s[68:69]
	v_cndmask_b32_e64 v29, v29, v55, s[72:73]
	v_cndmask_b32_e64 v30, v30, v55, s[74:75]
	v_cndmask_b32_e64 v31, v31, v55, s[76:77]
	v_cndmask_b32_e64 v55, v16, v17, s[46:47]
	v_cmp_eq_u32_e64 s[44:45], 2, v71
	v_cndmask_b32_e64 v56, v56, v10, s[0:1]
	v_cmp_eq_u32_e64 s[42:43], 3, v71
	v_cndmask_b32_e64 v55, v55, v31, s[44:45]
	v_cndmask_b32_e64 v56, v56, v11, s[86:87]
	v_cndmask_b32_e64 v55, v55, v30, s[42:43]
	v_cmp_eq_u32_e64 s[38:39], 4, v71
	v_cndmask_b32_e64 v56, v56, v12, s[90:91]
	v_cmp_eq_u32_e64 s[36:37], 5, v71
	v_cndmask_b32_e64 v55, v55, v29, s[38:39]
	v_cndmask_b32_e64 v56, v56, v13, s[88:89]
	v_cndmask_b32_e64 v55, v55, v28, s[36:37]
	;; [unrolled: 6-line block ×3, first 2 shown]
	v_cmp_eq_u32_e64 s[28:29], 8, v71
	ds_bpermute_b32 v56, v88, v56
	v_cmp_eq_u32_e64 s[26:27], 9, v71
	v_cndmask_b32_e64 v55, v55, v25, s[28:29]
	v_cmp_eq_u32_e64 s[24:25], 10, v71
	v_cndmask_b32_e64 v55, v55, v24, s[26:27]
	;; [unrolled: 2-line block ×4, first 2 shown]
	s_waitcnt lgkmcnt(0)
	v_cndmask_b32_e64 v15, v15, v56, s[82:83]
	v_cndmask_b32_e64 v55, v55, v21, s[58:59]
	v_cmp_eq_u32_e64 s[82:83], 13, v71
	v_cndmask_b32_e64 v14, v14, v56, s[84:85]
	v_cmp_eq_u32_e64 s[84:85], 14, v71
	v_cndmask_b32_e64 v55, v55, v20, s[82:83]
	v_cndmask_b32_e64 v1, v1, v56, s[2:3]
	;; [unrolled: 1-line block ×6, first 2 shown]
	v_cmp_eq_u32_e64 s[90:91], 15, v71
	v_cndmask_b32_e64 v11, v11, v56, s[86:87]
	v_cndmask_b32_e64 v10, v10, v56, s[0:1]
	v_cndmask_b32_e32 v9, v9, v56, vcc
	v_cndmask_b32_e64 v8, v8, v56, s[4:5]
	v_cndmask_b32_e64 v7, v7, v56, s[96:97]
	;; [unrolled: 1-line block ×10, first 2 shown]
	ds_bpermute_b32 v55, v88, v55
	v_cndmask_b32_e64 v56, v56, v3, s[74:75]
	v_cndmask_b32_e64 v56, v56, v4, s[72:73]
	;; [unrolled: 1-line block ×3, first 2 shown]
	v_cmp_eq_u32_e64 s[54:55], 0, v71
	v_cndmask_b32_e64 v56, v56, v6, s[64:65]
	v_cndmask_b32_e64 v56, v56, v7, s[60:61]
	v_writelane_b32 v100, s54, 35
	s_waitcnt lgkmcnt(0)
	v_cndmask_b32_e64 v17, v17, v55, s[46:47]
	v_cndmask_b32_e64 v56, v56, v8, s[56:57]
	v_writelane_b32 v100, s55, 36
	v_cndmask_b32_e64 v16, v16, v55, s[54:55]
	v_cmp_eq_u32_e64 s[54:55], 1, v72
	v_cndmask_b32_e64 v18, v18, v55, s[90:91]
	v_cndmask_b32_e64 v19, v19, v55, s[84:85]
	;; [unrolled: 1-line block ×15, first 2 shown]
	v_cmp_eq_u32_e64 s[0:1], 2, v72
	v_cndmask_b32_e64 v56, v56, v9, s[52:53]
	v_cmp_eq_u32_e64 s[4:5], 3, v72
	v_cndmask_b32_e64 v55, v55, v31, s[0:1]
	v_cndmask_b32_e64 v56, v56, v10, s[50:51]
	v_cndmask_b32_e64 v55, v55, v30, s[4:5]
	v_cmp_eq_u32_e64 s[96:97], 4, v72
	v_cndmask_b32_e64 v56, v56, v11, s[70:71]
	v_cmp_eq_u32_e64 s[14:15], 5, v72
	v_cndmask_b32_e64 v55, v55, v29, s[96:97]
	v_cndmask_b32_e64 v56, v56, v12, s[66:67]
	v_cndmask_b32_e64 v55, v55, v28, s[14:15]
	;; [unrolled: 6-line block ×3, first 2 shown]
	v_cmp_eq_u32_e64 s[8:9], 8, v72
	v_cndmask_b32_e64 v56, v56, v15, s[94:95]
	v_cmp_eq_u32_e64 s[6:7], 9, v72
	v_cndmask_b32_e64 v55, v55, v25, s[8:9]
	ds_bpermute_b32 v56, v88, v56
	v_cndmask_b32_e64 v55, v55, v24, s[6:7]
	v_cmp_eq_u32_e32 vcc, 10, v72
	v_cmp_eq_u32_e64 s[80:81], 11, v72
	v_cmp_eq_u32_e64 s[86:87], 12, v72
	v_cndmask_b32_e32 v55, v55, v23, vcc
	v_cndmask_b32_e64 v55, v55, v22, s[80:81]
	v_cndmask_b32_e64 v55, v55, v21, s[86:87]
	v_cmp_eq_u32_e64 s[88:89], 13, v72
	s_waitcnt lgkmcnt(0)
	v_cndmask_b32_e64 v13, v13, v56, s[62:63]
	v_cmp_eq_u32_e64 s[62:63], 14, v72
	v_cndmask_b32_e64 v55, v55, v20, s[88:89]
	v_cndmask_b32_e64 v12, v12, v56, s[66:67]
	;; [unrolled: 1-line block ×3, first 2 shown]
	v_cmp_eq_u32_e64 s[66:67], 15, v72
	v_cndmask_b32_e64 v57, v11, v56, s[70:71]
	v_cmp_eq_u32_e64 s[70:71], 0, v72
	v_cndmask_b32_e64 v55, v55, v18, s[66:67]
	ds_bpermute_b32 v55, v88, v55
	v_cndmask_b32_e64 v15, v15, v56, s[94:95]
	v_cndmask_b32_e64 v14, v14, v56, s[92:93]
	;; [unrolled: 1-line block ×4, first 2 shown]
	s_waitcnt lgkmcnt(0)
	v_cndmask_b32_e64 v18, v18, v55, s[66:67]
	v_cndmask_b32_e64 v19, v19, v55, s[62:63]
	;; [unrolled: 1-line block ×5, first 2 shown]
	v_cndmask_b32_e32 v23, v23, v55, vcc
	v_cndmask_b32_e64 v24, v24, v55, s[6:7]
	v_cndmask_b32_e64 v25, v25, v55, s[8:9]
	;; [unrolled: 1-line block ×28, first 2 shown]
	v_cmp_eq_u32_e64 s[50:51], 1, v73
	v_cndmask_b32_e64 v0, v0, v55, s[24:25]
	v_cmp_eq_u32_e64 s[52:53], 2, v73
	v_cndmask_b32_e64 v10, v16, v17, s[50:51]
	v_cndmask_b32_e64 v0, v0, v57, s[40:41]
	v_cndmask_b32_e64 v9, v10, v31, s[52:53]
	v_cmp_eq_u32_e64 s[56:57], 3, v73
	v_cndmask_b32_e64 v0, v0, v12, s[58:59]
	v_cmp_eq_u32_e64 s[60:61], 4, v73
	v_cndmask_b32_e64 v8, v9, v30, s[56:57]
	v_cndmask_b32_e64 v0, v0, v13, s[82:83]
	v_cndmask_b32_e64 v7, v8, v29, s[60:61]
	;; [unrolled: 6-line block ×3, first 2 shown]
	v_cmp_eq_u32_e64 s[72:73], 7, v73
	ds_bpermute_b32 v95, v88, v0
	v_cmp_eq_u32_e64 s[74:75], 8, v73
	v_cndmask_b32_e64 v4, v5, v26, s[72:73]
	v_cmp_eq_u32_e64 s[76:77], 9, v73
	v_cndmask_b32_e64 v3, v4, v25, s[74:75]
	;; [unrolled: 2-line block ×4, first 2 shown]
	s_waitcnt lgkmcnt(0)
	v_cndmask_b32_e64 v96, v15, v95, s[90:91]
	v_cndmask_b32_e64 v0, v0, v22, s[78:79]
	v_cmp_eq_u32_e64 s[90:91], 12, v73
	v_cndmask_b32_e64 v97, v14, v95, s[84:85]
	v_cmp_eq_u32_e64 s[84:85], 13, v73
	v_cndmask_b32_e64 v0, v0, v21, s[90:91]
	v_cndmask_b32_e64 v98, v13, v95, s[82:83]
	;; [unrolled: 1-line block ×3, first 2 shown]
	v_cmp_eq_u32_e64 s[82:83], 14, v73
	v_cndmask_b32_e64 v99, v12, v95, s[58:59]
	v_cmp_eq_u32_e64 s[58:59], 15, v73
	v_cndmask_b32_e64 v0, v0, v19, s[82:83]
	v_readlane_b32 s2, v100, 35
	v_cndmask_b32_e64 v0, v0, v18, s[58:59]
	ds_bpermute_b32 v1, v88, v0
	v_readlane_b32 s3, v100, 36
	s_waitcnt lgkmcnt(0)
	v_cndmask_b32_e64 v11, v27, v1, s[68:69]
	v_cndmask_b32_e64 v12, v28, v1, s[64:65]
	;; [unrolled: 1-line block ×4, first 2 shown]
	s_mov_b64 s[2:3], s[54:55]
	v_cndmask_b32_e64 v10, v26, v1, s[72:73]
	v_cndmask_b32_e64 v13, v29, v1, s[60:61]
	;; [unrolled: 1-line block ×25, first 2 shown]
	v_cmp_eq_u32_e64 s[40:41], 0, v73
	v_cndmask_b32_e64 v19, v58, v95, s[26:27]
	v_cndmask_b32_e64 v29, v29, v20, s[8:9]
	v_cndmask_b32_e64 v2, v18, v1, s[58:59]
	v_cndmask_b32_e64 v14, v30, v1, s[56:57]
	v_cndmask_b32_e64 v15, v31, v1, s[52:53]
	v_cndmask_b32_e64 v1, v16, v1, s[40:41]
	v_cndmask_b32_e64 v16, v55, v95, s[24:25]
	v_cndmask_b32_e64 v29, v29, v19, s[6:7]
	v_cndmask_b32_e32 v29, v29, v16, vcc
	v_cndmask_b32_e64 v29, v29, v17, s[80:81]
	v_cndmask_b32_e64 v29, v29, v99, s[86:87]
	;; [unrolled: 1-line block ×5, first 2 shown]
	ds_bpermute_b32 v29, v88, v29
	v_cmp_eq_u32_e64 s[24:25], 1, v74
	v_cmp_eq_u32_e64 s[26:27], 2, v74
	;; [unrolled: 1-line block ×3, first 2 shown]
	v_cndmask_b32_e64 v18, v1, v0, s[24:25]
	s_waitcnt lgkmcnt(0)
	v_cndmask_b32_e64 v93, v27, v29, s[2:3]
	v_cndmask_b32_e64 v94, v28, v29, s[70:71]
	;; [unrolled: 1-line block ×18, first 2 shown]
	v_cndmask_b32_e32 v16, v16, v29, vcc
	v_cndmask_b32_e64 v19, v19, v57, s[76:77]
	v_cndmask_b32_e64 v17, v17, v29, s[80:81]
	;; [unrolled: 1-line block ×12, first 2 shown]
	ds_bpermute_b32 v95, v88, v19
	v_cndmask_b32_e64 v18, v18, v15, s[26:27]
	v_cndmask_b32_e64 v18, v18, v14, s[28:29]
	v_cmp_eq_u32_e64 s[30:31], 4, v74
	v_cmp_eq_u32_e64 s[34:35], 5, v74
	s_waitcnt lgkmcnt(0)
	v_cndmask_b32_e64 v23, v17, v95, s[78:79]
	v_cndmask_b32_e64 v24, v16, v95, s[48:49]
	;; [unrolled: 1-line block ×18, first 2 shown]
	v_cmp_eq_u32_e64 s[36:37], 6, v74
	v_cndmask_b32_e64 v28, v60, v95, s[68:69]
	v_cndmask_b32_e64 v56, v56, v29, s[34:35]
	v_cndmask_b32_e64 v18, v18, v11, s[36:37]
	v_cmp_eq_u32_e64 s[38:39], 7, v74
	v_cndmask_b32_e64 v27, v59, v95, s[72:73]
	v_cndmask_b32_e64 v56, v56, v28, s[36:37]
	v_cndmask_b32_e64 v18, v18, v10, s[38:39]
	;; [unrolled: 4-line block ×4, first 2 shown]
	v_cmp_eq_u32_e64 s[46:47], 10, v74
	v_cndmask_b32_e64 v56, v56, v25, s[44:45]
	v_cmp_eq_u32_e64 s[54:55], 11, v74
	v_cndmask_b32_e64 v18, v18, v7, s[46:47]
	v_cndmask_b32_e64 v56, v56, v24, s[46:47]
	;; [unrolled: 1-line block ×3, first 2 shown]
	v_cmp_eq_u32_e64 s[66:67], 12, v74
	v_cndmask_b32_e64 v56, v56, v23, s[54:55]
	v_cmp_eq_u32_e64 s[62:63], 13, v74
	v_cndmask_b32_e64 v18, v18, v5, s[66:67]
	v_cndmask_b32_e64 v56, v56, v22, s[66:67]
	;; [unrolled: 1-line block ×3, first 2 shown]
	v_cmp_eq_u32_e32 vcc, 14, v74
	v_cndmask_b32_e64 v56, v56, v21, s[62:63]
	v_cmp_eq_u32_e64 s[6:7], 15, v74
	v_cndmask_b32_e32 v18, v18, v3, vcc
	v_cndmask_b32_e32 v56, v56, v20, vcc
	v_cndmask_b32_e64 v18, v18, v2, s[6:7]
	v_cndmask_b32_e64 v56, v56, v19, s[6:7]
	ds_bpermute_b32 v18, v88, v18
	ds_bpermute_b32 v58, v88, v56
	v_readlane_b32 s53, v100, 32
	s_nop 1
	v_cmp_lt_i32_e32 vcc, s53, v76
	s_and_saveexec_b64 s[40:41], vcc
	v_readlane_b32 s44, v100, 2
	v_readlane_b32 s45, v100, 3
	;; [unrolled: 1-line block ×11, first 2 shown]
	s_cbranch_execz .LBB56_32
; %bb.24:                               ;   in Loop: Header=BB56_7 Depth=1
	s_mul_i32 s0, s52, s17
	s_ashr_i32 s1, s0, 31
	s_lshl_b64 s[0:1], s[0:1], 1
	s_add_u32 s2, s48, s0
	v_cmp_eq_u32_e64 s[34:35], 1, v74
	v_cmp_eq_u32_e64 s[36:37], 0, v74
	s_addc_u32 s3, s49, s1
	s_ashr_i32 s55, s54, 31
	s_waitcnt lgkmcnt(1)
	v_cndmask_b32_e64 v56, v0, v18, s[34:35]
	v_cndmask_b32_e64 v57, v1, v18, s[36:37]
	s_lshl_b64 s[0:1], s[54:55], 1
	s_waitcnt lgkmcnt(0)
	v_cndmask_b32_e64 v59, v16, v58, s[34:35]
	v_cndmask_b32_e64 v60, v17, v58, s[36:37]
	v_cvt_f16_f32_e32 v57, v57
	v_cvt_f16_f32_sdwa v56, v56 dst_sel:WORD_1 dst_unused:UNUSED_PAD src0_sel:DWORD
	s_add_u32 s42, s2, s0
	v_cvt_f16_f32_e32 v60, v60
	v_cvt_f16_f32_sdwa v59, v59 dst_sel:WORD_1 dst_unused:UNUSED_PAD src0_sel:DWORD
	s_addc_u32 s43, s3, s1
	v_lshl_add_u64 v[0:1], s[42:43], 0, v[32:33]
	v_cmp_eq_u32_e32 vcc, 15, v74
	v_cmp_eq_u32_e64 s[6:7], 14, v74
	v_cmp_eq_u32_e64 s[8:9], 13, v74
	;; [unrolled: 1-line block ×13, first 2 shown]
	v_lshl_add_u64 v[16:17], v[34:35], 1, v[0:1]
	v_or_b32_e32 v56, v56, v57
	v_cmp_lt_i32_e64 s[34:35], s53, v77
	;;#ASMSTART
	global_atomic_pk_add_f16 v[16:17], v56, off
	
	;;#ASMEND
	v_lshl_add_u64 v[16:17], v[16:17], 0, 64
	v_or_b32_e32 v56, v59, v60
	;;#ASMSTART
	global_atomic_pk_add_f16 v[16:17], v56, off
	
	;;#ASMEND
	s_and_b64 exec, exec, s[34:35]
	s_cbranch_execz .LBB56_32
; %bb.25:                               ;   in Loop: Header=BB56_7 Depth=1
	v_cndmask_b32_e32 v2, v2, v18, vcc
	v_cndmask_b32_e64 v3, v3, v18, s[6:7]
	v_cndmask_b32_e64 v16, v4, v18, s[8:9]
	;; [unrolled: 1-line block ×19, first 2 shown]
	v_cvt_f16_f32_e32 v22, v18
	v_cvt_f16_f32_sdwa v23, v93 dst_sel:WORD_1 dst_unused:UNUSED_PAD src0_sel:DWORD
	v_cvt_f16_f32_e32 v21, v21
	v_cvt_f16_f32_sdwa v20, v20 dst_sel:WORD_1 dst_unused:UNUSED_PAD src0_sel:DWORD
	v_cndmask_b32_e32 v4, v19, v58, vcc
	v_cndmask_b32_e64 v9, v24, v58, s[14:15]
	v_cndmask_b32_e64 v10, v25, v58, s[0:1]
	;; [unrolled: 1-line block ×7, first 2 shown]
	v_lshl_add_u64 v[18:19], v[36:37], 1, v[0:1]
	v_cmp_lt_i32_e32 vcc, s53, v78
	v_or_b32_e32 v22, v23, v22
	;;#ASMSTART
	global_atomic_pk_add_f16 v[18:19], v22, off
	
	;;#ASMEND
	v_lshl_add_u64 v[18:19], v[18:19], 0, 64
	v_or_b32_e32 v20, v20, v21
	;;#ASMSTART
	global_atomic_pk_add_f16 v[18:19], v20, off
	
	;;#ASMEND
	s_and_b64 exec, exec, vcc
	s_cbranch_execz .LBB56_32
; %bb.26:                               ;   in Loop: Header=BB56_7 Depth=1
	v_cvt_f16_f32_e32 v20, v92
	v_cvt_f16_f32_sdwa v21, v91 dst_sel:WORD_1 dst_unused:UNUSED_PAD src0_sel:DWORD
	v_cvt_f16_f32_e32 v22, v15
	v_cvt_f16_f32_sdwa v23, v14 dst_sel:WORD_1 dst_unused:UNUSED_PAD src0_sel:DWORD
	v_lshl_add_u64 v[18:19], v[38:39], 1, v[0:1]
	v_or_b32_e32 v14, v21, v20
	v_cmp_lt_i32_e32 vcc, s53, v79
	;;#ASMSTART
	global_atomic_pk_add_f16 v[18:19], v14, off
	
	;;#ASMEND
	v_lshl_add_u64 v[14:15], v[18:19], 0, 64
	v_or_b32_e32 v18, v23, v22
	;;#ASMSTART
	global_atomic_pk_add_f16 v[14:15], v18, off
	
	;;#ASMEND
	s_and_b64 exec, exec, vcc
	s_cbranch_execz .LBB56_32
; %bb.27:                               ;   in Loop: Header=BB56_7 Depth=1
	v_cvt_f16_f32_e32 v18, v90
	v_cvt_f16_f32_sdwa v19, v61 dst_sel:WORD_1 dst_unused:UNUSED_PAD src0_sel:DWORD
	v_cvt_f16_f32_e32 v20, v13
	v_cvt_f16_f32_sdwa v21, v12 dst_sel:WORD_1 dst_unused:UNUSED_PAD src0_sel:DWORD
	v_lshl_add_u64 v[14:15], v[40:41], 1, v[0:1]
	v_or_b32_e32 v12, v19, v18
	v_cmp_lt_i32_e32 vcc, s53, v80
	;; [unrolled: 20-line block ×5, first 2 shown]
	;;#ASMSTART
	global_atomic_pk_add_f16 v[8:9], v6, off
	
	;;#ASMEND
	v_lshl_add_u64 v[6:7], v[8:9], 0, 64
	v_or_b32_e32 v8, v13, v12
	;;#ASMSTART
	global_atomic_pk_add_f16 v[6:7], v8, off
	
	;;#ASMEND
	s_and_b64 exec, exec, vcc
	s_cbranch_execz .LBB56_32
; %bb.31:                               ;   in Loop: Header=BB56_7 Depth=1
	v_cvt_f16_f32_e32 v3, v3
	v_cvt_f16_f32_sdwa v2, v2 dst_sel:WORD_1 dst_unused:UNUSED_PAD src0_sel:DWORD
	v_cvt_f16_f32_e32 v5, v5
	v_cvt_f16_f32_sdwa v4, v4 dst_sel:WORD_1 dst_unused:UNUSED_PAD src0_sel:DWORD
	v_lshl_add_u64 v[0:1], v[48:49], 1, v[0:1]
	v_or_b32_e32 v2, v2, v3
	;;#ASMSTART
	global_atomic_pk_add_f16 v[0:1], v2, off
	
	;;#ASMEND
	v_lshl_add_u64 v[0:1], v[0:1], 0, 64
	v_or_b32_e32 v2, v4, v5
	;;#ASMSTART
	global_atomic_pk_add_f16 v[0:1], v2, off
	
	;;#ASMEND
.LBB56_32:                              ;   in Loop: Header=BB56_7 Depth=1
	s_or_b64 exec, exec, s[40:41]
	v_readlane_b32 s14, v100, 10
	v_readlane_b32 s24, v100, 12
	;; [unrolled: 1-line block ×6, first 2 shown]
	v_subrev_u32_e32 v89, s99, v89
	v_readlane_b32 s11, v100, 0
	v_readlane_b32 s12, v100, 1
	;; [unrolled: 1-line block ×17, first 2 shown]
.LBB56_33:                              ;   in Loop: Header=BB56_7 Depth=1
	s_or_b64 exec, exec, s[2:3]
.LBB56_34:                              ;   in Loop: Header=BB56_7 Depth=1
	s_andn2_saveexec_b64 s[0:1], s[4:5]
	s_cbranch_execz .LBB56_43
; %bb.35:                               ;   in Loop: Header=BB56_7 Depth=1
	s_lshl_b32 s10, s99, 1
	v_cmp_gt_i32_e32 vcc, s10, v89
	s_and_saveexec_b64 s[2:3], vcc
	s_cbranch_execz .LBB56_42
; %bb.36:                               ;   in Loop: Header=BB56_7 Depth=1
	s_mul_i32 s4, s54, s19
	s_ashr_i32 s5, s4, 31
	s_add_u32 s4, s46, s4
	s_addc_u32 s5, s47, s5
	s_ashr_i32 s6, s37, 31
	s_add_u32 s4, s4, s37
	s_addc_u32 s5, s5, s6
	v_lshl_add_u64 v[0:1], s[4:5], 0, v[52:53]
	v_lshl_add_u64 v[8:9], v[0:1], 0, v[50:51]
	s_mov_b64 s[4:5], 0
	s_branch .LBB56_38
.LBB56_37:                              ;   in Loop: Header=BB56_38 Depth=2
	s_or_b64 exec, exec, s[6:7]
	v_lshl_or_b32 v12, v10, 11, v84
	;;#ASMSTART
	s_waitcnt vmcnt(1)
	;;#ASMEND
	ds_write2_b32 v12, v4, v5 offset1:32
	ds_write2_b32 v12, v6, v7 offset0:64 offset1:96
	v_add_u32_e32 v4, 0x400, v12
	v_add_u32_e32 v89, s22, v89
	;;#ASMSTART
	s_waitcnt vmcnt(0)
	;;#ASMEND
	ds_write2_b32 v4, v0, v1 offset1:32
	ds_write2_b32 v4, v2, v3 offset0:64 offset1:96
	v_add_u32_e32 v0, 1, v63
	v_add_u32_e32 v54, s22, v10
	v_cmp_le_i32_e32 vcc, s10, v89
	ds_write_b32 v11, v0 offset:16
	v_add_u32_e32 v0, 2, v63
	s_or_b64 s[4:5], vcc, s[4:5]
	v_cmp_lt_i32_e32 vcc, 7, v54
	s_nop 1
	v_cndmask_b32_e32 v63, v63, v0, vcc
	s_andn2_b64 exec, exec, s[4:5]
	s_cbranch_execz .LBB56_41
.LBB56_38:                              ;   Parent Loop BB56_7 Depth=1
                                        ; =>  This Loop Header: Depth=2
                                        ;       Child Loop BB56_40 Depth 3
	v_cmp_gt_i32_e32 vcc, 8, v54
	s_nop 1
	v_cndmask_b32_e64 v0, -8, 0, vcc
	v_add_u32_e32 v10, v0, v54
	v_lshrrev_b32_e32 v0, 31, v89
	v_add_u32_e32 v0, v89, v0
	v_and_b32_e32 v1, -2, v0
	v_lshlrev_b32_e32 v0, 5, v0
	v_sub_u32_e32 v2, v89, v1
	v_and_b32_e32 v0, 0xffffffc0, v0
	v_ashrrev_i32_e32 v1, 31, v0
	v_mul_lo_u32 v2, s30, v2
	v_lshl_add_u64 v[0:1], v[8:9], 0, v[0:1]
	v_ashrrev_i32_e32 v3, 31, v2
	v_lshl_add_u64 v[0:1], v[0:1], 0, v[2:3]
	v_lshlrev_b32_e32 v11, 2, v10
	;;#ASMSTART
	global_load_dwordx4 v[4:7], v[0:1], off offset:0   sc0 sc1 nt  
	global_load_dwordx4 v[0:3], v[0:1], off offset:32  sc0 sc1 nt  
	
	;;#ASMEND
	ds_read_b32 v12, v11 offset:24592
	v_add_u32_e32 v11, 0x6000, v11
	s_waitcnt lgkmcnt(0)
	v_cmp_ne_u32_e32 vcc, v12, v63
	s_and_saveexec_b64 s[6:7], vcc
	s_cbranch_execz .LBB56_37
; %bb.39:                               ;   in Loop: Header=BB56_38 Depth=2
	s_mov_b64 s[8:9], 0
.LBB56_40:                              ;   Parent Loop BB56_7 Depth=1
                                        ;     Parent Loop BB56_38 Depth=2
                                        ; =>    This Inner Loop Header: Depth=3
	;;#ASMSTART
	s_sleep 0
	;;#ASMEND
	ds_read_b32 v12, v11 offset:16
	s_waitcnt lgkmcnt(0)
	v_cmp_eq_u32_e32 vcc, v12, v63
	s_or_b64 s[8:9], vcc, s[8:9]
	s_andn2_b64 exec, exec, s[8:9]
	s_cbranch_execnz .LBB56_40
	s_branch .LBB56_37
.LBB56_41:                              ;   in Loop: Header=BB56_7 Depth=1
	s_or_b64 exec, exec, s[4:5]
.LBB56_42:                              ;   in Loop: Header=BB56_7 Depth=1
	s_or_b64 exec, exec, s[2:3]
	v_subrev_u32_e32 v89, s10, v89
.LBB56_43:                              ;   in Loop: Header=BB56_7 Depth=1
	s_or_b64 exec, exec, s[0:1]
.LBB56_44:                              ;   in Loop: Header=BB56_7 Depth=1
	s_andn2_saveexec_b64 s[0:1], s[38:39]
	s_cbranch_execz .LBB56_6
; %bb.45:                               ;   in Loop: Header=BB56_7 Depth=1
	v_cmp_gt_i32_e32 vcc, s99, v89
	s_and_saveexec_b64 s[2:3], vcc
	s_cbranch_execz .LBB56_5
; %bb.46:                               ;   in Loop: Header=BB56_7 Depth=1
	s_mul_i32 s4, s52, s18
	s_ashr_i32 s5, s4, 31
	s_add_u32 s4, s44, s4
	s_addc_u32 s5, s45, s5
	s_ashr_i32 s6, s37, 31
	v_cmp_le_i32_e32 vcc, s53, v85
	s_add_u32 s4, s4, s37
	s_addc_u32 s5, s5, s6
	v_cndmask_b32_e32 v0, 0, v86, vcc
	v_ashrrev_i32_e32 v1, 31, v0
	v_lshl_add_u64 v[0:1], s[4:5], 0, v[0:1]
	v_lshl_add_u64 v[8:9], v[0:1], 0, v[50:51]
	s_mov_b64 s[4:5], 0
	s_branch .LBB56_48
.LBB56_47:                              ;   in Loop: Header=BB56_48 Depth=2
	s_or_b64 exec, exec, s[6:7]
	v_lshl_add_u32 v12, v10, 11, v87
	;;#ASMSTART
	s_waitcnt vmcnt(1)
	;;#ASMEND
	ds_write2_b32 v12, v4, v5 offset1:32
	ds_write2_b32 v12, v6, v7 offset0:64 offset1:96
	v_add_u32_e32 v4, 0x400, v12
	v_add_u32_e32 v89, s21, v89
	;;#ASMSTART
	s_waitcnt vmcnt(0)
	;;#ASMEND
	ds_write2_b32 v4, v0, v1 offset1:32
	ds_write2_b32 v4, v2, v3 offset0:64 offset1:96
	v_add_u32_e32 v0, 1, v63
	v_add_u32_e32 v54, s21, v10
	v_cmp_le_i32_e32 vcc, s99, v89
	ds_write_b32 v11, v0
	v_add_u32_e32 v0, 2, v63
	s_or_b64 s[4:5], vcc, s[4:5]
	v_cmp_lt_i32_e32 vcc, 3, v54
	s_nop 1
	v_cndmask_b32_e32 v63, v63, v0, vcc
	s_andn2_b64 exec, exec, s[4:5]
	s_cbranch_execz .LBB56_4
.LBB56_48:                              ;   Parent Loop BB56_7 Depth=1
                                        ; =>  This Loop Header: Depth=2
                                        ;       Child Loop BB56_50 Depth 3
	v_cmp_gt_i32_e32 vcc, 4, v54
	s_nop 1
	v_cndmask_b32_e64 v0, -4, 0, vcc
	v_add_u32_e32 v10, v0, v54
	v_lshlrev_b32_e32 v0, 6, v89
	v_ashrrev_i32_e32 v1, 31, v0
	v_lshl_add_u64 v[0:1], v[8:9], 0, v[0:1]
	v_lshlrev_b32_e32 v11, 2, v10
	;;#ASMSTART
	global_load_dwordx4 v[4:7], v[0:1], off offset:0   
	global_load_dwordx4 v[0:3], v[0:1], off offset:32  
	
	;;#ASMEND
	ds_read_b32 v12, v11 offset:24576
	v_add_u32_e32 v11, 0x6000, v11
	s_waitcnt lgkmcnt(0)
	v_cmp_ne_u32_e32 vcc, v12, v63
	s_and_saveexec_b64 s[6:7], vcc
	s_cbranch_execz .LBB56_47
; %bb.49:                               ;   in Loop: Header=BB56_48 Depth=2
	s_mov_b64 s[8:9], 0
.LBB56_50:                              ;   Parent Loop BB56_7 Depth=1
                                        ;     Parent Loop BB56_48 Depth=2
                                        ; =>    This Inner Loop Header: Depth=3
	;;#ASMSTART
	s_sleep 0
	;;#ASMEND
	ds_read_b32 v12, v11
	s_waitcnt lgkmcnt(0)
	v_cmp_eq_u32_e32 vcc, v12, v63
	s_or_b64 s[8:9], vcc, s[8:9]
	s_andn2_b64 exec, exec, s[8:9]
	s_cbranch_execnz .LBB56_50
	s_branch .LBB56_47
.LBB56_51:
	s_endpgm
	.section	.rodata,"a",@progbits
	.p2align	6, 0x0
	.amdhsa_kernel _Z19_skinny_gemm_kernelILi1ELi2ELi4ELi32ELi4EEvPKhS1_P6__halfPKfiiiiiiii
		.amdhsa_group_segment_fixed_size 24624
		.amdhsa_private_segment_fixed_size 0
		.amdhsa_kernarg_size 64
		.amdhsa_user_sgpr_count 2
		.amdhsa_user_sgpr_dispatch_ptr 0
		.amdhsa_user_sgpr_queue_ptr 0
		.amdhsa_user_sgpr_kernarg_segment_ptr 1
		.amdhsa_user_sgpr_dispatch_id 0
		.amdhsa_user_sgpr_kernarg_preload_length 0
		.amdhsa_user_sgpr_kernarg_preload_offset 0
		.amdhsa_user_sgpr_private_segment_size 0
		.amdhsa_uses_dynamic_stack 0
		.amdhsa_enable_private_segment 0
		.amdhsa_system_sgpr_workgroup_id_x 1
		.amdhsa_system_sgpr_workgroup_id_y 0
		.amdhsa_system_sgpr_workgroup_id_z 0
		.amdhsa_system_sgpr_workgroup_info 0
		.amdhsa_system_vgpr_workitem_id 0
		.amdhsa_next_free_vgpr 101
		.amdhsa_next_free_sgpr 100
		.amdhsa_accum_offset 104
		.amdhsa_reserve_vcc 1
		.amdhsa_float_round_mode_32 0
		.amdhsa_float_round_mode_16_64 0
		.amdhsa_float_denorm_mode_32 3
		.amdhsa_float_denorm_mode_16_64 3
		.amdhsa_dx10_clamp 1
		.amdhsa_ieee_mode 1
		.amdhsa_fp16_overflow 0
		.amdhsa_tg_split 0
		.amdhsa_exception_fp_ieee_invalid_op 0
		.amdhsa_exception_fp_denorm_src 0
		.amdhsa_exception_fp_ieee_div_zero 0
		.amdhsa_exception_fp_ieee_overflow 0
		.amdhsa_exception_fp_ieee_underflow 0
		.amdhsa_exception_fp_ieee_inexact 0
		.amdhsa_exception_int_div_zero 0
	.end_amdhsa_kernel
	.section	.text._Z19_skinny_gemm_kernelILi1ELi2ELi4ELi32ELi4EEvPKhS1_P6__halfPKfiiiiiiii,"axG",@progbits,_Z19_skinny_gemm_kernelILi1ELi2ELi4ELi32ELi4EEvPKhS1_P6__halfPKfiiiiiiii,comdat
.Lfunc_end56:
	.size	_Z19_skinny_gemm_kernelILi1ELi2ELi4ELi32ELi4EEvPKhS1_P6__halfPKfiiiiiiii, .Lfunc_end56-_Z19_skinny_gemm_kernelILi1ELi2ELi4ELi32ELi4EEvPKhS1_P6__halfPKfiiiiiiii
                                        ; -- End function
	.set _Z19_skinny_gemm_kernelILi1ELi2ELi4ELi32ELi4EEvPKhS1_P6__halfPKfiiiiiiii.num_vgpr, 101
	.set _Z19_skinny_gemm_kernelILi1ELi2ELi4ELi32ELi4EEvPKhS1_P6__halfPKfiiiiiiii.num_agpr, 0
	.set _Z19_skinny_gemm_kernelILi1ELi2ELi4ELi32ELi4EEvPKhS1_P6__halfPKfiiiiiiii.numbered_sgpr, 100
	.set _Z19_skinny_gemm_kernelILi1ELi2ELi4ELi32ELi4EEvPKhS1_P6__halfPKfiiiiiiii.num_named_barrier, 0
	.set _Z19_skinny_gemm_kernelILi1ELi2ELi4ELi32ELi4EEvPKhS1_P6__halfPKfiiiiiiii.private_seg_size, 0
	.set _Z19_skinny_gemm_kernelILi1ELi2ELi4ELi32ELi4EEvPKhS1_P6__halfPKfiiiiiiii.uses_vcc, 1
	.set _Z19_skinny_gemm_kernelILi1ELi2ELi4ELi32ELi4EEvPKhS1_P6__halfPKfiiiiiiii.uses_flat_scratch, 0
	.set _Z19_skinny_gemm_kernelILi1ELi2ELi4ELi32ELi4EEvPKhS1_P6__halfPKfiiiiiiii.has_dyn_sized_stack, 0
	.set _Z19_skinny_gemm_kernelILi1ELi2ELi4ELi32ELi4EEvPKhS1_P6__halfPKfiiiiiiii.has_recursion, 0
	.set _Z19_skinny_gemm_kernelILi1ELi2ELi4ELi32ELi4EEvPKhS1_P6__halfPKfiiiiiiii.has_indirect_call, 0
	.section	.AMDGPU.csdata,"",@progbits
; Kernel info:
; codeLenInByte = 9584
; TotalNumSgprs: 106
; NumVgprs: 101
; NumAgprs: 0
; TotalNumVgprs: 101
; ScratchSize: 0
; MemoryBound: 0
; FloatMode: 240
; IeeeMode: 1
; LDSByteSize: 24624 bytes/workgroup (compile time only)
; SGPRBlocks: 13
; VGPRBlocks: 12
; NumSGPRsForWavesPerEU: 106
; NumVGPRsForWavesPerEU: 101
; AccumOffset: 104
; Occupancy: 4
; WaveLimiterHint : 0
; COMPUTE_PGM_RSRC2:SCRATCH_EN: 0
; COMPUTE_PGM_RSRC2:USER_SGPR: 2
; COMPUTE_PGM_RSRC2:TRAP_HANDLER: 0
; COMPUTE_PGM_RSRC2:TGID_X_EN: 1
; COMPUTE_PGM_RSRC2:TGID_Y_EN: 0
; COMPUTE_PGM_RSRC2:TGID_Z_EN: 0
; COMPUTE_PGM_RSRC2:TIDIG_COMP_CNT: 0
; COMPUTE_PGM_RSRC3_GFX90A:ACCUM_OFFSET: 25
; COMPUTE_PGM_RSRC3_GFX90A:TG_SPLIT: 0
	.section	.text._Z19_skinny_gemm_kernelILi1ELi2ELi4ELi32ELi8EEvPKhS1_P6__halfPKfiiiiiiii,"axG",@progbits,_Z19_skinny_gemm_kernelILi1ELi2ELi4ELi32ELi8EEvPKhS1_P6__halfPKfiiiiiiii,comdat
	.protected	_Z19_skinny_gemm_kernelILi1ELi2ELi4ELi32ELi8EEvPKhS1_P6__halfPKfiiiiiiii ; -- Begin function _Z19_skinny_gemm_kernelILi1ELi2ELi4ELi32ELi8EEvPKhS1_P6__halfPKfiiiiiiii
	.globl	_Z19_skinny_gemm_kernelILi1ELi2ELi4ELi32ELi8EEvPKhS1_P6__halfPKfiiiiiiii
	.p2align	8
	.type	_Z19_skinny_gemm_kernelILi1ELi2ELi4ELi32ELi8EEvPKhS1_P6__halfPKfiiiiiiii,@function
_Z19_skinny_gemm_kernelILi1ELi2ELi4ELi32ELi8EEvPKhS1_P6__halfPKfiiiiiiii: ; @_Z19_skinny_gemm_kernelILi1ELi2ELi4ELi32ELi8EEvPKhS1_P6__halfPKfiiiiiiii
; %bb.0:
	v_cmp_gt_u32_e32 vcc, 12, v0
	s_and_saveexec_b64 s[4:5], vcc
; %bb.1:
	v_lshlrev_b32_e32 v1, 2, v0
	v_mov_b32_e32 v2, 0
	ds_write_b32 v1, v2 offset:49152
; %bb.2:
	s_or_b64 exec, exec, s[4:5]
	s_load_dwordx8 s[16:23], s[0:1], 0x20
	s_waitcnt lgkmcnt(0)
	s_barrier
	s_add_i32 s3, s16, 31
	s_ashr_i32 s5, s3, 31
	s_add_i32 s4, s17, 63
	s_lshr_b32 s5, s5, 27
	s_ashr_i32 s6, s4, 31
	s_add_i32 s3, s3, s5
	s_ashr_i32 s11, s3, 5
	s_lshr_b32 s3, s6, 26
	s_add_i32 s4, s4, s3
	s_ashr_i32 s12, s4, 6
	s_mul_i32 s3, s12, s11
	s_mul_i32 s3, s3, s20
	s_add_i32 s4, s3, 0x12f
	s_mul_hi_i32 s4, s4, 0x6bca1af3
	s_lshr_b32 s5, s4, 31
	s_ashr_i32 s4, s4, 7
	s_add_i32 s4, s4, s5
	s_add_i32 s5, s2, 1
	s_mul_i32 s5, s4, s5
	v_cvt_f64_i32_e32 v[2:3], s3
	v_cvt_f64_u32_e32 v[4:5], s5
	v_min_f64 v[2:3], v[2:3], v[4:5]
	v_cvt_i32_f64_e32 v70, v[2:3]
	s_mul_i32 s33, s4, s2
	v_cmp_ge_i32_e32 vcc, s33, v70
	s_cbranch_vccnz .LBB57_51
; %bb.3:
	s_load_dwordx8 s[44:51], s[0:1], 0x0
	v_lshrrev_b32_e32 v1, 6, v0
	s_add_i32 s0, s22, s21
	v_cmp_le_i32_e64 s[14:15], s0, v1
	v_mov_b32_e32 v2, s21
	v_cmp_le_i32_e64 s[24:25], s21, v1
	v_mov_b32_e32 v3, s22
	v_cndmask_b32_e64 v3, 0, v3, s[14:15]
	v_cndmask_b32_e64 v2, 0, v2, s[24:25]
	s_abs_i32 s1, s20
	v_add_u32_e32 v2, v2, v3
	v_cvt_f32_u32_e32 v3, s1
	v_sub_u32_e32 v54, v1, v2
	s_ashr_i32 s2, s18, 31
	s_lshr_b32 s2, s2, 25
	v_rcp_iflag_f32_e32 v2, v3
	s_sub_i32 s5, 0, s1
	s_add_i32 s2, s18, s2
	s_ashr_i32 s2, s2, 7
	v_mul_f32_e32 v2, 0x4f7ffffe, v2
	v_cvt_u32_f32_e32 v2, v2
	s_abs_i32 s4, s2
	s_xor_b32 s3, s2, s20
	s_ashr_i32 s3, s3, 31
	v_readfirstlane_b32 s6, v2
	s_mul_i32 s5, s5, s6
	s_mul_hi_u32 s5, s6, s5
	s_add_i32 s6, s6, s5
	s_mul_hi_u32 s5, s4, s6
	s_mul_i32 s6, s5, s1
	s_sub_i32 s4, s4, s6
	s_add_i32 s6, s5, 1
	s_sub_i32 s7, s4, s1
	s_cmp_ge_u32 s4, s1
	s_cselect_b32 s5, s6, s5
	s_cselect_b32 s4, s7, s4
	s_add_i32 s6, s5, 1
	s_cmp_ge_u32 s4, s1
	s_cselect_b32 s1, s6, s5
	s_add_i32 s0, s0, s23
	v_and_b32_e32 v72, 31, v0
	v_lshrrev_b32_e32 v2, 3, v0
	v_cmp_gt_i32_e64 s[28:29], s0, v1
	v_lshlrev_b32_e32 v1, 2, v72
	v_and_b32_e32 v3, 4, v2
	v_and_b32_e32 v5, 1, v0
	v_lshlrev_b32_e32 v2, 6, v3
	v_or_b32_e32 v4, 0x8000, v1
	v_or_b32_e32 v3, v3, v5
	;; [unrolled: 1-line block ×4, first 2 shown]
	v_lshlrev_b32_e32 v2, 1, v5
	v_or_b32_e32 v5, 2, v3
	v_sub_u32_e32 v85, 32, v5
	v_or_b32_e32 v5, 8, v3
	v_sub_u32_e32 v86, 32, v5
	;; [unrolled: 2-line block ×5, first 2 shown]
	v_or_b32_e32 v5, 24, v3
	s_abs_i32 s30, s11
                                        ; implicit-def: $vgpr107 : SGPR spill to VGPR lane
	v_sub_u32_e32 v84, 32, v3
	v_mul_lo_u32 v34, s17, v3
	v_sub_u32_e32 v90, 32, v5
	v_or_b32_e32 v3, 26, v3
	v_cvt_f32_u32_e32 v5, s30
	v_writelane_b32 v107, s11, 0
	v_sub_u32_e32 v91, 32, v3
	v_lshrrev_b32_e32 v3, 1, v0
	v_writelane_b32 v107, s12, 1
	v_and_b32_e32 v50, 16, v3
	v_lshlrev_b32_e32 v3, 4, v0
	s_waitcnt lgkmcnt(0)
	v_writelane_b32 v107, s44, 2
	v_and_b32_e32 v3, 0x200, v3
	v_or_b32_e32 v92, v1, v3
	v_writelane_b32 v107, s45, 3
	v_rcp_iflag_f32_e32 v1, v5
	v_writelane_b32 v107, s46, 4
	v_writelane_b32 v107, s47, 5
	v_sub_u32_e32 v2, v0, v2
	v_writelane_b32 v107, s48, 6
	v_add_u32_e32 v2, 1, v2
	s_abs_i32 s34, s12
	v_writelane_b32 v107, s49, 7
	s_xor_b32 s1, s1, s3
	v_and_b32_e32 v6, 63, v2
	v_bitop3_b32 v75, v0, 1, v0 bitop3:0xc
	v_bitop3_b32 v76, v0, 3, 1 bitop3:0x6c
	;; [unrolled: 1-line block ×8, first 2 shown]
	v_and_b32_e32 v2, 30, v0
	v_bitop3_b32 v93, v0, 31, v0 bitop3:0xc
	v_mul_f32_e32 v0, 0x4f7ffffe, v1
	v_cvt_f32_u32_e32 v1, s34
	v_writelane_b32 v107, s50, 8
	s_sub_i32 s13, s1, s3
	s_add_i32 s26, s20, -1
	v_writelane_b32 v107, s51, 9
	v_cndmask_b32_e64 v71, 0, 1, s[14:15]
	s_mul_i32 s1, s13, s26
	s_lshl_b32 s0, s17, 1
	v_writelane_b32 v107, s14, 10
	s_sub_i32 s27, s2, s1
	v_add_u32_e32 v36, s0, v34
	s_mul_i32 s1, s17, 6
	v_writelane_b32 v107, s15, 11
	v_add_u32_e32 v38, s1, v36
	v_cvt_u32_f32_e32 v0, v0
	v_rcp_iflag_f32_e32 v1, v1
	v_writelane_b32 v107, s24, 12
	v_add_u32_e32 v40, s0, v38
	v_add_u32_e32 v42, s1, v40
	v_writelane_b32 v107, s25, 13
	v_writelane_b32 v107, s13, 14
	v_add_u32_e32 v44, s0, v42
	v_writelane_b32 v107, s26, 15
	v_add_u32_e32 v46, s1, v44
	v_readfirstlane_b32 s1, v0
	v_mul_f32_e32 v0, 0x4f7ffffe, v1
	v_writelane_b32 v107, s27, 16
	v_cvt_u32_f32_e32 v0, v0
	v_writelane_b32 v107, s28, 17
	v_add_u32_e32 v48, s0, v46
	s_sub_i32 s0, 0, s30
	v_writelane_b32 v107, s29, 18
	s_lshl_b32 s31, s19, 5
	s_mul_i32 s0, s0, s1
	v_writelane_b32 v107, s30, 19
	s_mul_hi_u32 s0, s1, s0
	v_writelane_b32 v107, s31, 20
	s_ashr_i32 s35, s11, 31
	s_add_i32 s36, s1, s0
	s_sub_i32 s0, 0, s34
	v_readfirstlane_b32 s1, v0
	v_mbcnt_lo_u32_b32 v0, -1, 0
	v_writelane_b32 v107, s34, 21
	s_mul_i32 s0, s0, s1
	v_mbcnt_hi_u32_b32 v0, -1, v0
	v_writelane_b32 v107, s35, 22
	v_mov_b32_e32 v33, 0
	v_mul_lo_u32 v52, s19, v72
	s_ashr_i32 s37, s12, 31
	s_mul_hi_u32 s0, s1, s0
	v_and_or_b32 v0, v0, 64, v6
	v_writelane_b32 v107, s36, 23
	v_or_b32_e32 v83, 32, v72
	v_ashrrev_i32_e32 v35, 31, v34
	v_ashrrev_i32_e32 v37, 31, v36
	;; [unrolled: 1-line block ×9, first 2 shown]
	v_mov_b32_e32 v51, v33
	v_mul_lo_u32 v94, s18, v72
	v_or_b32_e32 v95, v4, v3
	s_add_i32 s38, s1, s0
	v_lshlrev_b32_e32 v32, 1, v2
	v_lshlrev_b32_e32 v96, 2, v0
	v_mov_b32_e32 v97, v54
	v_writelane_b32 v107, s37, 24
	v_writelane_b32 v107, s38, 25
	s_branch .LBB57_7
.LBB57_4:                               ;   in Loop: Header=BB57_7 Depth=1
	s_or_b64 exec, exec, s[4:5]
.LBB57_5:                               ;   in Loop: Header=BB57_7 Depth=1
	s_or_b64 exec, exec, s[2:3]
	v_subrev_u32_e32 v97, s20, v97
.LBB57_6:                               ;   in Loop: Header=BB57_7 Depth=1
	s_or_b64 exec, exec, s[0:1]
	s_add_i32 s33, s33, 1
	v_cmp_ge_i32_e32 vcc, s33, v70
	s_cbranch_vccnz .LBB57_51
.LBB57_7:                               ; =>This Loop Header: Depth=1
                                        ;     Child Loop BB57_13 Depth 2
                                        ;       Child Loop BB57_15 Depth 3
                                        ;       Child Loop BB57_18 Depth 3
	;; [unrolled: 1-line block ×3, first 2 shown]
                                        ;     Child Loop BB57_38 Depth 2
                                        ;       Child Loop BB57_40 Depth 3
                                        ;     Child Loop BB57_48 Depth 2
                                        ;       Child Loop BB57_50 Depth 3
	s_abs_i32 s1, s33
	s_mul_hi_u32 s2, s1, s36
	s_mul_i32 s3, s2, s30
	s_ashr_i32 s0, s33, 31
	s_sub_i32 s1, s1, s3
	s_xor_b32 s0, s0, s35
	s_add_i32 s3, s2, 1
	s_sub_i32 s4, s1, s30
	s_cmp_ge_u32 s1, s30
	s_cselect_b32 s2, s3, s2
	s_cselect_b32 s1, s4, s1
	s_add_i32 s3, s2, 1
	s_cmp_ge_u32 s1, s30
	s_cselect_b32 s1, s3, s2
	s_xor_b32 s1, s1, s0
	s_sub_i32 s0, s1, s0
	s_abs_i32 s2, s0
	s_mul_i32 s1, s0, s11
	s_mul_hi_u32 s3, s2, s38
	s_sub_i32 s1, s33, s1
	s_mul_i32 s4, s3, s34
	s_lshl_b32 s52, s1, 5
	s_ashr_i32 s1, s0, 31
	s_sub_i32 s2, s2, s4
	s_xor_b32 s1, s1, s37
	s_add_i32 s4, s3, 1
	s_sub_i32 s5, s2, s34
	s_cmp_ge_u32 s2, s34
	s_cselect_b32 s3, s4, s3
	s_cselect_b32 s2, s5, s2
	s_add_i32 s4, s3, 1
	s_cmp_ge_u32 s2, s34
	s_cselect_b32 s2, s4, s3
	s_xor_b32 s2, s2, s1
	s_sub_i32 s1, s2, s1
	s_mul_i32 s2, s1, s13
	s_lshl_b32 s39, s2, 7
	s_cmp_eq_u32 s1, s26
	s_cselect_b32 s20, s27, s13
	s_sub_i32 s2, s52, s16
	s_add_i32 s53, s2, 32
	s_and_saveexec_b64 s[2:3], s[24:25]
	s_xor_b64 s[40:41], exec, s[2:3]
	s_cbranch_execz .LBB57_44
; %bb.8:                                ;   in Loop: Header=BB57_7 Depth=1
	s_mul_i32 s1, s1, s12
	s_sub_i32 s0, s0, s1
	s_lshl_b32 s0, s0, 6
	s_sub_i32 s90, s0, s17
	s_add_i32 s90, s90, 64
	s_max_i32 s1, s90, 0
	s_sub_i32 s54, s0, s1
	s_and_saveexec_b64 s[0:1], s[14:15]
	s_xor_b64 s[4:5], exec, s[0:1]
	s_cbranch_execz .LBB57_34
; %bb.9:                                ;   in Loop: Header=BB57_7 Depth=1
	s_and_saveexec_b64 s[2:3], s[28:29]
	s_cbranch_execz .LBB57_33
; %bb.10:                               ;   in Loop: Header=BB57_7 Depth=1
	global_load_dword v98, v33, s[50:51]
	v_writelane_b32 v107, s2, 26
	v_mov_b32_e32 v31, 0
	v_cmp_gt_i32_e32 vcc, s20, v97
	v_writelane_b32 v107, s3, 27
	v_writelane_b32 v107, s4, 28
	v_mov_b32_e32 v30, v31
	v_mov_b32_e32 v29, v31
	;; [unrolled: 1-line block ×12, first 2 shown]
	s_waitcnt lgkmcnt(1)
	v_mov_b32_e32 v18, v31
	v_mov_b32_e32 v17, v31
	;; [unrolled: 1-line block ×19, first 2 shown]
	v_writelane_b32 v107, s5, 29
	s_and_saveexec_b64 s[0:1], vcc
	s_cbranch_execz .LBB57_23
; %bb.11:                               ;   in Loop: Header=BB57_7 Depth=1
	v_mov_b32_e32 v0, 0
	s_mov_b64 s[2:3], 0
	v_mov_b32_e32 v1, v0
	v_mov_b32_e32 v2, v0
	v_mov_b32_e32 v3, v0
	v_mov_b32_e32 v4, v0
	v_mov_b32_e32 v5, v0
	v_mov_b32_e32 v6, v0
	v_mov_b32_e32 v7, v0
	v_mov_b32_e32 v8, v0
	v_mov_b32_e32 v9, v0
	v_mov_b32_e32 v10, v0
	v_mov_b32_e32 v11, v0
	v_mov_b32_e32 v12, v0
	v_mov_b32_e32 v13, v0
	v_mov_b32_e32 v14, v0
	v_mov_b32_e32 v15, v0
	v_mov_b32_e32 v16, v0
	v_mov_b32_e32 v17, v0
	v_mov_b32_e32 v18, v0
	v_mov_b32_e32 v19, v0
	v_mov_b32_e32 v20, v0
	v_mov_b32_e32 v21, v0
	v_mov_b32_e32 v22, v0
	v_mov_b32_e32 v23, v0
	v_mov_b32_e32 v24, v0
	v_mov_b32_e32 v25, v0
	v_mov_b32_e32 v26, v0
	v_mov_b32_e32 v27, v0
	v_mov_b32_e32 v28, v0
	v_mov_b32_e32 v29, v0
	v_mov_b32_e32 v30, v0
	v_mov_b32_e32 v31, v0
	s_branch .LBB57_13
.LBB57_12:                              ;   in Loop: Header=BB57_13 Depth=2
	s_or_b64 exec, exec, s[4:5]
	v_add_u32_e32 v104, v74, v102
	v_add_u32_e32 v105, 0x1000, v104
	ds_read2_b32 v[102:103], v105 offset1:32
	v_add_u32_e32 v97, s23, v97
	v_cmp_le_i32_e32 vcc, s20, v97
	s_or_b64 s[2:3], vcc, s[2:3]
	ds_write_b32 v100, v101 offset:49164
	s_waitcnt lgkmcnt(1)
	v_mfma_f32_32x32x16_fp8_fp8 v[0:15], v[66:67], v[102:103], v[0:15]
	ds_read2_b32 v[66:67], v105 offset0:128 offset1:160
	s_waitcnt lgkmcnt(0)
	v_mfma_f32_32x32x16_fp8_fp8 v[0:15], v[64:65], v[66:67], v[0:15]
	v_add_u32_e32 v66, 0x1400, v104
	ds_read2_b32 v[64:65], v66 offset1:32
	s_waitcnt lgkmcnt(0)
	v_mfma_f32_32x32x16_fp8_fp8 v[0:15], v[62:63], v[64:65], v[0:15]
	ds_read2_b32 v[62:63], v66 offset0:128 offset1:160
	s_waitcnt lgkmcnt(0)
	v_mfma_f32_32x32x16_fp8_fp8 v[0:15], v[60:61], v[62:63], v[0:15]
	v_add_u32_e32 v62, 0x1800, v104
	ds_read2_b32 v[60:61], v62 offset1:32
	;; [unrolled: 7-line block ×3, first 2 shown]
	s_waitcnt lgkmcnt(0)
	v_mfma_f32_32x32x16_fp8_fp8 v[0:15], v[54:55], v[56:57], v[0:15]
	ds_read2_b32 v[54:55], v58 offset0:128 offset1:160
	s_waitcnt lgkmcnt(0)
	v_mfma_f32_32x32x16_fp8_fp8 v[0:15], v[68:69], v[54:55], v[0:15]
	v_add_u32_e32 v54, s23, v99
	v_add_u32_e32 v55, 2, v71
	v_cmp_lt_i32_e32 vcc, 3, v54
	s_nop 1
	v_cndmask_b32_e32 v71, v71, v55, vcc
	s_andn2_b64 exec, exec, s[2:3]
	s_cbranch_execz .LBB57_22
.LBB57_13:                              ;   Parent Loop BB57_7 Depth=1
                                        ; =>  This Loop Header: Depth=2
                                        ;       Child Loop BB57_15 Depth 3
                                        ;       Child Loop BB57_18 Depth 3
	;; [unrolled: 1-line block ×3, first 2 shown]
	v_cmp_gt_i32_e32 vcc, 4, v54
	s_nop 1
	v_cndmask_b32_e64 v55, -4, 0, vcc
	v_add_u32_e32 v99, v55, v54
	v_lshlrev_b32_e32 v100, 4, v99
	ds_read_b32 v54, v100 offset:49152
	s_waitcnt lgkmcnt(0)
	v_cmp_ne_u32_e32 vcc, v54, v71
	s_and_saveexec_b64 s[4:5], vcc
	s_cbranch_execz .LBB57_16
; %bb.14:                               ;   in Loop: Header=BB57_13 Depth=2
	s_mov_b64 s[6:7], 0
.LBB57_15:                              ;   Parent Loop BB57_7 Depth=1
                                        ;     Parent Loop BB57_13 Depth=2
                                        ; =>    This Inner Loop Header: Depth=3
	;;#ASMSTART
	s_sleep 0
	;;#ASMEND
	ds_read_b32 v54, v100 offset:49152
	s_waitcnt lgkmcnt(0)
	v_cmp_eq_u32_e32 vcc, v54, v71
	s_or_b64 s[6:7], vcc, s[6:7]
	s_andn2_b64 exec, exec, s[6:7]
	s_cbranch_execnz .LBB57_15
.LBB57_16:                              ;   in Loop: Header=BB57_13 Depth=2
	s_or_b64 exec, exec, s[4:5]
	v_lshl_add_u32 v54, v99, 12, v73
	v_add_u32_e32 v55, 0x400, v54
	ds_read2_b32 v[66:67], v54 offset1:32
	ds_read2_b32 v[64:65], v54 offset0:128 offset1:160
	ds_read2_b32 v[62:63], v55 offset1:32
	ds_read2_b32 v[60:61], v55 offset0:128 offset1:160
	v_add_u32_e32 v55, 0x800, v54
	v_add_u32_e32 v68, 0xc00, v54
	ds_read2_b32 v[58:59], v55 offset1:32
	ds_read2_b32 v[56:57], v55 offset0:128 offset1:160
	ds_read2_b32 v[54:55], v68 offset1:32
	ds_read_b32 v102, v100 offset:49156
	ds_read2_b32 v[68:69], v68 offset0:128 offset1:160
	v_add_u32_e32 v101, 1, v71
	ds_write_b32 v100, v101 offset:49152
	s_waitcnt lgkmcnt(2)
	v_cmp_ne_u32_e32 vcc, v102, v71
	s_and_saveexec_b64 s[4:5], vcc
	s_cbranch_execz .LBB57_19
; %bb.17:                               ;   in Loop: Header=BB57_13 Depth=2
	s_mov_b64 s[6:7], 0
.LBB57_18:                              ;   Parent Loop BB57_7 Depth=1
                                        ;     Parent Loop BB57_13 Depth=2
                                        ; =>    This Inner Loop Header: Depth=3
	;;#ASMSTART
	s_sleep 0
	;;#ASMEND
	ds_read_b32 v102, v100 offset:49156
	s_waitcnt lgkmcnt(0)
	v_cmp_eq_u32_e32 vcc, v102, v71
	s_or_b64 s[6:7], vcc, s[6:7]
	s_andn2_b64 exec, exec, s[6:7]
	s_cbranch_execnz .LBB57_18
.LBB57_19:                              ;   in Loop: Header=BB57_13 Depth=2
	s_or_b64 exec, exec, s[4:5]
	v_lshlrev_b32_e32 v102, 13, v99
	v_or_b32_e32 v103, v74, v102
	ds_read2_b32 v[104:105], v103 offset1:32
	v_add_u32_e32 v106, 0x400, v103
	ds_write_b32 v100, v101 offset:49156
	s_waitcnt lgkmcnt(1)
	v_mfma_f32_32x32x16_fp8_fp8 v[16:31], v[66:67], v[104:105], v[16:31]
	ds_read2_b32 v[104:105], v103 offset0:128 offset1:160
	s_waitcnt lgkmcnt(0)
	v_mfma_f32_32x32x16_fp8_fp8 v[16:31], v[64:65], v[104:105], v[16:31]
	ds_read2_b32 v[104:105], v106 offset1:32
	s_waitcnt lgkmcnt(0)
	v_mfma_f32_32x32x16_fp8_fp8 v[16:31], v[62:63], v[104:105], v[16:31]
	ds_read2_b32 v[104:105], v106 offset0:128 offset1:160
	v_add_u32_e32 v106, 0x800, v103
	v_add_u32_e32 v103, 0xc00, v103
	s_waitcnt lgkmcnt(0)
	v_mfma_f32_32x32x16_fp8_fp8 v[16:31], v[60:61], v[104:105], v[16:31]
	ds_read2_b32 v[104:105], v106 offset1:32
	s_waitcnt lgkmcnt(0)
	v_mfma_f32_32x32x16_fp8_fp8 v[16:31], v[58:59], v[104:105], v[16:31]
	ds_read2_b32 v[104:105], v106 offset0:128 offset1:160
	s_waitcnt lgkmcnt(0)
	v_mfma_f32_32x32x16_fp8_fp8 v[16:31], v[56:57], v[104:105], v[16:31]
	ds_read2_b32 v[104:105], v103 offset1:32
	s_waitcnt lgkmcnt(0)
	v_mfma_f32_32x32x16_fp8_fp8 v[16:31], v[54:55], v[104:105], v[16:31]
	ds_read2_b32 v[104:105], v103 offset0:128 offset1:160
	ds_read_b32 v103, v100 offset:49164
	s_waitcnt lgkmcnt(0)
	v_cmp_ne_u32_e32 vcc, v103, v71
	v_mfma_f32_32x32x16_fp8_fp8 v[16:31], v[68:69], v[104:105], v[16:31]
	s_and_saveexec_b64 s[4:5], vcc
	s_cbranch_execz .LBB57_12
; %bb.20:                               ;   in Loop: Header=BB57_13 Depth=2
	s_mov_b64 s[6:7], 0
.LBB57_21:                              ;   Parent Loop BB57_7 Depth=1
                                        ;     Parent Loop BB57_13 Depth=2
                                        ; =>    This Inner Loop Header: Depth=3
	;;#ASMSTART
	s_sleep 0
	;;#ASMEND
	ds_read_b32 v103, v100 offset:49164
	s_waitcnt lgkmcnt(0)
	v_cmp_eq_u32_e32 vcc, v103, v71
	s_or_b64 s[6:7], vcc, s[6:7]
	s_andn2_b64 exec, exec, s[6:7]
	s_cbranch_execnz .LBB57_21
	s_branch .LBB57_12
.LBB57_22:                              ;   in Loop: Header=BB57_7 Depth=1
	s_or_b64 exec, exec, s[2:3]
.LBB57_23:                              ;   in Loop: Header=BB57_7 Depth=1
	v_writelane_b32 v107, s54, 30
	s_nop 1
	v_writelane_b32 v107, s55, 31
	v_writelane_b32 v107, s40, 32
	s_nop 1
	v_writelane_b32 v107, s41, 33
	v_writelane_b32 v107, s53, 34
	;; [unrolled: 1-line block ×4, first 2 shown]
	s_or_b64 exec, exec, s[0:1]
	v_cmp_le_i32_e32 vcc, s90, v72
	v_cmp_eq_u32_e64 s[86:87], 1, v75
	v_cmp_eq_u32_e64 s[50:51], 2, v75
	s_waitcnt vmcnt(0)
	v_cndmask_b32_e32 v56, 0, v98, vcc
	v_pk_mul_f32 v[16:17], v[56:57], v[16:17] op_sel_hi:[0,1]
	v_pk_mul_f32 v[18:19], v[56:57], v[18:19] op_sel_hi:[0,1]
	v_cndmask_b32_e64 v55, v16, v17, s[86:87]
	v_cndmask_b32_e64 v55, v55, v18, s[50:51]
	v_cmp_eq_u32_e64 s[52:53], 3, v75
	v_pk_mul_f32 v[20:21], v[56:57], v[20:21] op_sel_hi:[0,1]
	v_cmp_eq_u32_e64 s[56:57], 4, v75
	v_cndmask_b32_e64 v55, v55, v19, s[52:53]
	v_cmp_eq_u32_e64 s[60:61], 5, v75
	v_cndmask_b32_e64 v55, v55, v20, s[56:57]
	v_pk_mul_f32 v[22:23], v[56:57], v[22:23] op_sel_hi:[0,1]
	v_cndmask_b32_e64 v55, v55, v21, s[60:61]
	v_cmp_eq_u32_e64 s[64:65], 6, v75
	v_cmp_eq_u32_e64 s[68:69], 7, v75
	v_pk_mul_f32 v[24:25], v[56:57], v[24:25] op_sel_hi:[0,1]
	v_cndmask_b32_e64 v55, v55, v22, s[64:65]
	v_cndmask_b32_e64 v55, v55, v23, s[68:69]
	v_cmp_eq_u32_e64 s[72:73], 8, v75
	v_cmp_eq_u32_e64 s[74:75], 9, v75
	v_pk_mul_f32 v[26:27], v[56:57], v[26:27] op_sel_hi:[0,1]
	v_cndmask_b32_e64 v55, v55, v24, s[72:73]
	;; [unrolled: 5-line block ×4, first 2 shown]
	v_cndmask_b32_e64 v55, v55, v29, s[82:83]
	v_cmp_eq_u32_e64 s[84:85], 14, v75
	v_cmp_eq_u32_e64 s[88:89], 15, v75
	;; [unrolled: 1-line block ×3, first 2 shown]
	v_cndmask_b32_e64 v55, v55, v30, s[84:85]
	v_cndmask_b32_e64 v55, v55, v31, s[88:89]
	ds_bpermute_b32 v55, v96, v55
	v_cmp_eq_u32_e64 s[24:25], 1, v76
	v_cmp_eq_u32_e64 s[26:27], 2, v76
	;; [unrolled: 1-line block ×4, first 2 shown]
	s_waitcnt lgkmcnt(0)
	v_cndmask_b32_e64 v62, v17, v55, s[86:87]
	v_cndmask_b32_e64 v16, v16, v55, s[70:71]
	;; [unrolled: 1-line block ×10, first 2 shown]
	v_cmp_eq_u32_e64 s[34:35], 5, v76
	v_cndmask_b32_e64 v57, v22, v55, s[64:65]
	v_cmp_eq_u32_e64 s[36:37], 6, v76
	v_cndmask_b32_e64 v17, v17, v58, s[34:35]
	v_cndmask_b32_e64 v56, v23, v55, s[68:69]
	v_cndmask_b32_e64 v17, v17, v57, s[36:37]
	v_cmp_eq_u32_e64 s[38:39], 7, v76
	v_cndmask_b32_e64 v24, v24, v55, s[72:73]
	v_cmp_eq_u32_e64 s[42:43], 8, v76
	v_cndmask_b32_e64 v17, v17, v56, s[38:39]
	v_cndmask_b32_e64 v25, v25, v55, s[74:75]
	v_cndmask_b32_e64 v17, v17, v24, s[42:43]
	;; [unrolled: 6-line block ×5, first 2 shown]
	v_cmp_eq_u32_e64 s[66:67], 15, v76
	v_cmp_le_i32_e64 s[90:91], s90, v83
	v_cmp_eq_u32_e64 s[40:41], 0, v76
	v_cndmask_b32_e64 v17, v17, v31, s[66:67]
	ds_bpermute_b32 v55, v96, v17
	v_cmp_eq_u32_e64 s[4:5], 1, v77
	v_cmp_eq_u32_e64 s[6:7], 2, v77
	;; [unrolled: 1-line block ×4, first 2 shown]
	s_waitcnt lgkmcnt(0)
	v_cndmask_b32_e64 v23, v25, v55, s[44:45]
	v_cndmask_b32_e64 v25, v56, v55, s[38:39]
	;; [unrolled: 1-line block ×3, first 2 shown]
	v_pk_mul_f32 v[0:1], v[56:57], v[0:1] op_sel_hi:[0,1]
	v_pk_mul_f32 v[14:15], v[56:57], v[14:15] op_sel_hi:[0,1]
	;; [unrolled: 1-line block ×8, first 2 shown]
	v_cndmask_b32_e64 v56, v0, v1, s[86:87]
	v_cndmask_b32_e64 v56, v56, v2, s[50:51]
	v_cndmask_b32_e64 v56, v56, v3, s[52:53]
	v_cndmask_b32_e64 v56, v56, v4, s[56:57]
	v_cndmask_b32_e64 v56, v56, v5, s[60:61]
	v_cndmask_b32_e64 v56, v56, v6, s[64:65]
	v_cndmask_b32_e64 v56, v56, v7, s[68:69]
	v_cndmask_b32_e64 v56, v56, v8, s[72:73]
	v_cndmask_b32_e64 v56, v56, v9, s[74:75]
	v_cndmask_b32_e64 v56, v56, v10, s[76:77]
	v_cndmask_b32_e64 v17, v31, v55, s[66:67]
	v_cndmask_b32_e64 v31, v62, v55, s[24:25]
	v_cndmask_b32_e64 v16, v16, v55, s[40:41]
	v_cndmask_b32_e64 v56, v56, v11, s[78:79]
	v_cndmask_b32_e64 v18, v30, v55, s[62:63]
	v_cndmask_b32_e64 v19, v29, v55, s[58:59]
	v_cndmask_b32_e64 v20, v28, v55, s[54:55]
	v_cndmask_b32_e64 v21, v27, v55, s[48:49]
	v_cndmask_b32_e64 v22, v26, v55, s[46:47]
	v_cndmask_b32_e64 v24, v24, v55, s[42:43]
	v_cndmask_b32_e64 v26, v57, v55, s[36:37]
	v_cndmask_b32_e64 v27, v58, v55, s[34:35]
	v_cndmask_b32_e64 v28, v59, v55, s[30:31]
	v_cndmask_b32_e64 v29, v60, v55, s[28:29]
	v_cndmask_b32_e64 v30, v61, v55, s[26:27]
	v_cndmask_b32_e64 v55, v16, v31, s[4:5]
	v_cndmask_b32_e64 v56, v56, v12, s[80:81]
	v_cndmask_b32_e64 v55, v55, v30, s[6:7]
	v_cndmask_b32_e64 v56, v56, v13, s[82:83]
	v_cndmask_b32_e64 v55, v55, v29, s[8:9]
	v_cndmask_b32_e64 v56, v56, v14, s[84:85]
	v_cndmask_b32_e64 v55, v55, v28, s[10:11]
	v_cmp_eq_u32_e64 s[12:13], 5, v77
	v_cndmask_b32_e64 v56, v56, v15, s[88:89]
	v_cmp_eq_u32_e64 s[14:15], 6, v77
	v_cndmask_b32_e64 v55, v55, v27, s[12:13]
	ds_bpermute_b32 v56, v96, v56
	v_cndmask_b32_e64 v55, v55, v26, s[14:15]
	v_cmp_eq_u32_e64 s[96:97], 7, v77
	v_cmp_eq_u32_e64 s[98:99], 8, v77
	v_cmp_eq_u32_e32 vcc, 9, v77
	v_cndmask_b32_e64 v55, v55, v25, s[96:97]
	v_cndmask_b32_e64 v55, v55, v24, s[98:99]
	v_cndmask_b32_e32 v55, v55, v23, vcc
	v_cmp_eq_u32_e64 s[0:1], 10, v77
	v_cmp_eq_u32_e64 s[86:87], 11, v77
	s_waitcnt lgkmcnt(0)
	v_cndmask_b32_e64 v2, v2, v56, s[50:51]
	v_cndmask_b32_e64 v55, v55, v22, s[0:1]
	v_cmp_ne_u32_e64 s[50:51], 0, v75
	v_cndmask_b32_e64 v55, v55, v21, s[86:87]
	v_cmp_eq_u32_e64 s[90:91], 12, v77
	v_cndmask_b32_e64 v1, v1, v56, s[50:51]
	v_cndmask_b32_e64 v0, v0, v56, s[70:71]
	;; [unrolled: 1-line block ×4, first 2 shown]
	v_cmp_eq_u32_e64 s[88:89], 13, v77
	v_cndmask_b32_e64 v14, v14, v56, s[84:85]
	v_cndmask_b32_e64 v13, v13, v56, s[82:83]
	;; [unrolled: 1-line block ×14, first 2 shown]
	v_cmp_eq_u32_e64 s[84:85], 14, v77
	v_cndmask_b32_e64 v56, v56, v2, s[26:27]
	v_cmp_eq_u32_e64 s[82:83], 15, v77
	v_cndmask_b32_e64 v55, v55, v18, s[84:85]
	v_cndmask_b32_e64 v56, v56, v3, s[28:29]
	v_cndmask_b32_e64 v55, v55, v17, s[82:83]
	v_cndmask_b32_e64 v56, v56, v4, s[30:31]
	ds_bpermute_b32 v55, v96, v55
	v_cndmask_b32_e64 v56, v56, v5, s[34:35]
	v_cndmask_b32_e64 v56, v56, v6, s[36:37]
	;; [unrolled: 1-line block ×4, first 2 shown]
	v_cmp_eq_u32_e64 s[80:81], 0, v77
	v_cndmask_b32_e64 v56, v56, v9, s[44:45]
	s_waitcnt lgkmcnt(0)
	v_cndmask_b32_e64 v31, v31, v55, s[4:5]
	v_cndmask_b32_e64 v16, v16, v55, s[80:81]
	v_cmp_eq_u32_e64 s[78:79], 1, v78
	v_cndmask_b32_e64 v56, v56, v10, s[46:47]
	v_cndmask_b32_e64 v17, v17, v55, s[82:83]
	;; [unrolled: 1-line block ×7, first 2 shown]
	v_cndmask_b32_e32 v23, v23, v55, vcc
	v_cndmask_b32_e64 v24, v24, v55, s[98:99]
	v_cndmask_b32_e64 v25, v25, v55, s[96:97]
	;; [unrolled: 1-line block ×8, first 2 shown]
	v_cmp_eq_u32_e64 s[76:77], 2, v78
	v_cndmask_b32_e64 v56, v56, v11, s[48:49]
	v_cmp_eq_u32_e64 s[74:75], 3, v78
	v_cndmask_b32_e64 v55, v55, v30, s[76:77]
	v_cndmask_b32_e64 v56, v56, v12, s[54:55]
	;; [unrolled: 1-line block ×3, first 2 shown]
	v_cmp_eq_u32_e64 s[72:73], 4, v78
	v_cndmask_b32_e64 v56, v56, v13, s[58:59]
	v_cmp_eq_u32_e64 s[68:69], 5, v78
	v_cndmask_b32_e64 v55, v55, v28, s[72:73]
	v_cndmask_b32_e64 v56, v56, v14, s[62:63]
	;; [unrolled: 1-line block ×3, first 2 shown]
	v_cmp_eq_u32_e64 s[64:65], 6, v78
	v_cndmask_b32_e64 v56, v56, v15, s[66:67]
	v_cmp_eq_u32_e64 s[60:61], 7, v78
	v_cndmask_b32_e64 v55, v55, v26, s[64:65]
	ds_bpermute_b32 v56, v96, v56
	v_cndmask_b32_e64 v55, v55, v25, s[60:61]
	v_cmp_eq_u32_e64 s[56:57], 8, v78
	v_cmp_eq_u32_e64 s[52:53], 9, v78
	;; [unrolled: 1-line block ×3, first 2 shown]
	v_cndmask_b32_e64 v55, v55, v24, s[56:57]
	v_cndmask_b32_e64 v55, v55, v23, s[52:53]
	;; [unrolled: 1-line block ×3, first 2 shown]
	v_cmp_eq_u32_e64 s[70:71], 11, v78
	s_waitcnt lgkmcnt(0)
	v_cndmask_b32_e64 v15, v15, v56, s[66:67]
	v_cmp_eq_u32_e64 s[66:67], 12, v78
	v_cndmask_b32_e64 v55, v55, v21, s[70:71]
	v_cndmask_b32_e64 v14, v14, v56, s[62:63]
	;; [unrolled: 1-line block ×3, first 2 shown]
	v_cmp_eq_u32_e64 s[62:63], 13, v78
	v_cndmask_b32_e64 v1, v1, v56, s[24:25]
	v_cndmask_b32_e64 v0, v0, v56, s[40:41]
	v_cndmask_b32_e64 v55, v55, v19, s[62:63]
	v_cndmask_b32_e64 v13, v13, v56, s[58:59]
	v_cmp_eq_u32_e64 s[92:93], 14, v78
	v_cndmask_b32_e64 v12, v12, v56, s[54:55]
	v_cndmask_b32_e64 v11, v11, v56, s[48:49]
	;; [unrolled: 1-line block ×13, first 2 shown]
	v_cmp_eq_u32_e64 s[94:95], 15, v78
	v_cndmask_b32_e64 v56, v56, v2, s[6:7]
	v_cndmask_b32_e64 v56, v56, v3, s[8:9]
	v_cndmask_b32_e64 v55, v55, v17, s[94:95]
	ds_bpermute_b32 v55, v96, v55
	v_cndmask_b32_e64 v56, v56, v4, s[10:11]
	v_cndmask_b32_e64 v56, v56, v5, s[12:13]
	;; [unrolled: 1-line block ×4, first 2 shown]
	v_cmp_eq_u32_e64 s[48:49], 0, v78
	v_cndmask_b32_e64 v56, v56, v8, s[98:99]
	s_waitcnt lgkmcnt(0)
	v_cndmask_b32_e64 v31, v31, v55, s[78:79]
	v_cndmask_b32_e64 v16, v16, v55, s[48:49]
	v_cmp_eq_u32_e64 s[46:47], 1, v79
	v_cndmask_b32_e32 v56, v56, v9, vcc
	v_cndmask_b32_e64 v17, v17, v55, s[94:95]
	v_cndmask_b32_e64 v18, v18, v55, s[92:93]
	;; [unrolled: 1-line block ×15, first 2 shown]
	v_cmp_eq_u32_e64 s[44:45], 2, v79
	v_cndmask_b32_e64 v56, v56, v10, s[0:1]
	v_cmp_eq_u32_e64 s[42:43], 3, v79
	v_cndmask_b32_e64 v55, v55, v30, s[44:45]
	v_cndmask_b32_e64 v56, v56, v11, s[86:87]
	v_cndmask_b32_e64 v55, v55, v29, s[42:43]
	v_cmp_eq_u32_e64 s[38:39], 4, v79
	v_cndmask_b32_e64 v56, v56, v12, s[90:91]
	v_cmp_eq_u32_e64 s[36:37], 5, v79
	v_cndmask_b32_e64 v55, v55, v28, s[38:39]
	v_cndmask_b32_e64 v56, v56, v13, s[88:89]
	v_cndmask_b32_e64 v55, v55, v27, s[36:37]
	;; [unrolled: 6-line block ×3, first 2 shown]
	v_cmp_eq_u32_e64 s[28:29], 8, v79
	ds_bpermute_b32 v56, v96, v56
	v_cmp_eq_u32_e64 s[26:27], 9, v79
	v_cndmask_b32_e64 v55, v55, v24, s[28:29]
	v_cmp_eq_u32_e64 s[24:25], 10, v79
	v_cndmask_b32_e64 v55, v55, v23, s[26:27]
	;; [unrolled: 2-line block ×4, first 2 shown]
	s_waitcnt lgkmcnt(0)
	v_cndmask_b32_e64 v15, v15, v56, s[82:83]
	v_cndmask_b32_e64 v55, v55, v20, s[58:59]
	v_cmp_eq_u32_e64 s[82:83], 13, v79
	v_cndmask_b32_e64 v14, v14, v56, s[84:85]
	v_cmp_eq_u32_e64 s[84:85], 14, v79
	v_cndmask_b32_e64 v55, v55, v19, s[82:83]
	v_cndmask_b32_e64 v1, v1, v56, s[4:5]
	;; [unrolled: 1-line block ×6, first 2 shown]
	v_cmp_eq_u32_e64 s[90:91], 15, v79
	v_cndmask_b32_e64 v11, v11, v56, s[86:87]
	v_cndmask_b32_e64 v10, v10, v56, s[0:1]
	v_cndmask_b32_e32 v9, v9, v56, vcc
	v_cndmask_b32_e64 v8, v8, v56, s[98:99]
	v_cndmask_b32_e64 v7, v7, v56, s[96:97]
	;; [unrolled: 1-line block ×10, first 2 shown]
	ds_bpermute_b32 v55, v96, v55
	v_cndmask_b32_e64 v56, v56, v3, s[74:75]
	v_cndmask_b32_e64 v56, v56, v4, s[72:73]
	;; [unrolled: 1-line block ×4, first 2 shown]
	v_cmp_eq_u32_e64 s[54:55], 0, v79
	v_cndmask_b32_e64 v56, v56, v7, s[60:61]
	s_waitcnt lgkmcnt(0)
	v_cndmask_b32_e64 v31, v31, v55, s[46:47]
	v_cndmask_b32_e64 v16, v16, v55, s[54:55]
	v_cmp_eq_u32_e64 s[0:1], 1, v80
	v_cndmask_b32_e64 v56, v56, v8, s[56:57]
	v_cndmask_b32_e64 v17, v17, v55, s[90:91]
	;; [unrolled: 1-line block ×16, first 2 shown]
	v_cmp_eq_u32_e64 s[2:3], 2, v80
	v_cndmask_b32_e64 v56, v56, v9, s[52:53]
	v_cmp_eq_u32_e64 s[98:99], 3, v80
	v_cndmask_b32_e64 v55, v55, v30, s[2:3]
	v_cndmask_b32_e64 v56, v56, v10, s[50:51]
	v_cndmask_b32_e64 v55, v55, v29, s[98:99]
	v_cmp_eq_u32_e64 s[96:97], 4, v80
	v_cndmask_b32_e64 v56, v56, v11, s[70:71]
	v_cmp_eq_u32_e64 s[14:15], 5, v80
	v_cndmask_b32_e64 v55, v55, v28, s[96:97]
	v_cndmask_b32_e64 v56, v56, v12, s[66:67]
	v_cndmask_b32_e64 v55, v55, v27, s[14:15]
	;; [unrolled: 6-line block ×3, first 2 shown]
	v_cmp_eq_u32_e64 s[8:9], 8, v80
	v_cndmask_b32_e64 v56, v56, v15, s[94:95]
	v_cmp_eq_u32_e64 s[6:7], 9, v80
	v_cndmask_b32_e64 v55, v55, v24, s[8:9]
	ds_bpermute_b32 v56, v96, v56
	v_cndmask_b32_e64 v55, v55, v23, s[6:7]
	v_cmp_eq_u32_e32 vcc, 10, v80
	v_cmp_eq_u32_e64 s[80:81], 11, v80
	v_cmp_eq_u32_e64 s[86:87], 12, v80
	v_cndmask_b32_e32 v55, v55, v22, vcc
	v_cndmask_b32_e64 v55, v55, v21, s[80:81]
	v_cndmask_b32_e64 v55, v55, v20, s[86:87]
	v_cmp_eq_u32_e64 s[88:89], 13, v80
	s_waitcnt lgkmcnt(0)
	v_cndmask_b32_e64 v13, v13, v56, s[62:63]
	v_cmp_eq_u32_e64 s[62:63], 14, v80
	v_cndmask_b32_e64 v55, v55, v19, s[88:89]
	v_cndmask_b32_e64 v12, v12, v56, s[66:67]
	;; [unrolled: 1-line block ×3, first 2 shown]
	v_cmp_eq_u32_e64 s[66:67], 15, v80
	v_cndmask_b32_e64 v57, v11, v56, s[70:71]
	v_cmp_eq_u32_e64 s[70:71], 0, v80
	v_cndmask_b32_e64 v55, v55, v17, s[66:67]
	ds_bpermute_b32 v55, v96, v55
	v_cndmask_b32_e64 v15, v15, v56, s[94:95]
	v_cndmask_b32_e64 v14, v14, v56, s[92:93]
	;; [unrolled: 1-line block ×4, first 2 shown]
	s_waitcnt lgkmcnt(0)
	v_cndmask_b32_e64 v17, v17, v55, s[66:67]
	v_cndmask_b32_e64 v18, v18, v55, s[62:63]
	v_cndmask_b32_e64 v19, v19, v55, s[88:89]
	v_cndmask_b32_e64 v20, v20, v55, s[86:87]
	v_cndmask_b32_e64 v21, v21, v55, s[80:81]
	v_cndmask_b32_e32 v22, v22, v55, vcc
	v_cndmask_b32_e64 v23, v23, v55, s[6:7]
	v_cndmask_b32_e64 v24, v24, v55, s[8:9]
	;; [unrolled: 1-line block ×28, first 2 shown]
	v_cmp_eq_u32_e64 s[50:51], 1, v81
	v_cndmask_b32_e64 v0, v0, v55, s[24:25]
	v_cmp_eq_u32_e64 s[52:53], 2, v81
	v_cndmask_b32_e64 v10, v16, v31, s[50:51]
	v_cndmask_b32_e64 v0, v0, v57, s[40:41]
	v_cndmask_b32_e64 v9, v10, v30, s[52:53]
	v_cmp_eq_u32_e64 s[56:57], 3, v81
	v_cndmask_b32_e64 v0, v0, v12, s[58:59]
	v_cmp_eq_u32_e64 s[60:61], 4, v81
	v_cndmask_b32_e64 v8, v9, v29, s[56:57]
	v_cndmask_b32_e64 v0, v0, v13, s[82:83]
	v_cndmask_b32_e64 v7, v8, v28, s[60:61]
	;; [unrolled: 6-line block ×3, first 2 shown]
	v_cmp_eq_u32_e64 s[72:73], 7, v81
	ds_bpermute_b32 v67, v96, v0
	v_cmp_eq_u32_e64 s[74:75], 8, v81
	v_cndmask_b32_e64 v4, v5, v25, s[72:73]
	v_cmp_eq_u32_e64 s[76:77], 9, v81
	v_cndmask_b32_e64 v3, v4, v24, s[74:75]
	;; [unrolled: 2-line block ×4, first 2 shown]
	s_waitcnt lgkmcnt(0)
	v_cndmask_b32_e64 v68, v15, v67, s[90:91]
	v_cndmask_b32_e64 v0, v0, v21, s[78:79]
	v_cmp_eq_u32_e64 s[90:91], 12, v81
	v_cndmask_b32_e64 v69, v14, v67, s[84:85]
	v_cmp_eq_u32_e64 s[84:85], 13, v81
	v_cndmask_b32_e64 v0, v0, v20, s[90:91]
	v_cndmask_b32_e64 v98, v13, v67, s[82:83]
	;; [unrolled: 1-line block ×3, first 2 shown]
	v_cmp_eq_u32_e64 s[82:83], 14, v81
	v_cndmask_b32_e64 v99, v12, v67, s[58:59]
	v_cmp_eq_u32_e64 s[58:59], 15, v81
	v_cndmask_b32_e64 v0, v0, v18, s[82:83]
	s_nop 0
	v_cndmask_b32_e64 v0, v0, v17, s[58:59]
	ds_bpermute_b32 v1, v96, v0
	s_waitcnt lgkmcnt(0)
	v_cndmask_b32_e64 v12, v27, v1, s[64:65]
	v_cndmask_b32_e64 v13, v28, v1, s[60:61]
	;; [unrolled: 1-line block ×29, first 2 shown]
	v_cmp_eq_u32_e64 s[40:41], 0, v81
	v_cndmask_b32_e64 v19, v58, v67, s[26:27]
	v_cndmask_b32_e64 v29, v29, v20, s[8:9]
	;; [unrolled: 1-line block ×8, first 2 shown]
	v_cndmask_b32_e32 v29, v29, v16, vcc
	v_cndmask_b32_e64 v29, v29, v17, s[80:81]
	v_cndmask_b32_e64 v29, v29, v99, s[86:87]
	;; [unrolled: 1-line block ×5, first 2 shown]
	ds_bpermute_b32 v29, v96, v29
	v_cmp_eq_u32_e64 s[24:25], 1, v82
	v_cmp_eq_u32_e64 s[26:27], 2, v82
	;; [unrolled: 1-line block ×3, first 2 shown]
	v_cndmask_b32_e64 v18, v1, v0, s[24:25]
	s_waitcnt lgkmcnt(0)
	v_cndmask_b32_e64 v65, v27, v29, s[0:1]
	v_cndmask_b32_e64 v66, v28, v29, s[70:71]
	;; [unrolled: 1-line block ×18, first 2 shown]
	v_cndmask_b32_e32 v16, v16, v29, vcc
	v_cndmask_b32_e64 v19, v19, v57, s[76:77]
	v_cndmask_b32_e64 v17, v17, v29, s[80:81]
	;; [unrolled: 1-line block ×12, first 2 shown]
	ds_bpermute_b32 v67, v96, v19
	v_cndmask_b32_e64 v18, v18, v15, s[26:27]
	v_cndmask_b32_e64 v18, v18, v14, s[28:29]
	v_cmp_eq_u32_e64 s[30:31], 4, v82
	v_cmp_eq_u32_e64 s[34:35], 5, v82
	s_waitcnt lgkmcnt(0)
	v_cndmask_b32_e64 v23, v17, v67, s[78:79]
	v_cndmask_b32_e64 v24, v16, v67, s[48:49]
	;; [unrolled: 1-line block ×18, first 2 shown]
	v_cmp_eq_u32_e64 s[36:37], 6, v82
	v_cndmask_b32_e64 v28, v60, v67, s[68:69]
	v_cndmask_b32_e64 v56, v56, v29, s[34:35]
	v_cndmask_b32_e64 v18, v18, v11, s[36:37]
	v_cmp_eq_u32_e64 s[38:39], 7, v82
	v_cndmask_b32_e64 v27, v59, v67, s[72:73]
	v_cndmask_b32_e64 v56, v56, v28, s[36:37]
	v_cndmask_b32_e64 v18, v18, v10, s[38:39]
	v_cmp_eq_u32_e64 s[42:43], 8, v82
	v_cndmask_b32_e64 v26, v58, v67, s[74:75]
	v_cndmask_b32_e64 v56, v56, v27, s[38:39]
	v_cndmask_b32_e64 v18, v18, v9, s[42:43]
	v_cmp_eq_u32_e64 s[44:45], 9, v82
	v_cndmask_b32_e64 v25, v57, v67, s[76:77]
	v_cndmask_b32_e64 v56, v56, v26, s[42:43]
	v_cndmask_b32_e64 v18, v18, v8, s[44:45]
	v_cmp_eq_u32_e64 s[46:47], 10, v82
	v_cndmask_b32_e64 v56, v56, v25, s[44:45]
	v_cmp_eq_u32_e64 s[54:55], 11, v82
	v_cndmask_b32_e64 v18, v18, v7, s[46:47]
	v_cndmask_b32_e64 v56, v56, v24, s[46:47]
	;; [unrolled: 1-line block ×3, first 2 shown]
	v_cmp_eq_u32_e64 s[66:67], 12, v82
	v_cndmask_b32_e64 v56, v56, v23, s[54:55]
	v_cmp_eq_u32_e64 s[62:63], 13, v82
	v_cndmask_b32_e64 v18, v18, v5, s[66:67]
	v_cndmask_b32_e64 v56, v56, v22, s[66:67]
	;; [unrolled: 1-line block ×3, first 2 shown]
	v_cmp_eq_u32_e32 vcc, 14, v82
	v_cndmask_b32_e64 v56, v56, v21, s[62:63]
	v_cmp_eq_u32_e64 s[6:7], 15, v82
	v_cndmask_b32_e32 v18, v18, v3, vcc
	v_cndmask_b32_e32 v56, v56, v20, vcc
	v_cndmask_b32_e64 v18, v18, v2, s[6:7]
	v_cndmask_b32_e64 v56, v56, v19, s[6:7]
	ds_bpermute_b32 v18, v96, v18
	ds_bpermute_b32 v58, v96, v56
	v_readlane_b32 s53, v107, 34
	s_nop 1
	v_cmp_lt_i32_e32 vcc, s53, v84
	s_and_saveexec_b64 s[40:41], vcc
	v_readlane_b32 s44, v107, 2
	v_readlane_b32 s45, v107, 3
	;; [unrolled: 1-line block ×11, first 2 shown]
	s_cbranch_execz .LBB57_32
; %bb.24:                               ;   in Loop: Header=BB57_7 Depth=1
	s_mul_i32 s0, s52, s17
	s_ashr_i32 s1, s0, 31
	s_lshl_b64 s[0:1], s[0:1], 1
	s_add_u32 s2, s48, s0
	v_cmp_eq_u32_e64 s[34:35], 1, v82
	v_cmp_eq_u32_e64 s[36:37], 0, v82
	s_addc_u32 s3, s49, s1
	s_ashr_i32 s55, s54, 31
	s_waitcnt lgkmcnt(1)
	v_cndmask_b32_e64 v56, v0, v18, s[34:35]
	v_cndmask_b32_e64 v57, v1, v18, s[36:37]
	s_lshl_b64 s[0:1], s[54:55], 1
	s_waitcnt lgkmcnt(0)
	v_cndmask_b32_e64 v59, v16, v58, s[34:35]
	v_cndmask_b32_e64 v60, v17, v58, s[36:37]
	v_cvt_f16_f32_e32 v57, v57
	v_cvt_f16_f32_sdwa v56, v56 dst_sel:WORD_1 dst_unused:UNUSED_PAD src0_sel:DWORD
	s_add_u32 s42, s2, s0
	v_cvt_f16_f32_e32 v60, v60
	v_cvt_f16_f32_sdwa v59, v59 dst_sel:WORD_1 dst_unused:UNUSED_PAD src0_sel:DWORD
	s_addc_u32 s43, s3, s1
	v_lshl_add_u64 v[0:1], s[42:43], 0, v[32:33]
	v_cmp_eq_u32_e32 vcc, 15, v82
	v_cmp_eq_u32_e64 s[6:7], 14, v82
	v_cmp_eq_u32_e64 s[8:9], 13, v82
	;; [unrolled: 1-line block ×13, first 2 shown]
	v_lshl_add_u64 v[16:17], v[34:35], 1, v[0:1]
	v_or_b32_e32 v56, v56, v57
	v_cmp_lt_i32_e64 s[34:35], s53, v85
	;;#ASMSTART
	global_atomic_pk_add_f16 v[16:17], v56, off
	
	;;#ASMEND
	v_lshl_add_u64 v[16:17], v[16:17], 0, 64
	v_or_b32_e32 v56, v59, v60
	;;#ASMSTART
	global_atomic_pk_add_f16 v[16:17], v56, off
	
	;;#ASMEND
	s_and_b64 exec, exec, s[34:35]
	s_cbranch_execz .LBB57_32
; %bb.25:                               ;   in Loop: Header=BB57_7 Depth=1
	v_cndmask_b32_e32 v2, v2, v18, vcc
	v_cndmask_b32_e64 v3, v3, v18, s[6:7]
	v_cndmask_b32_e64 v16, v4, v18, s[8:9]
	;; [unrolled: 1-line block ×19, first 2 shown]
	v_cvt_f16_f32_e32 v22, v18
	v_cvt_f16_f32_sdwa v23, v65 dst_sel:WORD_1 dst_unused:UNUSED_PAD src0_sel:DWORD
	v_cvt_f16_f32_e32 v21, v21
	v_cvt_f16_f32_sdwa v20, v20 dst_sel:WORD_1 dst_unused:UNUSED_PAD src0_sel:DWORD
	v_cndmask_b32_e32 v4, v19, v58, vcc
	v_cndmask_b32_e64 v9, v24, v58, s[14:15]
	v_cndmask_b32_e64 v10, v25, v58, s[0:1]
	;; [unrolled: 1-line block ×7, first 2 shown]
	v_lshl_add_u64 v[18:19], v[36:37], 1, v[0:1]
	v_cmp_lt_i32_e32 vcc, s53, v86
	v_or_b32_e32 v22, v23, v22
	;;#ASMSTART
	global_atomic_pk_add_f16 v[18:19], v22, off
	
	;;#ASMEND
	v_lshl_add_u64 v[18:19], v[18:19], 0, 64
	v_or_b32_e32 v20, v20, v21
	;;#ASMSTART
	global_atomic_pk_add_f16 v[18:19], v20, off
	
	;;#ASMEND
	s_and_b64 exec, exec, vcc
	s_cbranch_execz .LBB57_32
; %bb.26:                               ;   in Loop: Header=BB57_7 Depth=1
	v_cvt_f16_f32_e32 v20, v64
	v_cvt_f16_f32_sdwa v21, v63 dst_sel:WORD_1 dst_unused:UNUSED_PAD src0_sel:DWORD
	v_cvt_f16_f32_e32 v22, v15
	v_cvt_f16_f32_sdwa v23, v14 dst_sel:WORD_1 dst_unused:UNUSED_PAD src0_sel:DWORD
	v_lshl_add_u64 v[18:19], v[38:39], 1, v[0:1]
	v_or_b32_e32 v14, v21, v20
	v_cmp_lt_i32_e32 vcc, s53, v87
	;;#ASMSTART
	global_atomic_pk_add_f16 v[18:19], v14, off
	
	;;#ASMEND
	v_lshl_add_u64 v[14:15], v[18:19], 0, 64
	v_or_b32_e32 v18, v23, v22
	;;#ASMSTART
	global_atomic_pk_add_f16 v[14:15], v18, off
	
	;;#ASMEND
	s_and_b64 exec, exec, vcc
	s_cbranch_execz .LBB57_32
; %bb.27:                               ;   in Loop: Header=BB57_7 Depth=1
	v_cvt_f16_f32_e32 v18, v62
	v_cvt_f16_f32_sdwa v19, v61 dst_sel:WORD_1 dst_unused:UNUSED_PAD src0_sel:DWORD
	v_cvt_f16_f32_e32 v20, v13
	v_cvt_f16_f32_sdwa v21, v12 dst_sel:WORD_1 dst_unused:UNUSED_PAD src0_sel:DWORD
	v_lshl_add_u64 v[14:15], v[40:41], 1, v[0:1]
	v_or_b32_e32 v12, v19, v18
	v_cmp_lt_i32_e32 vcc, s53, v88
	;; [unrolled: 20-line block ×5, first 2 shown]
	;;#ASMSTART
	global_atomic_pk_add_f16 v[8:9], v6, off
	
	;;#ASMEND
	v_lshl_add_u64 v[6:7], v[8:9], 0, 64
	v_or_b32_e32 v8, v13, v12
	;;#ASMSTART
	global_atomic_pk_add_f16 v[6:7], v8, off
	
	;;#ASMEND
	s_and_b64 exec, exec, vcc
	s_cbranch_execz .LBB57_32
; %bb.31:                               ;   in Loop: Header=BB57_7 Depth=1
	v_cvt_f16_f32_e32 v3, v3
	v_cvt_f16_f32_sdwa v2, v2 dst_sel:WORD_1 dst_unused:UNUSED_PAD src0_sel:DWORD
	v_cvt_f16_f32_e32 v5, v5
	v_cvt_f16_f32_sdwa v4, v4 dst_sel:WORD_1 dst_unused:UNUSED_PAD src0_sel:DWORD
	v_lshl_add_u64 v[0:1], v[48:49], 1, v[0:1]
	v_or_b32_e32 v2, v2, v3
	;;#ASMSTART
	global_atomic_pk_add_f16 v[0:1], v2, off
	
	;;#ASMEND
	v_lshl_add_u64 v[0:1], v[0:1], 0, 64
	v_or_b32_e32 v2, v4, v5
	;;#ASMSTART
	global_atomic_pk_add_f16 v[0:1], v2, off
	
	;;#ASMEND
.LBB57_32:                              ;   in Loop: Header=BB57_7 Depth=1
	s_or_b64 exec, exec, s[40:41]
	v_readlane_b32 s14, v107, 10
	v_readlane_b32 s24, v107, 12
	;; [unrolled: 1-line block ×6, first 2 shown]
	v_subrev_u32_e32 v97, s20, v97
	v_readlane_b32 s11, v107, 0
	v_readlane_b32 s12, v107, 1
	;; [unrolled: 1-line block ×19, first 2 shown]
.LBB57_33:                              ;   in Loop: Header=BB57_7 Depth=1
	s_or_b64 exec, exec, s[2:3]
.LBB57_34:                              ;   in Loop: Header=BB57_7 Depth=1
	s_andn2_saveexec_b64 s[0:1], s[4:5]
	s_cbranch_execz .LBB57_43
; %bb.35:                               ;   in Loop: Header=BB57_7 Depth=1
	s_lshl_b32 s10, s20, 1
	v_cmp_gt_i32_e32 vcc, s10, v97
	s_and_saveexec_b64 s[2:3], vcc
	s_cbranch_execz .LBB57_42
; %bb.36:                               ;   in Loop: Header=BB57_7 Depth=1
	s_mul_i32 s4, s54, s19
	s_ashr_i32 s5, s4, 31
	s_add_u32 s4, s46, s4
	s_addc_u32 s5, s47, s5
	s_ashr_i32 s6, s39, 31
	s_add_u32 s4, s4, s39
	s_addc_u32 s5, s5, s6
	v_lshl_add_u64 v[0:1], s[4:5], 0, v[52:53]
	v_lshl_add_u64 v[16:17], v[0:1], 0, v[50:51]
	s_mov_b64 s[4:5], 0
	s_branch .LBB57_38
.LBB57_37:                              ;   in Loop: Header=BB57_38 Depth=2
	s_or_b64 exec, exec, s[6:7]
	v_lshl_or_b32 v20, v18, 12, v92
	;;#ASMSTART
	s_waitcnt vmcnt(3)
	;;#ASMEND
	ds_write2_b32 v20, v12, v13 offset1:32
	ds_write2_b32 v20, v14, v15 offset0:64 offset1:96
	v_add_u32_e32 v12, 0x400, v20
	;;#ASMSTART
	s_waitcnt vmcnt(2)
	;;#ASMEND
	ds_write2_b32 v12, v8, v9 offset1:32
	ds_write2_b32 v12, v10, v11 offset0:64 offset1:96
	v_add_u32_e32 v8, 0x800, v20
	;; [unrolled: 6-line block ×3, first 2 shown]
	v_add_u32_e32 v97, s22, v97
	;;#ASMSTART
	s_waitcnt vmcnt(0)
	;;#ASMEND
	ds_write2_b32 v4, v0, v1 offset1:32
	ds_write2_b32 v4, v2, v3 offset0:64 offset1:96
	v_add_u32_e32 v0, 1, v71
	v_add_u32_e32 v54, s22, v18
	v_cmp_le_i32_e32 vcc, s10, v97
	ds_write_b32 v19, v0 offset:16
	v_add_u32_e32 v0, 2, v71
	s_or_b64 s[4:5], vcc, s[4:5]
	v_cmp_lt_i32_e32 vcc, 7, v54
	s_nop 1
	v_cndmask_b32_e32 v71, v71, v0, vcc
	s_andn2_b64 exec, exec, s[4:5]
	s_cbranch_execz .LBB57_41
.LBB57_38:                              ;   Parent Loop BB57_7 Depth=1
                                        ; =>  This Loop Header: Depth=2
                                        ;       Child Loop BB57_40 Depth 3
	v_cmp_gt_i32_e32 vcc, 8, v54
	s_nop 1
	v_cndmask_b32_e64 v0, -8, 0, vcc
	s_waitcnt lgkmcnt(1)
	v_add_u32_e32 v18, v0, v54
	v_lshrrev_b32_e32 v0, 31, v97
	v_add_u32_e32 v0, v97, v0
	v_and_b32_e32 v1, -2, v0
	v_lshlrev_b32_e32 v0, 6, v0
	v_sub_u32_e32 v2, v97, v1
	v_and_b32_e32 v0, 0xffffff80, v0
	v_ashrrev_i32_e32 v1, 31, v0
	v_mul_lo_u32 v2, s31, v2
	v_lshl_add_u64 v[0:1], v[16:17], 0, v[0:1]
	v_ashrrev_i32_e32 v3, 31, v2
	v_lshl_add_u64 v[0:1], v[0:1], 0, v[2:3]
	v_lshlrev_b32_e32 v19, 2, v18
	;;#ASMSTART
	global_load_dwordx4 v[12:15], v[0:1], off offset:0   sc0 sc1 nt  
	global_load_dwordx4 v[8:11], v[0:1], off offset:32  sc0 sc1 nt  
	global_load_dwordx4 v[4:7], v[0:1], off offset:64  sc0 sc1 nt  
	;; [unrolled: 1-line block ×3, first 2 shown]
	
	;;#ASMEND
	ds_read_b32 v20, v19 offset:49168
	v_add_u32_e32 v19, 0xc000, v19
	s_waitcnt lgkmcnt(0)
	v_cmp_ne_u32_e32 vcc, v20, v71
	s_and_saveexec_b64 s[6:7], vcc
	s_cbranch_execz .LBB57_37
; %bb.39:                               ;   in Loop: Header=BB57_38 Depth=2
	s_mov_b64 s[8:9], 0
.LBB57_40:                              ;   Parent Loop BB57_7 Depth=1
                                        ;     Parent Loop BB57_38 Depth=2
                                        ; =>    This Inner Loop Header: Depth=3
	;;#ASMSTART
	s_sleep 0
	;;#ASMEND
	ds_read_b32 v20, v19 offset:16
	s_waitcnt lgkmcnt(0)
	v_cmp_eq_u32_e32 vcc, v20, v71
	s_or_b64 s[8:9], vcc, s[8:9]
	s_andn2_b64 exec, exec, s[8:9]
	s_cbranch_execnz .LBB57_40
	s_branch .LBB57_37
.LBB57_41:                              ;   in Loop: Header=BB57_7 Depth=1
	s_or_b64 exec, exec, s[4:5]
.LBB57_42:                              ;   in Loop: Header=BB57_7 Depth=1
	s_or_b64 exec, exec, s[2:3]
	v_subrev_u32_e32 v97, s10, v97
.LBB57_43:                              ;   in Loop: Header=BB57_7 Depth=1
	s_or_b64 exec, exec, s[0:1]
.LBB57_44:                              ;   in Loop: Header=BB57_7 Depth=1
	s_andn2_saveexec_b64 s[0:1], s[40:41]
	s_cbranch_execz .LBB57_6
; %bb.45:                               ;   in Loop: Header=BB57_7 Depth=1
	v_cmp_gt_i32_e32 vcc, s20, v97
	s_and_saveexec_b64 s[2:3], vcc
	s_cbranch_execz .LBB57_5
; %bb.46:                               ;   in Loop: Header=BB57_7 Depth=1
	s_mul_i32 s4, s52, s18
	s_ashr_i32 s5, s4, 31
	s_add_u32 s4, s44, s4
	s_addc_u32 s5, s45, s5
	s_ashr_i32 s6, s39, 31
	v_cmp_le_i32_e32 vcc, s53, v93
	s_add_u32 s4, s4, s39
	s_addc_u32 s5, s5, s6
	v_cndmask_b32_e32 v0, 0, v94, vcc
	v_ashrrev_i32_e32 v1, 31, v0
	v_lshl_add_u64 v[0:1], s[4:5], 0, v[0:1]
	v_lshl_add_u64 v[16:17], v[0:1], 0, v[50:51]
	s_mov_b64 s[4:5], 0
	s_branch .LBB57_48
.LBB57_47:                              ;   in Loop: Header=BB57_48 Depth=2
	s_or_b64 exec, exec, s[6:7]
	v_lshl_add_u32 v20, v18, 12, v95
	;;#ASMSTART
	s_waitcnt vmcnt(3)
	;;#ASMEND
	ds_write2_b32 v20, v12, v13 offset1:32
	ds_write2_b32 v20, v14, v15 offset0:64 offset1:96
	v_add_u32_e32 v12, 0x400, v20
	;;#ASMSTART
	s_waitcnt vmcnt(2)
	;;#ASMEND
	ds_write2_b32 v12, v8, v9 offset1:32
	ds_write2_b32 v12, v10, v11 offset0:64 offset1:96
	v_add_u32_e32 v8, 0x800, v20
	;; [unrolled: 6-line block ×3, first 2 shown]
	v_add_u32_e32 v97, s21, v97
	;;#ASMSTART
	s_waitcnt vmcnt(0)
	;;#ASMEND
	ds_write2_b32 v4, v0, v1 offset1:32
	ds_write2_b32 v4, v2, v3 offset0:64 offset1:96
	v_add_u32_e32 v0, 1, v71
	v_add_u32_e32 v54, s21, v18
	v_cmp_le_i32_e32 vcc, s20, v97
	ds_write_b32 v19, v0
	v_add_u32_e32 v0, 2, v71
	s_or_b64 s[4:5], vcc, s[4:5]
	v_cmp_lt_i32_e32 vcc, 3, v54
	s_nop 1
	v_cndmask_b32_e32 v71, v71, v0, vcc
	s_andn2_b64 exec, exec, s[4:5]
	s_cbranch_execz .LBB57_4
.LBB57_48:                              ;   Parent Loop BB57_7 Depth=1
                                        ; =>  This Loop Header: Depth=2
                                        ;       Child Loop BB57_50 Depth 3
	v_cmp_gt_i32_e32 vcc, 4, v54
	s_nop 1
	v_cndmask_b32_e64 v0, -4, 0, vcc
	s_waitcnt lgkmcnt(1)
	v_add_u32_e32 v18, v0, v54
	v_lshlrev_b32_e32 v0, 7, v97
	v_ashrrev_i32_e32 v1, 31, v0
	v_lshl_add_u64 v[0:1], v[16:17], 0, v[0:1]
	v_lshlrev_b32_e32 v19, 2, v18
	;;#ASMSTART
	global_load_dwordx4 v[12:15], v[0:1], off offset:0   
	global_load_dwordx4 v[8:11], v[0:1], off offset:32  
	;; [unrolled: 1-line block ×4, first 2 shown]
	
	;;#ASMEND
	ds_read_b32 v20, v19 offset:49152
	v_add_u32_e32 v19, 0xc000, v19
	s_waitcnt lgkmcnt(0)
	v_cmp_ne_u32_e32 vcc, v20, v71
	s_and_saveexec_b64 s[6:7], vcc
	s_cbranch_execz .LBB57_47
; %bb.49:                               ;   in Loop: Header=BB57_48 Depth=2
	s_mov_b64 s[8:9], 0
.LBB57_50:                              ;   Parent Loop BB57_7 Depth=1
                                        ;     Parent Loop BB57_48 Depth=2
                                        ; =>    This Inner Loop Header: Depth=3
	;;#ASMSTART
	s_sleep 0
	;;#ASMEND
	ds_read_b32 v20, v19
	s_waitcnt lgkmcnt(0)
	v_cmp_eq_u32_e32 vcc, v20, v71
	s_or_b64 s[8:9], vcc, s[8:9]
	s_andn2_b64 exec, exec, s[8:9]
	s_cbranch_execnz .LBB57_50
	s_branch .LBB57_47
.LBB57_51:
	s_endpgm
	.section	.rodata,"a",@progbits
	.p2align	6, 0x0
	.amdhsa_kernel _Z19_skinny_gemm_kernelILi1ELi2ELi4ELi32ELi8EEvPKhS1_P6__halfPKfiiiiiiii
		.amdhsa_group_segment_fixed_size 49200
		.amdhsa_private_segment_fixed_size 0
		.amdhsa_kernarg_size 64
		.amdhsa_user_sgpr_count 2
		.amdhsa_user_sgpr_dispatch_ptr 0
		.amdhsa_user_sgpr_queue_ptr 0
		.amdhsa_user_sgpr_kernarg_segment_ptr 1
		.amdhsa_user_sgpr_dispatch_id 0
		.amdhsa_user_sgpr_kernarg_preload_length 0
		.amdhsa_user_sgpr_kernarg_preload_offset 0
		.amdhsa_user_sgpr_private_segment_size 0
		.amdhsa_uses_dynamic_stack 0
		.amdhsa_enable_private_segment 0
		.amdhsa_system_sgpr_workgroup_id_x 1
		.amdhsa_system_sgpr_workgroup_id_y 0
		.amdhsa_system_sgpr_workgroup_id_z 0
		.amdhsa_system_sgpr_workgroup_info 0
		.amdhsa_system_vgpr_workitem_id 0
		.amdhsa_next_free_vgpr 108
		.amdhsa_next_free_sgpr 100
		.amdhsa_accum_offset 108
		.amdhsa_reserve_vcc 1
		.amdhsa_float_round_mode_32 0
		.amdhsa_float_round_mode_16_64 0
		.amdhsa_float_denorm_mode_32 3
		.amdhsa_float_denorm_mode_16_64 3
		.amdhsa_dx10_clamp 1
		.amdhsa_ieee_mode 1
		.amdhsa_fp16_overflow 0
		.amdhsa_tg_split 0
		.amdhsa_exception_fp_ieee_invalid_op 0
		.amdhsa_exception_fp_denorm_src 0
		.amdhsa_exception_fp_ieee_div_zero 0
		.amdhsa_exception_fp_ieee_overflow 0
		.amdhsa_exception_fp_ieee_underflow 0
		.amdhsa_exception_fp_ieee_inexact 0
		.amdhsa_exception_int_div_zero 0
	.end_amdhsa_kernel
	.section	.text._Z19_skinny_gemm_kernelILi1ELi2ELi4ELi32ELi8EEvPKhS1_P6__halfPKfiiiiiiii,"axG",@progbits,_Z19_skinny_gemm_kernelILi1ELi2ELi4ELi32ELi8EEvPKhS1_P6__halfPKfiiiiiiii,comdat
.Lfunc_end57:
	.size	_Z19_skinny_gemm_kernelILi1ELi2ELi4ELi32ELi8EEvPKhS1_P6__halfPKfiiiiiiii, .Lfunc_end57-_Z19_skinny_gemm_kernelILi1ELi2ELi4ELi32ELi8EEvPKhS1_P6__halfPKfiiiiiiii
                                        ; -- End function
	.set _Z19_skinny_gemm_kernelILi1ELi2ELi4ELi32ELi8EEvPKhS1_P6__halfPKfiiiiiiii.num_vgpr, 108
	.set _Z19_skinny_gemm_kernelILi1ELi2ELi4ELi32ELi8EEvPKhS1_P6__halfPKfiiiiiiii.num_agpr, 0
	.set _Z19_skinny_gemm_kernelILi1ELi2ELi4ELi32ELi8EEvPKhS1_P6__halfPKfiiiiiiii.numbered_sgpr, 100
	.set _Z19_skinny_gemm_kernelILi1ELi2ELi4ELi32ELi8EEvPKhS1_P6__halfPKfiiiiiiii.num_named_barrier, 0
	.set _Z19_skinny_gemm_kernelILi1ELi2ELi4ELi32ELi8EEvPKhS1_P6__halfPKfiiiiiiii.private_seg_size, 0
	.set _Z19_skinny_gemm_kernelILi1ELi2ELi4ELi32ELi8EEvPKhS1_P6__halfPKfiiiiiiii.uses_vcc, 1
	.set _Z19_skinny_gemm_kernelILi1ELi2ELi4ELi32ELi8EEvPKhS1_P6__halfPKfiiiiiiii.uses_flat_scratch, 0
	.set _Z19_skinny_gemm_kernelILi1ELi2ELi4ELi32ELi8EEvPKhS1_P6__halfPKfiiiiiiii.has_dyn_sized_stack, 0
	.set _Z19_skinny_gemm_kernelILi1ELi2ELi4ELi32ELi8EEvPKhS1_P6__halfPKfiiiiiiii.has_recursion, 0
	.set _Z19_skinny_gemm_kernelILi1ELi2ELi4ELi32ELi8EEvPKhS1_P6__halfPKfiiiiiiii.has_indirect_call, 0
	.section	.AMDGPU.csdata,"",@progbits
; Kernel info:
; codeLenInByte = 10056
; TotalNumSgprs: 106
; NumVgprs: 108
; NumAgprs: 0
; TotalNumVgprs: 108
; ScratchSize: 0
; MemoryBound: 0
; FloatMode: 240
; IeeeMode: 1
; LDSByteSize: 49200 bytes/workgroup (compile time only)
; SGPRBlocks: 13
; VGPRBlocks: 13
; NumSGPRsForWavesPerEU: 106
; NumVGPRsForWavesPerEU: 108
; AccumOffset: 108
; Occupancy: 4
; WaveLimiterHint : 0
; COMPUTE_PGM_RSRC2:SCRATCH_EN: 0
; COMPUTE_PGM_RSRC2:USER_SGPR: 2
; COMPUTE_PGM_RSRC2:TRAP_HANDLER: 0
; COMPUTE_PGM_RSRC2:TGID_X_EN: 1
; COMPUTE_PGM_RSRC2:TGID_Y_EN: 0
; COMPUTE_PGM_RSRC2:TGID_Z_EN: 0
; COMPUTE_PGM_RSRC2:TIDIG_COMP_CNT: 0
; COMPUTE_PGM_RSRC3_GFX90A:ACCUM_OFFSET: 26
; COMPUTE_PGM_RSRC3_GFX90A:TG_SPLIT: 0
	.section	.text._Z19_skinny_gemm_kernelILi1ELi2ELi5ELi8ELi4EEvPKhS1_P6__halfPKfiiiiiiii,"axG",@progbits,_Z19_skinny_gemm_kernelILi1ELi2ELi5ELi8ELi4EEvPKhS1_P6__halfPKfiiiiiiii,comdat
	.protected	_Z19_skinny_gemm_kernelILi1ELi2ELi5ELi8ELi4EEvPKhS1_P6__halfPKfiiiiiiii ; -- Begin function _Z19_skinny_gemm_kernelILi1ELi2ELi5ELi8ELi4EEvPKhS1_P6__halfPKfiiiiiiii
	.globl	_Z19_skinny_gemm_kernelILi1ELi2ELi5ELi8ELi4EEvPKhS1_P6__halfPKfiiiiiiii
	.p2align	8
	.type	_Z19_skinny_gemm_kernelILi1ELi2ELi5ELi8ELi4EEvPKhS1_P6__halfPKfiiiiiiii,@function
_Z19_skinny_gemm_kernelILi1ELi2ELi5ELi8ELi4EEvPKhS1_P6__halfPKfiiiiiiii: ; @_Z19_skinny_gemm_kernelILi1ELi2ELi5ELi8ELi4EEvPKhS1_P6__halfPKfiiiiiiii
; %bb.0:
	v_cmp_gt_u32_e32 vcc, 15, v0
	v_lshlrev_b32_e32 v1, 2, v0
	s_and_saveexec_b64 s[4:5], vcc
; %bb.1:
	v_mov_b32_e32 v2, 0
	ds_write_b32 v1, v2 offset:51200
; %bb.2:
	s_or_b64 exec, exec, s[4:5]
	s_load_dwordx8 s[12:19], s[0:1], 0x20
	s_waitcnt lgkmcnt(0)
	s_barrier
	s_add_i32 s3, s12, 7
	s_ashr_i32 s5, s3, 31
	s_add_i32 s4, s13, 31
	s_lshr_b32 s5, s5, 29
	s_ashr_i32 s6, s4, 31
	s_add_i32 s3, s3, s5
	s_ashr_i32 s33, s3, 3
	s_lshr_b32 s3, s6, 27
	s_add_i32 s4, s4, s3
	s_ashr_i32 s42, s4, 5
	s_mul_i32 s3, s42, s33
	s_mul_i32 s3, s3, s16
	s_add_i32 s4, s3, 0x12f
	s_mul_hi_i32 s4, s4, 0x6bca1af3
	s_lshr_b32 s5, s4, 31
	s_ashr_i32 s4, s4, 7
	s_add_i32 s4, s4, s5
	s_add_i32 s5, s2, 1
	s_mul_i32 s5, s4, s5
	v_cvt_f64_i32_e32 v[2:3], s3
	v_cvt_f64_u32_e32 v[4:5], s5
	v_min_f64 v[2:3], v[2:3], v[4:5]
	v_cvt_i32_f64_e32 v17, v[2:3]
	s_mul_i32 s43, s4, s2
	v_cmp_ge_i32_e32 vcc, s43, v17
	s_cbranch_vccnz .LBB58_44
; %bb.3:
	v_lshrrev_b32_e32 v2, 6, v0
	s_add_i32 s4, s18, s17
	s_load_dwordx8 s[20:27], s[0:1], 0x0
	v_cmp_le_i32_e64 s[0:1], s4, v2
	v_mov_b32_e32 v3, s17
	v_cmp_le_i32_e64 s[2:3], s17, v2
	v_mov_b32_e32 v4, s18
	v_cndmask_b32_e64 v4, 0, v4, s[0:1]
	v_cndmask_b32_e64 v3, 0, v3, s[2:3]
	s_abs_i32 s5, s16
	v_add_u32_e32 v3, v3, v4
	v_cvt_f32_u32_e32 v4, s5
	v_sub_u32_e32 v10, v2, v3
	s_ashr_i32 s6, s14, 31
	s_lshr_b32 s6, s6, 24
	v_rcp_iflag_f32_e32 v3, v4
	s_sub_i32 s9, 0, s5
	s_add_i32 s6, s14, s6
	s_ashr_i32 s6, s6, 8
	v_mul_f32_e32 v3, 0x4f7ffffe, v3
	v_cvt_u32_f32_e32 v3, v3
	s_abs_i32 s8, s6
	s_xor_b32 s7, s6, s16
	s_ashr_i32 s7, s7, 31
	v_readfirstlane_b32 s10, v3
	s_mul_i32 s9, s9, s10
	s_mul_hi_u32 s9, s10, s9
	s_add_i32 s10, s10, s9
	s_mul_hi_u32 s9, s8, s10
	s_mul_i32 s10, s9, s5
	s_sub_i32 s8, s8, s10
	s_add_i32 s10, s9, 1
	s_sub_i32 s28, s8, s5
	s_cmp_ge_u32 s8, s5
	s_cselect_b32 s9, s10, s9
	s_cselect_b32 s8, s28, s8
	s_add_i32 s10, s9, 1
	s_cmp_ge_u32 s8, s5
	s_cselect_b32 s5, s10, s9
	s_xor_b32 s5, s5, s7
	s_sub_i32 s44, s5, s7
	s_add_i32 s16, s16, -1
	s_mul_i32 s5, s44, s16
	s_add_i32 s4, s4, s19
	s_sub_i32 s45, s6, s5
	v_cmp_gt_i32_e64 s[4:5], s4, v2
	v_and_b32_e32 v2, 1, v0
	v_lshlrev_b32_e32 v3, 1, v0
	v_and_b32_e32 v3, 0x7c, v3
	v_lshlrev_b32_e32 v4, 8, v2
	v_lshlrev_b32_e32 v5, 4, v0
	s_mov_b32 s7, 0xa000
	s_movk_i32 s6, 0x7c
	v_and_b32_e32 v6, 0x200, v5
	v_or3_b32 v32, v3, v4, s7
	v_lshrrev_b32_e32 v3, 3, v0
	v_cmp_eq_u32_e32 vcc, 0, v2
	v_and_or_b32 v33, v1, s6, v6
	v_lshlrev_b32_e32 v1, 1, v2
	v_and_or_b32 v2, v3, 6, v2
	v_sub_u32_e32 v36, 8, v2
	v_mul_lo_u32 v18, s13, v2
	v_bfe_u32 v2, v0, 2, 4
	v_lshlrev_b32_e32 v4, 8, v0
	v_lshlrev_b32_e32 v6, 6, v0
	v_mul_lo_u32 v24, s15, v2
	v_and_b32_e32 v2, 60, v0
	v_and_b32_e32 v4, 0x200, v4
	;; [unrolled: 1-line block ×3, first 2 shown]
	s_abs_i32 s47, s33
	v_or3_b32 v37, v2, v4, v6
	v_cvt_f32_u32_e32 v6, s47
	v_lshlrev_b32_e32 v4, 7, v0
	v_and_b32_e32 v16, 14, v0
	v_bitop3_b32 v34, v0, 1, v0 bitop3:0xc
	v_sub_u32_e32 v1, v0, v1
	v_bfe_u32 v2, v0, 3, 3
	v_and_b32_e32 v4, 0x200, v4
	v_lshlrev_b32_e32 v0, 5, v0
	v_lshl_or_b32 v4, v2, 2, v4
	v_and_b32_e32 v0, 0x60, v0
	v_or3_b32 v38, v4, v0, s7
	v_rcp_iflag_f32_e32 v0, v6
	s_abs_i32 s48, s42
	v_mul_lo_u32 v40, s14, v2
	v_cvt_f32_u32_e32 v2, s48
	v_mul_f32_e32 v0, 0x4f7ffffe, v0
	v_cvt_u32_f32_e32 v0, v0
	s_sub_i32 s6, 0, s47
	v_rcp_iflag_f32_e32 v2, v2
	v_add_u32_e32 v1, 1, v1
	v_readfirstlane_b32 s7, v0
	s_mul_i32 s6, s6, s7
	v_mul_f32_e32 v0, 0x4f7ffffe, v2
	v_cvt_u32_f32_e32 v0, v0
	s_mul_hi_u32 s6, s7, s6
	s_add_i32 s50, s7, s6
	s_sub_i32 s6, 0, s48
	v_readfirstlane_b32 s7, v0
	v_mbcnt_lo_u32_b32 v0, -1, 0
	v_and_b32_e32 v1, 63, v1
	s_mul_i32 s6, s6, s7
	v_mbcnt_hi_u32_b32 v0, -1, v0
	v_mov_b32_e32 v7, 0xeeee
	v_mov_b32_e32 v8, 0x4444
	;; [unrolled: 1-line block ×3, first 2 shown]
	s_mul_hi_u32 s6, s7, s6
	v_and_or_b32 v0, v0, 64, v1
	v_cndmask_b32_e64 v30, 0, 1, s[0:1]
	s_mov_b32 s11, 0
	v_cndmask_b32_e32 v31, v7, v8, vcc
	v_or_b32_e32 v35, 16, v16
	v_ashrrev_i32_e32 v19, 31, v18
	v_and_b32_e32 v22, 48, v5
	v_ashrrev_i32_e32 v25, 31, v24
	v_mov_b32_e32 v23, v21
	s_lshl_b32 s46, s15, 4
	v_bitop3_b32 v39, v3, 7, v3 bitop3:0xc
	v_and_b32_e32 v26, 0x70, v5
	v_mov_b32_e32 v27, v21
	s_lshl_b32 s10, s17, 8
	s_ashr_i32 s49, s33, 31
	s_ashr_i32 s51, s42, 31
	s_add_i32 s52, s7, s6
	v_lshlrev_b32_e32 v41, 2, v0
	v_lshlrev_b32_e32 v20, 1, v16
	v_mov_b32_e32 v42, v10
	s_branch .LBB58_7
.LBB58_4:                               ;   in Loop: Header=BB58_7 Depth=1
	s_or_b64 exec, exec, s[28:29]
.LBB58_5:                               ;   in Loop: Header=BB58_7 Depth=1
	s_or_b64 exec, exec, s[8:9]
	v_subrev_u32_e32 v42, s53, v42
.LBB58_6:                               ;   in Loop: Header=BB58_7 Depth=1
	s_or_b64 exec, exec, s[6:7]
	s_add_i32 s43, s43, 1
	v_cmp_ge_i32_e32 vcc, s43, v17
	s_cbranch_vccnz .LBB58_44
.LBB58_7:                               ; =>This Loop Header: Depth=1
                                        ;     Child Loop BB58_13 Depth 2
                                        ;       Child Loop BB58_15 Depth 3
                                        ;       Child Loop BB58_18 Depth 3
	;; [unrolled: 1-line block ×3, first 2 shown]
                                        ;     Child Loop BB58_31 Depth 2
                                        ;       Child Loop BB58_33 Depth 3
                                        ;     Child Loop BB58_41 Depth 2
                                        ;       Child Loop BB58_43 Depth 3
	s_abs_i32 s7, s43
	s_mul_hi_u32 s8, s7, s50
	s_mul_i32 s9, s8, s47
	s_ashr_i32 s6, s43, 31
	s_sub_i32 s7, s7, s9
	s_xor_b32 s6, s6, s49
	s_add_i32 s9, s8, 1
	s_sub_i32 s28, s7, s47
	s_cmp_ge_u32 s7, s47
	s_cselect_b32 s8, s9, s8
	s_cselect_b32 s7, s28, s7
	s_add_i32 s9, s8, 1
	s_cmp_ge_u32 s7, s47
	s_cselect_b32 s7, s9, s8
	s_xor_b32 s7, s7, s6
	s_sub_i32 s6, s7, s6
	s_abs_i32 s8, s6
	s_mul_i32 s7, s6, s33
	s_mul_hi_u32 s9, s8, s52
	s_sub_i32 s7, s43, s7
	s_mul_i32 s28, s9, s48
	s_lshl_b32 s54, s7, 3
	s_ashr_i32 s7, s6, 31
	s_sub_i32 s8, s8, s28
	s_xor_b32 s7, s7, s51
	s_add_i32 s28, s9, 1
	s_sub_i32 s29, s8, s48
	s_cmp_ge_u32 s8, s48
	s_cselect_b32 s9, s28, s9
	s_cselect_b32 s8, s29, s8
	s_add_i32 s28, s9, 1
	s_cmp_ge_u32 s8, s48
	s_cselect_b32 s8, s28, s9
	s_xor_b32 s8, s8, s7
	s_sub_i32 s7, s8, s7
	s_mul_i32 s8, s7, s44
	s_lshl_b32 s55, s8, 8
	s_cmp_eq_u32 s7, s16
	s_cselect_b32 s53, s45, s44
	s_sub_i32 s56, s54, s12
	s_add_i32 s56, s56, 8
	s_and_saveexec_b64 s[8:9], s[2:3]
	s_xor_b64 s[28:29], exec, s[8:9]
	s_cbranch_execz .LBB58_37
; %bb.8:                                ;   in Loop: Header=BB58_7 Depth=1
	s_mul_i32 s7, s7, s42
	s_sub_i32 s6, s6, s7
	s_lshl_b32 s6, s6, 5
	s_sub_i32 s31, s6, s13
	s_add_i32 s31, s31, 32
	s_max_i32 s7, s31, 0
	s_sub_i32 s30, s6, s7
	s_and_saveexec_b64 s[6:7], s[0:1]
	s_xor_b64 s[34:35], exec, s[6:7]
	s_cbranch_execz .LBB58_27
; %bb.9:                                ;   in Loop: Header=BB58_7 Depth=1
	s_and_saveexec_b64 s[36:37], s[4:5]
	s_cbranch_execz .LBB58_26
; %bb.10:                               ;   in Loop: Header=BB58_7 Depth=1
	s_waitcnt lgkmcnt(0)
	global_load_dword v28, v21, s[26:27]
	v_mov_b32_e32 v7, 0
	v_cmp_gt_i32_e32 vcc, s53, v42
	v_mov_b32_e32 v6, v7
	v_mov_b32_e32 v5, v7
	;; [unrolled: 1-line block ×7, first 2 shown]
	s_and_saveexec_b64 s[6:7], vcc
	s_cbranch_execz .LBB58_23
; %bb.11:                               ;   in Loop: Header=BB58_7 Depth=1
	v_mov_b32_e32 v0, 0
	s_mov_b64 s[8:9], 0
	v_mov_b32_e32 v1, v0
	v_mov_b32_e32 v2, v0
	v_mov_b32_e32 v3, v0
	v_mov_b32_e32 v4, v0
	v_mov_b32_e32 v5, v0
	v_mov_b32_e32 v6, v0
	v_mov_b32_e32 v7, v0
	s_branch .LBB58_13
.LBB58_12:                              ;   in Loop: Header=BB58_13 Depth=2
	s_or_b64 exec, exec, s[38:39]
	v_add_u32_e32 v45, v33, v45
	v_add_u32_e32 v48, 0x1000, v45
	ds_read2_b32 v[46:47], v48 offset1:32
	ds_read2_b32 v[48:49], v48 offset0:64 offset1:96
	v_add_u32_e32 v52, 0x1400, v45
	ds_read2_b32 v[50:51], v52 offset1:32
	ds_read2_b32 v[52:53], v52 offset0:64 offset1:96
	v_add_u32_e32 v42, s19, v42
	v_cmp_le_i32_e32 vcc, s53, v42
	s_waitcnt lgkmcnt(2)
	v_smfmac_f32_16x16x64_fp8_fp8 v[0:3], v[14:15], v[46:49], v31 cbsz:7 abid:1
	v_add_u32_e32 v14, 0x1800, v45
	ds_read2_b32 v[46:47], v14 offset1:32
	ds_read2_b32 v[48:49], v14 offset0:64 offset1:96
	v_add_u32_e32 v14, 0x1c00, v45
	s_waitcnt lgkmcnt(2)
	v_smfmac_f32_16x16x64_fp8_fp8 v[0:3], v[12:13], v[50:53], v31 cbsz:7 abid:1
	ds_read2_b32 v[12:13], v14 offset1:32
	ds_read2_b32 v[14:15], v14 offset0:64 offset1:96
	s_or_b64 s[8:9], vcc, s[8:9]
	ds_write_b32 v44, v43 offset:51224
	s_waitcnt lgkmcnt(3)
	v_smfmac_f32_16x16x64_fp8_fp8 v[0:3], v[10:11], v[46:49], v31 cbsz:7 abid:1
	v_add_u32_e32 v10, s19, v29
	v_add_u32_e32 v11, 2, v30
	v_cmp_lt_i32_e32 vcc, 4, v10
	s_waitcnt lgkmcnt(1)
	v_smfmac_f32_16x16x64_fp8_fp8 v[0:3], v[8:9], v[12:15], v31 cbsz:7 abid:1
	v_cndmask_b32_e32 v30, v30, v11, vcc
	s_andn2_b64 exec, exec, s[8:9]
	s_cbranch_execz .LBB58_22
.LBB58_13:                              ;   Parent Loop BB58_7 Depth=1
                                        ; =>  This Loop Header: Depth=2
                                        ;       Child Loop BB58_15 Depth 3
                                        ;       Child Loop BB58_18 Depth 3
	;; [unrolled: 1-line block ×3, first 2 shown]
	v_cmp_gt_i32_e32 vcc, 5, v10
	s_nop 1
	v_cndmask_b32_e64 v8, -5, 0, vcc
	v_add_u32_e32 v29, v8, v10
	v_lshlrev_b32_e32 v8, 2, v29
	ds_read_b32 v9, v8 offset:51200
	v_add_u32_e32 v44, 0xc800, v8
	s_waitcnt lgkmcnt(0)
	v_cmp_ne_u32_e32 vcc, v9, v30
	s_and_saveexec_b64 s[38:39], vcc
	s_cbranch_execz .LBB58_16
; %bb.14:                               ;   in Loop: Header=BB58_13 Depth=2
	s_mov_b64 s[40:41], 0
.LBB58_15:                              ;   Parent Loop BB58_7 Depth=1
                                        ;     Parent Loop BB58_13 Depth=2
                                        ; =>    This Inner Loop Header: Depth=3
	;;#ASMSTART
	s_sleep 0
	;;#ASMEND
	ds_read_b32 v8, v44
	s_waitcnt lgkmcnt(0)
	v_cmp_eq_u32_e32 vcc, v8, v30
	s_or_b64 s[40:41], vcc, s[40:41]
	s_andn2_b64 exec, exec, s[40:41]
	s_cbranch_execnz .LBB58_15
.LBB58_16:                              ;   in Loop: Header=BB58_13 Depth=2
	s_or_b64 exec, exec, s[38:39]
	v_lshl_add_u32 v8, v29, 11, v32
	ds_read2_b32 v[14:15], v8 offset1:32
	ds_read2_b32 v[12:13], v8 offset0:128 offset1:160
	v_add_u32_e32 v8, 0x400, v8
	v_add_u32_e32 v43, 1, v30
	ds_read2_b32 v[10:11], v8 offset1:32
	ds_read2_b32 v[8:9], v8 offset0:128 offset1:160
	;;#ASMSTART
	s_waitcnt lgkmcnt(0)
	;;#ASMEND
	ds_write_b32 v44, v43
	v_lshlrev_b32_e32 v44, 3, v29
	ds_read_b32 v45, v44 offset:51220
	s_waitcnt lgkmcnt(0)
	v_cmp_ne_u32_e32 vcc, v45, v30
	s_and_saveexec_b64 s[38:39], vcc
	s_cbranch_execz .LBB58_19
; %bb.17:                               ;   in Loop: Header=BB58_13 Depth=2
	s_mov_b64 s[40:41], 0
.LBB58_18:                              ;   Parent Loop BB58_7 Depth=1
                                        ;     Parent Loop BB58_13 Depth=2
                                        ; =>    This Inner Loop Header: Depth=3
	;;#ASMSTART
	s_sleep 0
	;;#ASMEND
	ds_read_b32 v45, v44 offset:51220
	s_waitcnt lgkmcnt(0)
	v_cmp_eq_u32_e32 vcc, v45, v30
	s_or_b64 s[40:41], vcc, s[40:41]
	s_andn2_b64 exec, exec, s[40:41]
	s_cbranch_execnz .LBB58_18
.LBB58_19:                              ;   in Loop: Header=BB58_13 Depth=2
	s_or_b64 exec, exec, s[38:39]
	v_lshlrev_b32_e32 v45, 13, v29
	v_or_b32_e32 v54, v33, v45
	ds_read2_b32 v[46:47], v54 offset1:32
	ds_read2_b32 v[48:49], v54 offset0:64 offset1:96
	v_add_u32_e32 v52, 0x400, v54
	ds_read2_b32 v[50:51], v52 offset1:32
	ds_read2_b32 v[52:53], v52 offset0:64 offset1:96
	s_waitcnt lgkmcnt(2)
	v_smfmac_f32_16x16x64_fp8_fp8 v[4:7], v[14:15], v[46:49], v31 cbsz:7 abid:1
	v_add_u32_e32 v48, 0x800, v54
	ds_read2_b32 v[46:47], v48 offset1:32
	ds_read2_b32 v[48:49], v48 offset0:64 offset1:96
	s_waitcnt lgkmcnt(2)
	v_smfmac_f32_16x16x64_fp8_fp8 v[4:7], v[12:13], v[50:53], v31 cbsz:7 abid:1
	v_add_u32_e32 v52, 0xc00, v54
	ds_read2_b32 v[50:51], v52 offset1:32
	s_waitcnt lgkmcnt(1)
	v_smfmac_f32_16x16x64_fp8_fp8 v[4:7], v[10:11], v[46:49], v31 cbsz:7 abid:1
	ds_read2_b32 v[52:53], v52 offset0:64 offset1:96
	ds_read_b32 v46, v44 offset:51224
	ds_write_b32 v44, v43 offset:51220
	s_waitcnt lgkmcnt(1)
	v_cmp_ne_u32_e32 vcc, v46, v30
	v_smfmac_f32_16x16x64_fp8_fp8 v[4:7], v[8:9], v[50:53], v31 cbsz:7 abid:1
	s_and_saveexec_b64 s[38:39], vcc
	s_cbranch_execz .LBB58_12
; %bb.20:                               ;   in Loop: Header=BB58_13 Depth=2
	s_mov_b64 s[40:41], 0
.LBB58_21:                              ;   Parent Loop BB58_7 Depth=1
                                        ;     Parent Loop BB58_13 Depth=2
                                        ; =>    This Inner Loop Header: Depth=3
	;;#ASMSTART
	s_sleep 0
	;;#ASMEND
	ds_read_b32 v46, v44 offset:51224
	s_waitcnt lgkmcnt(0)
	v_cmp_eq_u32_e32 vcc, v46, v30
	s_or_b64 s[40:41], vcc, s[40:41]
	s_andn2_b64 exec, exec, s[40:41]
	s_cbranch_execnz .LBB58_21
	s_branch .LBB58_12
.LBB58_22:                              ;   in Loop: Header=BB58_7 Depth=1
	s_or_b64 exec, exec, s[8:9]
.LBB58_23:                              ;   in Loop: Header=BB58_7 Depth=1
	s_or_b64 exec, exec, s[6:7]
	v_cmp_le_i32_e32 vcc, s31, v16
	v_mov_b32_e32 v12, v5
	v_mov_b32_e32 v13, v6
	;; [unrolled: 1-line block ×3, first 2 shown]
	s_waitcnt vmcnt(0)
	v_cndmask_b32_e32 v8, 0, v28, vcc
	v_pk_add_f32 v[4:5], v[12:13], v[4:5]
	v_cmp_eq_u32_e32 vcc, 1, v34
	v_pk_mul_f32 v[4:5], v[8:9], v[4:5] op_sel_hi:[0,1]
	v_cmp_le_i32_e64 s[8:9], s31, v35
	v_cndmask_b32_e32 v8, v4, v5, vcc
	v_cmp_eq_u32_e32 vcc, 2, v34
	v_mov_b32_e32 v12, v1
	v_mov_b32_e32 v13, v2
	v_mov_b32_e32 v1, v3
	v_cndmask_b32_e32 v6, v8, v6, vcc
	v_cndmask_b32_e64 v8, 0, v28, s[8:9]
	v_pk_add_f32 v[0:1], v[12:13], v[0:1]
	v_cmp_eq_u32_e64 s[6:7], 3, v34
	v_pk_mul_f32 v[0:1], v[8:9], v[0:1] op_sel_hi:[0,1]
	v_cmp_ne_u32_e64 s[8:9], 0, v34
	v_cndmask_b32_e64 v6, v6, v7, s[6:7]
	ds_bpermute_b32 v6, v41, v6
	v_cndmask_b32_e64 v7, v0, v1, s[8:9]
	v_cndmask_b32_e32 v2, v7, v2, vcc
	v_cndmask_b32_e64 v2, v2, v3, s[6:7]
	ds_bpermute_b32 v2, v41, v2
	v_cmp_lt_i32_e32 vcc, s56, v36
	s_and_saveexec_b64 s[8:9], vcc
	s_cbranch_execz .LBB58_25
; %bb.24:                               ;   in Loop: Header=BB58_7 Depth=1
	s_mul_i32 s6, s54, s13
	s_ashr_i32 s7, s6, 31
	s_lshl_b64 s[6:7], s[6:7], 1
	s_add_u32 s38, s24, s6
	s_addc_u32 s39, s25, s7
	s_ashr_i32 s31, s30, 31
	s_lshl_b64 s[6:7], s[30:31], 1
	s_add_u32 s38, s38, s6
	s_addc_u32 s39, s39, s7
	v_cmp_ne_u32_e32 vcc, 0, v34
	v_cmp_eq_u32_e64 s[6:7], 0, v34
	s_waitcnt lgkmcnt(0)
	v_cndmask_b32_e32 v3, v1, v2, vcc
	v_cndmask_b32_e64 v2, v0, v2, s[6:7]
	v_cndmask_b32_e32 v5, v5, v6, vcc
	v_cndmask_b32_e64 v4, v4, v6, s[6:7]
	v_cvt_f16_f32_e32 v4, v4
	v_cvt_f16_f32_sdwa v5, v5 dst_sel:WORD_1 dst_unused:UNUSED_PAD src0_sel:DWORD
	v_cvt_f16_f32_e32 v2, v2
	v_cvt_f16_f32_sdwa v3, v3 dst_sel:WORD_1 dst_unused:UNUSED_PAD src0_sel:DWORD
	v_lshl_add_u64 v[0:1], v[18:19], 1, s[38:39]
	v_lshl_add_u64 v[0:1], v[0:1], 0, v[20:21]
	v_or_b32_e32 v4, v5, v4
	;;#ASMSTART
	global_atomic_pk_add_f16 v[0:1], v4, off
	
	;;#ASMEND
	v_lshl_add_u64 v[0:1], v[0:1], 0, 32
	v_or_b32_e32 v2, v3, v2
	;;#ASMSTART
	global_atomic_pk_add_f16 v[0:1], v2, off
	
	;;#ASMEND
.LBB58_25:                              ;   in Loop: Header=BB58_7 Depth=1
	s_or_b64 exec, exec, s[8:9]
	v_subrev_u32_e32 v42, s53, v42
.LBB58_26:                              ;   in Loop: Header=BB58_7 Depth=1
	s_or_b64 exec, exec, s[36:37]
.LBB58_27:                              ;   in Loop: Header=BB58_7 Depth=1
	s_andn2_saveexec_b64 s[6:7], s[34:35]
	s_cbranch_execz .LBB58_36
; %bb.28:                               ;   in Loop: Header=BB58_7 Depth=1
	s_lshl_b32 s38, s53, 1
	v_cmp_gt_i32_e32 vcc, s38, v42
	s_and_saveexec_b64 s[8:9], vcc
	s_cbranch_execz .LBB58_35
; %bb.29:                               ;   in Loop: Header=BB58_7 Depth=1
	s_mul_i32 s30, s30, s15
	s_ashr_i32 s31, s30, 31
	s_waitcnt lgkmcnt(0)
	s_add_u32 s30, s22, s30
	s_addc_u32 s31, s23, s31
	s_ashr_i32 s34, s55, 31
	s_add_u32 s30, s30, s55
	s_addc_u32 s31, s31, s34
	v_lshl_add_u64 v[0:1], s[30:31], 0, v[24:25]
	v_lshl_add_u64 v[28:29], v[0:1], 0, v[22:23]
	s_mov_b64 s[30:31], 0
	s_branch .LBB58_31
.LBB58_30:                              ;   in Loop: Header=BB58_31 Depth=2
	s_or_b64 exec, exec, s[34:35]
	v_lshl_or_b32 v45, v43, 12, v37
	;;#ASMSTART
	s_waitcnt vmcnt(3)
	;;#ASMEND
	ds_write2_b32 v45, v12, v13 offset1:32
	ds_write2_b32 v45, v14, v15 offset0:64 offset1:96
	v_add_u32_e32 v12, 0x400, v45
	;;#ASMSTART
	s_waitcnt vmcnt(2)
	;;#ASMEND
	ds_write2_b32 v12, v8, v9 offset1:32
	ds_write2_b32 v12, v10, v11 offset0:64 offset1:96
	v_add_u32_e32 v8, 0x800, v45
	;; [unrolled: 6-line block ×3, first 2 shown]
	v_add_u32_e32 v42, s18, v42
	;;#ASMSTART
	s_waitcnt vmcnt(0)
	;;#ASMEND
	ds_write2_b32 v4, v0, v1 offset1:32
	ds_write2_b32 v4, v2, v3 offset0:64 offset1:96
	v_add_u32_e32 v0, 1, v30
	v_add_u32_e32 v10, s18, v43
	v_cmp_le_i32_e32 vcc, s38, v42
	ds_write_b32 v44, v0 offset:20
	v_add_u32_e32 v0, 2, v30
	s_or_b64 s[30:31], vcc, s[30:31]
	v_cmp_lt_i32_e32 vcc, 9, v10
	s_nop 1
	v_cndmask_b32_e32 v30, v30, v0, vcc
	s_andn2_b64 exec, exec, s[30:31]
	s_cbranch_execz .LBB58_34
.LBB58_31:                              ;   Parent Loop BB58_7 Depth=1
                                        ; =>  This Loop Header: Depth=2
                                        ;       Child Loop BB58_33 Depth 3
	v_cmp_gt_i32_e32 vcc, 10, v10
	s_nop 1
	v_cndmask_b32_e64 v0, -10, 0, vcc
	v_add_u32_e32 v43, v0, v10
	v_lshrrev_b32_e32 v0, 31, v42
	v_add_u32_e32 v0, v42, v0
	v_and_b32_e32 v1, -2, v0
	v_lshlrev_b32_e32 v0, 7, v0
	v_sub_u32_e32 v2, v42, v1
	v_and_b32_e32 v0, 0xffffff00, v0
	v_ashrrev_i32_e32 v1, 31, v0
	v_mul_lo_u32 v2, s46, v2
	v_lshl_add_u64 v[0:1], v[28:29], 0, v[0:1]
	v_ashrrev_i32_e32 v3, 31, v2
	v_lshl_add_u64 v[0:1], v[0:1], 0, v[2:3]
	v_lshlrev_b32_e32 v44, 2, v43
	;;#ASMSTART
	global_load_dwordx4 v[12:15], v[0:1], off offset:0    sc0 sc1 nt  
	global_load_dwordx4 v[8:11], v[0:1], off offset:64   sc0 sc1 nt  
	global_load_dwordx4 v[4:7], v[0:1], off offset:128  sc0 sc1 nt  
	global_load_dwordx4 v[0:3], v[0:1], off offset:192  sc0 sc1 nt  
	
	;;#ASMEND
	ds_read_b32 v45, v44 offset:51220
	v_add_u32_e32 v44, 0xc800, v44
	s_waitcnt lgkmcnt(0)
	v_cmp_ne_u32_e32 vcc, v45, v30
	s_and_saveexec_b64 s[34:35], vcc
	s_cbranch_execz .LBB58_30
; %bb.32:                               ;   in Loop: Header=BB58_31 Depth=2
	s_mov_b64 s[36:37], 0
.LBB58_33:                              ;   Parent Loop BB58_7 Depth=1
                                        ;     Parent Loop BB58_31 Depth=2
                                        ; =>    This Inner Loop Header: Depth=3
	;;#ASMSTART
	s_sleep 0
	;;#ASMEND
	ds_read_b32 v45, v44 offset:20
	s_waitcnt lgkmcnt(0)
	v_cmp_eq_u32_e32 vcc, v45, v30
	s_or_b64 s[36:37], vcc, s[36:37]
	s_andn2_b64 exec, exec, s[36:37]
	s_cbranch_execnz .LBB58_33
	s_branch .LBB58_30
.LBB58_34:                              ;   in Loop: Header=BB58_7 Depth=1
	s_or_b64 exec, exec, s[30:31]
.LBB58_35:                              ;   in Loop: Header=BB58_7 Depth=1
	s_or_b64 exec, exec, s[8:9]
	v_subrev_u32_e32 v42, s38, v42
.LBB58_36:                              ;   in Loop: Header=BB58_7 Depth=1
	s_or_b64 exec, exec, s[6:7]
.LBB58_37:                              ;   in Loop: Header=BB58_7 Depth=1
	s_andn2_saveexec_b64 s[6:7], s[28:29]
	s_cbranch_execz .LBB58_6
; %bb.38:                               ;   in Loop: Header=BB58_7 Depth=1
	v_cmp_gt_i32_e32 vcc, s53, v42
	s_and_saveexec_b64 s[8:9], vcc
	s_cbranch_execz .LBB58_5
; %bb.39:                               ;   in Loop: Header=BB58_7 Depth=1
	s_mul_i32 s54, s54, s14
	s_ashr_i32 s28, s54, 31
	s_waitcnt lgkmcnt(0)
	s_add_u32 s29, s20, s54
	s_addc_u32 s30, s21, s28
	s_ashr_i32 s31, s55, 31
	v_cmp_le_i32_e32 vcc, s56, v39
	s_add_u32 s28, s29, s55
	s_addc_u32 s29, s30, s31
	v_cndmask_b32_e32 v0, 0, v40, vcc
	v_ashrrev_i32_e32 v1, 31, v0
	v_lshl_add_u64 v[0:1], s[28:29], 0, v[0:1]
	v_lshlrev_b32_e32 v2, 8, v42
	v_lshl_add_u64 v[0:1], v[0:1], 0, v[26:27]
	v_ashrrev_i32_e32 v3, 31, v2
	v_lshl_add_u64 v[8:9], v[0:1], 0, v[2:3]
	s_mov_b64 s[28:29], 0
	s_branch .LBB58_41
.LBB58_40:                              ;   in Loop: Header=BB58_41 Depth=2
	s_or_b64 exec, exec, s[30:31]
	;;#ASMSTART
	s_waitcnt vmcnt(1)
	v_pack_b32_f16 v12, v4, v5, op_sel:[0,0]
	v_pack_b32_f16 v13, v4, v5, op_sel:[1,1]
	;; [unrolled: 1-line block ×4, first 2 shown]
	v_swap_b32 v12, v4
	v_swap_b32 v13, v6
	;; [unrolled: 1-line block ×4, first 2 shown]
	;;#ASMEND
	v_add_u32_e32 v42, s17, v42
	v_lshl_add_u32 v12, v10, 11, v38
	ds_write2_b32 v12, v4, v5 offset1:32
	ds_write2_b32 v12, v6, v7 offset0:64 offset1:96
	;;#ASMSTART
	s_waitcnt vmcnt(0)
	v_pack_b32_f16 v4, v0, v1, op_sel:[0,0]
	v_pack_b32_f16 v5, v0, v1, op_sel:[1,1]
	;; [unrolled: 1-line block ×4, first 2 shown]
	v_swap_b32 v4, v0
	v_swap_b32 v5, v2
	;; [unrolled: 1-line block ×4, first 2 shown]
	;;#ASMEND
	v_add_u32_e32 v10, s17, v10
	v_add_u32_e32 v4, 0x400, v12
	ds_write2_b32 v4, v0, v1 offset1:32
	ds_write2_b32 v4, v2, v3 offset0:64 offset1:96
	v_add_u32_e32 v0, 1, v30
	v_cmp_le_i32_e32 vcc, s53, v42
	ds_write_b32 v11, v0
	v_add_u32_e32 v0, 2, v30
	s_or_b64 s[28:29], vcc, s[28:29]
	v_cmp_lt_i32_e32 vcc, 4, v10
	v_lshl_add_u64 v[8:9], v[8:9], 0, s[10:11]
	s_nop 0
	v_cndmask_b32_e32 v30, v30, v0, vcc
	s_andn2_b64 exec, exec, s[28:29]
	s_cbranch_execz .LBB58_4
.LBB58_41:                              ;   Parent Loop BB58_7 Depth=1
                                        ; =>  This Loop Header: Depth=2
                                        ;       Child Loop BB58_43 Depth 3
	v_cmp_gt_i32_e32 vcc, 5, v10
	s_nop 1
	v_cndmask_b32_e64 v0, -5, 0, vcc
	v_add_u32_e32 v10, v0, v10
	v_lshlrev_b32_e32 v11, 2, v10
	;;#ASMSTART
	global_load_dwordx4 v[4:7], v[8:9], off offset:0  
	global_load_dwordx4 v[0:3], v[8:9], off offset:128
	
	;;#ASMEND
	ds_read_b32 v12, v11 offset:51200
	v_add_u32_e32 v11, 0xc800, v11
	s_waitcnt lgkmcnt(0)
	v_cmp_ne_u32_e32 vcc, v12, v30
	s_and_saveexec_b64 s[30:31], vcc
	s_cbranch_execz .LBB58_40
; %bb.42:                               ;   in Loop: Header=BB58_41 Depth=2
	s_mov_b64 s[34:35], 0
.LBB58_43:                              ;   Parent Loop BB58_7 Depth=1
                                        ;     Parent Loop BB58_41 Depth=2
                                        ; =>    This Inner Loop Header: Depth=3
	;;#ASMSTART
	s_sleep 0
	;;#ASMEND
	ds_read_b32 v12, v11
	s_waitcnt lgkmcnt(0)
	v_cmp_eq_u32_e32 vcc, v12, v30
	s_or_b64 s[34:35], vcc, s[34:35]
	s_andn2_b64 exec, exec, s[34:35]
	s_cbranch_execnz .LBB58_43
	s_branch .LBB58_40
.LBB58_44:
	s_endpgm
	.section	.rodata,"a",@progbits
	.p2align	6, 0x0
	.amdhsa_kernel _Z19_skinny_gemm_kernelILi1ELi2ELi5ELi8ELi4EEvPKhS1_P6__halfPKfiiiiiiii
		.amdhsa_group_segment_fixed_size 51260
		.amdhsa_private_segment_fixed_size 0
		.amdhsa_kernarg_size 64
		.amdhsa_user_sgpr_count 2
		.amdhsa_user_sgpr_dispatch_ptr 0
		.amdhsa_user_sgpr_queue_ptr 0
		.amdhsa_user_sgpr_kernarg_segment_ptr 1
		.amdhsa_user_sgpr_dispatch_id 0
		.amdhsa_user_sgpr_kernarg_preload_length 0
		.amdhsa_user_sgpr_kernarg_preload_offset 0
		.amdhsa_user_sgpr_private_segment_size 0
		.amdhsa_uses_dynamic_stack 0
		.amdhsa_enable_private_segment 0
		.amdhsa_system_sgpr_workgroup_id_x 1
		.amdhsa_system_sgpr_workgroup_id_y 0
		.amdhsa_system_sgpr_workgroup_id_z 0
		.amdhsa_system_sgpr_workgroup_info 0
		.amdhsa_system_vgpr_workitem_id 0
		.amdhsa_next_free_vgpr 55
		.amdhsa_next_free_sgpr 57
		.amdhsa_accum_offset 56
		.amdhsa_reserve_vcc 1
		.amdhsa_float_round_mode_32 0
		.amdhsa_float_round_mode_16_64 0
		.amdhsa_float_denorm_mode_32 3
		.amdhsa_float_denorm_mode_16_64 3
		.amdhsa_dx10_clamp 1
		.amdhsa_ieee_mode 1
		.amdhsa_fp16_overflow 0
		.amdhsa_tg_split 0
		.amdhsa_exception_fp_ieee_invalid_op 0
		.amdhsa_exception_fp_denorm_src 0
		.amdhsa_exception_fp_ieee_div_zero 0
		.amdhsa_exception_fp_ieee_overflow 0
		.amdhsa_exception_fp_ieee_underflow 0
		.amdhsa_exception_fp_ieee_inexact 0
		.amdhsa_exception_int_div_zero 0
	.end_amdhsa_kernel
	.section	.text._Z19_skinny_gemm_kernelILi1ELi2ELi5ELi8ELi4EEvPKhS1_P6__halfPKfiiiiiiii,"axG",@progbits,_Z19_skinny_gemm_kernelILi1ELi2ELi5ELi8ELi4EEvPKhS1_P6__halfPKfiiiiiiii,comdat
.Lfunc_end58:
	.size	_Z19_skinny_gemm_kernelILi1ELi2ELi5ELi8ELi4EEvPKhS1_P6__halfPKfiiiiiiii, .Lfunc_end58-_Z19_skinny_gemm_kernelILi1ELi2ELi5ELi8ELi4EEvPKhS1_P6__halfPKfiiiiiiii
                                        ; -- End function
	.set _Z19_skinny_gemm_kernelILi1ELi2ELi5ELi8ELi4EEvPKhS1_P6__halfPKfiiiiiiii.num_vgpr, 55
	.set _Z19_skinny_gemm_kernelILi1ELi2ELi5ELi8ELi4EEvPKhS1_P6__halfPKfiiiiiiii.num_agpr, 0
	.set _Z19_skinny_gemm_kernelILi1ELi2ELi5ELi8ELi4EEvPKhS1_P6__halfPKfiiiiiiii.numbered_sgpr, 57
	.set _Z19_skinny_gemm_kernelILi1ELi2ELi5ELi8ELi4EEvPKhS1_P6__halfPKfiiiiiiii.num_named_barrier, 0
	.set _Z19_skinny_gemm_kernelILi1ELi2ELi5ELi8ELi4EEvPKhS1_P6__halfPKfiiiiiiii.private_seg_size, 0
	.set _Z19_skinny_gemm_kernelILi1ELi2ELi5ELi8ELi4EEvPKhS1_P6__halfPKfiiiiiiii.uses_vcc, 1
	.set _Z19_skinny_gemm_kernelILi1ELi2ELi5ELi8ELi4EEvPKhS1_P6__halfPKfiiiiiiii.uses_flat_scratch, 0
	.set _Z19_skinny_gemm_kernelILi1ELi2ELi5ELi8ELi4EEvPKhS1_P6__halfPKfiiiiiiii.has_dyn_sized_stack, 0
	.set _Z19_skinny_gemm_kernelILi1ELi2ELi5ELi8ELi4EEvPKhS1_P6__halfPKfiiiiiiii.has_recursion, 0
	.set _Z19_skinny_gemm_kernelILi1ELi2ELi5ELi8ELi4EEvPKhS1_P6__halfPKfiiiiiiii.has_indirect_call, 0
	.section	.AMDGPU.csdata,"",@progbits
; Kernel info:
; codeLenInByte = 3392
; TotalNumSgprs: 63
; NumVgprs: 55
; NumAgprs: 0
; TotalNumVgprs: 55
; ScratchSize: 0
; MemoryBound: 0
; FloatMode: 240
; IeeeMode: 1
; LDSByteSize: 51260 bytes/workgroup (compile time only)
; SGPRBlocks: 7
; VGPRBlocks: 6
; NumSGPRsForWavesPerEU: 63
; NumVGPRsForWavesPerEU: 55
; AccumOffset: 56
; Occupancy: 8
; WaveLimiterHint : 0
; COMPUTE_PGM_RSRC2:SCRATCH_EN: 0
; COMPUTE_PGM_RSRC2:USER_SGPR: 2
; COMPUTE_PGM_RSRC2:TRAP_HANDLER: 0
; COMPUTE_PGM_RSRC2:TGID_X_EN: 1
; COMPUTE_PGM_RSRC2:TGID_Y_EN: 0
; COMPUTE_PGM_RSRC2:TGID_Z_EN: 0
; COMPUTE_PGM_RSRC2:TIDIG_COMP_CNT: 0
; COMPUTE_PGM_RSRC3_GFX90A:ACCUM_OFFSET: 13
; COMPUTE_PGM_RSRC3_GFX90A:TG_SPLIT: 0
	.section	.text._Z19_skinny_gemm_kernelILi1ELi2ELi5ELi16ELi4EEvPKhS1_P6__halfPKfiiiiiiii,"axG",@progbits,_Z19_skinny_gemm_kernelILi1ELi2ELi5ELi16ELi4EEvPKhS1_P6__halfPKfiiiiiiii,comdat
	.protected	_Z19_skinny_gemm_kernelILi1ELi2ELi5ELi16ELi4EEvPKhS1_P6__halfPKfiiiiiiii ; -- Begin function _Z19_skinny_gemm_kernelILi1ELi2ELi5ELi16ELi4EEvPKhS1_P6__halfPKfiiiiiiii
	.globl	_Z19_skinny_gemm_kernelILi1ELi2ELi5ELi16ELi4EEvPKhS1_P6__halfPKfiiiiiiii
	.p2align	8
	.type	_Z19_skinny_gemm_kernelILi1ELi2ELi5ELi16ELi4EEvPKhS1_P6__halfPKfiiiiiiii,@function
_Z19_skinny_gemm_kernelILi1ELi2ELi5ELi16ELi4EEvPKhS1_P6__halfPKfiiiiiiii: ; @_Z19_skinny_gemm_kernelILi1ELi2ELi5ELi16ELi4EEvPKhS1_P6__halfPKfiiiiiiii
; %bb.0:
	v_cmp_gt_u32_e32 vcc, 15, v0
	v_lshlrev_b32_e32 v1, 2, v0
	s_and_saveexec_b64 s[4:5], vcc
; %bb.1:
	v_mov_b32_e32 v2, 0
	ds_write_b32 v1, v2 offset:30720
; %bb.2:
	s_or_b64 exec, exec, s[4:5]
	s_load_dwordx8 s[24:31], s[0:1], 0x20
	s_waitcnt lgkmcnt(0)
	s_barrier
	s_add_i32 s3, s24, 15
	s_ashr_i32 s5, s3, 31
	s_add_i32 s4, s25, 31
	s_lshr_b32 s5, s5, 28
	s_ashr_i32 s6, s4, 31
	s_add_i32 s3, s3, s5
	s_ashr_i32 s33, s3, 4
	s_lshr_b32 s3, s6, 27
	s_add_i32 s4, s4, s3
	s_ashr_i32 s50, s4, 5
	s_mul_i32 s3, s50, s33
	s_mul_i32 s3, s3, s28
	s_add_i32 s4, s3, 0x12f
	s_mul_hi_i32 s4, s4, 0x6bca1af3
	s_lshr_b32 s5, s4, 31
	s_ashr_i32 s4, s4, 7
	s_add_i32 s4, s4, s5
	s_add_i32 s5, s2, 1
	s_mul_i32 s5, s4, s5
	v_cvt_f64_i32_e32 v[2:3], s3
	v_cvt_f64_u32_e32 v[4:5], s5
	v_min_f64 v[2:3], v[2:3], v[4:5]
	v_cvt_i32_f64_e32 v9, v[2:3]
	s_mul_i32 s51, s4, s2
	v_cmp_ge_i32_e32 vcc, s51, v9
	s_cbranch_vccnz .LBB59_45
; %bb.3:
	v_lshrrev_b32_e32 v2, 6, v0
	s_add_i32 s4, s30, s29
	s_load_dwordx8 s[36:43], s[0:1], 0x0
	v_cmp_le_i32_e64 s[0:1], s4, v2
	v_mov_b32_e32 v3, s29
	v_cmp_le_i32_e64 s[2:3], s29, v2
	v_mov_b32_e32 v4, s30
	v_cndmask_b32_e64 v4, 0, v4, s[0:1]
	v_cndmask_b32_e64 v3, 0, v3, s[2:3]
	s_abs_i32 s5, s28
	v_add_u32_e32 v3, v3, v4
	v_cvt_f32_u32_e32 v4, s5
	v_sub_u32_e32 v18, v2, v3
	s_ashr_i32 s6, s26, 31
	s_lshr_b32 s6, s6, 25
	v_rcp_iflag_f32_e32 v3, v4
	s_sub_i32 s9, 0, s5
	s_add_i32 s6, s26, s6
	s_ashr_i32 s6, s6, 7
	v_mul_f32_e32 v3, 0x4f7ffffe, v3
	v_cvt_u32_f32_e32 v3, v3
	s_abs_i32 s8, s6
	s_xor_b32 s7, s6, s28
	s_ashr_i32 s7, s7, 31
	v_readfirstlane_b32 s10, v3
	s_mul_i32 s9, s9, s10
	s_mul_hi_u32 s9, s10, s9
	s_add_i32 s10, s10, s9
	s_mul_hi_u32 s9, s8, s10
	s_mul_i32 s10, s9, s5
	s_sub_i32 s8, s8, s10
	s_add_i32 s10, s9, 1
	s_sub_i32 s11, s8, s5
	s_cmp_ge_u32 s8, s5
	s_cselect_b32 s9, s10, s9
	s_cselect_b32 s8, s11, s8
	s_add_i32 s10, s9, 1
	s_cmp_ge_u32 s8, s5
	s_cselect_b32 s5, s10, s9
	s_xor_b32 s5, s5, s7
	s_sub_i32 s52, s5, s7
	s_add_i32 s28, s28, -1
	s_mul_i32 s5, s52, s28
	s_add_i32 s4, s4, s31
	s_sub_i32 s53, s6, s5
	v_cmp_gt_i32_e64 s[4:5], s4, v2
	v_lshlrev_b32_e32 v2, 1, v0
	v_lshlrev_b32_e32 v3, 4, v0
	v_and_b32_e32 v1, 60, v1
	v_and_b32_e32 v2, 64, v2
	;; [unrolled: 1-line block ×3, first 2 shown]
	s_abs_i32 s54, s33
	v_or3_b32 v31, v1, v2, v4
	v_and_b32_e32 v1, 1, v0
	v_cvt_f32_u32_e32 v6, s54
	v_lshlrev_b32_e32 v2, 1, v1
	v_lshrrev_b32_e32 v4, 2, v0
	v_and_b32_e32 v8, 14, v0
	v_sub_u32_e32 v2, v0, v2
	v_and_or_b32 v33, v4, 12, v1
	v_bitop3_b32 v34, v0, 1, v0 bitop3:0xc
	v_bitop3_b32 v35, v0, 3, 1 bitop3:0x6c
	v_and_b32_e32 v12, 48, v3
	v_bfe_u32 v1, v0, 2, 4
	v_and_b32_e32 v3, 60, v0
	v_lshlrev_b32_e32 v5, 8, v0
	v_lshlrev_b32_e32 v0, 6, v0
	v_and_b32_e32 v5, 0x200, v5
	v_and_b32_e32 v0, 64, v0
	v_or3_b32 v37, v3, v5, v0
	v_rcp_iflag_f32_e32 v0, v6
	s_abs_i32 s56, s50
	v_mul_lo_u32 v14, s27, v1
	v_mul_lo_u32 v39, s26, v1
	v_cvt_f32_u32_e32 v1, s56
	v_mul_f32_e32 v0, 0x4f7ffffe, v0
	v_cvt_u32_f32_e32 v0, v0
	v_mad_u64_u32 v[10:11], s[6:7], s25, v33, v[8:9]
	v_rcp_iflag_f32_e32 v1, v1
	v_readfirstlane_b32 s7, v0
	s_sub_i32 s6, 0, s54
	s_mul_i32 s6, s6, s7
	v_mul_f32_e32 v0, 0x4f7ffffe, v1
	v_cvt_u32_f32_e32 v0, v0
	s_mul_hi_u32 s6, s7, s6
	v_add_u32_e32 v2, 1, v2
	s_add_i32 s58, s7, s6
	s_sub_i32 s6, 0, s56
	v_readfirstlane_b32 s7, v0
	v_mbcnt_lo_u32_b32 v0, -1, 0
	v_and_b32_e32 v2, 63, v2
	s_mul_i32 s6, s6, s7
	v_mbcnt_hi_u32_b32 v0, -1, v0
	s_mul_hi_u32 s6, s7, s6
	v_and_or_b32 v0, v0, 64, v2
	v_cndmask_b32_e64 v30, 0, 1, s[0:1]
	v_or_b32_e32 v32, 0x5000, v31
	v_or_b32_e32 v36, 16, v8
	v_ashrrev_i32_e32 v11, 31, v10
	s_ashr_i32 s23, s25, 31
	s_mov_b32 s22, s25
	v_ashrrev_i32_e32 v15, 31, v14
	v_mov_b32_e32 v13, 0
	s_lshl_b32 s55, s27, 4
	v_bitop3_b32 v38, v4, 15, v4 bitop3:0xc
	v_or_b32_e32 v40, 0x5000, v37
	s_ashr_i32 s57, s33, 31
	s_ashr_i32 s59, s50, 31
	s_add_i32 s60, s7, s6
	v_lshlrev_b32_e32 v41, 2, v0
	v_mov_b32_e32 v42, v18
	s_branch .LBB59_7
.LBB59_4:                               ;   in Loop: Header=BB59_7 Depth=1
	s_or_b64 exec, exec, s[10:11]
.LBB59_5:                               ;   in Loop: Header=BB59_7 Depth=1
	s_or_b64 exec, exec, s[8:9]
	v_subrev_u32_e32 v42, s61, v42
.LBB59_6:                               ;   in Loop: Header=BB59_7 Depth=1
	s_or_b64 exec, exec, s[6:7]
	s_add_i32 s51, s51, 1
	v_cmp_ge_i32_e32 vcc, s51, v9
	s_cbranch_vccnz .LBB59_45
.LBB59_7:                               ; =>This Loop Header: Depth=1
                                        ;     Child Loop BB59_13 Depth 2
                                        ;       Child Loop BB59_15 Depth 3
                                        ;       Child Loop BB59_18 Depth 3
	;; [unrolled: 1-line block ×3, first 2 shown]
                                        ;     Child Loop BB59_32 Depth 2
                                        ;       Child Loop BB59_34 Depth 3
                                        ;     Child Loop BB59_42 Depth 2
                                        ;       Child Loop BB59_44 Depth 3
	s_abs_i32 s7, s51
	s_mul_hi_u32 s8, s7, s58
	s_mul_i32 s9, s8, s54
	s_ashr_i32 s6, s51, 31
	s_sub_i32 s7, s7, s9
	s_xor_b32 s6, s6, s57
	s_add_i32 s9, s8, 1
	s_sub_i32 s10, s7, s54
	s_cmp_ge_u32 s7, s54
	s_cselect_b32 s8, s9, s8
	s_cselect_b32 s7, s10, s7
	s_add_i32 s9, s8, 1
	s_cmp_ge_u32 s7, s54
	s_cselect_b32 s7, s9, s8
	s_xor_b32 s7, s7, s6
	s_sub_i32 s6, s7, s6
	s_abs_i32 s8, s6
	s_mul_i32 s7, s6, s33
	s_mul_hi_u32 s9, s8, s60
	s_sub_i32 s7, s51, s7
	s_mul_i32 s10, s9, s56
	s_lshl_b32 s62, s7, 4
	s_ashr_i32 s7, s6, 31
	s_sub_i32 s8, s8, s10
	s_xor_b32 s7, s7, s59
	s_add_i32 s10, s9, 1
	s_sub_i32 s11, s8, s56
	s_cmp_ge_u32 s8, s56
	s_cselect_b32 s9, s10, s9
	s_cselect_b32 s8, s11, s8
	s_add_i32 s10, s9, 1
	s_cmp_ge_u32 s8, s56
	s_cselect_b32 s8, s10, s9
	s_xor_b32 s8, s8, s7
	s_sub_i32 s7, s8, s7
	s_mul_i32 s8, s7, s52
	s_lshl_b32 s63, s8, 7
	s_cmp_eq_u32 s7, s28
	s_cselect_b32 s61, s53, s52
	s_sub_i32 s64, s62, s24
	s_add_i32 s64, s64, 16
	s_and_saveexec_b64 s[8:9], s[2:3]
	s_xor_b64 s[34:35], exec, s[8:9]
	s_cbranch_execz .LBB59_38
; %bb.8:                                ;   in Loop: Header=BB59_7 Depth=1
	s_mul_i32 s7, s7, s50
	s_sub_i32 s6, s6, s7
	s_lshl_b32 s6, s6, 5
	s_sub_i32 s45, s6, s25
	s_add_i32 s45, s45, 32
	s_max_i32 s7, s45, 0
	s_sub_i32 s44, s6, s7
	s_and_saveexec_b64 s[6:7], s[0:1]
	s_xor_b64 s[46:47], exec, s[6:7]
	s_cbranch_execz .LBB59_28
; %bb.9:                                ;   in Loop: Header=BB59_7 Depth=1
	s_and_saveexec_b64 s[48:49], s[4:5]
	s_cbranch_execz .LBB59_27
; %bb.10:                               ;   in Loop: Header=BB59_7 Depth=1
	s_waitcnt lgkmcnt(0)
	global_load_dword v43, v13, s[42:43]
	v_cmp_gt_i32_e32 vcc, s61, v42
	v_mov_b32_e32 v3, 0
	v_mov_b32_e32 v2, 0
	;; [unrolled: 1-line block ×8, first 2 shown]
	s_and_saveexec_b64 s[6:7], vcc
	s_cbranch_execz .LBB59_23
; %bb.11:                               ;   in Loop: Header=BB59_7 Depth=1
	v_mov_b32_e32 v4, 0
	s_mov_b64 s[8:9], 0
	v_mov_b32_e32 v5, v4
	v_mov_b32_e32 v6, v4
	;; [unrolled: 1-line block ×7, first 2 shown]
	s_branch .LBB59_13
.LBB59_12:                              ;   in Loop: Header=BB59_13 Depth=2
	s_or_b64 exec, exec, s[10:11]
	v_add_u32_e32 v24, v31, v47
	v_add_u32_e32 v25, 0x800, v24
	ds_read2_b32 v[22:23], v25 offset1:32
	v_add_u32_e32 v24, 0xc00, v24
	v_add_u32_e32 v42, s31, v42
	v_cmp_le_i32_e32 vcc, s61, v42
	s_or_b64 s[8:9], vcc, s[8:9]
	s_waitcnt lgkmcnt(0)
	v_mfma_f32_16x16x32_fp8_fp8 v[0:3], v[18:19], v[22:23], v[0:3]
	ds_read2_b32 v[18:19], v25 offset0:128 offset1:160
	ds_read2_b32 v[22:23], v24 offset1:32
	s_waitcnt lgkmcnt(1)
	v_mfma_f32_16x16x32_fp8_fp8 v[0:3], v[16:17], v[18:19], v[0:3]
	ds_read2_b32 v[16:17], v24 offset0:128 offset1:160
	v_add_u32_e32 v18, s31, v45
	v_add_u32_e32 v19, 2, v30
	s_waitcnt lgkmcnt(1)
	v_mfma_f32_16x16x32_fp8_fp8 v[0:3], v[28:29], v[22:23], v[0:3]
	v_cmp_lt_i32_e32 vcc, 4, v18
	;;#ASMSTART
	s_waitcnt lgkmcnt(0)
	;;#ASMEND
	ds_write_b32 v44, v46 offset:30744
	s_waitcnt lgkmcnt(1)
	v_mfma_f32_16x16x32_fp8_fp8 v[0:3], v[20:21], v[16:17], v[0:3]
	v_cndmask_b32_e32 v30, v30, v19, vcc
	s_andn2_b64 exec, exec, s[8:9]
	s_cbranch_execz .LBB59_22
.LBB59_13:                              ;   Parent Loop BB59_7 Depth=1
                                        ; =>  This Loop Header: Depth=2
                                        ;       Child Loop BB59_15 Depth 3
                                        ;       Child Loop BB59_18 Depth 3
	;; [unrolled: 1-line block ×3, first 2 shown]
	v_cmp_gt_i32_e32 vcc, 5, v18
	s_nop 1
	v_cndmask_b32_e64 v16, -5, 0, vcc
	v_add_u32_e32 v45, v16, v18
	v_lshlrev_b32_e32 v44, 3, v45
	ds_read_b32 v16, v44 offset:30740
	s_waitcnt lgkmcnt(0)
	v_cmp_ne_u32_e32 vcc, v16, v30
	s_and_saveexec_b64 s[10:11], vcc
	s_cbranch_execz .LBB59_16
; %bb.14:                               ;   in Loop: Header=BB59_13 Depth=2
	s_mov_b64 s[12:13], 0
.LBB59_15:                              ;   Parent Loop BB59_7 Depth=1
                                        ;     Parent Loop BB59_13 Depth=2
                                        ; =>    This Inner Loop Header: Depth=3
	;;#ASMSTART
	s_sleep 0
	;;#ASMEND
	ds_read_b32 v16, v44 offset:30740
	s_waitcnt lgkmcnt(0)
	v_cmp_eq_u32_e32 vcc, v16, v30
	s_or_b64 s[12:13], vcc, s[12:13]
	s_andn2_b64 exec, exec, s[12:13]
	s_cbranch_execnz .LBB59_15
.LBB59_16:                              ;   in Loop: Header=BB59_13 Depth=2
	s_or_b64 exec, exec, s[10:11]
	v_lshlrev_b32_e32 v47, 12, v45
	v_or_b32_e32 v16, v31, v47
	ds_read2_b32 v[20:21], v16 offset1:32
	ds_read2_b32 v[22:23], v16 offset0:128 offset1:160
	v_add_u32_e32 v16, 0x400, v16
	v_add_u32_e32 v46, 1, v30
	ds_read2_b32 v[26:27], v16 offset1:32
	ds_read2_b32 v[24:25], v16 offset0:128 offset1:160
	;;#ASMSTART
	s_waitcnt lgkmcnt(0)
	;;#ASMEND
	ds_write_b32 v44, v46 offset:30740
	v_lshlrev_b32_e32 v16, 2, v45
	ds_read_b32 v17, v16 offset:30720
	v_add_u32_e32 v48, 0x7800, v16
	s_waitcnt lgkmcnt(0)
	v_cmp_ne_u32_e32 vcc, v17, v30
	s_and_saveexec_b64 s[10:11], vcc
	s_cbranch_execz .LBB59_19
; %bb.17:                               ;   in Loop: Header=BB59_13 Depth=2
	s_mov_b64 s[12:13], 0
.LBB59_18:                              ;   Parent Loop BB59_7 Depth=1
                                        ;     Parent Loop BB59_13 Depth=2
                                        ; =>    This Inner Loop Header: Depth=3
	;;#ASMSTART
	s_sleep 0
	;;#ASMEND
	ds_read_b32 v16, v48
	s_waitcnt lgkmcnt(0)
	v_cmp_eq_u32_e32 vcc, v16, v30
	s_or_b64 s[12:13], vcc, s[12:13]
	s_andn2_b64 exec, exec, s[12:13]
	s_cbranch_execnz .LBB59_18
.LBB59_19:                              ;   in Loop: Header=BB59_13 Depth=2
	s_or_b64 exec, exec, s[10:11]
	v_lshl_add_u32 v28, v45, 11, v32
	ds_read2_b32 v[18:19], v28 offset1:32
	ds_read2_b32 v[16:17], v28 offset0:128 offset1:160
	v_add_u32_e32 v49, 0x400, v28
	ds_read2_b32 v[28:29], v49 offset1:32
	ds_write_b32 v48, v46
	s_waitcnt lgkmcnt(3)
	v_mfma_f32_16x16x32_fp8_fp8 v[4:7], v[18:19], v[20:21], v[4:7]
	ds_read2_b32 v[20:21], v49 offset0:128 offset1:160
	s_waitcnt lgkmcnt(3)
	v_mfma_f32_16x16x32_fp8_fp8 v[4:7], v[16:17], v[22:23], v[4:7]
	ds_read_b32 v22, v44 offset:30744
	s_waitcnt lgkmcnt(0)
	v_cmp_ne_u32_e32 vcc, v22, v30
	v_mfma_f32_16x16x32_fp8_fp8 v[4:7], v[28:29], v[26:27], v[4:7]
	v_mfma_f32_16x16x32_fp8_fp8 v[4:7], v[20:21], v[24:25], v[4:7]
	s_and_saveexec_b64 s[10:11], vcc
	s_cbranch_execz .LBB59_12
; %bb.20:                               ;   in Loop: Header=BB59_13 Depth=2
	s_mov_b64 s[12:13], 0
.LBB59_21:                              ;   Parent Loop BB59_7 Depth=1
                                        ;     Parent Loop BB59_13 Depth=2
                                        ; =>    This Inner Loop Header: Depth=3
	;;#ASMSTART
	s_sleep 0
	;;#ASMEND
	ds_read_b32 v22, v44 offset:30744
	s_waitcnt lgkmcnt(0)
	v_cmp_eq_u32_e32 vcc, v22, v30
	s_or_b64 s[12:13], vcc, s[12:13]
	s_andn2_b64 exec, exec, s[12:13]
	s_cbranch_execnz .LBB59_21
	s_branch .LBB59_12
.LBB59_22:                              ;   in Loop: Header=BB59_7 Depth=1
	s_or_b64 exec, exec, s[8:9]
.LBB59_23:                              ;   in Loop: Header=BB59_7 Depth=1
	s_or_b64 exec, exec, s[6:7]
	v_cmp_le_i32_e32 vcc, s45, v8
	v_cmp_eq_u32_e64 s[6:7], 2, v34
	v_cmp_eq_u32_e64 s[8:9], 3, v34
	s_waitcnt vmcnt(0)
	v_cndmask_b32_e32 v16, 0, v43, vcc
	v_pk_mul_f32 v[20:21], v[16:17], v[4:5] op_sel_hi:[0,1]
	v_cmp_eq_u32_e32 vcc, 1, v34
	v_pk_mul_f32 v[6:7], v[16:17], v[6:7] op_sel_hi:[0,1]
	v_cmp_eq_u32_e64 s[10:11], 0, v34
	v_cndmask_b32_e32 v4, v20, v21, vcc
	v_cndmask_b32_e64 v4, v4, v6, s[6:7]
	v_cndmask_b32_e64 v4, v4, v7, s[8:9]
	ds_bpermute_b32 v17, v41, v4
	v_cmp_eq_u32_e64 s[12:13], 1, v35
	v_cmp_eq_u32_e64 s[18:19], 4, v35
	;; [unrolled: 1-line block ×4, first 2 shown]
	s_waitcnt lgkmcnt(0)
	v_cndmask_b32_e64 v4, v7, v17, s[8:9]
	v_cndmask_b32_e64 v5, v6, v17, s[6:7]
	v_cndmask_b32_e32 v16, v21, v17, vcc
	v_cndmask_b32_e64 v17, v20, v17, s[10:11]
	v_cndmask_b32_e64 v6, v17, v16, s[12:13]
	s_or_b64 s[20:21], s[20:21], s[18:19]
	v_cmp_eq_u32_e64 s[18:19], 6, v35
	v_cndmask_b32_e64 v6, v6, v5, s[14:15]
	v_cmp_eq_u32_e64 s[16:17], 3, v35
	s_or_b64 s[20:21], s[18:19], s[20:21]
	v_cmp_le_i32_e64 s[18:19], s45, v36
	v_cndmask_b32_e64 v7, v6, v4, s[16:17]
	s_nop 0
	v_cndmask_b32_e64 v6, 0, v43, s[18:19]
	v_pk_mul_f32 v[20:21], v[6:7], v[0:1] op_sel_hi:[0,1]
	v_pk_mul_f32 v[0:1], v[6:7], v[2:3] op_sel_hi:[0,1]
	v_cndmask_b32_e32 v2, v20, v21, vcc
	v_cndmask_b32_e64 v2, v2, v0, s[6:7]
	v_cndmask_b32_e64 v2, v2, v1, s[8:9]
	ds_bpermute_b32 v19, v41, v2
	v_cmp_eq_u32_e32 vcc, 7, v35
	s_or_b64 vcc, vcc, s[20:21]
	s_waitcnt lgkmcnt(0)
	v_cndmask_b32_e64 v3, v1, v19, s[8:9]
	v_cndmask_b32_e32 v2, v7, v0, vcc
	v_cmp_ne_u32_e32 vcc, 0, v34
	v_cndmask_b32_e64 v6, v0, v19, s[6:7]
	v_cndmask_b32_e64 v1, v20, v19, s[10:11]
	v_cndmask_b32_e32 v0, v21, v19, vcc
	v_cndmask_b32_e64 v7, v1, v0, s[12:13]
	v_cndmask_b32_e64 v7, v7, v6, s[14:15]
	v_cndmask_b32_e64 v7, v7, v3, s[16:17]
	ds_bpermute_b32 v2, v41, v2
	ds_bpermute_b32 v7, v41, v7
	s_max_i32 s6, s64, 0
	v_add_u32_e32 v19, s6, v33
	v_cmp_gt_u32_e32 vcc, 16, v19
	s_and_saveexec_b64 s[12:13], vcc
	s_cbranch_execz .LBB59_26
; %bb.24:                               ;   in Loop: Header=BB59_7 Depth=1
	v_cmp_eq_u32_e64 s[8:9], 1, v35
	v_cmp_eq_u32_e64 s[10:11], 0, v35
	v_cmp_eq_u32_e32 vcc, 3, v35
	s_waitcnt lgkmcnt(1)
	v_cndmask_b32_e64 v16, v16, v2, s[8:9]
	s_waitcnt lgkmcnt(0)
	v_cndmask_b32_e64 v20, v0, v7, s[8:9]
	s_mul_i32 s8, s62, s25
	s_ashr_i32 s9, s8, 31
	s_lshl_b64 s[8:9], s[8:9], 1
	v_cndmask_b32_e64 v17, v17, v2, s[10:11]
	v_cndmask_b32_e64 v21, v1, v7, s[10:11]
	s_add_u32 s10, s40, s8
	s_addc_u32 s11, s41, s9
	s_ashr_i32 s45, s44, 31
	v_cvt_f16_f32_e32 v17, v17
	v_cvt_f16_f32_sdwa v16, v16 dst_sel:WORD_1 dst_unused:UNUSED_PAD src0_sel:DWORD
	s_lshl_b64 s[8:9], s[44:45], 1
	v_cvt_f16_f32_e32 v21, v21
	v_cvt_f16_f32_sdwa v20, v20 dst_sel:WORD_1 dst_unused:UNUSED_PAD src0_sel:DWORD
	s_add_u32 s8, s10, s8
	s_addc_u32 s9, s11, s9
	v_cmp_eq_u32_e64 s[6:7], 2, v35
	v_lshl_add_u64 v[0:1], v[10:11], 1, s[8:9]
	v_or_b32_e32 v16, v16, v17
	v_cmp_gt_u32_e64 s[8:9], 14, v19
	;;#ASMSTART
	global_atomic_pk_add_f16 v[0:1], v16, off
	
	;;#ASMEND
	v_lshl_add_u64 v[16:17], v[0:1], 0, 32
	v_or_b32_e32 v20, v20, v21
	;;#ASMSTART
	global_atomic_pk_add_f16 v[16:17], v20, off
	
	;;#ASMEND
	s_and_b64 exec, exec, s[8:9]
	s_cbranch_execz .LBB59_26
; %bb.25:                               ;   in Loop: Header=BB59_7 Depth=1
	v_cndmask_b32_e32 v4, v4, v2, vcc
	v_cndmask_b32_e64 v2, v5, v2, s[6:7]
	v_cndmask_b32_e32 v3, v3, v7, vcc
	v_cndmask_b32_e64 v5, v6, v7, s[6:7]
	v_cvt_f16_f32_e32 v2, v2
	v_cvt_f16_f32_sdwa v4, v4 dst_sel:WORD_1 dst_unused:UNUSED_PAD src0_sel:DWORD
	v_cvt_f16_f32_e32 v5, v5
	v_cvt_f16_f32_sdwa v3, v3 dst_sel:WORD_1 dst_unused:UNUSED_PAD src0_sel:DWORD
	v_lshl_add_u64 v[0:1], s[22:23], 2, v[0:1]
	v_or_b32_e32 v2, v4, v2
	;;#ASMSTART
	global_atomic_pk_add_f16 v[0:1], v2, off
	
	;;#ASMEND
	v_lshl_add_u64 v[0:1], v[0:1], 0, 32
	v_or_b32_e32 v2, v3, v5
	;;#ASMSTART
	global_atomic_pk_add_f16 v[0:1], v2, off
	
	;;#ASMEND
.LBB59_26:                              ;   in Loop: Header=BB59_7 Depth=1
	s_or_b64 exec, exec, s[12:13]
	v_subrev_u32_e32 v42, s61, v42
.LBB59_27:                              ;   in Loop: Header=BB59_7 Depth=1
	s_or_b64 exec, exec, s[48:49]
.LBB59_28:                              ;   in Loop: Header=BB59_7 Depth=1
	s_andn2_saveexec_b64 s[6:7], s[46:47]
	s_cbranch_execz .LBB59_37
; %bb.29:                               ;   in Loop: Header=BB59_7 Depth=1
	s_lshl_b32 s16, s61, 1
	v_cmp_gt_i32_e32 vcc, s16, v42
	s_and_saveexec_b64 s[8:9], vcc
	s_cbranch_execz .LBB59_36
; %bb.30:                               ;   in Loop: Header=BB59_7 Depth=1
	s_mul_i32 s10, s44, s27
	s_ashr_i32 s11, s10, 31
	s_waitcnt lgkmcnt(0)
	s_add_u32 s10, s38, s10
	s_addc_u32 s11, s39, s11
	s_ashr_i32 s12, s63, 31
	s_add_u32 s10, s10, s63
	s_addc_u32 s11, s11, s12
	v_lshl_add_u64 v[0:1], s[10:11], 0, v[14:15]
	v_lshl_add_u64 v[16:17], v[0:1], 0, v[12:13]
	s_mov_b64 s[10:11], 0
	s_branch .LBB59_32
.LBB59_31:                              ;   in Loop: Header=BB59_32 Depth=2
	s_or_b64 exec, exec, s[12:13]
	v_lshl_or_b32 v20, v18, 11, v37
	;;#ASMSTART
	s_waitcnt vmcnt(1)
	;;#ASMEND
	ds_write2_b32 v20, v4, v5 offset1:32
	ds_write2_b32 v20, v6, v7 offset0:64 offset1:96
	v_add_u32_e32 v4, 0x400, v20
	v_add_u32_e32 v42, s30, v42
	;;#ASMSTART
	s_waitcnt vmcnt(0)
	;;#ASMEND
	ds_write2_b32 v4, v0, v1 offset1:32
	ds_write2_b32 v4, v2, v3 offset0:64 offset1:96
	v_add_u32_e32 v0, 1, v30
	v_add_u32_e32 v18, s30, v18
	v_cmp_le_i32_e32 vcc, s16, v42
	ds_write_b32 v19, v0 offset:20
	v_add_u32_e32 v0, 2, v30
	s_or_b64 s[10:11], vcc, s[10:11]
	v_cmp_lt_i32_e32 vcc, 9, v18
	s_nop 1
	v_cndmask_b32_e32 v30, v30, v0, vcc
	s_andn2_b64 exec, exec, s[10:11]
	s_cbranch_execz .LBB59_35
.LBB59_32:                              ;   Parent Loop BB59_7 Depth=1
                                        ; =>  This Loop Header: Depth=2
                                        ;       Child Loop BB59_34 Depth 3
	v_cmp_gt_i32_e32 vcc, 10, v18
	s_nop 1
	v_cndmask_b32_e64 v0, -10, 0, vcc
	v_add_u32_e32 v18, v0, v18
	v_lshrrev_b32_e32 v0, 31, v42
	v_add_u32_e32 v0, v42, v0
	v_and_b32_e32 v1, -2, v0
	v_lshlrev_b32_e32 v0, 6, v0
	v_sub_u32_e32 v2, v42, v1
	v_and_b32_e32 v0, 0xffffff80, v0
	v_ashrrev_i32_e32 v1, 31, v0
	v_mul_lo_u32 v2, s55, v2
	v_lshl_add_u64 v[0:1], v[16:17], 0, v[0:1]
	v_ashrrev_i32_e32 v3, 31, v2
	v_lshl_add_u64 v[0:1], v[0:1], 0, v[2:3]
	v_lshlrev_b32_e32 v19, 2, v18
	;;#ASMSTART
	global_load_dwordx4 v[4:7], v[0:1], off offset:0   sc0 sc1 nt  
	global_load_dwordx4 v[0:3], v[0:1], off offset:64  sc0 sc1 nt  
	
	;;#ASMEND
	ds_read_b32 v20, v19 offset:30740
	v_add_u32_e32 v19, 0x7800, v19
	s_waitcnt lgkmcnt(0)
	v_cmp_ne_u32_e32 vcc, v20, v30
	s_and_saveexec_b64 s[12:13], vcc
	s_cbranch_execz .LBB59_31
; %bb.33:                               ;   in Loop: Header=BB59_32 Depth=2
	s_mov_b64 s[14:15], 0
.LBB59_34:                              ;   Parent Loop BB59_7 Depth=1
                                        ;     Parent Loop BB59_32 Depth=2
                                        ; =>    This Inner Loop Header: Depth=3
	;;#ASMSTART
	s_sleep 0
	;;#ASMEND
	ds_read_b32 v20, v19 offset:20
	s_waitcnt lgkmcnt(0)
	v_cmp_eq_u32_e32 vcc, v20, v30
	s_or_b64 s[14:15], vcc, s[14:15]
	s_andn2_b64 exec, exec, s[14:15]
	s_cbranch_execnz .LBB59_34
	s_branch .LBB59_31
.LBB59_35:                              ;   in Loop: Header=BB59_7 Depth=1
	s_or_b64 exec, exec, s[10:11]
.LBB59_36:                              ;   in Loop: Header=BB59_7 Depth=1
	s_or_b64 exec, exec, s[8:9]
	v_subrev_u32_e32 v42, s16, v42
.LBB59_37:                              ;   in Loop: Header=BB59_7 Depth=1
	s_or_b64 exec, exec, s[6:7]
.LBB59_38:                              ;   in Loop: Header=BB59_7 Depth=1
	s_andn2_saveexec_b64 s[6:7], s[34:35]
	s_cbranch_execz .LBB59_6
; %bb.39:                               ;   in Loop: Header=BB59_7 Depth=1
	v_cmp_gt_i32_e32 vcc, s61, v42
	s_and_saveexec_b64 s[8:9], vcc
	s_cbranch_execz .LBB59_5
; %bb.40:                               ;   in Loop: Header=BB59_7 Depth=1
	s_mul_i32 s62, s62, s26
	s_ashr_i32 s10, s62, 31
	s_waitcnt lgkmcnt(0)
	s_add_u32 s11, s36, s62
	s_addc_u32 s12, s37, s10
	s_ashr_i32 s13, s63, 31
	v_cmp_le_i32_e32 vcc, s64, v38
	s_add_u32 s10, s11, s63
	s_addc_u32 s11, s12, s13
	v_cndmask_b32_e32 v0, 0, v39, vcc
	v_ashrrev_i32_e32 v1, 31, v0
	v_lshl_add_u64 v[0:1], s[10:11], 0, v[0:1]
	v_lshl_add_u64 v[16:17], v[0:1], 0, v[12:13]
	s_mov_b64 s[10:11], 0
	s_branch .LBB59_42
.LBB59_41:                              ;   in Loop: Header=BB59_42 Depth=2
	s_or_b64 exec, exec, s[12:13]
	v_lshl_add_u32 v20, v18, 11, v40
	;;#ASMSTART
	s_waitcnt vmcnt(1)
	;;#ASMEND
	ds_write2_b32 v20, v4, v5 offset1:32
	ds_write2_b32 v20, v6, v7 offset0:64 offset1:96
	v_add_u32_e32 v4, 0x400, v20
	v_add_u32_e32 v42, s29, v42
	;;#ASMSTART
	s_waitcnt vmcnt(0)
	;;#ASMEND
	ds_write2_b32 v4, v0, v1 offset1:32
	ds_write2_b32 v4, v2, v3 offset0:64 offset1:96
	v_add_u32_e32 v0, 1, v30
	v_add_u32_e32 v18, s29, v18
	v_cmp_le_i32_e32 vcc, s61, v42
	ds_write_b32 v19, v0
	v_add_u32_e32 v0, 2, v30
	s_or_b64 s[10:11], vcc, s[10:11]
	v_cmp_lt_i32_e32 vcc, 4, v18
	s_nop 1
	v_cndmask_b32_e32 v30, v30, v0, vcc
	s_andn2_b64 exec, exec, s[10:11]
	s_cbranch_execz .LBB59_4
.LBB59_42:                              ;   Parent Loop BB59_7 Depth=1
                                        ; =>  This Loop Header: Depth=2
                                        ;       Child Loop BB59_44 Depth 3
	v_cmp_gt_i32_e32 vcc, 5, v18
	s_nop 1
	v_cndmask_b32_e64 v0, -5, 0, vcc
	v_add_u32_e32 v18, v0, v18
	v_lshlrev_b32_e32 v0, 7, v42
	v_ashrrev_i32_e32 v1, 31, v0
	v_lshl_add_u64 v[0:1], v[16:17], 0, v[0:1]
	v_lshlrev_b32_e32 v19, 2, v18
	;;#ASMSTART
	global_load_dwordx4 v[4:7], v[0:1], off offset:0   
	global_load_dwordx4 v[0:3], v[0:1], off offset:64  
	
	;;#ASMEND
	ds_read_b32 v20, v19 offset:30720
	v_add_u32_e32 v19, 0x7800, v19
	s_waitcnt lgkmcnt(0)
	v_cmp_ne_u32_e32 vcc, v20, v30
	s_and_saveexec_b64 s[12:13], vcc
	s_cbranch_execz .LBB59_41
; %bb.43:                               ;   in Loop: Header=BB59_42 Depth=2
	s_mov_b64 s[14:15], 0
.LBB59_44:                              ;   Parent Loop BB59_7 Depth=1
                                        ;     Parent Loop BB59_42 Depth=2
                                        ; =>    This Inner Loop Header: Depth=3
	;;#ASMSTART
	s_sleep 0
	;;#ASMEND
	ds_read_b32 v20, v19
	s_waitcnt lgkmcnt(0)
	v_cmp_eq_u32_e32 vcc, v20, v30
	s_or_b64 s[14:15], vcc, s[14:15]
	s_andn2_b64 exec, exec, s[14:15]
	s_cbranch_execnz .LBB59_44
	s_branch .LBB59_41
.LBB59_45:
	s_endpgm
	.section	.rodata,"a",@progbits
	.p2align	6, 0x0
	.amdhsa_kernel _Z19_skinny_gemm_kernelILi1ELi2ELi5ELi16ELi4EEvPKhS1_P6__halfPKfiiiiiiii
		.amdhsa_group_segment_fixed_size 30780
		.amdhsa_private_segment_fixed_size 0
		.amdhsa_kernarg_size 64
		.amdhsa_user_sgpr_count 2
		.amdhsa_user_sgpr_dispatch_ptr 0
		.amdhsa_user_sgpr_queue_ptr 0
		.amdhsa_user_sgpr_kernarg_segment_ptr 1
		.amdhsa_user_sgpr_dispatch_id 0
		.amdhsa_user_sgpr_kernarg_preload_length 0
		.amdhsa_user_sgpr_kernarg_preload_offset 0
		.amdhsa_user_sgpr_private_segment_size 0
		.amdhsa_uses_dynamic_stack 0
		.amdhsa_enable_private_segment 0
		.amdhsa_system_sgpr_workgroup_id_x 1
		.amdhsa_system_sgpr_workgroup_id_y 0
		.amdhsa_system_sgpr_workgroup_id_z 0
		.amdhsa_system_sgpr_workgroup_info 0
		.amdhsa_system_vgpr_workitem_id 0
		.amdhsa_next_free_vgpr 50
		.amdhsa_next_free_sgpr 65
		.amdhsa_accum_offset 52
		.amdhsa_reserve_vcc 1
		.amdhsa_float_round_mode_32 0
		.amdhsa_float_round_mode_16_64 0
		.amdhsa_float_denorm_mode_32 3
		.amdhsa_float_denorm_mode_16_64 3
		.amdhsa_dx10_clamp 1
		.amdhsa_ieee_mode 1
		.amdhsa_fp16_overflow 0
		.amdhsa_tg_split 0
		.amdhsa_exception_fp_ieee_invalid_op 0
		.amdhsa_exception_fp_denorm_src 0
		.amdhsa_exception_fp_ieee_div_zero 0
		.amdhsa_exception_fp_ieee_overflow 0
		.amdhsa_exception_fp_ieee_underflow 0
		.amdhsa_exception_fp_ieee_inexact 0
		.amdhsa_exception_int_div_zero 0
	.end_amdhsa_kernel
	.section	.text._Z19_skinny_gemm_kernelILi1ELi2ELi5ELi16ELi4EEvPKhS1_P6__halfPKfiiiiiiii,"axG",@progbits,_Z19_skinny_gemm_kernelILi1ELi2ELi5ELi16ELi4EEvPKhS1_P6__halfPKfiiiiiiii,comdat
.Lfunc_end59:
	.size	_Z19_skinny_gemm_kernelILi1ELi2ELi5ELi16ELi4EEvPKhS1_P6__halfPKfiiiiiiii, .Lfunc_end59-_Z19_skinny_gemm_kernelILi1ELi2ELi5ELi16ELi4EEvPKhS1_P6__halfPKfiiiiiiii
                                        ; -- End function
	.set _Z19_skinny_gemm_kernelILi1ELi2ELi5ELi16ELi4EEvPKhS1_P6__halfPKfiiiiiiii.num_vgpr, 50
	.set _Z19_skinny_gemm_kernelILi1ELi2ELi5ELi16ELi4EEvPKhS1_P6__halfPKfiiiiiiii.num_agpr, 0
	.set _Z19_skinny_gemm_kernelILi1ELi2ELi5ELi16ELi4EEvPKhS1_P6__halfPKfiiiiiiii.numbered_sgpr, 65
	.set _Z19_skinny_gemm_kernelILi1ELi2ELi5ELi16ELi4EEvPKhS1_P6__halfPKfiiiiiiii.num_named_barrier, 0
	.set _Z19_skinny_gemm_kernelILi1ELi2ELi5ELi16ELi4EEvPKhS1_P6__halfPKfiiiiiiii.private_seg_size, 0
	.set _Z19_skinny_gemm_kernelILi1ELi2ELi5ELi16ELi4EEvPKhS1_P6__halfPKfiiiiiiii.uses_vcc, 1
	.set _Z19_skinny_gemm_kernelILi1ELi2ELi5ELi16ELi4EEvPKhS1_P6__halfPKfiiiiiiii.uses_flat_scratch, 0
	.set _Z19_skinny_gemm_kernelILi1ELi2ELi5ELi16ELi4EEvPKhS1_P6__halfPKfiiiiiiii.has_dyn_sized_stack, 0
	.set _Z19_skinny_gemm_kernelILi1ELi2ELi5ELi16ELi4EEvPKhS1_P6__halfPKfiiiiiiii.has_recursion, 0
	.set _Z19_skinny_gemm_kernelILi1ELi2ELi5ELi16ELi4EEvPKhS1_P6__halfPKfiiiiiiii.has_indirect_call, 0
	.section	.AMDGPU.csdata,"",@progbits
; Kernel info:
; codeLenInByte = 3172
; TotalNumSgprs: 71
; NumVgprs: 50
; NumAgprs: 0
; TotalNumVgprs: 50
; ScratchSize: 0
; MemoryBound: 0
; FloatMode: 240
; IeeeMode: 1
; LDSByteSize: 30780 bytes/workgroup (compile time only)
; SGPRBlocks: 8
; VGPRBlocks: 6
; NumSGPRsForWavesPerEU: 71
; NumVGPRsForWavesPerEU: 50
; AccumOffset: 52
; Occupancy: 8
; WaveLimiterHint : 0
; COMPUTE_PGM_RSRC2:SCRATCH_EN: 0
; COMPUTE_PGM_RSRC2:USER_SGPR: 2
; COMPUTE_PGM_RSRC2:TRAP_HANDLER: 0
; COMPUTE_PGM_RSRC2:TGID_X_EN: 1
; COMPUTE_PGM_RSRC2:TGID_Y_EN: 0
; COMPUTE_PGM_RSRC2:TGID_Z_EN: 0
; COMPUTE_PGM_RSRC2:TIDIG_COMP_CNT: 0
; COMPUTE_PGM_RSRC3_GFX90A:ACCUM_OFFSET: 12
; COMPUTE_PGM_RSRC3_GFX90A:TG_SPLIT: 0
	.section	.text._Z19_skinny_gemm_kernelILi1ELi2ELi5ELi16ELi8EEvPKhS1_P6__halfPKfiiiiiiii,"axG",@progbits,_Z19_skinny_gemm_kernelILi1ELi2ELi5ELi16ELi8EEvPKhS1_P6__halfPKfiiiiiiii,comdat
	.protected	_Z19_skinny_gemm_kernelILi1ELi2ELi5ELi16ELi8EEvPKhS1_P6__halfPKfiiiiiiii ; -- Begin function _Z19_skinny_gemm_kernelILi1ELi2ELi5ELi16ELi8EEvPKhS1_P6__halfPKfiiiiiiii
	.globl	_Z19_skinny_gemm_kernelILi1ELi2ELi5ELi16ELi8EEvPKhS1_P6__halfPKfiiiiiiii
	.p2align	8
	.type	_Z19_skinny_gemm_kernelILi1ELi2ELi5ELi16ELi8EEvPKhS1_P6__halfPKfiiiiiiii,@function
_Z19_skinny_gemm_kernelILi1ELi2ELi5ELi16ELi8EEvPKhS1_P6__halfPKfiiiiiiii: ; @_Z19_skinny_gemm_kernelILi1ELi2ELi5ELi16ELi8EEvPKhS1_P6__halfPKfiiiiiiii
; %bb.0:
	v_cmp_gt_u32_e32 vcc, 15, v0
	v_lshlrev_b32_e32 v1, 2, v0
	s_and_saveexec_b64 s[4:5], vcc
; %bb.1:
	v_mov_b32_e32 v2, 0
	ds_write_b32 v1, v2 offset:61440
; %bb.2:
	s_or_b64 exec, exec, s[4:5]
	s_load_dwordx8 s[16:23], s[0:1], 0x20
	s_waitcnt lgkmcnt(0)
	s_barrier
	s_add_i32 s3, s16, 15
	s_ashr_i32 s5, s3, 31
	s_add_i32 s4, s17, 31
	s_lshr_b32 s5, s5, 28
	s_ashr_i32 s6, s4, 31
	s_add_i32 s3, s3, s5
	s_ashr_i32 s33, s3, 4
	s_lshr_b32 s3, s6, 27
	s_add_i32 s4, s4, s3
	s_ashr_i32 s44, s4, 5
	s_mul_i32 s3, s44, s33
	s_mul_i32 s3, s3, s20
	s_add_i32 s4, s3, 0x12f
	s_mul_hi_i32 s4, s4, 0x6bca1af3
	s_lshr_b32 s5, s4, 31
	s_ashr_i32 s4, s4, 7
	s_add_i32 s4, s4, s5
	s_add_i32 s5, s2, 1
	s_mul_i32 s5, s4, s5
	v_cvt_f64_i32_e32 v[2:3], s3
	v_cvt_f64_u32_e32 v[4:5], s5
	v_min_f64 v[2:3], v[2:3], v[4:5]
	v_cvt_i32_f64_e32 v17, v[2:3]
	s_mul_i32 s45, s4, s2
	v_cmp_ge_i32_e32 vcc, s45, v17
	s_cbranch_vccnz .LBB60_45
; %bb.3:
	v_lshrrev_b32_e32 v2, 6, v0
	s_add_i32 s4, s22, s21
	s_load_dwordx8 s[24:31], s[0:1], 0x0
	v_cmp_le_i32_e64 s[0:1], s4, v2
	v_mov_b32_e32 v3, s21
	v_cmp_le_i32_e64 s[2:3], s21, v2
	v_mov_b32_e32 v4, s22
	v_cndmask_b32_e64 v4, 0, v4, s[0:1]
	v_cndmask_b32_e64 v3, 0, v3, s[2:3]
	s_abs_i32 s5, s20
	v_add_u32_e32 v3, v3, v4
	v_cvt_f32_u32_e32 v4, s5
	v_sub_u32_e32 v8, v2, v3
	s_ashr_i32 s6, s18, 31
	s_lshr_b32 s6, s6, 24
	v_rcp_iflag_f32_e32 v3, v4
	s_sub_i32 s9, 0, s5
	s_add_i32 s6, s18, s6
	s_ashr_i32 s6, s6, 8
	v_mul_f32_e32 v3, 0x4f7ffffe, v3
	v_cvt_u32_f32_e32 v3, v3
	s_abs_i32 s8, s6
	s_xor_b32 s7, s6, s20
	s_ashr_i32 s7, s7, 31
	v_readfirstlane_b32 s10, v3
	s_mul_i32 s9, s9, s10
	s_mul_hi_u32 s9, s10, s9
	s_add_i32 s10, s10, s9
	s_mul_hi_u32 s9, s8, s10
	s_mul_i32 s10, s9, s5
	s_sub_i32 s8, s8, s10
	s_add_i32 s10, s9, 1
	s_sub_i32 s11, s8, s5
	s_cmp_ge_u32 s8, s5
	s_cselect_b32 s9, s10, s9
	s_cselect_b32 s8, s11, s8
	s_add_i32 s10, s9, 1
	s_cmp_ge_u32 s8, s5
	s_cselect_b32 s5, s10, s9
	s_xor_b32 s5, s5, s7
	s_sub_i32 s46, s5, s7
	s_add_i32 s20, s20, -1
	s_mul_i32 s5, s46, s20
	s_add_i32 s4, s4, s23
	s_sub_i32 s47, s6, s5
	v_cmp_gt_i32_e64 s[4:5], s4, v2
	v_lshlrev_b32_e32 v2, 1, v0
	v_lshlrev_b32_e32 v3, 4, v0
	v_and_b32_e32 v1, 60, v1
	v_and_b32_e32 v2, 64, v2
	;; [unrolled: 1-line block ×3, first 2 shown]
	s_abs_i32 s48, s33
	v_or3_b32 v43, v1, v2, v4
	v_and_b32_e32 v1, 1, v0
	v_cvt_f32_u32_e32 v6, s48
	v_lshlrev_b32_e32 v2, 1, v1
	v_lshrrev_b32_e32 v4, 2, v0
	v_and_b32_e32 v16, 14, v0
	v_sub_u32_e32 v2, v0, v2
	v_and_or_b32 v45, v4, 12, v1
	v_bitop3_b32 v46, v0, 1, v0 bitop3:0xc
	v_bitop3_b32 v47, v0, 3, 1 bitop3:0x6c
	v_and_b32_e32 v20, 48, v3
	v_bfe_u32 v1, v0, 2, 4
	v_and_b32_e32 v3, 60, v0
	v_lshlrev_b32_e32 v5, 8, v0
	v_lshlrev_b32_e32 v0, 6, v0
	v_and_b32_e32 v5, 0x200, v5
	v_and_b32_e32 v0, 64, v0
	v_or3_b32 v49, v3, v5, v0
	v_rcp_iflag_f32_e32 v0, v6
	s_abs_i32 s50, s44
	v_mul_lo_u32 v22, s19, v1
	v_mul_lo_u32 v51, s18, v1
	v_cvt_f32_u32_e32 v1, s50
	v_mul_f32_e32 v0, 0x4f7ffffe, v0
	v_cvt_u32_f32_e32 v0, v0
	v_mad_u64_u32 v[18:19], s[6:7], s17, v45, v[16:17]
	v_rcp_iflag_f32_e32 v1, v1
	v_readfirstlane_b32 s7, v0
	s_sub_i32 s6, 0, s48
	s_mul_i32 s6, s6, s7
	v_mul_f32_e32 v0, 0x4f7ffffe, v1
	v_cvt_u32_f32_e32 v0, v0
	s_mul_hi_u32 s6, s7, s6
	v_add_u32_e32 v2, 1, v2
	s_add_i32 s52, s7, s6
	s_sub_i32 s6, 0, s50
	v_readfirstlane_b32 s7, v0
	v_mbcnt_lo_u32_b32 v0, -1, 0
	v_and_b32_e32 v2, 63, v2
	s_mul_i32 s6, s6, s7
	v_mbcnt_hi_u32_b32 v0, -1, v0
	s_mul_hi_u32 s6, s7, s6
	v_and_or_b32 v0, v0, 64, v2
	v_cndmask_b32_e64 v42, 0, 1, s[0:1]
	v_or_b32_e32 v44, 0xa000, v43
	v_or_b32_e32 v48, 16, v16
	v_ashrrev_i32_e32 v19, 31, v18
	s_ashr_i32 s35, s17, 31
	s_mov_b32 s34, s17
	v_ashrrev_i32_e32 v23, 31, v22
	v_mov_b32_e32 v21, 0
	s_lshl_b32 s49, s19, 4
	v_bitop3_b32 v50, v4, 15, v4 bitop3:0xc
	v_or_b32_e32 v52, 0xa000, v49
	s_ashr_i32 s51, s33, 31
	s_ashr_i32 s53, s44, 31
	s_add_i32 s54, s7, s6
	v_lshlrev_b32_e32 v53, 2, v0
	v_mov_b32_e32 v54, v8
	s_branch .LBB60_7
.LBB60_4:                               ;   in Loop: Header=BB60_7 Depth=1
	s_or_b64 exec, exec, s[10:11]
.LBB60_5:                               ;   in Loop: Header=BB60_7 Depth=1
	s_or_b64 exec, exec, s[8:9]
	v_subrev_u32_e32 v54, s55, v54
.LBB60_6:                               ;   in Loop: Header=BB60_7 Depth=1
	s_or_b64 exec, exec, s[6:7]
	s_add_i32 s45, s45, 1
	v_cmp_ge_i32_e32 vcc, s45, v17
	s_cbranch_vccnz .LBB60_45
.LBB60_7:                               ; =>This Loop Header: Depth=1
                                        ;     Child Loop BB60_13 Depth 2
                                        ;       Child Loop BB60_15 Depth 3
                                        ;       Child Loop BB60_18 Depth 3
                                        ;       Child Loop BB60_21 Depth 3
                                        ;     Child Loop BB60_32 Depth 2
                                        ;       Child Loop BB60_34 Depth 3
                                        ;     Child Loop BB60_42 Depth 2
                                        ;       Child Loop BB60_44 Depth 3
	s_abs_i32 s7, s45
	s_mul_hi_u32 s8, s7, s52
	s_mul_i32 s9, s8, s48
	s_ashr_i32 s6, s45, 31
	s_sub_i32 s7, s7, s9
	s_xor_b32 s6, s6, s51
	s_add_i32 s9, s8, 1
	s_sub_i32 s10, s7, s48
	s_cmp_ge_u32 s7, s48
	s_cselect_b32 s8, s9, s8
	s_cselect_b32 s7, s10, s7
	s_add_i32 s9, s8, 1
	s_cmp_ge_u32 s7, s48
	s_cselect_b32 s7, s9, s8
	s_xor_b32 s7, s7, s6
	s_sub_i32 s6, s7, s6
	s_abs_i32 s8, s6
	s_mul_i32 s7, s6, s33
	s_mul_hi_u32 s9, s8, s54
	s_sub_i32 s7, s45, s7
	s_mul_i32 s10, s9, s50
	s_lshl_b32 s56, s7, 4
	s_ashr_i32 s7, s6, 31
	s_sub_i32 s8, s8, s10
	s_xor_b32 s7, s7, s53
	s_add_i32 s10, s9, 1
	s_sub_i32 s11, s8, s50
	s_cmp_ge_u32 s8, s50
	s_cselect_b32 s9, s10, s9
	s_cselect_b32 s8, s11, s8
	s_add_i32 s10, s9, 1
	s_cmp_ge_u32 s8, s50
	s_cselect_b32 s8, s10, s9
	s_xor_b32 s8, s8, s7
	s_sub_i32 s7, s8, s7
	s_mul_i32 s8, s7, s46
	s_lshl_b32 s57, s8, 8
	s_cmp_eq_u32 s7, s20
	s_cselect_b32 s55, s47, s46
	s_sub_i32 s58, s56, s16
	s_add_i32 s58, s58, 16
	s_and_saveexec_b64 s[8:9], s[2:3]
	s_xor_b64 s[36:37], exec, s[8:9]
	s_cbranch_execz .LBB60_38
; %bb.8:                                ;   in Loop: Header=BB60_7 Depth=1
	s_mul_i32 s7, s7, s44
	s_sub_i32 s6, s6, s7
	s_lshl_b32 s6, s6, 5
	s_sub_i32 s14, s6, s17
	s_add_i32 s14, s14, 32
	s_max_i32 s7, s14, 0
	s_sub_i32 s38, s6, s7
	s_and_saveexec_b64 s[6:7], s[0:1]
	s_xor_b64 s[40:41], exec, s[6:7]
	s_cbranch_execz .LBB60_28
; %bb.9:                                ;   in Loop: Header=BB60_7 Depth=1
	s_and_saveexec_b64 s[42:43], s[4:5]
	s_cbranch_execz .LBB60_27
; %bb.10:                               ;   in Loop: Header=BB60_7 Depth=1
	s_waitcnt lgkmcnt(0)
	global_load_dword v55, v21, s[30:31]
	v_mov_b32_e32 v7, 0
	v_cmp_gt_i32_e32 vcc, s55, v54
	v_mov_b32_e32 v6, v7
	v_mov_b32_e32 v5, v7
	;; [unrolled: 1-line block ×7, first 2 shown]
	s_and_saveexec_b64 s[6:7], vcc
	s_cbranch_execz .LBB60_23
; %bb.11:                               ;   in Loop: Header=BB60_7 Depth=1
	v_mov_b32_e32 v0, 0
	s_mov_b64 s[8:9], 0
	v_mov_b32_e32 v1, v0
	v_mov_b32_e32 v2, v0
	;; [unrolled: 1-line block ×7, first 2 shown]
	s_branch .LBB60_13
.LBB60_12:                              ;   in Loop: Header=BB60_13 Depth=2
	s_or_b64 exec, exec, s[10:11]
	v_add_u32_e32 v28, v43, v59
	v_add_u32_e32 v29, 0x1000, v28
	ds_read2_b32 v[26:27], v29 offset1:32
	v_add_u32_e32 v54, s23, v54
	v_cmp_le_i32_e32 vcc, s55, v54
	s_or_b64 s[8:9], vcc, s[8:9]
	s_waitcnt lgkmcnt(0)
	v_mfma_f32_16x16x32_fp8_fp8 v[0:3], v[8:9], v[26:27], v[0:3]
	ds_read2_b32 v[8:9], v29 offset0:128 offset1:160
	v_add_u32_e32 v26, 0x1400, v28
	s_waitcnt lgkmcnt(0)
	v_mfma_f32_16x16x32_fp8_fp8 v[0:3], v[10:11], v[8:9], v[0:3]
	ds_read2_b32 v[8:9], v26 offset1:32
	v_add_u32_e32 v10, 0x1800, v28
	s_waitcnt lgkmcnt(0)
	v_mfma_f32_16x16x32_fp8_fp8 v[0:3], v[38:39], v[8:9], v[0:3]
	ds_read2_b32 v[8:9], v26 offset0:128 offset1:160
	v_add_u32_e32 v26, 0x1c00, v28
	s_waitcnt lgkmcnt(0)
	v_mfma_f32_16x16x32_fp8_fp8 v[0:3], v[36:37], v[8:9], v[0:3]
	ds_read2_b32 v[8:9], v10 offset1:32
	s_waitcnt lgkmcnt(0)
	v_mfma_f32_16x16x32_fp8_fp8 v[0:3], v[40:41], v[8:9], v[0:3]
	ds_read2_b32 v[8:9], v10 offset0:128 offset1:160
	ds_read2_b32 v[10:11], v26 offset1:32
	s_waitcnt lgkmcnt(1)
	v_mfma_f32_16x16x32_fp8_fp8 v[0:3], v[24:25], v[8:9], v[0:3]
	ds_read2_b32 v[24:25], v26 offset0:128 offset1:160
	v_add_u32_e32 v8, s23, v57
	v_add_u32_e32 v9, 2, v42
	s_waitcnt lgkmcnt(1)
	v_mfma_f32_16x16x32_fp8_fp8 v[0:3], v[14:15], v[10:11], v[0:3]
	v_cmp_lt_i32_e32 vcc, 4, v8
	;;#ASMSTART
	s_waitcnt lgkmcnt(0)
	;;#ASMEND
	ds_write_b32 v56, v58 offset:61464
	s_waitcnt lgkmcnt(1)
	v_mfma_f32_16x16x32_fp8_fp8 v[0:3], v[12:13], v[24:25], v[0:3]
	v_cndmask_b32_e32 v42, v42, v9, vcc
	s_andn2_b64 exec, exec, s[8:9]
	s_cbranch_execz .LBB60_22
.LBB60_13:                              ;   Parent Loop BB60_7 Depth=1
                                        ; =>  This Loop Header: Depth=2
                                        ;       Child Loop BB60_15 Depth 3
                                        ;       Child Loop BB60_18 Depth 3
	;; [unrolled: 1-line block ×3, first 2 shown]
	v_cmp_gt_i32_e32 vcc, 5, v8
	s_nop 1
	v_cndmask_b32_e64 v9, -5, 0, vcc
	v_add_u32_e32 v57, v9, v8
	v_lshlrev_b32_e32 v56, 3, v57
	ds_read_b32 v8, v56 offset:61460
	s_waitcnt lgkmcnt(0)
	v_cmp_ne_u32_e32 vcc, v8, v42
	s_and_saveexec_b64 s[10:11], vcc
	s_cbranch_execz .LBB60_16
; %bb.14:                               ;   in Loop: Header=BB60_13 Depth=2
	s_mov_b64 s[12:13], 0
.LBB60_15:                              ;   Parent Loop BB60_7 Depth=1
                                        ;     Parent Loop BB60_13 Depth=2
                                        ; =>    This Inner Loop Header: Depth=3
	;;#ASMSTART
	s_sleep 0
	;;#ASMEND
	ds_read_b32 v8, v56 offset:61460
	s_waitcnt lgkmcnt(0)
	v_cmp_eq_u32_e32 vcc, v8, v42
	s_or_b64 s[12:13], vcc, s[12:13]
	s_andn2_b64 exec, exec, s[12:13]
	s_cbranch_execnz .LBB60_15
.LBB60_16:                              ;   in Loop: Header=BB60_13 Depth=2
	s_or_b64 exec, exec, s[10:11]
	v_lshlrev_b32_e32 v59, 13, v57
	v_or_b32_e32 v8, v43, v59
	v_add_u32_e32 v9, 0x400, v8
	ds_read2_b32 v[12:13], v8 offset1:32
	ds_read2_b32 v[14:15], v8 offset0:128 offset1:160
	ds_read2_b32 v[24:25], v9 offset1:32
	ds_read2_b32 v[26:27], v9 offset0:128 offset1:160
	v_add_u32_e32 v9, 0x800, v8
	v_add_u32_e32 v8, 0xc00, v8
	;; [unrolled: 1-line block ×3, first 2 shown]
	ds_read2_b32 v[28:29], v9 offset1:32
	ds_read2_b32 v[30:31], v9 offset0:128 offset1:160
	ds_read2_b32 v[34:35], v8 offset1:32
	ds_read2_b32 v[32:33], v8 offset0:128 offset1:160
	;;#ASMSTART
	s_waitcnt lgkmcnt(0)
	;;#ASMEND
	ds_write_b32 v56, v58 offset:61460
	v_lshlrev_b32_e32 v8, 2, v57
	ds_read_b32 v9, v8 offset:61440
	v_add_u32_e32 v60, 0xf000, v8
	s_waitcnt lgkmcnt(0)
	v_cmp_ne_u32_e32 vcc, v9, v42
	s_and_saveexec_b64 s[10:11], vcc
	s_cbranch_execz .LBB60_19
; %bb.17:                               ;   in Loop: Header=BB60_13 Depth=2
	s_mov_b64 s[12:13], 0
.LBB60_18:                              ;   Parent Loop BB60_7 Depth=1
                                        ;     Parent Loop BB60_13 Depth=2
                                        ; =>    This Inner Loop Header: Depth=3
	;;#ASMSTART
	s_sleep 0
	;;#ASMEND
	ds_read_b32 v8, v60
	s_waitcnt lgkmcnt(0)
	v_cmp_eq_u32_e32 vcc, v8, v42
	s_or_b64 s[12:13], vcc, s[12:13]
	s_andn2_b64 exec, exec, s[12:13]
	s_cbranch_execnz .LBB60_18
.LBB60_19:                              ;   in Loop: Header=BB60_13 Depth=2
	s_or_b64 exec, exec, s[10:11]
	v_lshl_add_u32 v61, v57, 12, v44
	ds_read2_b32 v[8:9], v61 offset1:32
	ds_read2_b32 v[10:11], v61 offset0:128 offset1:160
	v_add_u32_e32 v36, 0x400, v61
	ds_read2_b32 v[38:39], v36 offset1:32
	ds_read2_b32 v[36:37], v36 offset0:128 offset1:160
	s_waitcnt lgkmcnt(3)
	v_mfma_f32_16x16x32_fp8_fp8 v[4:7], v[8:9], v[12:13], v[4:7]
	v_add_u32_e32 v12, 0x800, v61
	ds_read2_b32 v[40:41], v12 offset1:32
	ds_write_b32 v60, v58
	s_waitcnt lgkmcnt(4)
	v_mfma_f32_16x16x32_fp8_fp8 v[4:7], v[10:11], v[14:15], v[4:7]
	s_waitcnt lgkmcnt(3)
	v_mfma_f32_16x16x32_fp8_fp8 v[4:7], v[38:39], v[24:25], v[4:7]
	ds_read2_b32 v[24:25], v12 offset0:128 offset1:160
	v_add_u32_e32 v12, 0xc00, v61
	ds_read2_b32 v[14:15], v12 offset1:32
	s_waitcnt lgkmcnt(4)
	v_mfma_f32_16x16x32_fp8_fp8 v[4:7], v[36:37], v[26:27], v[4:7]
	ds_read2_b32 v[12:13], v12 offset0:128 offset1:160
	ds_read_b32 v26, v56 offset:61464
	s_waitcnt lgkmcnt(0)
	v_cmp_ne_u32_e32 vcc, v26, v42
	v_mfma_f32_16x16x32_fp8_fp8 v[4:7], v[40:41], v[28:29], v[4:7]
	v_mfma_f32_16x16x32_fp8_fp8 v[4:7], v[24:25], v[30:31], v[4:7]
	;; [unrolled: 1-line block ×4, first 2 shown]
	s_and_saveexec_b64 s[10:11], vcc
	s_cbranch_execz .LBB60_12
; %bb.20:                               ;   in Loop: Header=BB60_13 Depth=2
	s_mov_b64 s[12:13], 0
.LBB60_21:                              ;   Parent Loop BB60_7 Depth=1
                                        ;     Parent Loop BB60_13 Depth=2
                                        ; =>    This Inner Loop Header: Depth=3
	;;#ASMSTART
	s_sleep 0
	;;#ASMEND
	ds_read_b32 v26, v56 offset:61464
	s_waitcnt lgkmcnt(0)
	v_cmp_eq_u32_e32 vcc, v26, v42
	s_or_b64 s[12:13], vcc, s[12:13]
	s_andn2_b64 exec, exec, s[12:13]
	s_cbranch_execnz .LBB60_21
	s_branch .LBB60_12
.LBB60_22:                              ;   in Loop: Header=BB60_7 Depth=1
	s_or_b64 exec, exec, s[8:9]
.LBB60_23:                              ;   in Loop: Header=BB60_7 Depth=1
	s_or_b64 exec, exec, s[6:7]
	v_cmp_le_i32_e32 vcc, s14, v16
	v_cmp_eq_u32_e64 s[6:7], 2, v46
	v_cmp_eq_u32_e64 s[8:9], 3, v46
	s_waitcnt vmcnt(0)
	v_cndmask_b32_e32 v10, 0, v55, vcc
	v_pk_mul_f32 v[6:7], v[10:11], v[6:7] op_sel_hi:[0,1]
	v_pk_mul_f32 v[10:11], v[10:11], v[4:5] op_sel_hi:[0,1]
	v_cmp_eq_u32_e32 vcc, 1, v46
	v_cmp_eq_u32_e64 s[10:11], 0, v46
	v_cmp_eq_u32_e64 s[12:13], 1, v47
	v_cndmask_b32_e32 v4, v10, v11, vcc
	v_cndmask_b32_e64 v4, v4, v6, s[6:7]
	v_cndmask_b32_e64 v4, v4, v7, s[8:9]
	ds_bpermute_b32 v12, v53, v4
	v_cmp_le_i32_e64 s[14:15], s14, v48
	s_waitcnt lgkmcnt(0)
	v_cndmask_b32_e32 v9, v11, v12, vcc
	v_cndmask_b32_e64 v10, v10, v12, s[10:11]
	v_cndmask_b32_e64 v4, v7, v12, s[8:9]
	;; [unrolled: 1-line block ×5, first 2 shown]
	v_pk_mul_f32 v[14:15], v[6:7], v[0:1] op_sel_hi:[0,1]
	v_pk_mul_f32 v[12:13], v[6:7], v[2:3] op_sel_hi:[0,1]
	v_cndmask_b32_e32 v0, v14, v15, vcc
	v_cndmask_b32_e64 v0, v0, v12, s[6:7]
	v_cndmask_b32_e64 v0, v0, v13, s[8:9]
	ds_bpermute_b32 v1, v53, v0
	v_cmp_eq_u32_e32 vcc, 2, v47
	v_cmp_eq_u32_e64 s[14:15], 3, v47
	s_waitcnt lgkmcnt(0)
	v_cndmask_b32_e64 v6, v12, v1, s[6:7]
	v_cndmask_b32_e32 v0, v7, v5, vcc
	v_cndmask_b32_e64 v0, v0, v4, s[14:15]
	v_cmp_ne_u32_e64 s[6:7], 0, v46
	ds_bpermute_b32 v2, v53, v0
	v_cndmask_b32_e64 v3, v13, v1, s[8:9]
	v_cndmask_b32_e64 v0, v15, v1, s[6:7]
	;; [unrolled: 1-line block ×4, first 2 shown]
	v_cndmask_b32_e32 v7, v7, v6, vcc
	v_cndmask_b32_e64 v7, v7, v3, s[14:15]
	ds_bpermute_b32 v7, v53, v7
	s_max_i32 s6, s58, 0
	v_add_u32_e32 v11, s6, v45
	v_cmp_gt_u32_e32 vcc, 16, v11
	s_and_saveexec_b64 s[12:13], vcc
	s_cbranch_execz .LBB60_26
; %bb.24:                               ;   in Loop: Header=BB60_7 Depth=1
	v_cmp_eq_u32_e64 s[8:9], 1, v47
	v_cmp_eq_u32_e64 s[10:11], 0, v47
	v_cmp_eq_u32_e32 vcc, 3, v47
	s_waitcnt lgkmcnt(1)
	v_cndmask_b32_e64 v9, v9, v2, s[8:9]
	s_waitcnt lgkmcnt(0)
	v_cndmask_b32_e64 v12, v0, v7, s[8:9]
	s_mul_i32 s8, s56, s17
	s_ashr_i32 s9, s8, 31
	s_lshl_b64 s[8:9], s[8:9], 1
	v_cndmask_b32_e64 v10, v10, v2, s[10:11]
	v_cndmask_b32_e64 v13, v1, v7, s[10:11]
	s_add_u32 s10, s28, s8
	s_addc_u32 s11, s29, s9
	s_ashr_i32 s39, s38, 31
	v_cvt_f16_f32_e32 v10, v10
	v_cvt_f16_f32_sdwa v9, v9 dst_sel:WORD_1 dst_unused:UNUSED_PAD src0_sel:DWORD
	s_lshl_b64 s[8:9], s[38:39], 1
	v_cvt_f16_f32_e32 v14, v13
	v_cvt_f16_f32_sdwa v15, v12 dst_sel:WORD_1 dst_unused:UNUSED_PAD src0_sel:DWORD
	s_add_u32 s8, s10, s8
	s_addc_u32 s9, s11, s9
	v_cmp_eq_u32_e64 s[6:7], 2, v47
	v_lshl_add_u64 v[0:1], v[18:19], 1, s[8:9]
	v_or_b32_e32 v9, v9, v10
	v_cmp_gt_u32_e64 s[8:9], 14, v11
	;;#ASMSTART
	global_atomic_pk_add_f16 v[0:1], v9, off
	
	;;#ASMEND
	v_lshl_add_u64 v[12:13], v[0:1], 0, 32
	v_or_b32_e32 v9, v15, v14
	;;#ASMSTART
	global_atomic_pk_add_f16 v[12:13], v9, off
	
	;;#ASMEND
	s_and_b64 exec, exec, s[8:9]
	s_cbranch_execz .LBB60_26
; %bb.25:                               ;   in Loop: Header=BB60_7 Depth=1
	v_cndmask_b32_e32 v4, v4, v2, vcc
	v_cndmask_b32_e64 v2, v5, v2, s[6:7]
	v_cndmask_b32_e32 v3, v3, v7, vcc
	v_cndmask_b32_e64 v5, v6, v7, s[6:7]
	v_cvt_f16_f32_e32 v2, v2
	v_cvt_f16_f32_sdwa v4, v4 dst_sel:WORD_1 dst_unused:UNUSED_PAD src0_sel:DWORD
	v_cvt_f16_f32_e32 v5, v5
	v_cvt_f16_f32_sdwa v3, v3 dst_sel:WORD_1 dst_unused:UNUSED_PAD src0_sel:DWORD
	v_lshl_add_u64 v[0:1], s[34:35], 2, v[0:1]
	v_or_b32_e32 v2, v4, v2
	;;#ASMSTART
	global_atomic_pk_add_f16 v[0:1], v2, off
	
	;;#ASMEND
	v_lshl_add_u64 v[0:1], v[0:1], 0, 32
	v_or_b32_e32 v2, v3, v5
	;;#ASMSTART
	global_atomic_pk_add_f16 v[0:1], v2, off
	
	;;#ASMEND
.LBB60_26:                              ;   in Loop: Header=BB60_7 Depth=1
	s_or_b64 exec, exec, s[12:13]
	v_subrev_u32_e32 v54, s55, v54
.LBB60_27:                              ;   in Loop: Header=BB60_7 Depth=1
	s_or_b64 exec, exec, s[42:43]
.LBB60_28:                              ;   in Loop: Header=BB60_7 Depth=1
	s_andn2_saveexec_b64 s[6:7], s[40:41]
	s_cbranch_execz .LBB60_37
; %bb.29:                               ;   in Loop: Header=BB60_7 Depth=1
	s_lshl_b32 s39, s55, 1
	v_cmp_gt_i32_e32 vcc, s39, v54
	s_and_saveexec_b64 s[8:9], vcc
	s_cbranch_execz .LBB60_36
; %bb.30:                               ;   in Loop: Header=BB60_7 Depth=1
	s_mul_i32 s10, s38, s19
	s_ashr_i32 s11, s10, 31
	s_waitcnt lgkmcnt(0)
	s_add_u32 s10, s26, s10
	s_addc_u32 s11, s27, s11
	s_ashr_i32 s12, s57, 31
	s_add_u32 s10, s10, s57
	s_addc_u32 s11, s11, s12
	v_lshl_add_u64 v[0:1], s[10:11], 0, v[22:23]
	v_lshl_add_u64 v[24:25], v[0:1], 0, v[20:21]
	s_mov_b64 s[10:11], 0
	s_branch .LBB60_32
.LBB60_31:                              ;   in Loop: Header=BB60_32 Depth=2
	s_or_b64 exec, exec, s[12:13]
	v_lshl_or_b32 v28, v26, 12, v49
	;;#ASMSTART
	s_waitcnt vmcnt(3)
	;;#ASMEND
	ds_write2_b32 v28, v12, v13 offset1:32
	ds_write2_b32 v28, v14, v15 offset0:64 offset1:96
	v_add_u32_e32 v12, 0x400, v28
	;;#ASMSTART
	s_waitcnt vmcnt(2)
	;;#ASMEND
	ds_write2_b32 v12, v8, v9 offset1:32
	ds_write2_b32 v12, v10, v11 offset0:64 offset1:96
	v_add_u32_e32 v8, 0x800, v28
	;; [unrolled: 6-line block ×3, first 2 shown]
	v_add_u32_e32 v54, s22, v54
	;;#ASMSTART
	s_waitcnt vmcnt(0)
	;;#ASMEND
	ds_write2_b32 v4, v0, v1 offset1:32
	ds_write2_b32 v4, v2, v3 offset0:64 offset1:96
	v_add_u32_e32 v0, 1, v42
	v_add_u32_e32 v8, s22, v26
	v_cmp_le_i32_e32 vcc, s39, v54
	ds_write_b32 v27, v0 offset:20
	v_add_u32_e32 v0, 2, v42
	s_or_b64 s[10:11], vcc, s[10:11]
	v_cmp_lt_i32_e32 vcc, 9, v8
	s_nop 1
	v_cndmask_b32_e32 v42, v42, v0, vcc
	s_andn2_b64 exec, exec, s[10:11]
	s_cbranch_execz .LBB60_35
.LBB60_32:                              ;   Parent Loop BB60_7 Depth=1
                                        ; =>  This Loop Header: Depth=2
                                        ;       Child Loop BB60_34 Depth 3
	v_cmp_gt_i32_e32 vcc, 10, v8
	s_nop 1
	v_cndmask_b32_e64 v0, -10, 0, vcc
	v_add_u32_e32 v26, v0, v8
	v_lshrrev_b32_e32 v0, 31, v54
	v_add_u32_e32 v0, v54, v0
	v_and_b32_e32 v1, -2, v0
	v_lshlrev_b32_e32 v0, 7, v0
	v_sub_u32_e32 v2, v54, v1
	v_and_b32_e32 v0, 0xffffff00, v0
	v_ashrrev_i32_e32 v1, 31, v0
	v_mul_lo_u32 v2, s49, v2
	v_lshl_add_u64 v[0:1], v[24:25], 0, v[0:1]
	v_ashrrev_i32_e32 v3, 31, v2
	v_lshl_add_u64 v[0:1], v[0:1], 0, v[2:3]
	v_lshlrev_b32_e32 v27, 2, v26
	;;#ASMSTART
	global_load_dwordx4 v[12:15], v[0:1], off offset:0    sc0 sc1 nt  
	global_load_dwordx4 v[8:11], v[0:1], off offset:64   sc0 sc1 nt  
	global_load_dwordx4 v[4:7], v[0:1], off offset:128  sc0 sc1 nt  
	global_load_dwordx4 v[0:3], v[0:1], off offset:192  sc0 sc1 nt  
	
	;;#ASMEND
	ds_read_b32 v28, v27 offset:61460
	v_add_u32_e32 v27, 0xf000, v27
	s_waitcnt lgkmcnt(0)
	v_cmp_ne_u32_e32 vcc, v28, v42
	s_and_saveexec_b64 s[12:13], vcc
	s_cbranch_execz .LBB60_31
; %bb.33:                               ;   in Loop: Header=BB60_32 Depth=2
	s_mov_b64 s[14:15], 0
.LBB60_34:                              ;   Parent Loop BB60_7 Depth=1
                                        ;     Parent Loop BB60_32 Depth=2
                                        ; =>    This Inner Loop Header: Depth=3
	;;#ASMSTART
	s_sleep 0
	;;#ASMEND
	ds_read_b32 v28, v27 offset:20
	s_waitcnt lgkmcnt(0)
	v_cmp_eq_u32_e32 vcc, v28, v42
	s_or_b64 s[14:15], vcc, s[14:15]
	s_andn2_b64 exec, exec, s[14:15]
	s_cbranch_execnz .LBB60_34
	s_branch .LBB60_31
.LBB60_35:                              ;   in Loop: Header=BB60_7 Depth=1
	s_or_b64 exec, exec, s[10:11]
.LBB60_36:                              ;   in Loop: Header=BB60_7 Depth=1
	s_or_b64 exec, exec, s[8:9]
	v_subrev_u32_e32 v54, s39, v54
.LBB60_37:                              ;   in Loop: Header=BB60_7 Depth=1
	s_or_b64 exec, exec, s[6:7]
.LBB60_38:                              ;   in Loop: Header=BB60_7 Depth=1
	s_andn2_saveexec_b64 s[6:7], s[36:37]
	s_cbranch_execz .LBB60_6
; %bb.39:                               ;   in Loop: Header=BB60_7 Depth=1
	v_cmp_gt_i32_e32 vcc, s55, v54
	s_and_saveexec_b64 s[8:9], vcc
	s_cbranch_execz .LBB60_5
; %bb.40:                               ;   in Loop: Header=BB60_7 Depth=1
	s_mul_i32 s56, s56, s18
	s_ashr_i32 s10, s56, 31
	s_waitcnt lgkmcnt(0)
	s_add_u32 s11, s24, s56
	s_addc_u32 s12, s25, s10
	s_ashr_i32 s13, s57, 31
	v_cmp_le_i32_e32 vcc, s58, v50
	s_add_u32 s10, s11, s57
	s_addc_u32 s11, s12, s13
	v_cndmask_b32_e32 v0, 0, v51, vcc
	v_ashrrev_i32_e32 v1, 31, v0
	v_lshl_add_u64 v[0:1], s[10:11], 0, v[0:1]
	v_lshl_add_u64 v[24:25], v[0:1], 0, v[20:21]
	s_mov_b64 s[10:11], 0
	s_branch .LBB60_42
.LBB60_41:                              ;   in Loop: Header=BB60_42 Depth=2
	s_or_b64 exec, exec, s[12:13]
	v_lshl_add_u32 v28, v26, 12, v52
	;;#ASMSTART
	s_waitcnt vmcnt(3)
	;;#ASMEND
	ds_write2_b32 v28, v12, v13 offset1:32
	ds_write2_b32 v28, v14, v15 offset0:64 offset1:96
	v_add_u32_e32 v12, 0x400, v28
	;;#ASMSTART
	s_waitcnt vmcnt(2)
	;;#ASMEND
	ds_write2_b32 v12, v8, v9 offset1:32
	ds_write2_b32 v12, v10, v11 offset0:64 offset1:96
	v_add_u32_e32 v8, 0x800, v28
	;; [unrolled: 6-line block ×3, first 2 shown]
	v_add_u32_e32 v54, s21, v54
	;;#ASMSTART
	s_waitcnt vmcnt(0)
	;;#ASMEND
	ds_write2_b32 v4, v0, v1 offset1:32
	ds_write2_b32 v4, v2, v3 offset0:64 offset1:96
	v_add_u32_e32 v0, 1, v42
	v_add_u32_e32 v8, s21, v26
	v_cmp_le_i32_e32 vcc, s55, v54
	ds_write_b32 v27, v0
	v_add_u32_e32 v0, 2, v42
	s_or_b64 s[10:11], vcc, s[10:11]
	v_cmp_lt_i32_e32 vcc, 4, v8
	s_nop 1
	v_cndmask_b32_e32 v42, v42, v0, vcc
	s_andn2_b64 exec, exec, s[10:11]
	s_cbranch_execz .LBB60_4
.LBB60_42:                              ;   Parent Loop BB60_7 Depth=1
                                        ; =>  This Loop Header: Depth=2
                                        ;       Child Loop BB60_44 Depth 3
	v_cmp_gt_i32_e32 vcc, 5, v8
	s_nop 1
	v_cndmask_b32_e64 v0, -5, 0, vcc
	v_add_u32_e32 v26, v0, v8
	v_lshlrev_b32_e32 v0, 8, v54
	v_ashrrev_i32_e32 v1, 31, v0
	v_lshl_add_u64 v[0:1], v[24:25], 0, v[0:1]
	v_lshlrev_b32_e32 v27, 2, v26
	;;#ASMSTART
	global_load_dwordx4 v[12:15], v[0:1], off offset:0    
	global_load_dwordx4 v[8:11], v[0:1], off offset:64   
	;; [unrolled: 1-line block ×4, first 2 shown]
	
	;;#ASMEND
	ds_read_b32 v28, v27 offset:61440
	v_add_u32_e32 v27, 0xf000, v27
	s_waitcnt lgkmcnt(0)
	v_cmp_ne_u32_e32 vcc, v28, v42
	s_and_saveexec_b64 s[12:13], vcc
	s_cbranch_execz .LBB60_41
; %bb.43:                               ;   in Loop: Header=BB60_42 Depth=2
	s_mov_b64 s[14:15], 0
.LBB60_44:                              ;   Parent Loop BB60_7 Depth=1
                                        ;     Parent Loop BB60_42 Depth=2
                                        ; =>    This Inner Loop Header: Depth=3
	;;#ASMSTART
	s_sleep 0
	;;#ASMEND
	ds_read_b32 v28, v27
	s_waitcnt lgkmcnt(0)
	v_cmp_eq_u32_e32 vcc, v28, v42
	s_or_b64 s[14:15], vcc, s[14:15]
	s_andn2_b64 exec, exec, s[14:15]
	s_cbranch_execnz .LBB60_44
	s_branch .LBB60_41
.LBB60_45:
	s_endpgm
	.section	.rodata,"a",@progbits
	.p2align	6, 0x0
	.amdhsa_kernel _Z19_skinny_gemm_kernelILi1ELi2ELi5ELi16ELi8EEvPKhS1_P6__halfPKfiiiiiiii
		.amdhsa_group_segment_fixed_size 61500
		.amdhsa_private_segment_fixed_size 0
		.amdhsa_kernarg_size 64
		.amdhsa_user_sgpr_count 2
		.amdhsa_user_sgpr_dispatch_ptr 0
		.amdhsa_user_sgpr_queue_ptr 0
		.amdhsa_user_sgpr_kernarg_segment_ptr 1
		.amdhsa_user_sgpr_dispatch_id 0
		.amdhsa_user_sgpr_kernarg_preload_length 0
		.amdhsa_user_sgpr_kernarg_preload_offset 0
		.amdhsa_user_sgpr_private_segment_size 0
		.amdhsa_uses_dynamic_stack 0
		.amdhsa_enable_private_segment 0
		.amdhsa_system_sgpr_workgroup_id_x 1
		.amdhsa_system_sgpr_workgroup_id_y 0
		.amdhsa_system_sgpr_workgroup_id_z 0
		.amdhsa_system_sgpr_workgroup_info 0
		.amdhsa_system_vgpr_workitem_id 0
		.amdhsa_next_free_vgpr 62
		.amdhsa_next_free_sgpr 59
		.amdhsa_accum_offset 64
		.amdhsa_reserve_vcc 1
		.amdhsa_float_round_mode_32 0
		.amdhsa_float_round_mode_16_64 0
		.amdhsa_float_denorm_mode_32 3
		.amdhsa_float_denorm_mode_16_64 3
		.amdhsa_dx10_clamp 1
		.amdhsa_ieee_mode 1
		.amdhsa_fp16_overflow 0
		.amdhsa_tg_split 0
		.amdhsa_exception_fp_ieee_invalid_op 0
		.amdhsa_exception_fp_denorm_src 0
		.amdhsa_exception_fp_ieee_div_zero 0
		.amdhsa_exception_fp_ieee_overflow 0
		.amdhsa_exception_fp_ieee_underflow 0
		.amdhsa_exception_fp_ieee_inexact 0
		.amdhsa_exception_int_div_zero 0
	.end_amdhsa_kernel
	.section	.text._Z19_skinny_gemm_kernelILi1ELi2ELi5ELi16ELi8EEvPKhS1_P6__halfPKfiiiiiiii,"axG",@progbits,_Z19_skinny_gemm_kernelILi1ELi2ELi5ELi16ELi8EEvPKhS1_P6__halfPKfiiiiiiii,comdat
.Lfunc_end60:
	.size	_Z19_skinny_gemm_kernelILi1ELi2ELi5ELi16ELi8EEvPKhS1_P6__halfPKfiiiiiiii, .Lfunc_end60-_Z19_skinny_gemm_kernelILi1ELi2ELi5ELi16ELi8EEvPKhS1_P6__halfPKfiiiiiiii
                                        ; -- End function
	.set _Z19_skinny_gemm_kernelILi1ELi2ELi5ELi16ELi8EEvPKhS1_P6__halfPKfiiiiiiii.num_vgpr, 62
	.set _Z19_skinny_gemm_kernelILi1ELi2ELi5ELi16ELi8EEvPKhS1_P6__halfPKfiiiiiiii.num_agpr, 0
	.set _Z19_skinny_gemm_kernelILi1ELi2ELi5ELi16ELi8EEvPKhS1_P6__halfPKfiiiiiiii.numbered_sgpr, 59
	.set _Z19_skinny_gemm_kernelILi1ELi2ELi5ELi16ELi8EEvPKhS1_P6__halfPKfiiiiiiii.num_named_barrier, 0
	.set _Z19_skinny_gemm_kernelILi1ELi2ELi5ELi16ELi8EEvPKhS1_P6__halfPKfiiiiiiii.private_seg_size, 0
	.set _Z19_skinny_gemm_kernelILi1ELi2ELi5ELi16ELi8EEvPKhS1_P6__halfPKfiiiiiiii.uses_vcc, 1
	.set _Z19_skinny_gemm_kernelILi1ELi2ELi5ELi16ELi8EEvPKhS1_P6__halfPKfiiiiiiii.uses_flat_scratch, 0
	.set _Z19_skinny_gemm_kernelILi1ELi2ELi5ELi16ELi8EEvPKhS1_P6__halfPKfiiiiiiii.has_dyn_sized_stack, 0
	.set _Z19_skinny_gemm_kernelILi1ELi2ELi5ELi16ELi8EEvPKhS1_P6__halfPKfiiiiiiii.has_recursion, 0
	.set _Z19_skinny_gemm_kernelILi1ELi2ELi5ELi16ELi8EEvPKhS1_P6__halfPKfiiiiiiii.has_indirect_call, 0
	.section	.AMDGPU.csdata,"",@progbits
; Kernel info:
; codeLenInByte = 3576
; TotalNumSgprs: 65
; NumVgprs: 62
; NumAgprs: 0
; TotalNumVgprs: 62
; ScratchSize: 0
; MemoryBound: 0
; FloatMode: 240
; IeeeMode: 1
; LDSByteSize: 61500 bytes/workgroup (compile time only)
; SGPRBlocks: 8
; VGPRBlocks: 7
; NumSGPRsForWavesPerEU: 65
; NumVGPRsForWavesPerEU: 62
; AccumOffset: 64
; Occupancy: 8
; WaveLimiterHint : 0
; COMPUTE_PGM_RSRC2:SCRATCH_EN: 0
; COMPUTE_PGM_RSRC2:USER_SGPR: 2
; COMPUTE_PGM_RSRC2:TRAP_HANDLER: 0
; COMPUTE_PGM_RSRC2:TGID_X_EN: 1
; COMPUTE_PGM_RSRC2:TGID_Y_EN: 0
; COMPUTE_PGM_RSRC2:TGID_Z_EN: 0
; COMPUTE_PGM_RSRC2:TIDIG_COMP_CNT: 0
; COMPUTE_PGM_RSRC3_GFX90A:ACCUM_OFFSET: 15
; COMPUTE_PGM_RSRC3_GFX90A:TG_SPLIT: 0
	.section	.text._Z19_skinny_gemm_kernelILi1ELi2ELi5ELi32ELi4EEvPKhS1_P6__halfPKfiiiiiiii,"axG",@progbits,_Z19_skinny_gemm_kernelILi1ELi2ELi5ELi32ELi4EEvPKhS1_P6__halfPKfiiiiiiii,comdat
	.protected	_Z19_skinny_gemm_kernelILi1ELi2ELi5ELi32ELi4EEvPKhS1_P6__halfPKfiiiiiiii ; -- Begin function _Z19_skinny_gemm_kernelILi1ELi2ELi5ELi32ELi4EEvPKhS1_P6__halfPKfiiiiiiii
	.globl	_Z19_skinny_gemm_kernelILi1ELi2ELi5ELi32ELi4EEvPKhS1_P6__halfPKfiiiiiiii
	.p2align	8
	.type	_Z19_skinny_gemm_kernelILi1ELi2ELi5ELi32ELi4EEvPKhS1_P6__halfPKfiiiiiiii,@function
_Z19_skinny_gemm_kernelILi1ELi2ELi5ELi32ELi4EEvPKhS1_P6__halfPKfiiiiiiii: ; @_Z19_skinny_gemm_kernelILi1ELi2ELi5ELi32ELi4EEvPKhS1_P6__halfPKfiiiiiiii
; %bb.0:
	v_cmp_gt_u32_e32 vcc, 15, v0
	s_and_saveexec_b64 s[4:5], vcc
; %bb.1:
	v_lshlrev_b32_e32 v1, 2, v0
	v_mov_b32_e32 v2, 0
	ds_write_b32 v1, v2 offset:30720
; %bb.2:
	s_or_b64 exec, exec, s[4:5]
	s_load_dwordx8 s[16:23], s[0:1], 0x20
	s_waitcnt lgkmcnt(0)
	s_barrier
	s_add_i32 s3, s16, 31
	s_ashr_i32 s5, s3, 31
	s_add_i32 s4, s17, 63
	s_lshr_b32 s5, s5, 27
	s_ashr_i32 s6, s4, 31
	s_add_i32 s3, s3, s5
	s_ashr_i32 s11, s3, 5
	s_lshr_b32 s3, s6, 26
	s_add_i32 s4, s4, s3
	s_ashr_i32 s12, s4, 6
	s_mul_i32 s3, s12, s11
	s_mul_i32 s3, s3, s20
	s_add_i32 s4, s3, 0x12f
	s_mul_hi_i32 s4, s4, 0x6bca1af3
	s_lshr_b32 s5, s4, 31
	s_ashr_i32 s4, s4, 7
	s_add_i32 s4, s4, s5
	s_add_i32 s5, s2, 1
	s_mul_i32 s5, s4, s5
	v_cvt_f64_i32_e32 v[2:3], s3
	v_cvt_f64_u32_e32 v[4:5], s5
	v_min_f64 v[2:3], v[2:3], v[4:5]
	v_cvt_i32_f64_e32 v62, v[2:3]
	s_mul_i32 s33, s4, s2
	v_cmp_ge_i32_e32 vcc, s33, v62
	s_cbranch_vccnz .LBB61_51
; %bb.3:
	s_load_dwordx8 s[44:51], s[0:1], 0x0
	v_lshrrev_b32_e32 v1, 6, v0
	s_add_i32 s0, s22, s21
	v_cmp_le_i32_e64 s[14:15], s0, v1
	v_mov_b32_e32 v2, s21
	v_cmp_le_i32_e64 s[24:25], s21, v1
	v_mov_b32_e32 v3, s22
	v_cndmask_b32_e64 v3, 0, v3, s[14:15]
	v_cndmask_b32_e64 v2, 0, v2, s[24:25]
	s_abs_i32 s1, s20
	v_add_u32_e32 v2, v2, v3
	v_cvt_f32_u32_e32 v3, s1
	v_sub_u32_e32 v54, v1, v2
	s_ashr_i32 s2, s18, 31
	s_lshr_b32 s2, s2, 26
	v_rcp_iflag_f32_e32 v2, v3
	s_sub_i32 s5, 0, s1
	s_add_i32 s2, s18, s2
	s_ashr_i32 s2, s2, 6
	v_mul_f32_e32 v2, 0x4f7ffffe, v2
	v_cvt_u32_f32_e32 v2, v2
	s_abs_i32 s4, s2
	s_xor_b32 s3, s2, s20
	s_ashr_i32 s3, s3, 31
	v_readfirstlane_b32 s6, v2
	s_mul_i32 s5, s5, s6
	s_mul_hi_u32 s5, s6, s5
	s_add_i32 s6, s6, s5
	s_mul_hi_u32 s5, s4, s6
	s_mul_i32 s6, s5, s1
	s_sub_i32 s4, s4, s6
	s_add_i32 s6, s5, 1
	s_sub_i32 s7, s4, s1
	s_cmp_ge_u32 s4, s1
	s_cselect_b32 s5, s6, s5
	s_cselect_b32 s4, s7, s4
	s_add_i32 s6, s5, 1
	s_cmp_ge_u32 s4, s1
	s_cselect_b32 s1, s6, s5
	s_add_i32 s0, s0, s23
	v_and_b32_e32 v64, 31, v0
	v_lshrrev_b32_e32 v2, 3, v0
	v_cmp_gt_i32_e64 s[28:29], s0, v1
	v_lshlrev_b32_e32 v1, 2, v64
	v_and_b32_e32 v3, 4, v2
	v_and_b32_e32 v5, 1, v0
	v_lshlrev_b32_e32 v2, 6, v3
	v_or_b32_e32 v4, 0x5000, v1
	v_or_b32_e32 v3, v3, v5
	;; [unrolled: 1-line block ×4, first 2 shown]
	v_lshlrev_b32_e32 v2, 1, v5
	v_or_b32_e32 v5, 2, v3
	v_sub_u32_e32 v77, 32, v5
	v_or_b32_e32 v5, 8, v3
	v_sub_u32_e32 v78, 32, v5
	;; [unrolled: 2-line block ×4, first 2 shown]
	v_or_b32_e32 v5, 18, v3
	s_add_i32 s26, s20, -1
	v_sub_u32_e32 v81, 32, v5
	v_or_b32_e32 v5, 24, v3
	s_abs_i32 s20, s11
	v_sub_u32_e32 v76, 32, v3
	v_mul_lo_u32 v34, s17, v3
	v_sub_u32_e32 v82, 32, v5
	v_or_b32_e32 v3, 26, v3
	v_cvt_f32_u32_e32 v5, s20
	v_sub_u32_e32 v83, 32, v3
	v_lshrrev_b32_e32 v3, 1, v0
                                        ; implicit-def: $vgpr100 : SGPR spill to VGPR lane
	v_and_b32_e32 v50, 16, v3
	v_lshlrev_b32_e32 v3, 4, v0
	v_writelane_b32 v100, s11, 0
	v_and_b32_e32 v3, 0x200, v3
	v_writelane_b32 v100, s12, 1
	v_or_b32_e32 v84, v1, v3
	v_rcp_iflag_f32_e32 v1, v5
	s_waitcnt lgkmcnt(0)
	v_writelane_b32 v100, s44, 2
	v_sub_u32_e32 v2, v0, v2
	v_add_u32_e32 v2, 1, v2
	v_writelane_b32 v100, s45, 3
	v_writelane_b32 v100, s46, 4
	s_abs_i32 s98, s12
	v_writelane_b32 v100, s47, 5
	s_xor_b32 s1, s1, s3
	v_and_b32_e32 v6, 63, v2
	v_bitop3_b32 v67, v0, 1, v0 bitop3:0xc
	v_bitop3_b32 v68, v0, 3, 1 bitop3:0x6c
	;; [unrolled: 1-line block ×8, first 2 shown]
	v_and_b32_e32 v2, 30, v0
	v_bitop3_b32 v85, v0, 31, v0 bitop3:0xc
	v_mul_f32_e32 v0, 0x4f7ffffe, v1
	v_cvt_f32_u32_e32 v1, s98
	v_writelane_b32 v100, s48, 6
	s_sub_i32 s13, s1, s3
	v_writelane_b32 v100, s49, 7
	s_mul_i32 s1, s13, s26
	s_lshl_b32 s0, s17, 1
	v_writelane_b32 v100, s50, 8
	s_sub_i32 s27, s2, s1
	v_add_u32_e32 v36, s0, v34
	s_mul_i32 s1, s17, 6
	v_writelane_b32 v100, s51, 9
	v_cndmask_b32_e64 v63, 0, 1, s[14:15]
	v_add_u32_e32 v38, s1, v36
	v_cvt_u32_f32_e32 v0, v0
	v_rcp_iflag_f32_e32 v1, v1
	v_writelane_b32 v100, s14, 10
	v_add_u32_e32 v40, s0, v38
	v_add_u32_e32 v42, s1, v40
	v_writelane_b32 v100, s15, 11
	v_writelane_b32 v100, s24, 12
	v_add_u32_e32 v44, s0, v42
	v_add_u32_e32 v46, s1, v44
	v_writelane_b32 v100, s25, 13
	v_readfirstlane_b32 s1, v0
	v_mul_f32_e32 v0, 0x4f7ffffe, v1
	v_writelane_b32 v100, s13, 14
	v_cvt_u32_f32_e32 v0, v0
	v_writelane_b32 v100, s26, 15
	v_add_u32_e32 v48, s0, v46
	s_sub_i32 s0, 0, s20
	v_writelane_b32 v100, s27, 16
	s_mul_i32 s0, s0, s1
	v_writelane_b32 v100, s28, 17
	s_lshl_b32 s30, s19, 5
	s_mul_hi_u32 s0, s1, s0
	v_writelane_b32 v100, s29, 18
	s_ashr_i32 s31, s11, 31
	s_add_i32 s34, s1, s0
	s_sub_i32 s0, 0, s98
	v_readfirstlane_b32 s1, v0
	v_mbcnt_lo_u32_b32 v0, -1, 0
	v_writelane_b32 v100, s30, 19
	s_mul_i32 s0, s0, s1
	v_mbcnt_hi_u32_b32 v0, -1, v0
	v_writelane_b32 v100, s31, 20
	v_mov_b32_e32 v33, 0
	v_mul_lo_u32 v52, s19, v64
	s_ashr_i32 s35, s12, 31
	s_mul_hi_u32 s0, s1, s0
	v_and_or_b32 v0, v0, 64, v6
	v_writelane_b32 v100, s34, 21
	v_or_b32_e32 v75, 32, v64
	v_ashrrev_i32_e32 v35, 31, v34
	v_ashrrev_i32_e32 v37, 31, v36
	;; [unrolled: 1-line block ×9, first 2 shown]
	v_mov_b32_e32 v51, v33
	v_mul_lo_u32 v86, s18, v64
	v_or_b32_e32 v87, v4, v3
	s_add_i32 s36, s1, s0
	v_lshlrev_b32_e32 v32, 1, v2
	v_lshlrev_b32_e32 v88, 2, v0
	v_mov_b32_e32 v89, v54
	v_writelane_b32 v100, s35, 22
	v_writelane_b32 v100, s36, 23
	s_branch .LBB61_7
.LBB61_4:                               ;   in Loop: Header=BB61_7 Depth=1
	s_or_b64 exec, exec, s[4:5]
.LBB61_5:                               ;   in Loop: Header=BB61_7 Depth=1
	s_or_b64 exec, exec, s[2:3]
	v_subrev_u32_e32 v89, s99, v89
.LBB61_6:                               ;   in Loop: Header=BB61_7 Depth=1
	s_or_b64 exec, exec, s[0:1]
	s_add_i32 s33, s33, 1
	v_cmp_ge_i32_e32 vcc, s33, v62
	s_cbranch_vccnz .LBB61_51
.LBB61_7:                               ; =>This Loop Header: Depth=1
                                        ;     Child Loop BB61_13 Depth 2
                                        ;       Child Loop BB61_15 Depth 3
                                        ;       Child Loop BB61_18 Depth 3
	;; [unrolled: 1-line block ×3, first 2 shown]
                                        ;     Child Loop BB61_38 Depth 2
                                        ;       Child Loop BB61_40 Depth 3
                                        ;     Child Loop BB61_48 Depth 2
                                        ;       Child Loop BB61_50 Depth 3
	s_abs_i32 s1, s33
	s_mul_hi_u32 s2, s1, s34
	s_mul_i32 s3, s2, s20
	s_ashr_i32 s0, s33, 31
	s_sub_i32 s1, s1, s3
	s_xor_b32 s0, s0, s31
	s_add_i32 s3, s2, 1
	s_sub_i32 s4, s1, s20
	s_cmp_ge_u32 s1, s20
	s_cselect_b32 s2, s3, s2
	s_cselect_b32 s1, s4, s1
	s_add_i32 s3, s2, 1
	s_cmp_ge_u32 s1, s20
	s_cselect_b32 s1, s3, s2
	s_xor_b32 s1, s1, s0
	s_sub_i32 s0, s1, s0
	s_abs_i32 s2, s0
	s_mul_i32 s1, s0, s11
	s_mul_hi_u32 s3, s2, s36
	s_sub_i32 s1, s33, s1
	s_mul_i32 s4, s3, s98
	s_lshl_b32 s52, s1, 5
	s_ashr_i32 s1, s0, 31
	s_sub_i32 s2, s2, s4
	s_xor_b32 s1, s1, s35
	s_add_i32 s4, s3, 1
	s_sub_i32 s5, s2, s98
	s_cmp_ge_u32 s2, s98
	s_cselect_b32 s3, s4, s3
	s_cselect_b32 s2, s5, s2
	s_add_i32 s4, s3, 1
	s_cmp_ge_u32 s2, s98
	s_cselect_b32 s2, s4, s3
	s_xor_b32 s2, s2, s1
	s_sub_i32 s1, s2, s1
	s_mul_i32 s2, s1, s13
	s_lshl_b32 s37, s2, 6
	s_cmp_eq_u32 s1, s26
	s_cselect_b32 s99, s27, s13
	s_sub_i32 s2, s52, s16
	s_add_i32 s53, s2, 32
	s_and_saveexec_b64 s[2:3], s[24:25]
	s_xor_b64 s[38:39], exec, s[2:3]
	s_cbranch_execz .LBB61_44
; %bb.8:                                ;   in Loop: Header=BB61_7 Depth=1
	s_mul_i32 s1, s1, s12
	s_sub_i32 s0, s0, s1
	s_lshl_b32 s0, s0, 6
	s_sub_i32 s90, s0, s17
	s_add_i32 s90, s90, 64
	s_max_i32 s1, s90, 0
	s_sub_i32 s54, s0, s1
	s_and_saveexec_b64 s[0:1], s[14:15]
	s_xor_b64 s[4:5], exec, s[0:1]
	s_cbranch_execz .LBB61_34
; %bb.9:                                ;   in Loop: Header=BB61_7 Depth=1
	s_and_saveexec_b64 s[2:3], s[28:29]
	s_cbranch_execz .LBB61_33
; %bb.10:                               ;   in Loop: Header=BB61_7 Depth=1
	global_load_dword v90, v33, s[50:51]
	v_writelane_b32 v100, s2, 24
	v_mov_b32_e32 v31, 0
	v_cmp_gt_i32_e32 vcc, s99, v89
	v_writelane_b32 v100, s3, 25
	v_writelane_b32 v100, s4, 26
	v_mov_b32_e32 v30, v31
	v_mov_b32_e32 v29, v31
	;; [unrolled: 1-line block ×12, first 2 shown]
	s_waitcnt lgkmcnt(1)
	v_mov_b32_e32 v18, v31
	v_mov_b32_e32 v17, v31
	;; [unrolled: 1-line block ×19, first 2 shown]
	v_writelane_b32 v100, s5, 27
	s_and_saveexec_b64 s[0:1], vcc
	s_cbranch_execz .LBB61_23
; %bb.11:                               ;   in Loop: Header=BB61_7 Depth=1
	v_mov_b32_e32 v0, 0
	s_mov_b64 s[2:3], 0
	v_mov_b32_e32 v1, v0
	v_mov_b32_e32 v2, v0
	;; [unrolled: 1-line block ×31, first 2 shown]
	s_branch .LBB61_13
.LBB61_12:                              ;   in Loop: Header=BB61_13 Depth=2
	s_or_b64 exec, exec, s[4:5]
	v_add_u32_e32 v96, v66, v94
	v_add_u32_e32 v97, 0x800, v96
	ds_read2_b32 v[94:95], v97 offset1:32
	v_add_u32_e32 v89, s23, v89
	v_cmp_le_i32_e32 vcc, s99, v89
	s_or_b64 s[2:3], vcc, s[2:3]
	ds_write_b32 v92, v93 offset:30732
	s_waitcnt lgkmcnt(1)
	v_mfma_f32_32x32x16_fp8_fp8 v[0:15], v[58:59], v[94:95], v[0:15]
	ds_read2_b32 v[58:59], v97 offset0:128 offset1:160
	s_waitcnt lgkmcnt(0)
	v_mfma_f32_32x32x16_fp8_fp8 v[0:15], v[56:57], v[58:59], v[0:15]
	v_add_u32_e32 v58, 0xc00, v96
	ds_read2_b32 v[56:57], v58 offset1:32
	s_waitcnt lgkmcnt(0)
	v_mfma_f32_32x32x16_fp8_fp8 v[0:15], v[54:55], v[56:57], v[0:15]
	ds_read2_b32 v[54:55], v58 offset0:128 offset1:160
	s_waitcnt lgkmcnt(0)
	v_mfma_f32_32x32x16_fp8_fp8 v[0:15], v[60:61], v[54:55], v[0:15]
	v_add_u32_e32 v54, s23, v91
	v_add_u32_e32 v55, 2, v63
	v_cmp_lt_i32_e32 vcc, 4, v54
	s_nop 1
	v_cndmask_b32_e32 v63, v63, v55, vcc
	s_andn2_b64 exec, exec, s[2:3]
	s_cbranch_execz .LBB61_22
.LBB61_13:                              ;   Parent Loop BB61_7 Depth=1
                                        ; =>  This Loop Header: Depth=2
                                        ;       Child Loop BB61_15 Depth 3
                                        ;       Child Loop BB61_18 Depth 3
	;; [unrolled: 1-line block ×3, first 2 shown]
	v_cmp_gt_i32_e32 vcc, 5, v54
	s_nop 1
	v_cndmask_b32_e64 v55, -5, 0, vcc
	v_add_u32_e32 v91, v55, v54
	v_lshlrev_b32_e32 v92, 4, v91
	ds_read_b32 v54, v92 offset:30720
	s_waitcnt lgkmcnt(0)
	v_cmp_ne_u32_e32 vcc, v54, v63
	s_and_saveexec_b64 s[4:5], vcc
	s_cbranch_execz .LBB61_16
; %bb.14:                               ;   in Loop: Header=BB61_13 Depth=2
	s_mov_b64 s[6:7], 0
.LBB61_15:                              ;   Parent Loop BB61_7 Depth=1
                                        ;     Parent Loop BB61_13 Depth=2
                                        ; =>    This Inner Loop Header: Depth=3
	;;#ASMSTART
	s_sleep 0
	;;#ASMEND
	ds_read_b32 v54, v92 offset:30720
	s_waitcnt lgkmcnt(0)
	v_cmp_eq_u32_e32 vcc, v54, v63
	s_or_b64 s[6:7], vcc, s[6:7]
	s_andn2_b64 exec, exec, s[6:7]
	s_cbranch_execnz .LBB61_15
.LBB61_16:                              ;   in Loop: Header=BB61_13 Depth=2
	s_or_b64 exec, exec, s[4:5]
	v_lshl_add_u32 v54, v91, 11, v65
	v_add_u32_e32 v60, 0x400, v54
	ds_read2_b32 v[58:59], v54 offset1:32
	ds_read2_b32 v[56:57], v54 offset0:128 offset1:160
	ds_read2_b32 v[54:55], v60 offset1:32
	ds_read_b32 v94, v92 offset:30724
	ds_read2_b32 v[60:61], v60 offset0:128 offset1:160
	v_add_u32_e32 v93, 1, v63
	ds_write_b32 v92, v93 offset:30720
	s_waitcnt lgkmcnt(2)
	v_cmp_ne_u32_e32 vcc, v94, v63
	s_and_saveexec_b64 s[4:5], vcc
	s_cbranch_execz .LBB61_19
; %bb.17:                               ;   in Loop: Header=BB61_13 Depth=2
	s_mov_b64 s[6:7], 0
.LBB61_18:                              ;   Parent Loop BB61_7 Depth=1
                                        ;     Parent Loop BB61_13 Depth=2
                                        ; =>    This Inner Loop Header: Depth=3
	;;#ASMSTART
	s_sleep 0
	;;#ASMEND
	ds_read_b32 v94, v92 offset:30724
	s_waitcnt lgkmcnt(0)
	v_cmp_eq_u32_e32 vcc, v94, v63
	s_or_b64 s[6:7], vcc, s[6:7]
	s_andn2_b64 exec, exec, s[6:7]
	s_cbranch_execnz .LBB61_18
.LBB61_19:                              ;   in Loop: Header=BB61_13 Depth=2
	s_or_b64 exec, exec, s[4:5]
	v_lshlrev_b32_e32 v94, 12, v91
	v_or_b32_e32 v95, v66, v94
	ds_read2_b32 v[96:97], v95 offset1:32
	ds_write_b32 v92, v93 offset:30724
	s_waitcnt lgkmcnt(1)
	v_mfma_f32_32x32x16_fp8_fp8 v[16:31], v[58:59], v[96:97], v[16:31]
	ds_read2_b32 v[96:97], v95 offset0:128 offset1:160
	v_add_u32_e32 v95, 0x400, v95
	s_waitcnt lgkmcnt(0)
	v_mfma_f32_32x32x16_fp8_fp8 v[16:31], v[56:57], v[96:97], v[16:31]
	ds_read2_b32 v[96:97], v95 offset1:32
	s_waitcnt lgkmcnt(0)
	v_mfma_f32_32x32x16_fp8_fp8 v[16:31], v[54:55], v[96:97], v[16:31]
	ds_read2_b32 v[96:97], v95 offset0:128 offset1:160
	ds_read_b32 v95, v92 offset:30732
	s_waitcnt lgkmcnt(0)
	v_cmp_ne_u32_e32 vcc, v95, v63
	v_mfma_f32_32x32x16_fp8_fp8 v[16:31], v[60:61], v[96:97], v[16:31]
	s_and_saveexec_b64 s[4:5], vcc
	s_cbranch_execz .LBB61_12
; %bb.20:                               ;   in Loop: Header=BB61_13 Depth=2
	s_mov_b64 s[6:7], 0
.LBB61_21:                              ;   Parent Loop BB61_7 Depth=1
                                        ;     Parent Loop BB61_13 Depth=2
                                        ; =>    This Inner Loop Header: Depth=3
	;;#ASMSTART
	s_sleep 0
	;;#ASMEND
	ds_read_b32 v95, v92 offset:30732
	s_waitcnt lgkmcnt(0)
	v_cmp_eq_u32_e32 vcc, v95, v63
	s_or_b64 s[6:7], vcc, s[6:7]
	s_andn2_b64 exec, exec, s[6:7]
	s_cbranch_execnz .LBB61_21
	s_branch .LBB61_12
.LBB61_22:                              ;   in Loop: Header=BB61_7 Depth=1
	s_or_b64 exec, exec, s[2:3]
.LBB61_23:                              ;   in Loop: Header=BB61_7 Depth=1
	v_writelane_b32 v100, s54, 28
	s_nop 1
	v_writelane_b32 v100, s55, 29
	v_writelane_b32 v100, s38, 30
	s_nop 1
	v_writelane_b32 v100, s39, 31
	v_writelane_b32 v100, s53, 32
	;; [unrolled: 1-line block ×4, first 2 shown]
	s_or_b64 exec, exec, s[0:1]
	v_cmp_le_i32_e32 vcc, s90, v64
	v_cmp_eq_u32_e64 s[86:87], 1, v67
	v_cmp_eq_u32_e64 s[50:51], 2, v67
	s_waitcnt vmcnt(0)
	v_cndmask_b32_e32 v56, 0, v90, vcc
	v_pk_mul_f32 v[16:17], v[56:57], v[16:17] op_sel_hi:[0,1]
	v_pk_mul_f32 v[18:19], v[56:57], v[18:19] op_sel_hi:[0,1]
	v_cndmask_b32_e64 v55, v16, v17, s[86:87]
	v_cndmask_b32_e64 v55, v55, v18, s[50:51]
	v_cmp_eq_u32_e64 s[52:53], 3, v67
	v_pk_mul_f32 v[20:21], v[56:57], v[20:21] op_sel_hi:[0,1]
	v_cmp_eq_u32_e64 s[56:57], 4, v67
	v_cndmask_b32_e64 v55, v55, v19, s[52:53]
	v_cmp_eq_u32_e64 s[60:61], 5, v67
	v_cndmask_b32_e64 v55, v55, v20, s[56:57]
	v_pk_mul_f32 v[22:23], v[56:57], v[22:23] op_sel_hi:[0,1]
	v_cndmask_b32_e64 v55, v55, v21, s[60:61]
	v_cmp_eq_u32_e64 s[64:65], 6, v67
	v_cmp_eq_u32_e64 s[68:69], 7, v67
	v_pk_mul_f32 v[24:25], v[56:57], v[24:25] op_sel_hi:[0,1]
	v_cndmask_b32_e64 v55, v55, v22, s[64:65]
	v_cndmask_b32_e64 v55, v55, v23, s[68:69]
	v_cmp_eq_u32_e64 s[72:73], 8, v67
	v_cmp_eq_u32_e64 s[74:75], 9, v67
	v_pk_mul_f32 v[26:27], v[56:57], v[26:27] op_sel_hi:[0,1]
	v_cndmask_b32_e64 v55, v55, v24, s[72:73]
	v_cndmask_b32_e64 v55, v55, v25, s[74:75]
	v_cmp_eq_u32_e64 s[76:77], 10, v67
	v_cmp_eq_u32_e64 s[78:79], 11, v67
	v_pk_mul_f32 v[28:29], v[56:57], v[28:29] op_sel_hi:[0,1]
	v_cndmask_b32_e64 v55, v55, v26, s[76:77]
	v_cndmask_b32_e64 v55, v55, v27, s[78:79]
	v_cmp_eq_u32_e64 s[80:81], 12, v67
	v_cmp_eq_u32_e64 s[82:83], 13, v67
	v_pk_mul_f32 v[30:31], v[56:57], v[30:31] op_sel_hi:[0,1]
	v_cndmask_b32_e64 v55, v55, v28, s[80:81]
	v_cndmask_b32_e64 v55, v55, v29, s[82:83]
	v_cmp_eq_u32_e64 s[84:85], 14, v67
	v_cmp_eq_u32_e64 s[88:89], 15, v67
	;; [unrolled: 1-line block ×3, first 2 shown]
	v_cndmask_b32_e64 v55, v55, v30, s[84:85]
	v_cndmask_b32_e64 v55, v55, v31, s[88:89]
	ds_bpermute_b32 v55, v88, v55
	v_cmp_eq_u32_e64 s[24:25], 1, v68
	v_cmp_eq_u32_e64 s[26:27], 2, v68
	;; [unrolled: 1-line block ×4, first 2 shown]
	s_waitcnt lgkmcnt(0)
	v_cndmask_b32_e64 v17, v17, v55, s[86:87]
	v_cndmask_b32_e64 v16, v16, v55, s[70:71]
	v_cndmask_b32_e64 v91, v18, v55, s[50:51]
	v_cndmask_b32_e64 v18, v16, v17, s[24:25]
	v_cndmask_b32_e64 v61, v19, v55, s[52:53]
	v_cndmask_b32_e64 v18, v18, v91, s[26:27]
	v_cndmask_b32_e64 v60, v20, v55, s[56:57]
	v_cndmask_b32_e64 v18, v18, v61, s[28:29]
	v_cndmask_b32_e64 v59, v21, v55, s[60:61]
	v_cndmask_b32_e64 v18, v18, v60, s[30:31]
	v_cmp_eq_u32_e64 s[34:35], 5, v68
	v_cndmask_b32_e64 v58, v22, v55, s[64:65]
	v_cmp_eq_u32_e64 s[36:37], 6, v68
	v_cndmask_b32_e64 v18, v18, v59, s[34:35]
	v_cndmask_b32_e64 v57, v23, v55, s[68:69]
	v_cndmask_b32_e64 v18, v18, v58, s[36:37]
	v_cmp_eq_u32_e64 s[38:39], 7, v68
	v_cndmask_b32_e64 v56, v24, v55, s[72:73]
	v_cmp_eq_u32_e64 s[42:43], 8, v68
	v_cndmask_b32_e64 v18, v18, v57, s[38:39]
	v_cndmask_b32_e64 v25, v25, v55, s[74:75]
	v_cndmask_b32_e64 v18, v18, v56, s[42:43]
	;; [unrolled: 6-line block ×5, first 2 shown]
	v_cmp_eq_u32_e64 s[66:67], 15, v68
	v_cmp_le_i32_e64 s[90:91], s90, v75
	v_cmp_eq_u32_e64 s[40:41], 0, v68
	v_cndmask_b32_e64 v18, v18, v31, s[66:67]
	ds_bpermute_b32 v55, v88, v18
	v_cmp_eq_u32_e64 s[2:3], 1, v69
	v_cmp_eq_u32_e64 s[6:7], 2, v69
	;; [unrolled: 1-line block ×4, first 2 shown]
	s_waitcnt lgkmcnt(0)
	v_cndmask_b32_e64 v24, v25, v55, s[44:45]
	v_cndmask_b32_e64 v25, v56, v55, s[42:43]
	;; [unrolled: 1-line block ×3, first 2 shown]
	v_pk_mul_f32 v[0:1], v[56:57], v[0:1] op_sel_hi:[0,1]
	v_pk_mul_f32 v[14:15], v[56:57], v[14:15] op_sel_hi:[0,1]
	;; [unrolled: 1-line block ×8, first 2 shown]
	v_cndmask_b32_e64 v56, v0, v1, s[86:87]
	v_cndmask_b32_e64 v56, v56, v2, s[50:51]
	;; [unrolled: 1-line block ×32, first 2 shown]
	v_cmp_eq_u32_e64 s[12:13], 5, v69
	v_cndmask_b32_e64 v56, v56, v15, s[88:89]
	v_cmp_eq_u32_e64 s[14:15], 6, v69
	v_cndmask_b32_e64 v55, v55, v28, s[12:13]
	ds_bpermute_b32 v56, v88, v56
	v_cndmask_b32_e64 v55, v55, v27, s[14:15]
	v_cmp_eq_u32_e64 s[96:97], 7, v69
	v_cmp_eq_u32_e64 s[4:5], 8, v69
	v_cmp_eq_u32_e32 vcc, 9, v69
	v_cndmask_b32_e64 v55, v55, v26, s[96:97]
	v_cndmask_b32_e64 v55, v55, v25, s[4:5]
	v_cndmask_b32_e32 v55, v55, v24, vcc
	v_cmp_eq_u32_e64 s[0:1], 10, v69
	v_cmp_eq_u32_e64 s[86:87], 11, v69
	s_waitcnt lgkmcnt(0)
	v_cndmask_b32_e64 v2, v2, v56, s[50:51]
	v_cndmask_b32_e64 v55, v55, v23, s[0:1]
	v_cmp_ne_u32_e64 s[50:51], 0, v67
	v_cndmask_b32_e64 v55, v55, v22, s[86:87]
	v_cmp_eq_u32_e64 s[90:91], 12, v69
	v_cndmask_b32_e64 v1, v1, v56, s[50:51]
	v_cndmask_b32_e64 v0, v0, v56, s[70:71]
	;; [unrolled: 1-line block ×4, first 2 shown]
	v_cmp_eq_u32_e64 s[88:89], 13, v69
	v_cndmask_b32_e64 v14, v14, v56, s[84:85]
	v_cndmask_b32_e64 v13, v13, v56, s[82:83]
	;; [unrolled: 1-line block ×14, first 2 shown]
	v_cmp_eq_u32_e64 s[84:85], 14, v69
	v_cndmask_b32_e64 v56, v56, v2, s[26:27]
	v_cmp_eq_u32_e64 s[82:83], 15, v69
	v_cndmask_b32_e64 v55, v55, v19, s[84:85]
	v_cndmask_b32_e64 v56, v56, v3, s[28:29]
	;; [unrolled: 1-line block ×4, first 2 shown]
	ds_bpermute_b32 v55, v88, v55
	v_cndmask_b32_e64 v56, v56, v5, s[34:35]
	v_cndmask_b32_e64 v56, v56, v6, s[36:37]
	;; [unrolled: 1-line block ×4, first 2 shown]
	v_cmp_eq_u32_e64 s[80:81], 0, v69
	v_cndmask_b32_e64 v56, v56, v9, s[44:45]
	s_waitcnt lgkmcnt(0)
	v_cndmask_b32_e64 v17, v17, v55, s[2:3]
	v_cndmask_b32_e64 v16, v16, v55, s[80:81]
	v_cmp_eq_u32_e64 s[78:79], 1, v70
	v_cndmask_b32_e64 v56, v56, v10, s[46:47]
	v_cndmask_b32_e64 v18, v18, v55, s[82:83]
	;; [unrolled: 1-line block ×7, first 2 shown]
	v_cndmask_b32_e32 v24, v24, v55, vcc
	v_cndmask_b32_e64 v25, v25, v55, s[4:5]
	v_cndmask_b32_e64 v26, v26, v55, s[96:97]
	;; [unrolled: 1-line block ×8, first 2 shown]
	v_cmp_eq_u32_e64 s[76:77], 2, v70
	v_cndmask_b32_e64 v56, v56, v11, s[48:49]
	v_cmp_eq_u32_e64 s[74:75], 3, v70
	v_cndmask_b32_e64 v55, v55, v31, s[76:77]
	v_cndmask_b32_e64 v56, v56, v12, s[54:55]
	;; [unrolled: 1-line block ×3, first 2 shown]
	v_cmp_eq_u32_e64 s[72:73], 4, v70
	v_cndmask_b32_e64 v56, v56, v13, s[58:59]
	v_cmp_eq_u32_e64 s[68:69], 5, v70
	v_cndmask_b32_e64 v55, v55, v29, s[72:73]
	v_cndmask_b32_e64 v56, v56, v14, s[62:63]
	;; [unrolled: 1-line block ×3, first 2 shown]
	v_cmp_eq_u32_e64 s[64:65], 6, v70
	v_cndmask_b32_e64 v56, v56, v15, s[66:67]
	v_cmp_eq_u32_e64 s[60:61], 7, v70
	v_cndmask_b32_e64 v55, v55, v27, s[64:65]
	ds_bpermute_b32 v56, v88, v56
	v_cndmask_b32_e64 v55, v55, v26, s[60:61]
	v_cmp_eq_u32_e64 s[56:57], 8, v70
	v_cmp_eq_u32_e64 s[52:53], 9, v70
	;; [unrolled: 1-line block ×3, first 2 shown]
	v_cndmask_b32_e64 v55, v55, v25, s[56:57]
	v_cndmask_b32_e64 v55, v55, v24, s[52:53]
	;; [unrolled: 1-line block ×3, first 2 shown]
	v_cmp_eq_u32_e64 s[70:71], 11, v70
	s_waitcnt lgkmcnt(0)
	v_cndmask_b32_e64 v15, v15, v56, s[66:67]
	v_cmp_eq_u32_e64 s[66:67], 12, v70
	v_cndmask_b32_e64 v55, v55, v22, s[70:71]
	v_cndmask_b32_e64 v14, v14, v56, s[62:63]
	;; [unrolled: 1-line block ×3, first 2 shown]
	v_cmp_eq_u32_e64 s[62:63], 13, v70
	v_cndmask_b32_e64 v1, v1, v56, s[24:25]
	v_cndmask_b32_e64 v0, v0, v56, s[40:41]
	;; [unrolled: 1-line block ×4, first 2 shown]
	v_cmp_eq_u32_e64 s[92:93], 14, v70
	v_cndmask_b32_e64 v12, v12, v56, s[54:55]
	v_cndmask_b32_e64 v11, v11, v56, s[48:49]
	;; [unrolled: 1-line block ×13, first 2 shown]
	v_cmp_eq_u32_e64 s[94:95], 15, v70
	v_cndmask_b32_e64 v56, v56, v2, s[6:7]
	v_cndmask_b32_e64 v56, v56, v3, s[8:9]
	;; [unrolled: 1-line block ×3, first 2 shown]
	ds_bpermute_b32 v55, v88, v55
	v_cndmask_b32_e64 v56, v56, v4, s[10:11]
	v_cndmask_b32_e64 v56, v56, v5, s[12:13]
	;; [unrolled: 1-line block ×4, first 2 shown]
	v_cmp_eq_u32_e64 s[48:49], 0, v70
	v_cndmask_b32_e64 v56, v56, v8, s[4:5]
	s_waitcnt lgkmcnt(0)
	v_cndmask_b32_e64 v17, v17, v55, s[78:79]
	v_cndmask_b32_e64 v16, v16, v55, s[48:49]
	v_cmp_eq_u32_e64 s[46:47], 1, v71
	v_cndmask_b32_e32 v56, v56, v9, vcc
	v_cndmask_b32_e64 v18, v18, v55, s[94:95]
	v_cndmask_b32_e64 v19, v19, v55, s[92:93]
	;; [unrolled: 1-line block ×15, first 2 shown]
	v_cmp_eq_u32_e64 s[44:45], 2, v71
	v_cndmask_b32_e64 v56, v56, v10, s[0:1]
	v_cmp_eq_u32_e64 s[42:43], 3, v71
	v_cndmask_b32_e64 v55, v55, v31, s[44:45]
	v_cndmask_b32_e64 v56, v56, v11, s[86:87]
	v_cndmask_b32_e64 v55, v55, v30, s[42:43]
	v_cmp_eq_u32_e64 s[38:39], 4, v71
	v_cndmask_b32_e64 v56, v56, v12, s[90:91]
	v_cmp_eq_u32_e64 s[36:37], 5, v71
	v_cndmask_b32_e64 v55, v55, v29, s[38:39]
	v_cndmask_b32_e64 v56, v56, v13, s[88:89]
	v_cndmask_b32_e64 v55, v55, v28, s[36:37]
	;; [unrolled: 6-line block ×3, first 2 shown]
	v_cmp_eq_u32_e64 s[28:29], 8, v71
	ds_bpermute_b32 v56, v88, v56
	v_cmp_eq_u32_e64 s[26:27], 9, v71
	v_cndmask_b32_e64 v55, v55, v25, s[28:29]
	v_cmp_eq_u32_e64 s[24:25], 10, v71
	v_cndmask_b32_e64 v55, v55, v24, s[26:27]
	;; [unrolled: 2-line block ×4, first 2 shown]
	s_waitcnt lgkmcnt(0)
	v_cndmask_b32_e64 v15, v15, v56, s[82:83]
	v_cndmask_b32_e64 v55, v55, v21, s[58:59]
	v_cmp_eq_u32_e64 s[82:83], 13, v71
	v_cndmask_b32_e64 v14, v14, v56, s[84:85]
	v_cmp_eq_u32_e64 s[84:85], 14, v71
	v_cndmask_b32_e64 v55, v55, v20, s[82:83]
	v_cndmask_b32_e64 v1, v1, v56, s[2:3]
	;; [unrolled: 1-line block ×6, first 2 shown]
	v_cmp_eq_u32_e64 s[90:91], 15, v71
	v_cndmask_b32_e64 v11, v11, v56, s[86:87]
	v_cndmask_b32_e64 v10, v10, v56, s[0:1]
	v_cndmask_b32_e32 v9, v9, v56, vcc
	v_cndmask_b32_e64 v8, v8, v56, s[4:5]
	v_cndmask_b32_e64 v7, v7, v56, s[96:97]
	;; [unrolled: 1-line block ×10, first 2 shown]
	ds_bpermute_b32 v55, v88, v55
	v_cndmask_b32_e64 v56, v56, v3, s[74:75]
	v_cndmask_b32_e64 v56, v56, v4, s[72:73]
	;; [unrolled: 1-line block ×3, first 2 shown]
	v_cmp_eq_u32_e64 s[54:55], 0, v71
	v_cndmask_b32_e64 v56, v56, v6, s[64:65]
	v_cndmask_b32_e64 v56, v56, v7, s[60:61]
	v_writelane_b32 v100, s54, 35
	s_waitcnt lgkmcnt(0)
	v_cndmask_b32_e64 v17, v17, v55, s[46:47]
	v_cndmask_b32_e64 v56, v56, v8, s[56:57]
	v_writelane_b32 v100, s55, 36
	v_cndmask_b32_e64 v16, v16, v55, s[54:55]
	v_cmp_eq_u32_e64 s[54:55], 1, v72
	v_cndmask_b32_e64 v18, v18, v55, s[90:91]
	v_cndmask_b32_e64 v19, v19, v55, s[84:85]
	;; [unrolled: 1-line block ×15, first 2 shown]
	v_cmp_eq_u32_e64 s[0:1], 2, v72
	v_cndmask_b32_e64 v56, v56, v9, s[52:53]
	v_cmp_eq_u32_e64 s[4:5], 3, v72
	v_cndmask_b32_e64 v55, v55, v31, s[0:1]
	v_cndmask_b32_e64 v56, v56, v10, s[50:51]
	v_cndmask_b32_e64 v55, v55, v30, s[4:5]
	v_cmp_eq_u32_e64 s[96:97], 4, v72
	v_cndmask_b32_e64 v56, v56, v11, s[70:71]
	v_cmp_eq_u32_e64 s[14:15], 5, v72
	v_cndmask_b32_e64 v55, v55, v29, s[96:97]
	v_cndmask_b32_e64 v56, v56, v12, s[66:67]
	v_cndmask_b32_e64 v55, v55, v28, s[14:15]
	;; [unrolled: 6-line block ×3, first 2 shown]
	v_cmp_eq_u32_e64 s[8:9], 8, v72
	v_cndmask_b32_e64 v56, v56, v15, s[94:95]
	v_cmp_eq_u32_e64 s[6:7], 9, v72
	v_cndmask_b32_e64 v55, v55, v25, s[8:9]
	ds_bpermute_b32 v56, v88, v56
	v_cndmask_b32_e64 v55, v55, v24, s[6:7]
	v_cmp_eq_u32_e32 vcc, 10, v72
	v_cmp_eq_u32_e64 s[80:81], 11, v72
	v_cmp_eq_u32_e64 s[86:87], 12, v72
	v_cndmask_b32_e32 v55, v55, v23, vcc
	v_cndmask_b32_e64 v55, v55, v22, s[80:81]
	v_cndmask_b32_e64 v55, v55, v21, s[86:87]
	v_cmp_eq_u32_e64 s[88:89], 13, v72
	s_waitcnt lgkmcnt(0)
	v_cndmask_b32_e64 v13, v13, v56, s[62:63]
	v_cmp_eq_u32_e64 s[62:63], 14, v72
	v_cndmask_b32_e64 v55, v55, v20, s[88:89]
	v_cndmask_b32_e64 v12, v12, v56, s[66:67]
	;; [unrolled: 1-line block ×3, first 2 shown]
	v_cmp_eq_u32_e64 s[66:67], 15, v72
	v_cndmask_b32_e64 v57, v11, v56, s[70:71]
	v_cmp_eq_u32_e64 s[70:71], 0, v72
	v_cndmask_b32_e64 v55, v55, v18, s[66:67]
	ds_bpermute_b32 v55, v88, v55
	v_cndmask_b32_e64 v15, v15, v56, s[94:95]
	v_cndmask_b32_e64 v14, v14, v56, s[92:93]
	;; [unrolled: 1-line block ×4, first 2 shown]
	s_waitcnt lgkmcnt(0)
	v_cndmask_b32_e64 v18, v18, v55, s[66:67]
	v_cndmask_b32_e64 v19, v19, v55, s[62:63]
	;; [unrolled: 1-line block ×5, first 2 shown]
	v_cndmask_b32_e32 v23, v23, v55, vcc
	v_cndmask_b32_e64 v24, v24, v55, s[6:7]
	v_cndmask_b32_e64 v25, v25, v55, s[8:9]
	;; [unrolled: 1-line block ×28, first 2 shown]
	v_cmp_eq_u32_e64 s[50:51], 1, v73
	v_cndmask_b32_e64 v0, v0, v55, s[24:25]
	v_cmp_eq_u32_e64 s[52:53], 2, v73
	v_cndmask_b32_e64 v10, v16, v17, s[50:51]
	v_cndmask_b32_e64 v0, v0, v57, s[40:41]
	v_cndmask_b32_e64 v9, v10, v31, s[52:53]
	v_cmp_eq_u32_e64 s[56:57], 3, v73
	v_cndmask_b32_e64 v0, v0, v12, s[58:59]
	v_cmp_eq_u32_e64 s[60:61], 4, v73
	v_cndmask_b32_e64 v8, v9, v30, s[56:57]
	v_cndmask_b32_e64 v0, v0, v13, s[82:83]
	v_cndmask_b32_e64 v7, v8, v29, s[60:61]
	;; [unrolled: 6-line block ×3, first 2 shown]
	v_cmp_eq_u32_e64 s[72:73], 7, v73
	ds_bpermute_b32 v95, v88, v0
	v_cmp_eq_u32_e64 s[74:75], 8, v73
	v_cndmask_b32_e64 v4, v5, v26, s[72:73]
	v_cmp_eq_u32_e64 s[76:77], 9, v73
	v_cndmask_b32_e64 v3, v4, v25, s[74:75]
	;; [unrolled: 2-line block ×4, first 2 shown]
	s_waitcnt lgkmcnt(0)
	v_cndmask_b32_e64 v96, v15, v95, s[90:91]
	v_cndmask_b32_e64 v0, v0, v22, s[78:79]
	v_cmp_eq_u32_e64 s[90:91], 12, v73
	v_cndmask_b32_e64 v97, v14, v95, s[84:85]
	v_cmp_eq_u32_e64 s[84:85], 13, v73
	v_cndmask_b32_e64 v0, v0, v21, s[90:91]
	v_cndmask_b32_e64 v98, v13, v95, s[82:83]
	;; [unrolled: 1-line block ×3, first 2 shown]
	v_cmp_eq_u32_e64 s[82:83], 14, v73
	v_cndmask_b32_e64 v99, v12, v95, s[58:59]
	v_cmp_eq_u32_e64 s[58:59], 15, v73
	v_cndmask_b32_e64 v0, v0, v19, s[82:83]
	v_readlane_b32 s2, v100, 35
	v_cndmask_b32_e64 v0, v0, v18, s[58:59]
	ds_bpermute_b32 v1, v88, v0
	v_readlane_b32 s3, v100, 36
	s_waitcnt lgkmcnt(0)
	v_cndmask_b32_e64 v11, v27, v1, s[68:69]
	v_cndmask_b32_e64 v12, v28, v1, s[64:65]
	;; [unrolled: 1-line block ×4, first 2 shown]
	s_mov_b64 s[2:3], s[54:55]
	v_cndmask_b32_e64 v10, v26, v1, s[72:73]
	v_cndmask_b32_e64 v13, v29, v1, s[60:61]
	;; [unrolled: 1-line block ×25, first 2 shown]
	v_cmp_eq_u32_e64 s[40:41], 0, v73
	v_cndmask_b32_e64 v19, v58, v95, s[26:27]
	v_cndmask_b32_e64 v29, v29, v20, s[8:9]
	;; [unrolled: 1-line block ×8, first 2 shown]
	v_cndmask_b32_e32 v29, v29, v16, vcc
	v_cndmask_b32_e64 v29, v29, v17, s[80:81]
	v_cndmask_b32_e64 v29, v29, v99, s[86:87]
	v_cndmask_b32_e64 v29, v29, v98, s[88:89]
	v_cndmask_b32_e64 v29, v29, v97, s[62:63]
	v_cndmask_b32_e64 v29, v29, v96, s[66:67]
	ds_bpermute_b32 v29, v88, v29
	v_cmp_eq_u32_e64 s[24:25], 1, v74
	v_cmp_eq_u32_e64 s[26:27], 2, v74
	;; [unrolled: 1-line block ×3, first 2 shown]
	v_cndmask_b32_e64 v18, v1, v0, s[24:25]
	s_waitcnt lgkmcnt(0)
	v_cndmask_b32_e64 v93, v27, v29, s[2:3]
	v_cndmask_b32_e64 v94, v28, v29, s[70:71]
	;; [unrolled: 1-line block ×18, first 2 shown]
	v_cndmask_b32_e32 v16, v16, v29, vcc
	v_cndmask_b32_e64 v19, v19, v57, s[76:77]
	v_cndmask_b32_e64 v17, v17, v29, s[80:81]
	;; [unrolled: 1-line block ×12, first 2 shown]
	ds_bpermute_b32 v95, v88, v19
	v_cndmask_b32_e64 v18, v18, v15, s[26:27]
	v_cndmask_b32_e64 v18, v18, v14, s[28:29]
	v_cmp_eq_u32_e64 s[30:31], 4, v74
	v_cmp_eq_u32_e64 s[34:35], 5, v74
	s_waitcnt lgkmcnt(0)
	v_cndmask_b32_e64 v23, v17, v95, s[78:79]
	v_cndmask_b32_e64 v24, v16, v95, s[48:49]
	;; [unrolled: 1-line block ×18, first 2 shown]
	v_cmp_eq_u32_e64 s[36:37], 6, v74
	v_cndmask_b32_e64 v28, v60, v95, s[68:69]
	v_cndmask_b32_e64 v56, v56, v29, s[34:35]
	v_cndmask_b32_e64 v18, v18, v11, s[36:37]
	v_cmp_eq_u32_e64 s[38:39], 7, v74
	v_cndmask_b32_e64 v27, v59, v95, s[72:73]
	v_cndmask_b32_e64 v56, v56, v28, s[36:37]
	v_cndmask_b32_e64 v18, v18, v10, s[38:39]
	;; [unrolled: 4-line block ×4, first 2 shown]
	v_cmp_eq_u32_e64 s[46:47], 10, v74
	v_cndmask_b32_e64 v56, v56, v25, s[44:45]
	v_cmp_eq_u32_e64 s[54:55], 11, v74
	v_cndmask_b32_e64 v18, v18, v7, s[46:47]
	v_cndmask_b32_e64 v56, v56, v24, s[46:47]
	v_cndmask_b32_e64 v18, v18, v6, s[54:55]
	v_cmp_eq_u32_e64 s[66:67], 12, v74
	v_cndmask_b32_e64 v56, v56, v23, s[54:55]
	v_cmp_eq_u32_e64 s[62:63], 13, v74
	v_cndmask_b32_e64 v18, v18, v5, s[66:67]
	v_cndmask_b32_e64 v56, v56, v22, s[66:67]
	;; [unrolled: 1-line block ×3, first 2 shown]
	v_cmp_eq_u32_e32 vcc, 14, v74
	v_cndmask_b32_e64 v56, v56, v21, s[62:63]
	v_cmp_eq_u32_e64 s[6:7], 15, v74
	v_cndmask_b32_e32 v18, v18, v3, vcc
	v_cndmask_b32_e32 v56, v56, v20, vcc
	v_cndmask_b32_e64 v18, v18, v2, s[6:7]
	v_cndmask_b32_e64 v56, v56, v19, s[6:7]
	ds_bpermute_b32 v18, v88, v18
	ds_bpermute_b32 v58, v88, v56
	v_readlane_b32 s53, v100, 32
	s_nop 1
	v_cmp_lt_i32_e32 vcc, s53, v76
	s_and_saveexec_b64 s[40:41], vcc
	v_readlane_b32 s44, v100, 2
	v_readlane_b32 s45, v100, 3
	;; [unrolled: 1-line block ×11, first 2 shown]
	s_cbranch_execz .LBB61_32
; %bb.24:                               ;   in Loop: Header=BB61_7 Depth=1
	s_mul_i32 s0, s52, s17
	s_ashr_i32 s1, s0, 31
	s_lshl_b64 s[0:1], s[0:1], 1
	s_add_u32 s2, s48, s0
	v_cmp_eq_u32_e64 s[34:35], 1, v74
	v_cmp_eq_u32_e64 s[36:37], 0, v74
	s_addc_u32 s3, s49, s1
	s_ashr_i32 s55, s54, 31
	s_waitcnt lgkmcnt(1)
	v_cndmask_b32_e64 v56, v0, v18, s[34:35]
	v_cndmask_b32_e64 v57, v1, v18, s[36:37]
	s_lshl_b64 s[0:1], s[54:55], 1
	s_waitcnt lgkmcnt(0)
	v_cndmask_b32_e64 v59, v16, v58, s[34:35]
	v_cndmask_b32_e64 v60, v17, v58, s[36:37]
	v_cvt_f16_f32_e32 v57, v57
	v_cvt_f16_f32_sdwa v56, v56 dst_sel:WORD_1 dst_unused:UNUSED_PAD src0_sel:DWORD
	s_add_u32 s42, s2, s0
	v_cvt_f16_f32_e32 v60, v60
	v_cvt_f16_f32_sdwa v59, v59 dst_sel:WORD_1 dst_unused:UNUSED_PAD src0_sel:DWORD
	s_addc_u32 s43, s3, s1
	v_lshl_add_u64 v[0:1], s[42:43], 0, v[32:33]
	v_cmp_eq_u32_e32 vcc, 15, v74
	v_cmp_eq_u32_e64 s[6:7], 14, v74
	v_cmp_eq_u32_e64 s[8:9], 13, v74
	;; [unrolled: 1-line block ×13, first 2 shown]
	v_lshl_add_u64 v[16:17], v[34:35], 1, v[0:1]
	v_or_b32_e32 v56, v56, v57
	v_cmp_lt_i32_e64 s[34:35], s53, v77
	;;#ASMSTART
	global_atomic_pk_add_f16 v[16:17], v56, off
	
	;;#ASMEND
	v_lshl_add_u64 v[16:17], v[16:17], 0, 64
	v_or_b32_e32 v56, v59, v60
	;;#ASMSTART
	global_atomic_pk_add_f16 v[16:17], v56, off
	
	;;#ASMEND
	s_and_b64 exec, exec, s[34:35]
	s_cbranch_execz .LBB61_32
; %bb.25:                               ;   in Loop: Header=BB61_7 Depth=1
	v_cndmask_b32_e32 v2, v2, v18, vcc
	v_cndmask_b32_e64 v3, v3, v18, s[6:7]
	v_cndmask_b32_e64 v16, v4, v18, s[8:9]
	;; [unrolled: 1-line block ×19, first 2 shown]
	v_cvt_f16_f32_e32 v22, v18
	v_cvt_f16_f32_sdwa v23, v93 dst_sel:WORD_1 dst_unused:UNUSED_PAD src0_sel:DWORD
	v_cvt_f16_f32_e32 v21, v21
	v_cvt_f16_f32_sdwa v20, v20 dst_sel:WORD_1 dst_unused:UNUSED_PAD src0_sel:DWORD
	v_cndmask_b32_e32 v4, v19, v58, vcc
	v_cndmask_b32_e64 v9, v24, v58, s[14:15]
	v_cndmask_b32_e64 v10, v25, v58, s[0:1]
	;; [unrolled: 1-line block ×7, first 2 shown]
	v_lshl_add_u64 v[18:19], v[36:37], 1, v[0:1]
	v_cmp_lt_i32_e32 vcc, s53, v78
	v_or_b32_e32 v22, v23, v22
	;;#ASMSTART
	global_atomic_pk_add_f16 v[18:19], v22, off
	
	;;#ASMEND
	v_lshl_add_u64 v[18:19], v[18:19], 0, 64
	v_or_b32_e32 v20, v20, v21
	;;#ASMSTART
	global_atomic_pk_add_f16 v[18:19], v20, off
	
	;;#ASMEND
	s_and_b64 exec, exec, vcc
	s_cbranch_execz .LBB61_32
; %bb.26:                               ;   in Loop: Header=BB61_7 Depth=1
	v_cvt_f16_f32_e32 v20, v92
	v_cvt_f16_f32_sdwa v21, v91 dst_sel:WORD_1 dst_unused:UNUSED_PAD src0_sel:DWORD
	v_cvt_f16_f32_e32 v22, v15
	v_cvt_f16_f32_sdwa v23, v14 dst_sel:WORD_1 dst_unused:UNUSED_PAD src0_sel:DWORD
	v_lshl_add_u64 v[18:19], v[38:39], 1, v[0:1]
	v_or_b32_e32 v14, v21, v20
	v_cmp_lt_i32_e32 vcc, s53, v79
	;;#ASMSTART
	global_atomic_pk_add_f16 v[18:19], v14, off
	
	;;#ASMEND
	v_lshl_add_u64 v[14:15], v[18:19], 0, 64
	v_or_b32_e32 v18, v23, v22
	;;#ASMSTART
	global_atomic_pk_add_f16 v[14:15], v18, off
	
	;;#ASMEND
	s_and_b64 exec, exec, vcc
	s_cbranch_execz .LBB61_32
; %bb.27:                               ;   in Loop: Header=BB61_7 Depth=1
	v_cvt_f16_f32_e32 v18, v90
	v_cvt_f16_f32_sdwa v19, v61 dst_sel:WORD_1 dst_unused:UNUSED_PAD src0_sel:DWORD
	v_cvt_f16_f32_e32 v20, v13
	v_cvt_f16_f32_sdwa v21, v12 dst_sel:WORD_1 dst_unused:UNUSED_PAD src0_sel:DWORD
	v_lshl_add_u64 v[14:15], v[40:41], 1, v[0:1]
	v_or_b32_e32 v12, v19, v18
	v_cmp_lt_i32_e32 vcc, s53, v80
	;; [unrolled: 20-line block ×5, first 2 shown]
	;;#ASMSTART
	global_atomic_pk_add_f16 v[8:9], v6, off
	
	;;#ASMEND
	v_lshl_add_u64 v[6:7], v[8:9], 0, 64
	v_or_b32_e32 v8, v13, v12
	;;#ASMSTART
	global_atomic_pk_add_f16 v[6:7], v8, off
	
	;;#ASMEND
	s_and_b64 exec, exec, vcc
	s_cbranch_execz .LBB61_32
; %bb.31:                               ;   in Loop: Header=BB61_7 Depth=1
	v_cvt_f16_f32_e32 v3, v3
	v_cvt_f16_f32_sdwa v2, v2 dst_sel:WORD_1 dst_unused:UNUSED_PAD src0_sel:DWORD
	v_cvt_f16_f32_e32 v5, v5
	v_cvt_f16_f32_sdwa v4, v4 dst_sel:WORD_1 dst_unused:UNUSED_PAD src0_sel:DWORD
	v_lshl_add_u64 v[0:1], v[48:49], 1, v[0:1]
	v_or_b32_e32 v2, v2, v3
	;;#ASMSTART
	global_atomic_pk_add_f16 v[0:1], v2, off
	
	;;#ASMEND
	v_lshl_add_u64 v[0:1], v[0:1], 0, 64
	v_or_b32_e32 v2, v4, v5
	;;#ASMSTART
	global_atomic_pk_add_f16 v[0:1], v2, off
	
	;;#ASMEND
.LBB61_32:                              ;   in Loop: Header=BB61_7 Depth=1
	s_or_b64 exec, exec, s[40:41]
	v_readlane_b32 s14, v100, 10
	v_readlane_b32 s24, v100, 12
	;; [unrolled: 1-line block ×6, first 2 shown]
	v_subrev_u32_e32 v89, s99, v89
	v_readlane_b32 s11, v100, 0
	v_readlane_b32 s12, v100, 1
	;; [unrolled: 1-line block ×17, first 2 shown]
.LBB61_33:                              ;   in Loop: Header=BB61_7 Depth=1
	s_or_b64 exec, exec, s[2:3]
.LBB61_34:                              ;   in Loop: Header=BB61_7 Depth=1
	s_andn2_saveexec_b64 s[0:1], s[4:5]
	s_cbranch_execz .LBB61_43
; %bb.35:                               ;   in Loop: Header=BB61_7 Depth=1
	s_lshl_b32 s10, s99, 1
	v_cmp_gt_i32_e32 vcc, s10, v89
	s_and_saveexec_b64 s[2:3], vcc
	s_cbranch_execz .LBB61_42
; %bb.36:                               ;   in Loop: Header=BB61_7 Depth=1
	s_mul_i32 s4, s54, s19
	s_ashr_i32 s5, s4, 31
	s_add_u32 s4, s46, s4
	s_addc_u32 s5, s47, s5
	s_ashr_i32 s6, s37, 31
	s_add_u32 s4, s4, s37
	s_addc_u32 s5, s5, s6
	v_lshl_add_u64 v[0:1], s[4:5], 0, v[52:53]
	v_lshl_add_u64 v[8:9], v[0:1], 0, v[50:51]
	s_mov_b64 s[4:5], 0
	s_branch .LBB61_38
.LBB61_37:                              ;   in Loop: Header=BB61_38 Depth=2
	s_or_b64 exec, exec, s[6:7]
	v_lshl_or_b32 v12, v10, 11, v84
	;;#ASMSTART
	s_waitcnt vmcnt(1)
	;;#ASMEND
	ds_write2_b32 v12, v4, v5 offset1:32
	ds_write2_b32 v12, v6, v7 offset0:64 offset1:96
	v_add_u32_e32 v4, 0x400, v12
	v_add_u32_e32 v89, s22, v89
	;;#ASMSTART
	s_waitcnt vmcnt(0)
	;;#ASMEND
	ds_write2_b32 v4, v0, v1 offset1:32
	ds_write2_b32 v4, v2, v3 offset0:64 offset1:96
	v_add_u32_e32 v0, 1, v63
	v_add_u32_e32 v54, s22, v10
	v_cmp_le_i32_e32 vcc, s10, v89
	ds_write_b32 v11, v0 offset:20
	v_add_u32_e32 v0, 2, v63
	s_or_b64 s[4:5], vcc, s[4:5]
	v_cmp_lt_i32_e32 vcc, 9, v54
	s_nop 1
	v_cndmask_b32_e32 v63, v63, v0, vcc
	s_andn2_b64 exec, exec, s[4:5]
	s_cbranch_execz .LBB61_41
.LBB61_38:                              ;   Parent Loop BB61_7 Depth=1
                                        ; =>  This Loop Header: Depth=2
                                        ;       Child Loop BB61_40 Depth 3
	v_cmp_gt_i32_e32 vcc, 10, v54
	s_nop 1
	v_cndmask_b32_e64 v0, -10, 0, vcc
	v_add_u32_e32 v10, v0, v54
	v_lshrrev_b32_e32 v0, 31, v89
	v_add_u32_e32 v0, v89, v0
	v_and_b32_e32 v1, -2, v0
	v_lshlrev_b32_e32 v0, 5, v0
	v_sub_u32_e32 v2, v89, v1
	v_and_b32_e32 v0, 0xffffffc0, v0
	v_ashrrev_i32_e32 v1, 31, v0
	v_mul_lo_u32 v2, s30, v2
	v_lshl_add_u64 v[0:1], v[8:9], 0, v[0:1]
	v_ashrrev_i32_e32 v3, 31, v2
	v_lshl_add_u64 v[0:1], v[0:1], 0, v[2:3]
	v_lshlrev_b32_e32 v11, 2, v10
	;;#ASMSTART
	global_load_dwordx4 v[4:7], v[0:1], off offset:0   sc0 sc1 nt  
	global_load_dwordx4 v[0:3], v[0:1], off offset:32  sc0 sc1 nt  
	
	;;#ASMEND
	ds_read_b32 v12, v11 offset:30740
	v_add_u32_e32 v11, 0x7800, v11
	s_waitcnt lgkmcnt(0)
	v_cmp_ne_u32_e32 vcc, v12, v63
	s_and_saveexec_b64 s[6:7], vcc
	s_cbranch_execz .LBB61_37
; %bb.39:                               ;   in Loop: Header=BB61_38 Depth=2
	s_mov_b64 s[8:9], 0
.LBB61_40:                              ;   Parent Loop BB61_7 Depth=1
                                        ;     Parent Loop BB61_38 Depth=2
                                        ; =>    This Inner Loop Header: Depth=3
	;;#ASMSTART
	s_sleep 0
	;;#ASMEND
	ds_read_b32 v12, v11 offset:20
	s_waitcnt lgkmcnt(0)
	v_cmp_eq_u32_e32 vcc, v12, v63
	s_or_b64 s[8:9], vcc, s[8:9]
	s_andn2_b64 exec, exec, s[8:9]
	s_cbranch_execnz .LBB61_40
	s_branch .LBB61_37
.LBB61_41:                              ;   in Loop: Header=BB61_7 Depth=1
	s_or_b64 exec, exec, s[4:5]
.LBB61_42:                              ;   in Loop: Header=BB61_7 Depth=1
	s_or_b64 exec, exec, s[2:3]
	v_subrev_u32_e32 v89, s10, v89
.LBB61_43:                              ;   in Loop: Header=BB61_7 Depth=1
	s_or_b64 exec, exec, s[0:1]
.LBB61_44:                              ;   in Loop: Header=BB61_7 Depth=1
	s_andn2_saveexec_b64 s[0:1], s[38:39]
	s_cbranch_execz .LBB61_6
; %bb.45:                               ;   in Loop: Header=BB61_7 Depth=1
	v_cmp_gt_i32_e32 vcc, s99, v89
	s_and_saveexec_b64 s[2:3], vcc
	s_cbranch_execz .LBB61_5
; %bb.46:                               ;   in Loop: Header=BB61_7 Depth=1
	s_mul_i32 s4, s52, s18
	s_ashr_i32 s5, s4, 31
	s_add_u32 s4, s44, s4
	s_addc_u32 s5, s45, s5
	s_ashr_i32 s6, s37, 31
	v_cmp_le_i32_e32 vcc, s53, v85
	s_add_u32 s4, s4, s37
	s_addc_u32 s5, s5, s6
	v_cndmask_b32_e32 v0, 0, v86, vcc
	v_ashrrev_i32_e32 v1, 31, v0
	v_lshl_add_u64 v[0:1], s[4:5], 0, v[0:1]
	v_lshl_add_u64 v[8:9], v[0:1], 0, v[50:51]
	s_mov_b64 s[4:5], 0
	s_branch .LBB61_48
.LBB61_47:                              ;   in Loop: Header=BB61_48 Depth=2
	s_or_b64 exec, exec, s[6:7]
	v_lshl_add_u32 v12, v10, 11, v87
	;;#ASMSTART
	s_waitcnt vmcnt(1)
	;;#ASMEND
	ds_write2_b32 v12, v4, v5 offset1:32
	ds_write2_b32 v12, v6, v7 offset0:64 offset1:96
	v_add_u32_e32 v4, 0x400, v12
	v_add_u32_e32 v89, s21, v89
	;;#ASMSTART
	s_waitcnt vmcnt(0)
	;;#ASMEND
	ds_write2_b32 v4, v0, v1 offset1:32
	ds_write2_b32 v4, v2, v3 offset0:64 offset1:96
	v_add_u32_e32 v0, 1, v63
	v_add_u32_e32 v54, s21, v10
	v_cmp_le_i32_e32 vcc, s99, v89
	ds_write_b32 v11, v0
	v_add_u32_e32 v0, 2, v63
	s_or_b64 s[4:5], vcc, s[4:5]
	v_cmp_lt_i32_e32 vcc, 4, v54
	s_nop 1
	v_cndmask_b32_e32 v63, v63, v0, vcc
	s_andn2_b64 exec, exec, s[4:5]
	s_cbranch_execz .LBB61_4
.LBB61_48:                              ;   Parent Loop BB61_7 Depth=1
                                        ; =>  This Loop Header: Depth=2
                                        ;       Child Loop BB61_50 Depth 3
	v_cmp_gt_i32_e32 vcc, 5, v54
	s_nop 1
	v_cndmask_b32_e64 v0, -5, 0, vcc
	v_add_u32_e32 v10, v0, v54
	v_lshlrev_b32_e32 v0, 6, v89
	v_ashrrev_i32_e32 v1, 31, v0
	v_lshl_add_u64 v[0:1], v[8:9], 0, v[0:1]
	v_lshlrev_b32_e32 v11, 2, v10
	;;#ASMSTART
	global_load_dwordx4 v[4:7], v[0:1], off offset:0   
	global_load_dwordx4 v[0:3], v[0:1], off offset:32  
	
	;;#ASMEND
	ds_read_b32 v12, v11 offset:30720
	v_add_u32_e32 v11, 0x7800, v11
	s_waitcnt lgkmcnt(0)
	v_cmp_ne_u32_e32 vcc, v12, v63
	s_and_saveexec_b64 s[6:7], vcc
	s_cbranch_execz .LBB61_47
; %bb.49:                               ;   in Loop: Header=BB61_48 Depth=2
	s_mov_b64 s[8:9], 0
.LBB61_50:                              ;   Parent Loop BB61_7 Depth=1
                                        ;     Parent Loop BB61_48 Depth=2
                                        ; =>    This Inner Loop Header: Depth=3
	;;#ASMSTART
	s_sleep 0
	;;#ASMEND
	ds_read_b32 v12, v11
	s_waitcnt lgkmcnt(0)
	v_cmp_eq_u32_e32 vcc, v12, v63
	s_or_b64 s[8:9], vcc, s[8:9]
	s_andn2_b64 exec, exec, s[8:9]
	s_cbranch_execnz .LBB61_50
	s_branch .LBB61_47
.LBB61_51:
	s_endpgm
	.section	.rodata,"a",@progbits
	.p2align	6, 0x0
	.amdhsa_kernel _Z19_skinny_gemm_kernelILi1ELi2ELi5ELi32ELi4EEvPKhS1_P6__halfPKfiiiiiiii
		.amdhsa_group_segment_fixed_size 30780
		.amdhsa_private_segment_fixed_size 0
		.amdhsa_kernarg_size 64
		.amdhsa_user_sgpr_count 2
		.amdhsa_user_sgpr_dispatch_ptr 0
		.amdhsa_user_sgpr_queue_ptr 0
		.amdhsa_user_sgpr_kernarg_segment_ptr 1
		.amdhsa_user_sgpr_dispatch_id 0
		.amdhsa_user_sgpr_kernarg_preload_length 0
		.amdhsa_user_sgpr_kernarg_preload_offset 0
		.amdhsa_user_sgpr_private_segment_size 0
		.amdhsa_uses_dynamic_stack 0
		.amdhsa_enable_private_segment 0
		.amdhsa_system_sgpr_workgroup_id_x 1
		.amdhsa_system_sgpr_workgroup_id_y 0
		.amdhsa_system_sgpr_workgroup_id_z 0
		.amdhsa_system_sgpr_workgroup_info 0
		.amdhsa_system_vgpr_workitem_id 0
		.amdhsa_next_free_vgpr 101
		.amdhsa_next_free_sgpr 100
		.amdhsa_accum_offset 104
		.amdhsa_reserve_vcc 1
		.amdhsa_float_round_mode_32 0
		.amdhsa_float_round_mode_16_64 0
		.amdhsa_float_denorm_mode_32 3
		.amdhsa_float_denorm_mode_16_64 3
		.amdhsa_dx10_clamp 1
		.amdhsa_ieee_mode 1
		.amdhsa_fp16_overflow 0
		.amdhsa_tg_split 0
		.amdhsa_exception_fp_ieee_invalid_op 0
		.amdhsa_exception_fp_denorm_src 0
		.amdhsa_exception_fp_ieee_div_zero 0
		.amdhsa_exception_fp_ieee_overflow 0
		.amdhsa_exception_fp_ieee_underflow 0
		.amdhsa_exception_fp_ieee_inexact 0
		.amdhsa_exception_int_div_zero 0
	.end_amdhsa_kernel
	.section	.text._Z19_skinny_gemm_kernelILi1ELi2ELi5ELi32ELi4EEvPKhS1_P6__halfPKfiiiiiiii,"axG",@progbits,_Z19_skinny_gemm_kernelILi1ELi2ELi5ELi32ELi4EEvPKhS1_P6__halfPKfiiiiiiii,comdat
.Lfunc_end61:
	.size	_Z19_skinny_gemm_kernelILi1ELi2ELi5ELi32ELi4EEvPKhS1_P6__halfPKfiiiiiiii, .Lfunc_end61-_Z19_skinny_gemm_kernelILi1ELi2ELi5ELi32ELi4EEvPKhS1_P6__halfPKfiiiiiiii
                                        ; -- End function
	.set _Z19_skinny_gemm_kernelILi1ELi2ELi5ELi32ELi4EEvPKhS1_P6__halfPKfiiiiiiii.num_vgpr, 101
	.set _Z19_skinny_gemm_kernelILi1ELi2ELi5ELi32ELi4EEvPKhS1_P6__halfPKfiiiiiiii.num_agpr, 0
	.set _Z19_skinny_gemm_kernelILi1ELi2ELi5ELi32ELi4EEvPKhS1_P6__halfPKfiiiiiiii.numbered_sgpr, 100
	.set _Z19_skinny_gemm_kernelILi1ELi2ELi5ELi32ELi4EEvPKhS1_P6__halfPKfiiiiiiii.num_named_barrier, 0
	.set _Z19_skinny_gemm_kernelILi1ELi2ELi5ELi32ELi4EEvPKhS1_P6__halfPKfiiiiiiii.private_seg_size, 0
	.set _Z19_skinny_gemm_kernelILi1ELi2ELi5ELi32ELi4EEvPKhS1_P6__halfPKfiiiiiiii.uses_vcc, 1
	.set _Z19_skinny_gemm_kernelILi1ELi2ELi5ELi32ELi4EEvPKhS1_P6__halfPKfiiiiiiii.uses_flat_scratch, 0
	.set _Z19_skinny_gemm_kernelILi1ELi2ELi5ELi32ELi4EEvPKhS1_P6__halfPKfiiiiiiii.has_dyn_sized_stack, 0
	.set _Z19_skinny_gemm_kernelILi1ELi2ELi5ELi32ELi4EEvPKhS1_P6__halfPKfiiiiiiii.has_recursion, 0
	.set _Z19_skinny_gemm_kernelILi1ELi2ELi5ELi32ELi4EEvPKhS1_P6__halfPKfiiiiiiii.has_indirect_call, 0
	.section	.AMDGPU.csdata,"",@progbits
; Kernel info:
; codeLenInByte = 9584
; TotalNumSgprs: 106
; NumVgprs: 101
; NumAgprs: 0
; TotalNumVgprs: 101
; ScratchSize: 0
; MemoryBound: 0
; FloatMode: 240
; IeeeMode: 1
; LDSByteSize: 30780 bytes/workgroup (compile time only)
; SGPRBlocks: 13
; VGPRBlocks: 12
; NumSGPRsForWavesPerEU: 106
; NumVGPRsForWavesPerEU: 101
; AccumOffset: 104
; Occupancy: 4
; WaveLimiterHint : 0
; COMPUTE_PGM_RSRC2:SCRATCH_EN: 0
; COMPUTE_PGM_RSRC2:USER_SGPR: 2
; COMPUTE_PGM_RSRC2:TRAP_HANDLER: 0
; COMPUTE_PGM_RSRC2:TGID_X_EN: 1
; COMPUTE_PGM_RSRC2:TGID_Y_EN: 0
; COMPUTE_PGM_RSRC2:TGID_Z_EN: 0
; COMPUTE_PGM_RSRC2:TIDIG_COMP_CNT: 0
; COMPUTE_PGM_RSRC3_GFX90A:ACCUM_OFFSET: 25
; COMPUTE_PGM_RSRC3_GFX90A:TG_SPLIT: 0
	.section	.text._Z19_skinny_gemm_kernelILi1ELi2ELi5ELi32ELi8EEvPKhS1_P6__halfPKfiiiiiiii,"axG",@progbits,_Z19_skinny_gemm_kernelILi1ELi2ELi5ELi32ELi8EEvPKhS1_P6__halfPKfiiiiiiii,comdat
	.protected	_Z19_skinny_gemm_kernelILi1ELi2ELi5ELi32ELi8EEvPKhS1_P6__halfPKfiiiiiiii ; -- Begin function _Z19_skinny_gemm_kernelILi1ELi2ELi5ELi32ELi8EEvPKhS1_P6__halfPKfiiiiiiii
	.globl	_Z19_skinny_gemm_kernelILi1ELi2ELi5ELi32ELi8EEvPKhS1_P6__halfPKfiiiiiiii
	.p2align	8
	.type	_Z19_skinny_gemm_kernelILi1ELi2ELi5ELi32ELi8EEvPKhS1_P6__halfPKfiiiiiiii,@function
_Z19_skinny_gemm_kernelILi1ELi2ELi5ELi32ELi8EEvPKhS1_P6__halfPKfiiiiiiii: ; @_Z19_skinny_gemm_kernelILi1ELi2ELi5ELi32ELi8EEvPKhS1_P6__halfPKfiiiiiiii
; %bb.0:
	v_cmp_gt_u32_e32 vcc, 15, v0
	s_and_saveexec_b64 s[4:5], vcc
; %bb.1:
	v_lshlrev_b32_e32 v1, 2, v0
	v_mov_b32_e32 v2, 0
	ds_write_b32 v1, v2 offset:61440
; %bb.2:
	s_or_b64 exec, exec, s[4:5]
	s_load_dwordx8 s[16:23], s[0:1], 0x20
	s_waitcnt lgkmcnt(0)
	s_barrier
	s_add_i32 s3, s16, 31
	s_ashr_i32 s5, s3, 31
	s_add_i32 s4, s17, 63
	s_lshr_b32 s5, s5, 27
	s_ashr_i32 s6, s4, 31
	s_add_i32 s3, s3, s5
	s_ashr_i32 s11, s3, 5
	s_lshr_b32 s3, s6, 26
	s_add_i32 s4, s4, s3
	s_ashr_i32 s12, s4, 6
	s_mul_i32 s3, s12, s11
	s_mul_i32 s3, s3, s20
	s_add_i32 s4, s3, 0x12f
	s_mul_hi_i32 s4, s4, 0x6bca1af3
	s_lshr_b32 s5, s4, 31
	s_ashr_i32 s4, s4, 7
	s_add_i32 s4, s4, s5
	s_add_i32 s5, s2, 1
	s_mul_i32 s5, s4, s5
	v_cvt_f64_i32_e32 v[2:3], s3
	v_cvt_f64_u32_e32 v[4:5], s5
	v_min_f64 v[2:3], v[2:3], v[4:5]
	v_cvt_i32_f64_e32 v70, v[2:3]
	s_mul_i32 s33, s4, s2
	v_cmp_ge_i32_e32 vcc, s33, v70
	s_cbranch_vccnz .LBB62_51
; %bb.3:
	s_load_dwordx8 s[44:51], s[0:1], 0x0
	v_lshrrev_b32_e32 v1, 6, v0
	s_add_i32 s0, s22, s21
	v_cmp_le_i32_e64 s[14:15], s0, v1
	v_mov_b32_e32 v2, s21
	v_cmp_le_i32_e64 s[24:25], s21, v1
	v_mov_b32_e32 v3, s22
	v_cndmask_b32_e64 v3, 0, v3, s[14:15]
	v_cndmask_b32_e64 v2, 0, v2, s[24:25]
	s_abs_i32 s1, s20
	v_add_u32_e32 v2, v2, v3
	v_cvt_f32_u32_e32 v3, s1
	v_sub_u32_e32 v54, v1, v2
	s_ashr_i32 s2, s18, 31
	s_lshr_b32 s2, s2, 25
	v_rcp_iflag_f32_e32 v2, v3
	s_sub_i32 s5, 0, s1
	s_add_i32 s2, s18, s2
	s_ashr_i32 s2, s2, 7
	v_mul_f32_e32 v2, 0x4f7ffffe, v2
	v_cvt_u32_f32_e32 v2, v2
	s_abs_i32 s4, s2
	s_xor_b32 s3, s2, s20
	s_ashr_i32 s3, s3, 31
	v_readfirstlane_b32 s6, v2
	s_mul_i32 s5, s5, s6
	s_mul_hi_u32 s5, s6, s5
	s_add_i32 s6, s6, s5
	s_mul_hi_u32 s5, s4, s6
	s_mul_i32 s6, s5, s1
	s_sub_i32 s4, s4, s6
	s_add_i32 s6, s5, 1
	s_sub_i32 s7, s4, s1
	s_cmp_ge_u32 s4, s1
	s_cselect_b32 s5, s6, s5
	s_cselect_b32 s4, s7, s4
	s_add_i32 s6, s5, 1
	s_cmp_ge_u32 s4, s1
	s_cselect_b32 s1, s6, s5
	s_add_i32 s0, s0, s23
	v_and_b32_e32 v72, 31, v0
	v_lshrrev_b32_e32 v2, 3, v0
	v_cmp_gt_i32_e64 s[28:29], s0, v1
	v_lshlrev_b32_e32 v1, 2, v72
	v_and_b32_e32 v3, 4, v2
	v_and_b32_e32 v5, 1, v0
	v_lshlrev_b32_e32 v2, 6, v3
	v_or_b32_e32 v4, 0xa000, v1
	v_or_b32_e32 v3, v3, v5
	;; [unrolled: 1-line block ×4, first 2 shown]
	v_lshlrev_b32_e32 v2, 1, v5
	v_or_b32_e32 v5, 2, v3
	v_sub_u32_e32 v85, 32, v5
	v_or_b32_e32 v5, 8, v3
	v_sub_u32_e32 v86, 32, v5
	v_or_b32_e32 v5, 10, v3
	v_sub_u32_e32 v87, 32, v5
	v_or_b32_e32 v5, 16, v3
	v_sub_u32_e32 v88, 32, v5
	v_or_b32_e32 v5, 18, v3
	v_sub_u32_e32 v89, 32, v5
	v_or_b32_e32 v5, 24, v3
	s_abs_i32 s30, s11
                                        ; implicit-def: $vgpr107 : SGPR spill to VGPR lane
	v_sub_u32_e32 v84, 32, v3
	v_mul_lo_u32 v34, s17, v3
	v_sub_u32_e32 v90, 32, v5
	v_or_b32_e32 v3, 26, v3
	v_cvt_f32_u32_e32 v5, s30
	v_writelane_b32 v107, s11, 0
	v_sub_u32_e32 v91, 32, v3
	v_lshrrev_b32_e32 v3, 1, v0
	v_writelane_b32 v107, s12, 1
	v_and_b32_e32 v50, 16, v3
	v_lshlrev_b32_e32 v3, 4, v0
	s_waitcnt lgkmcnt(0)
	v_writelane_b32 v107, s44, 2
	v_and_b32_e32 v3, 0x200, v3
	v_or_b32_e32 v92, v1, v3
	v_writelane_b32 v107, s45, 3
	v_rcp_iflag_f32_e32 v1, v5
	v_writelane_b32 v107, s46, 4
	v_writelane_b32 v107, s47, 5
	v_sub_u32_e32 v2, v0, v2
	v_writelane_b32 v107, s48, 6
	v_add_u32_e32 v2, 1, v2
	s_abs_i32 s34, s12
	v_writelane_b32 v107, s49, 7
	s_xor_b32 s1, s1, s3
	v_and_b32_e32 v6, 63, v2
	v_bitop3_b32 v75, v0, 1, v0 bitop3:0xc
	v_bitop3_b32 v76, v0, 3, 1 bitop3:0x6c
	v_bitop3_b32 v77, v0, 5, 1 bitop3:0x6c
	v_bitop3_b32 v78, v0, 7, 1 bitop3:0x6c
	v_bitop3_b32 v79, v0, 9, 1 bitop3:0x6c
	v_bitop3_b32 v80, v0, 11, 1 bitop3:0x6c
	v_bitop3_b32 v81, v0, 13, 1 bitop3:0x6c
	v_bitop3_b32 v82, v0, 15, 1 bitop3:0x6c
	v_and_b32_e32 v2, 30, v0
	v_bitop3_b32 v93, v0, 31, v0 bitop3:0xc
	v_mul_f32_e32 v0, 0x4f7ffffe, v1
	v_cvt_f32_u32_e32 v1, s34
	v_writelane_b32 v107, s50, 8
	s_sub_i32 s13, s1, s3
	s_add_i32 s26, s20, -1
	v_writelane_b32 v107, s51, 9
	v_cndmask_b32_e64 v71, 0, 1, s[14:15]
	s_mul_i32 s1, s13, s26
	s_lshl_b32 s0, s17, 1
	v_writelane_b32 v107, s14, 10
	s_sub_i32 s27, s2, s1
	v_add_u32_e32 v36, s0, v34
	s_mul_i32 s1, s17, 6
	v_writelane_b32 v107, s15, 11
	v_add_u32_e32 v38, s1, v36
	v_cvt_u32_f32_e32 v0, v0
	v_rcp_iflag_f32_e32 v1, v1
	v_writelane_b32 v107, s24, 12
	v_add_u32_e32 v40, s0, v38
	v_add_u32_e32 v42, s1, v40
	v_writelane_b32 v107, s25, 13
	v_writelane_b32 v107, s13, 14
	v_add_u32_e32 v44, s0, v42
	v_writelane_b32 v107, s26, 15
	v_add_u32_e32 v46, s1, v44
	v_readfirstlane_b32 s1, v0
	v_mul_f32_e32 v0, 0x4f7ffffe, v1
	v_writelane_b32 v107, s27, 16
	v_cvt_u32_f32_e32 v0, v0
	v_writelane_b32 v107, s28, 17
	v_add_u32_e32 v48, s0, v46
	s_sub_i32 s0, 0, s30
	v_writelane_b32 v107, s29, 18
	s_lshl_b32 s31, s19, 5
	s_mul_i32 s0, s0, s1
	v_writelane_b32 v107, s30, 19
	s_mul_hi_u32 s0, s1, s0
	v_writelane_b32 v107, s31, 20
	s_ashr_i32 s35, s11, 31
	s_add_i32 s36, s1, s0
	s_sub_i32 s0, 0, s34
	v_readfirstlane_b32 s1, v0
	v_mbcnt_lo_u32_b32 v0, -1, 0
	v_writelane_b32 v107, s34, 21
	s_mul_i32 s0, s0, s1
	v_mbcnt_hi_u32_b32 v0, -1, v0
	v_writelane_b32 v107, s35, 22
	v_mov_b32_e32 v33, 0
	v_mul_lo_u32 v52, s19, v72
	s_ashr_i32 s37, s12, 31
	s_mul_hi_u32 s0, s1, s0
	v_and_or_b32 v0, v0, 64, v6
	v_writelane_b32 v107, s36, 23
	v_or_b32_e32 v83, 32, v72
	v_ashrrev_i32_e32 v35, 31, v34
	v_ashrrev_i32_e32 v37, 31, v36
	;; [unrolled: 1-line block ×9, first 2 shown]
	v_mov_b32_e32 v51, v33
	v_mul_lo_u32 v94, s18, v72
	v_or_b32_e32 v95, v4, v3
	s_add_i32 s38, s1, s0
	v_lshlrev_b32_e32 v32, 1, v2
	v_lshlrev_b32_e32 v96, 2, v0
	v_mov_b32_e32 v97, v54
	v_writelane_b32 v107, s37, 24
	v_writelane_b32 v107, s38, 25
	s_branch .LBB62_7
.LBB62_4:                               ;   in Loop: Header=BB62_7 Depth=1
	s_or_b64 exec, exec, s[4:5]
.LBB62_5:                               ;   in Loop: Header=BB62_7 Depth=1
	s_or_b64 exec, exec, s[2:3]
	v_subrev_u32_e32 v97, s20, v97
.LBB62_6:                               ;   in Loop: Header=BB62_7 Depth=1
	s_or_b64 exec, exec, s[0:1]
	s_add_i32 s33, s33, 1
	v_cmp_ge_i32_e32 vcc, s33, v70
	s_cbranch_vccnz .LBB62_51
.LBB62_7:                               ; =>This Loop Header: Depth=1
                                        ;     Child Loop BB62_13 Depth 2
                                        ;       Child Loop BB62_15 Depth 3
                                        ;       Child Loop BB62_18 Depth 3
	;; [unrolled: 1-line block ×3, first 2 shown]
                                        ;     Child Loop BB62_38 Depth 2
                                        ;       Child Loop BB62_40 Depth 3
                                        ;     Child Loop BB62_48 Depth 2
                                        ;       Child Loop BB62_50 Depth 3
	s_abs_i32 s1, s33
	s_mul_hi_u32 s2, s1, s36
	s_mul_i32 s3, s2, s30
	s_ashr_i32 s0, s33, 31
	s_sub_i32 s1, s1, s3
	s_xor_b32 s0, s0, s35
	s_add_i32 s3, s2, 1
	s_sub_i32 s4, s1, s30
	s_cmp_ge_u32 s1, s30
	s_cselect_b32 s2, s3, s2
	s_cselect_b32 s1, s4, s1
	s_add_i32 s3, s2, 1
	s_cmp_ge_u32 s1, s30
	s_cselect_b32 s1, s3, s2
	s_xor_b32 s1, s1, s0
	s_sub_i32 s0, s1, s0
	s_abs_i32 s2, s0
	s_mul_i32 s1, s0, s11
	s_mul_hi_u32 s3, s2, s38
	s_sub_i32 s1, s33, s1
	s_mul_i32 s4, s3, s34
	s_lshl_b32 s52, s1, 5
	s_ashr_i32 s1, s0, 31
	s_sub_i32 s2, s2, s4
	s_xor_b32 s1, s1, s37
	s_add_i32 s4, s3, 1
	s_sub_i32 s5, s2, s34
	s_cmp_ge_u32 s2, s34
	s_cselect_b32 s3, s4, s3
	s_cselect_b32 s2, s5, s2
	s_add_i32 s4, s3, 1
	s_cmp_ge_u32 s2, s34
	s_cselect_b32 s2, s4, s3
	s_xor_b32 s2, s2, s1
	s_sub_i32 s1, s2, s1
	s_mul_i32 s2, s1, s13
	s_lshl_b32 s39, s2, 7
	s_cmp_eq_u32 s1, s26
	s_cselect_b32 s20, s27, s13
	s_sub_i32 s2, s52, s16
	s_add_i32 s53, s2, 32
	s_and_saveexec_b64 s[2:3], s[24:25]
	s_xor_b64 s[40:41], exec, s[2:3]
	s_cbranch_execz .LBB62_44
; %bb.8:                                ;   in Loop: Header=BB62_7 Depth=1
	s_mul_i32 s1, s1, s12
	s_sub_i32 s0, s0, s1
	s_lshl_b32 s0, s0, 6
	s_sub_i32 s90, s0, s17
	s_add_i32 s90, s90, 64
	s_max_i32 s1, s90, 0
	s_sub_i32 s54, s0, s1
	s_and_saveexec_b64 s[0:1], s[14:15]
	s_xor_b64 s[4:5], exec, s[0:1]
	s_cbranch_execz .LBB62_34
; %bb.9:                                ;   in Loop: Header=BB62_7 Depth=1
	s_and_saveexec_b64 s[2:3], s[28:29]
	s_cbranch_execz .LBB62_33
; %bb.10:                               ;   in Loop: Header=BB62_7 Depth=1
	global_load_dword v98, v33, s[50:51]
	v_writelane_b32 v107, s2, 26
	v_mov_b32_e32 v31, 0
	v_cmp_gt_i32_e32 vcc, s20, v97
	v_writelane_b32 v107, s3, 27
	v_writelane_b32 v107, s4, 28
	v_mov_b32_e32 v30, v31
	v_mov_b32_e32 v29, v31
	v_mov_b32_e32 v28, v31
	v_mov_b32_e32 v27, v31
	v_mov_b32_e32 v26, v31
	v_mov_b32_e32 v25, v31
	v_mov_b32_e32 v24, v31
	v_mov_b32_e32 v23, v31
	v_mov_b32_e32 v22, v31
	v_mov_b32_e32 v21, v31
	v_mov_b32_e32 v20, v31
	v_mov_b32_e32 v19, v31
	s_waitcnt lgkmcnt(1)
	v_mov_b32_e32 v18, v31
	v_mov_b32_e32 v17, v31
	;; [unrolled: 1-line block ×19, first 2 shown]
	v_writelane_b32 v107, s5, 29
	s_and_saveexec_b64 s[0:1], vcc
	s_cbranch_execz .LBB62_23
; %bb.11:                               ;   in Loop: Header=BB62_7 Depth=1
	v_mov_b32_e32 v0, 0
	s_mov_b64 s[2:3], 0
	v_mov_b32_e32 v1, v0
	v_mov_b32_e32 v2, v0
	;; [unrolled: 1-line block ×31, first 2 shown]
	s_branch .LBB62_13
.LBB62_12:                              ;   in Loop: Header=BB62_13 Depth=2
	s_or_b64 exec, exec, s[4:5]
	v_add_u32_e32 v104, v74, v102
	v_add_u32_e32 v105, 0x1000, v104
	ds_read2_b32 v[102:103], v105 offset1:32
	v_add_u32_e32 v97, s23, v97
	v_cmp_le_i32_e32 vcc, s20, v97
	s_or_b64 s[2:3], vcc, s[2:3]
	ds_write_b32 v100, v101 offset:61452
	s_waitcnt lgkmcnt(1)
	v_mfma_f32_32x32x16_fp8_fp8 v[0:15], v[66:67], v[102:103], v[0:15]
	ds_read2_b32 v[66:67], v105 offset0:128 offset1:160
	s_waitcnt lgkmcnt(0)
	v_mfma_f32_32x32x16_fp8_fp8 v[0:15], v[64:65], v[66:67], v[0:15]
	v_add_u32_e32 v66, 0x1400, v104
	ds_read2_b32 v[64:65], v66 offset1:32
	s_waitcnt lgkmcnt(0)
	v_mfma_f32_32x32x16_fp8_fp8 v[0:15], v[62:63], v[64:65], v[0:15]
	ds_read2_b32 v[62:63], v66 offset0:128 offset1:160
	s_waitcnt lgkmcnt(0)
	v_mfma_f32_32x32x16_fp8_fp8 v[0:15], v[60:61], v[62:63], v[0:15]
	v_add_u32_e32 v62, 0x1800, v104
	ds_read2_b32 v[60:61], v62 offset1:32
	s_waitcnt lgkmcnt(0)
	v_mfma_f32_32x32x16_fp8_fp8 v[0:15], v[58:59], v[60:61], v[0:15]
	ds_read2_b32 v[58:59], v62 offset0:128 offset1:160
	s_waitcnt lgkmcnt(0)
	v_mfma_f32_32x32x16_fp8_fp8 v[0:15], v[56:57], v[58:59], v[0:15]
	v_add_u32_e32 v58, 0x1c00, v104
	ds_read2_b32 v[56:57], v58 offset1:32
	s_waitcnt lgkmcnt(0)
	v_mfma_f32_32x32x16_fp8_fp8 v[0:15], v[54:55], v[56:57], v[0:15]
	ds_read2_b32 v[54:55], v58 offset0:128 offset1:160
	s_waitcnt lgkmcnt(0)
	v_mfma_f32_32x32x16_fp8_fp8 v[0:15], v[68:69], v[54:55], v[0:15]
	v_add_u32_e32 v54, s23, v99
	v_add_u32_e32 v55, 2, v71
	v_cmp_lt_i32_e32 vcc, 4, v54
	s_nop 1
	v_cndmask_b32_e32 v71, v71, v55, vcc
	s_andn2_b64 exec, exec, s[2:3]
	s_cbranch_execz .LBB62_22
.LBB62_13:                              ;   Parent Loop BB62_7 Depth=1
                                        ; =>  This Loop Header: Depth=2
                                        ;       Child Loop BB62_15 Depth 3
                                        ;       Child Loop BB62_18 Depth 3
	;; [unrolled: 1-line block ×3, first 2 shown]
	v_cmp_gt_i32_e32 vcc, 5, v54
	s_nop 1
	v_cndmask_b32_e64 v55, -5, 0, vcc
	v_add_u32_e32 v99, v55, v54
	v_lshlrev_b32_e32 v100, 4, v99
	ds_read_b32 v54, v100 offset:61440
	s_waitcnt lgkmcnt(0)
	v_cmp_ne_u32_e32 vcc, v54, v71
	s_and_saveexec_b64 s[4:5], vcc
	s_cbranch_execz .LBB62_16
; %bb.14:                               ;   in Loop: Header=BB62_13 Depth=2
	s_mov_b64 s[6:7], 0
.LBB62_15:                              ;   Parent Loop BB62_7 Depth=1
                                        ;     Parent Loop BB62_13 Depth=2
                                        ; =>    This Inner Loop Header: Depth=3
	;;#ASMSTART
	s_sleep 0
	;;#ASMEND
	ds_read_b32 v54, v100 offset:61440
	s_waitcnt lgkmcnt(0)
	v_cmp_eq_u32_e32 vcc, v54, v71
	s_or_b64 s[6:7], vcc, s[6:7]
	s_andn2_b64 exec, exec, s[6:7]
	s_cbranch_execnz .LBB62_15
.LBB62_16:                              ;   in Loop: Header=BB62_13 Depth=2
	s_or_b64 exec, exec, s[4:5]
	v_lshl_add_u32 v54, v99, 12, v73
	v_add_u32_e32 v55, 0x400, v54
	ds_read2_b32 v[66:67], v54 offset1:32
	ds_read2_b32 v[64:65], v54 offset0:128 offset1:160
	ds_read2_b32 v[62:63], v55 offset1:32
	ds_read2_b32 v[60:61], v55 offset0:128 offset1:160
	v_add_u32_e32 v55, 0x800, v54
	v_add_u32_e32 v68, 0xc00, v54
	ds_read2_b32 v[58:59], v55 offset1:32
	ds_read2_b32 v[56:57], v55 offset0:128 offset1:160
	ds_read2_b32 v[54:55], v68 offset1:32
	ds_read_b32 v102, v100 offset:61444
	ds_read2_b32 v[68:69], v68 offset0:128 offset1:160
	v_add_u32_e32 v101, 1, v71
	ds_write_b32 v100, v101 offset:61440
	s_waitcnt lgkmcnt(2)
	v_cmp_ne_u32_e32 vcc, v102, v71
	s_and_saveexec_b64 s[4:5], vcc
	s_cbranch_execz .LBB62_19
; %bb.17:                               ;   in Loop: Header=BB62_13 Depth=2
	s_mov_b64 s[6:7], 0
.LBB62_18:                              ;   Parent Loop BB62_7 Depth=1
                                        ;     Parent Loop BB62_13 Depth=2
                                        ; =>    This Inner Loop Header: Depth=3
	;;#ASMSTART
	s_sleep 0
	;;#ASMEND
	ds_read_b32 v102, v100 offset:61444
	s_waitcnt lgkmcnt(0)
	v_cmp_eq_u32_e32 vcc, v102, v71
	s_or_b64 s[6:7], vcc, s[6:7]
	s_andn2_b64 exec, exec, s[6:7]
	s_cbranch_execnz .LBB62_18
.LBB62_19:                              ;   in Loop: Header=BB62_13 Depth=2
	s_or_b64 exec, exec, s[4:5]
	v_lshlrev_b32_e32 v102, 13, v99
	v_or_b32_e32 v103, v74, v102
	ds_read2_b32 v[104:105], v103 offset1:32
	v_add_u32_e32 v106, 0x400, v103
	ds_write_b32 v100, v101 offset:61444
	s_waitcnt lgkmcnt(1)
	v_mfma_f32_32x32x16_fp8_fp8 v[16:31], v[66:67], v[104:105], v[16:31]
	ds_read2_b32 v[104:105], v103 offset0:128 offset1:160
	s_waitcnt lgkmcnt(0)
	v_mfma_f32_32x32x16_fp8_fp8 v[16:31], v[64:65], v[104:105], v[16:31]
	ds_read2_b32 v[104:105], v106 offset1:32
	s_waitcnt lgkmcnt(0)
	v_mfma_f32_32x32x16_fp8_fp8 v[16:31], v[62:63], v[104:105], v[16:31]
	ds_read2_b32 v[104:105], v106 offset0:128 offset1:160
	v_add_u32_e32 v106, 0x800, v103
	v_add_u32_e32 v103, 0xc00, v103
	s_waitcnt lgkmcnt(0)
	v_mfma_f32_32x32x16_fp8_fp8 v[16:31], v[60:61], v[104:105], v[16:31]
	ds_read2_b32 v[104:105], v106 offset1:32
	s_waitcnt lgkmcnt(0)
	v_mfma_f32_32x32x16_fp8_fp8 v[16:31], v[58:59], v[104:105], v[16:31]
	ds_read2_b32 v[104:105], v106 offset0:128 offset1:160
	s_waitcnt lgkmcnt(0)
	v_mfma_f32_32x32x16_fp8_fp8 v[16:31], v[56:57], v[104:105], v[16:31]
	ds_read2_b32 v[104:105], v103 offset1:32
	s_waitcnt lgkmcnt(0)
	v_mfma_f32_32x32x16_fp8_fp8 v[16:31], v[54:55], v[104:105], v[16:31]
	ds_read2_b32 v[104:105], v103 offset0:128 offset1:160
	ds_read_b32 v103, v100 offset:61452
	s_waitcnt lgkmcnt(0)
	v_cmp_ne_u32_e32 vcc, v103, v71
	v_mfma_f32_32x32x16_fp8_fp8 v[16:31], v[68:69], v[104:105], v[16:31]
	s_and_saveexec_b64 s[4:5], vcc
	s_cbranch_execz .LBB62_12
; %bb.20:                               ;   in Loop: Header=BB62_13 Depth=2
	s_mov_b64 s[6:7], 0
.LBB62_21:                              ;   Parent Loop BB62_7 Depth=1
                                        ;     Parent Loop BB62_13 Depth=2
                                        ; =>    This Inner Loop Header: Depth=3
	;;#ASMSTART
	s_sleep 0
	;;#ASMEND
	ds_read_b32 v103, v100 offset:61452
	s_waitcnt lgkmcnt(0)
	v_cmp_eq_u32_e32 vcc, v103, v71
	s_or_b64 s[6:7], vcc, s[6:7]
	s_andn2_b64 exec, exec, s[6:7]
	s_cbranch_execnz .LBB62_21
	s_branch .LBB62_12
.LBB62_22:                              ;   in Loop: Header=BB62_7 Depth=1
	s_or_b64 exec, exec, s[2:3]
.LBB62_23:                              ;   in Loop: Header=BB62_7 Depth=1
	v_writelane_b32 v107, s54, 30
	s_nop 1
	v_writelane_b32 v107, s55, 31
	v_writelane_b32 v107, s40, 32
	s_nop 1
	v_writelane_b32 v107, s41, 33
	v_writelane_b32 v107, s53, 34
	;; [unrolled: 1-line block ×4, first 2 shown]
	s_or_b64 exec, exec, s[0:1]
	v_cmp_le_i32_e32 vcc, s90, v72
	v_cmp_eq_u32_e64 s[86:87], 1, v75
	v_cmp_eq_u32_e64 s[50:51], 2, v75
	s_waitcnt vmcnt(0)
	v_cndmask_b32_e32 v56, 0, v98, vcc
	v_pk_mul_f32 v[16:17], v[56:57], v[16:17] op_sel_hi:[0,1]
	v_pk_mul_f32 v[18:19], v[56:57], v[18:19] op_sel_hi:[0,1]
	v_cndmask_b32_e64 v55, v16, v17, s[86:87]
	v_cndmask_b32_e64 v55, v55, v18, s[50:51]
	v_cmp_eq_u32_e64 s[52:53], 3, v75
	v_pk_mul_f32 v[20:21], v[56:57], v[20:21] op_sel_hi:[0,1]
	v_cmp_eq_u32_e64 s[56:57], 4, v75
	v_cndmask_b32_e64 v55, v55, v19, s[52:53]
	v_cmp_eq_u32_e64 s[60:61], 5, v75
	v_cndmask_b32_e64 v55, v55, v20, s[56:57]
	v_pk_mul_f32 v[22:23], v[56:57], v[22:23] op_sel_hi:[0,1]
	v_cndmask_b32_e64 v55, v55, v21, s[60:61]
	v_cmp_eq_u32_e64 s[64:65], 6, v75
	v_cmp_eq_u32_e64 s[68:69], 7, v75
	v_pk_mul_f32 v[24:25], v[56:57], v[24:25] op_sel_hi:[0,1]
	v_cndmask_b32_e64 v55, v55, v22, s[64:65]
	v_cndmask_b32_e64 v55, v55, v23, s[68:69]
	v_cmp_eq_u32_e64 s[72:73], 8, v75
	v_cmp_eq_u32_e64 s[74:75], 9, v75
	v_pk_mul_f32 v[26:27], v[56:57], v[26:27] op_sel_hi:[0,1]
	v_cndmask_b32_e64 v55, v55, v24, s[72:73]
	v_cndmask_b32_e64 v55, v55, v25, s[74:75]
	v_cmp_eq_u32_e64 s[76:77], 10, v75
	v_cmp_eq_u32_e64 s[78:79], 11, v75
	v_pk_mul_f32 v[28:29], v[56:57], v[28:29] op_sel_hi:[0,1]
	v_cndmask_b32_e64 v55, v55, v26, s[76:77]
	v_cndmask_b32_e64 v55, v55, v27, s[78:79]
	v_cmp_eq_u32_e64 s[80:81], 12, v75
	v_cmp_eq_u32_e64 s[82:83], 13, v75
	v_pk_mul_f32 v[30:31], v[56:57], v[30:31] op_sel_hi:[0,1]
	v_cndmask_b32_e64 v55, v55, v28, s[80:81]
	v_cndmask_b32_e64 v55, v55, v29, s[82:83]
	v_cmp_eq_u32_e64 s[84:85], 14, v75
	v_cmp_eq_u32_e64 s[88:89], 15, v75
	v_cmp_eq_u32_e64 s[70:71], 0, v75
	v_cndmask_b32_e64 v55, v55, v30, s[84:85]
	v_cndmask_b32_e64 v55, v55, v31, s[88:89]
	ds_bpermute_b32 v55, v96, v55
	v_cmp_eq_u32_e64 s[24:25], 1, v76
	v_cmp_eq_u32_e64 s[26:27], 2, v76
	;; [unrolled: 1-line block ×4, first 2 shown]
	s_waitcnt lgkmcnt(0)
	v_cndmask_b32_e64 v62, v17, v55, s[86:87]
	v_cndmask_b32_e64 v16, v16, v55, s[70:71]
	;; [unrolled: 1-line block ×10, first 2 shown]
	v_cmp_eq_u32_e64 s[34:35], 5, v76
	v_cndmask_b32_e64 v57, v22, v55, s[64:65]
	v_cmp_eq_u32_e64 s[36:37], 6, v76
	v_cndmask_b32_e64 v17, v17, v58, s[34:35]
	v_cndmask_b32_e64 v56, v23, v55, s[68:69]
	v_cndmask_b32_e64 v17, v17, v57, s[36:37]
	v_cmp_eq_u32_e64 s[38:39], 7, v76
	v_cndmask_b32_e64 v24, v24, v55, s[72:73]
	v_cmp_eq_u32_e64 s[42:43], 8, v76
	v_cndmask_b32_e64 v17, v17, v56, s[38:39]
	v_cndmask_b32_e64 v25, v25, v55, s[74:75]
	v_cndmask_b32_e64 v17, v17, v24, s[42:43]
	;; [unrolled: 6-line block ×5, first 2 shown]
	v_cmp_eq_u32_e64 s[66:67], 15, v76
	v_cmp_le_i32_e64 s[90:91], s90, v83
	v_cmp_eq_u32_e64 s[40:41], 0, v76
	v_cndmask_b32_e64 v17, v17, v31, s[66:67]
	ds_bpermute_b32 v55, v96, v17
	v_cmp_eq_u32_e64 s[4:5], 1, v77
	v_cmp_eq_u32_e64 s[6:7], 2, v77
	;; [unrolled: 1-line block ×4, first 2 shown]
	s_waitcnt lgkmcnt(0)
	v_cndmask_b32_e64 v23, v25, v55, s[44:45]
	v_cndmask_b32_e64 v25, v56, v55, s[38:39]
	;; [unrolled: 1-line block ×3, first 2 shown]
	v_pk_mul_f32 v[0:1], v[56:57], v[0:1] op_sel_hi:[0,1]
	v_pk_mul_f32 v[14:15], v[56:57], v[14:15] op_sel_hi:[0,1]
	;; [unrolled: 1-line block ×8, first 2 shown]
	v_cndmask_b32_e64 v56, v0, v1, s[86:87]
	v_cndmask_b32_e64 v56, v56, v2, s[50:51]
	;; [unrolled: 1-line block ×32, first 2 shown]
	v_cmp_eq_u32_e64 s[12:13], 5, v77
	v_cndmask_b32_e64 v56, v56, v15, s[88:89]
	v_cmp_eq_u32_e64 s[14:15], 6, v77
	v_cndmask_b32_e64 v55, v55, v27, s[12:13]
	ds_bpermute_b32 v56, v96, v56
	v_cndmask_b32_e64 v55, v55, v26, s[14:15]
	v_cmp_eq_u32_e64 s[96:97], 7, v77
	v_cmp_eq_u32_e64 s[98:99], 8, v77
	v_cmp_eq_u32_e32 vcc, 9, v77
	v_cndmask_b32_e64 v55, v55, v25, s[96:97]
	v_cndmask_b32_e64 v55, v55, v24, s[98:99]
	v_cndmask_b32_e32 v55, v55, v23, vcc
	v_cmp_eq_u32_e64 s[0:1], 10, v77
	v_cmp_eq_u32_e64 s[86:87], 11, v77
	s_waitcnt lgkmcnt(0)
	v_cndmask_b32_e64 v2, v2, v56, s[50:51]
	v_cndmask_b32_e64 v55, v55, v22, s[0:1]
	v_cmp_ne_u32_e64 s[50:51], 0, v75
	v_cndmask_b32_e64 v55, v55, v21, s[86:87]
	v_cmp_eq_u32_e64 s[90:91], 12, v77
	v_cndmask_b32_e64 v1, v1, v56, s[50:51]
	v_cndmask_b32_e64 v0, v0, v56, s[70:71]
	;; [unrolled: 1-line block ×4, first 2 shown]
	v_cmp_eq_u32_e64 s[88:89], 13, v77
	v_cndmask_b32_e64 v14, v14, v56, s[84:85]
	v_cndmask_b32_e64 v13, v13, v56, s[82:83]
	;; [unrolled: 1-line block ×14, first 2 shown]
	v_cmp_eq_u32_e64 s[84:85], 14, v77
	v_cndmask_b32_e64 v56, v56, v2, s[26:27]
	v_cmp_eq_u32_e64 s[82:83], 15, v77
	v_cndmask_b32_e64 v55, v55, v18, s[84:85]
	v_cndmask_b32_e64 v56, v56, v3, s[28:29]
	;; [unrolled: 1-line block ×4, first 2 shown]
	ds_bpermute_b32 v55, v96, v55
	v_cndmask_b32_e64 v56, v56, v5, s[34:35]
	v_cndmask_b32_e64 v56, v56, v6, s[36:37]
	;; [unrolled: 1-line block ×4, first 2 shown]
	v_cmp_eq_u32_e64 s[80:81], 0, v77
	v_cndmask_b32_e64 v56, v56, v9, s[44:45]
	s_waitcnt lgkmcnt(0)
	v_cndmask_b32_e64 v31, v31, v55, s[4:5]
	v_cndmask_b32_e64 v16, v16, v55, s[80:81]
	v_cmp_eq_u32_e64 s[78:79], 1, v78
	v_cndmask_b32_e64 v56, v56, v10, s[46:47]
	v_cndmask_b32_e64 v17, v17, v55, s[82:83]
	v_cndmask_b32_e64 v18, v18, v55, s[84:85]
	v_cndmask_b32_e64 v19, v19, v55, s[88:89]
	v_cndmask_b32_e64 v20, v20, v55, s[90:91]
	v_cndmask_b32_e64 v21, v21, v55, s[86:87]
	v_cndmask_b32_e64 v22, v22, v55, s[0:1]
	v_cndmask_b32_e32 v23, v23, v55, vcc
	v_cndmask_b32_e64 v24, v24, v55, s[98:99]
	v_cndmask_b32_e64 v25, v25, v55, s[96:97]
	;; [unrolled: 1-line block ×8, first 2 shown]
	v_cmp_eq_u32_e64 s[76:77], 2, v78
	v_cndmask_b32_e64 v56, v56, v11, s[48:49]
	v_cmp_eq_u32_e64 s[74:75], 3, v78
	v_cndmask_b32_e64 v55, v55, v30, s[76:77]
	v_cndmask_b32_e64 v56, v56, v12, s[54:55]
	;; [unrolled: 1-line block ×3, first 2 shown]
	v_cmp_eq_u32_e64 s[72:73], 4, v78
	v_cndmask_b32_e64 v56, v56, v13, s[58:59]
	v_cmp_eq_u32_e64 s[68:69], 5, v78
	v_cndmask_b32_e64 v55, v55, v28, s[72:73]
	v_cndmask_b32_e64 v56, v56, v14, s[62:63]
	;; [unrolled: 1-line block ×3, first 2 shown]
	v_cmp_eq_u32_e64 s[64:65], 6, v78
	v_cndmask_b32_e64 v56, v56, v15, s[66:67]
	v_cmp_eq_u32_e64 s[60:61], 7, v78
	v_cndmask_b32_e64 v55, v55, v26, s[64:65]
	ds_bpermute_b32 v56, v96, v56
	v_cndmask_b32_e64 v55, v55, v25, s[60:61]
	v_cmp_eq_u32_e64 s[56:57], 8, v78
	v_cmp_eq_u32_e64 s[52:53], 9, v78
	;; [unrolled: 1-line block ×3, first 2 shown]
	v_cndmask_b32_e64 v55, v55, v24, s[56:57]
	v_cndmask_b32_e64 v55, v55, v23, s[52:53]
	;; [unrolled: 1-line block ×3, first 2 shown]
	v_cmp_eq_u32_e64 s[70:71], 11, v78
	s_waitcnt lgkmcnt(0)
	v_cndmask_b32_e64 v15, v15, v56, s[66:67]
	v_cmp_eq_u32_e64 s[66:67], 12, v78
	v_cndmask_b32_e64 v55, v55, v21, s[70:71]
	v_cndmask_b32_e64 v14, v14, v56, s[62:63]
	v_cndmask_b32_e64 v55, v55, v20, s[66:67]
	v_cmp_eq_u32_e64 s[62:63], 13, v78
	v_cndmask_b32_e64 v1, v1, v56, s[24:25]
	v_cndmask_b32_e64 v0, v0, v56, s[40:41]
	;; [unrolled: 1-line block ×4, first 2 shown]
	v_cmp_eq_u32_e64 s[92:93], 14, v78
	v_cndmask_b32_e64 v12, v12, v56, s[54:55]
	v_cndmask_b32_e64 v11, v11, v56, s[48:49]
	v_cndmask_b32_e64 v10, v10, v56, s[46:47]
	v_cndmask_b32_e64 v9, v9, v56, s[44:45]
	v_cndmask_b32_e64 v8, v8, v56, s[42:43]
	v_cndmask_b32_e64 v7, v7, v56, s[38:39]
	v_cndmask_b32_e64 v6, v6, v56, s[36:37]
	v_cndmask_b32_e64 v5, v5, v56, s[34:35]
	v_cndmask_b32_e64 v4, v4, v56, s[30:31]
	v_cndmask_b32_e64 v3, v3, v56, s[28:29]
	v_cndmask_b32_e64 v2, v2, v56, s[26:27]
	v_cndmask_b32_e64 v56, v0, v1, s[4:5]
	v_cndmask_b32_e64 v55, v55, v18, s[92:93]
	v_cmp_eq_u32_e64 s[94:95], 15, v78
	v_cndmask_b32_e64 v56, v56, v2, s[6:7]
	v_cndmask_b32_e64 v56, v56, v3, s[8:9]
	;; [unrolled: 1-line block ×3, first 2 shown]
	ds_bpermute_b32 v55, v96, v55
	v_cndmask_b32_e64 v56, v56, v4, s[10:11]
	v_cndmask_b32_e64 v56, v56, v5, s[12:13]
	;; [unrolled: 1-line block ×4, first 2 shown]
	v_cmp_eq_u32_e64 s[48:49], 0, v78
	v_cndmask_b32_e64 v56, v56, v8, s[98:99]
	s_waitcnt lgkmcnt(0)
	v_cndmask_b32_e64 v31, v31, v55, s[78:79]
	v_cndmask_b32_e64 v16, v16, v55, s[48:49]
	v_cmp_eq_u32_e64 s[46:47], 1, v79
	v_cndmask_b32_e32 v56, v56, v9, vcc
	v_cndmask_b32_e64 v17, v17, v55, s[94:95]
	v_cndmask_b32_e64 v18, v18, v55, s[92:93]
	;; [unrolled: 1-line block ×15, first 2 shown]
	v_cmp_eq_u32_e64 s[44:45], 2, v79
	v_cndmask_b32_e64 v56, v56, v10, s[0:1]
	v_cmp_eq_u32_e64 s[42:43], 3, v79
	v_cndmask_b32_e64 v55, v55, v30, s[44:45]
	v_cndmask_b32_e64 v56, v56, v11, s[86:87]
	v_cndmask_b32_e64 v55, v55, v29, s[42:43]
	v_cmp_eq_u32_e64 s[38:39], 4, v79
	v_cndmask_b32_e64 v56, v56, v12, s[90:91]
	v_cmp_eq_u32_e64 s[36:37], 5, v79
	v_cndmask_b32_e64 v55, v55, v28, s[38:39]
	v_cndmask_b32_e64 v56, v56, v13, s[88:89]
	v_cndmask_b32_e64 v55, v55, v27, s[36:37]
	;; [unrolled: 6-line block ×3, first 2 shown]
	v_cmp_eq_u32_e64 s[28:29], 8, v79
	ds_bpermute_b32 v56, v96, v56
	v_cmp_eq_u32_e64 s[26:27], 9, v79
	v_cndmask_b32_e64 v55, v55, v24, s[28:29]
	v_cmp_eq_u32_e64 s[24:25], 10, v79
	v_cndmask_b32_e64 v55, v55, v23, s[26:27]
	;; [unrolled: 2-line block ×4, first 2 shown]
	s_waitcnt lgkmcnt(0)
	v_cndmask_b32_e64 v15, v15, v56, s[82:83]
	v_cndmask_b32_e64 v55, v55, v20, s[58:59]
	v_cmp_eq_u32_e64 s[82:83], 13, v79
	v_cndmask_b32_e64 v14, v14, v56, s[84:85]
	v_cmp_eq_u32_e64 s[84:85], 14, v79
	v_cndmask_b32_e64 v55, v55, v19, s[82:83]
	v_cndmask_b32_e64 v1, v1, v56, s[4:5]
	v_cndmask_b32_e64 v0, v0, v56, s[80:81]
	v_cndmask_b32_e64 v13, v13, v56, s[88:89]
	v_cndmask_b32_e64 v55, v55, v18, s[84:85]
	v_cndmask_b32_e64 v12, v12, v56, s[90:91]
	v_cmp_eq_u32_e64 s[90:91], 15, v79
	v_cndmask_b32_e64 v11, v11, v56, s[86:87]
	v_cndmask_b32_e64 v10, v10, v56, s[0:1]
	v_cndmask_b32_e32 v9, v9, v56, vcc
	v_cndmask_b32_e64 v8, v8, v56, s[98:99]
	v_cndmask_b32_e64 v7, v7, v56, s[96:97]
	;; [unrolled: 1-line block ×10, first 2 shown]
	ds_bpermute_b32 v55, v96, v55
	v_cndmask_b32_e64 v56, v56, v3, s[74:75]
	v_cndmask_b32_e64 v56, v56, v4, s[72:73]
	;; [unrolled: 1-line block ×4, first 2 shown]
	v_cmp_eq_u32_e64 s[54:55], 0, v79
	v_cndmask_b32_e64 v56, v56, v7, s[60:61]
	s_waitcnt lgkmcnt(0)
	v_cndmask_b32_e64 v31, v31, v55, s[46:47]
	v_cndmask_b32_e64 v16, v16, v55, s[54:55]
	v_cmp_eq_u32_e64 s[0:1], 1, v80
	v_cndmask_b32_e64 v56, v56, v8, s[56:57]
	v_cndmask_b32_e64 v17, v17, v55, s[90:91]
	v_cndmask_b32_e64 v18, v18, v55, s[84:85]
	v_cndmask_b32_e64 v19, v19, v55, s[82:83]
	v_cndmask_b32_e64 v20, v20, v55, s[58:59]
	v_cndmask_b32_e64 v21, v21, v55, s[40:41]
	v_cndmask_b32_e64 v22, v22, v55, s[24:25]
	v_cndmask_b32_e64 v23, v23, v55, s[26:27]
	v_cndmask_b32_e64 v24, v24, v55, s[28:29]
	v_cndmask_b32_e64 v25, v25, v55, s[30:31]
	v_cndmask_b32_e64 v26, v26, v55, s[34:35]
	v_cndmask_b32_e64 v27, v27, v55, s[36:37]
	v_cndmask_b32_e64 v28, v28, v55, s[38:39]
	v_cndmask_b32_e64 v29, v29, v55, s[42:43]
	v_cndmask_b32_e64 v30, v30, v55, s[44:45]
	v_cndmask_b32_e64 v55, v16, v31, s[0:1]
	v_cmp_eq_u32_e64 s[2:3], 2, v80
	v_cndmask_b32_e64 v56, v56, v9, s[52:53]
	v_cmp_eq_u32_e64 s[98:99], 3, v80
	v_cndmask_b32_e64 v55, v55, v30, s[2:3]
	v_cndmask_b32_e64 v56, v56, v10, s[50:51]
	v_cndmask_b32_e64 v55, v55, v29, s[98:99]
	v_cmp_eq_u32_e64 s[96:97], 4, v80
	v_cndmask_b32_e64 v56, v56, v11, s[70:71]
	v_cmp_eq_u32_e64 s[14:15], 5, v80
	v_cndmask_b32_e64 v55, v55, v28, s[96:97]
	v_cndmask_b32_e64 v56, v56, v12, s[66:67]
	v_cndmask_b32_e64 v55, v55, v27, s[14:15]
	;; [unrolled: 6-line block ×3, first 2 shown]
	v_cmp_eq_u32_e64 s[8:9], 8, v80
	v_cndmask_b32_e64 v56, v56, v15, s[94:95]
	v_cmp_eq_u32_e64 s[6:7], 9, v80
	v_cndmask_b32_e64 v55, v55, v24, s[8:9]
	ds_bpermute_b32 v56, v96, v56
	v_cndmask_b32_e64 v55, v55, v23, s[6:7]
	v_cmp_eq_u32_e32 vcc, 10, v80
	v_cmp_eq_u32_e64 s[80:81], 11, v80
	v_cmp_eq_u32_e64 s[86:87], 12, v80
	v_cndmask_b32_e32 v55, v55, v22, vcc
	v_cndmask_b32_e64 v55, v55, v21, s[80:81]
	v_cndmask_b32_e64 v55, v55, v20, s[86:87]
	v_cmp_eq_u32_e64 s[88:89], 13, v80
	s_waitcnt lgkmcnt(0)
	v_cndmask_b32_e64 v13, v13, v56, s[62:63]
	v_cmp_eq_u32_e64 s[62:63], 14, v80
	v_cndmask_b32_e64 v55, v55, v19, s[88:89]
	v_cndmask_b32_e64 v12, v12, v56, s[66:67]
	;; [unrolled: 1-line block ×3, first 2 shown]
	v_cmp_eq_u32_e64 s[66:67], 15, v80
	v_cndmask_b32_e64 v57, v11, v56, s[70:71]
	v_cmp_eq_u32_e64 s[70:71], 0, v80
	v_cndmask_b32_e64 v55, v55, v17, s[66:67]
	ds_bpermute_b32 v55, v96, v55
	v_cndmask_b32_e64 v15, v15, v56, s[94:95]
	v_cndmask_b32_e64 v14, v14, v56, s[92:93]
	;; [unrolled: 1-line block ×4, first 2 shown]
	s_waitcnt lgkmcnt(0)
	v_cndmask_b32_e64 v17, v17, v55, s[66:67]
	v_cndmask_b32_e64 v18, v18, v55, s[62:63]
	;; [unrolled: 1-line block ×5, first 2 shown]
	v_cndmask_b32_e32 v22, v22, v55, vcc
	v_cndmask_b32_e64 v23, v23, v55, s[6:7]
	v_cndmask_b32_e64 v24, v24, v55, s[8:9]
	v_cndmask_b32_e64 v25, v25, v55, s[10:11]
	v_cndmask_b32_e64 v26, v26, v55, s[12:13]
	v_cndmask_b32_e64 v27, v27, v55, s[14:15]
	v_cndmask_b32_e64 v28, v28, v55, s[96:97]
	v_cndmask_b32_e64 v29, v29, v55, s[98:99]
	v_cndmask_b32_e64 v30, v30, v55, s[2:3]
	v_cndmask_b32_e64 v31, v31, v55, s[0:1]
	v_cndmask_b32_e64 v16, v16, v55, s[70:71]
	v_cndmask_b32_e64 v55, v10, v56, s[50:51]
	v_cndmask_b32_e64 v60, v7, v56, s[60:61]
	v_cndmask_b32_e64 v61, v6, v56, s[64:65]
	v_cndmask_b32_e64 v62, v5, v56, s[68:69]
	v_cndmask_b32_e64 v63, v4, v56, s[72:73]
	v_cndmask_b32_e64 v64, v3, v56, s[74:75]
	v_cndmask_b32_e64 v65, v2, v56, s[76:77]
	v_cndmask_b32_e64 v66, v1, v56, s[78:79]
	v_cndmask_b32_e64 v56, v0, v56, s[48:49]
	v_cndmask_b32_e64 v0, v56, v66, s[46:47]
	v_cndmask_b32_e64 v0, v0, v65, s[44:45]
	v_cndmask_b32_e64 v0, v0, v64, s[42:43]
	v_cndmask_b32_e64 v0, v0, v63, s[38:39]
	v_cndmask_b32_e64 v0, v0, v62, s[36:37]
	v_cndmask_b32_e64 v0, v0, v61, s[34:35]
	v_cndmask_b32_e64 v0, v0, v60, s[30:31]
	v_cndmask_b32_e64 v0, v0, v59, s[28:29]
	v_cndmask_b32_e64 v0, v0, v58, s[26:27]
	v_cmp_eq_u32_e64 s[50:51], 1, v81
	v_cndmask_b32_e64 v0, v0, v55, s[24:25]
	v_cmp_eq_u32_e64 s[52:53], 2, v81
	v_cndmask_b32_e64 v10, v16, v31, s[50:51]
	v_cndmask_b32_e64 v0, v0, v57, s[40:41]
	v_cndmask_b32_e64 v9, v10, v30, s[52:53]
	v_cmp_eq_u32_e64 s[56:57], 3, v81
	v_cndmask_b32_e64 v0, v0, v12, s[58:59]
	v_cmp_eq_u32_e64 s[60:61], 4, v81
	v_cndmask_b32_e64 v8, v9, v29, s[56:57]
	v_cndmask_b32_e64 v0, v0, v13, s[82:83]
	v_cndmask_b32_e64 v7, v8, v28, s[60:61]
	;; [unrolled: 6-line block ×3, first 2 shown]
	v_cmp_eq_u32_e64 s[72:73], 7, v81
	ds_bpermute_b32 v67, v96, v0
	v_cmp_eq_u32_e64 s[74:75], 8, v81
	v_cndmask_b32_e64 v4, v5, v25, s[72:73]
	v_cmp_eq_u32_e64 s[76:77], 9, v81
	v_cndmask_b32_e64 v3, v4, v24, s[74:75]
	;; [unrolled: 2-line block ×4, first 2 shown]
	s_waitcnt lgkmcnt(0)
	v_cndmask_b32_e64 v68, v15, v67, s[90:91]
	v_cndmask_b32_e64 v0, v0, v21, s[78:79]
	v_cmp_eq_u32_e64 s[90:91], 12, v81
	v_cndmask_b32_e64 v69, v14, v67, s[84:85]
	v_cmp_eq_u32_e64 s[84:85], 13, v81
	v_cndmask_b32_e64 v0, v0, v20, s[90:91]
	v_cndmask_b32_e64 v98, v13, v67, s[82:83]
	;; [unrolled: 1-line block ×3, first 2 shown]
	v_cmp_eq_u32_e64 s[82:83], 14, v81
	v_cndmask_b32_e64 v99, v12, v67, s[58:59]
	v_cmp_eq_u32_e64 s[58:59], 15, v81
	v_cndmask_b32_e64 v0, v0, v18, s[82:83]
	s_nop 0
	v_cndmask_b32_e64 v0, v0, v17, s[58:59]
	ds_bpermute_b32 v1, v96, v0
	s_waitcnt lgkmcnt(0)
	v_cndmask_b32_e64 v12, v27, v1, s[64:65]
	v_cndmask_b32_e64 v13, v28, v1, s[60:61]
	;; [unrolled: 1-line block ×29, first 2 shown]
	v_cmp_eq_u32_e64 s[40:41], 0, v81
	v_cndmask_b32_e64 v19, v58, v67, s[26:27]
	v_cndmask_b32_e64 v29, v29, v20, s[8:9]
	;; [unrolled: 1-line block ×8, first 2 shown]
	v_cndmask_b32_e32 v29, v29, v16, vcc
	v_cndmask_b32_e64 v29, v29, v17, s[80:81]
	v_cndmask_b32_e64 v29, v29, v99, s[86:87]
	v_cndmask_b32_e64 v29, v29, v98, s[88:89]
	v_cndmask_b32_e64 v29, v29, v69, s[62:63]
	v_cndmask_b32_e64 v29, v29, v68, s[66:67]
	ds_bpermute_b32 v29, v96, v29
	v_cmp_eq_u32_e64 s[24:25], 1, v82
	v_cmp_eq_u32_e64 s[26:27], 2, v82
	;; [unrolled: 1-line block ×3, first 2 shown]
	v_cndmask_b32_e64 v18, v1, v0, s[24:25]
	s_waitcnt lgkmcnt(0)
	v_cndmask_b32_e64 v65, v27, v29, s[0:1]
	v_cndmask_b32_e64 v66, v28, v29, s[70:71]
	;; [unrolled: 1-line block ×18, first 2 shown]
	v_cndmask_b32_e32 v16, v16, v29, vcc
	v_cndmask_b32_e64 v19, v19, v57, s[76:77]
	v_cndmask_b32_e64 v17, v17, v29, s[80:81]
	;; [unrolled: 1-line block ×12, first 2 shown]
	ds_bpermute_b32 v67, v96, v19
	v_cndmask_b32_e64 v18, v18, v15, s[26:27]
	v_cndmask_b32_e64 v18, v18, v14, s[28:29]
	v_cmp_eq_u32_e64 s[30:31], 4, v82
	v_cmp_eq_u32_e64 s[34:35], 5, v82
	s_waitcnt lgkmcnt(0)
	v_cndmask_b32_e64 v23, v17, v67, s[78:79]
	v_cndmask_b32_e64 v24, v16, v67, s[48:49]
	;; [unrolled: 1-line block ×18, first 2 shown]
	v_cmp_eq_u32_e64 s[36:37], 6, v82
	v_cndmask_b32_e64 v28, v60, v67, s[68:69]
	v_cndmask_b32_e64 v56, v56, v29, s[34:35]
	v_cndmask_b32_e64 v18, v18, v11, s[36:37]
	v_cmp_eq_u32_e64 s[38:39], 7, v82
	v_cndmask_b32_e64 v27, v59, v67, s[72:73]
	v_cndmask_b32_e64 v56, v56, v28, s[36:37]
	v_cndmask_b32_e64 v18, v18, v10, s[38:39]
	;; [unrolled: 4-line block ×4, first 2 shown]
	v_cmp_eq_u32_e64 s[46:47], 10, v82
	v_cndmask_b32_e64 v56, v56, v25, s[44:45]
	v_cmp_eq_u32_e64 s[54:55], 11, v82
	v_cndmask_b32_e64 v18, v18, v7, s[46:47]
	v_cndmask_b32_e64 v56, v56, v24, s[46:47]
	;; [unrolled: 1-line block ×3, first 2 shown]
	v_cmp_eq_u32_e64 s[66:67], 12, v82
	v_cndmask_b32_e64 v56, v56, v23, s[54:55]
	v_cmp_eq_u32_e64 s[62:63], 13, v82
	v_cndmask_b32_e64 v18, v18, v5, s[66:67]
	v_cndmask_b32_e64 v56, v56, v22, s[66:67]
	;; [unrolled: 1-line block ×3, first 2 shown]
	v_cmp_eq_u32_e32 vcc, 14, v82
	v_cndmask_b32_e64 v56, v56, v21, s[62:63]
	v_cmp_eq_u32_e64 s[6:7], 15, v82
	v_cndmask_b32_e32 v18, v18, v3, vcc
	v_cndmask_b32_e32 v56, v56, v20, vcc
	v_cndmask_b32_e64 v18, v18, v2, s[6:7]
	v_cndmask_b32_e64 v56, v56, v19, s[6:7]
	ds_bpermute_b32 v18, v96, v18
	ds_bpermute_b32 v58, v96, v56
	v_readlane_b32 s53, v107, 34
	s_nop 1
	v_cmp_lt_i32_e32 vcc, s53, v84
	s_and_saveexec_b64 s[40:41], vcc
	v_readlane_b32 s44, v107, 2
	v_readlane_b32 s45, v107, 3
	;; [unrolled: 1-line block ×11, first 2 shown]
	s_cbranch_execz .LBB62_32
; %bb.24:                               ;   in Loop: Header=BB62_7 Depth=1
	s_mul_i32 s0, s52, s17
	s_ashr_i32 s1, s0, 31
	s_lshl_b64 s[0:1], s[0:1], 1
	s_add_u32 s2, s48, s0
	v_cmp_eq_u32_e64 s[34:35], 1, v82
	v_cmp_eq_u32_e64 s[36:37], 0, v82
	s_addc_u32 s3, s49, s1
	s_ashr_i32 s55, s54, 31
	s_waitcnt lgkmcnt(1)
	v_cndmask_b32_e64 v56, v0, v18, s[34:35]
	v_cndmask_b32_e64 v57, v1, v18, s[36:37]
	s_lshl_b64 s[0:1], s[54:55], 1
	s_waitcnt lgkmcnt(0)
	v_cndmask_b32_e64 v59, v16, v58, s[34:35]
	v_cndmask_b32_e64 v60, v17, v58, s[36:37]
	v_cvt_f16_f32_e32 v57, v57
	v_cvt_f16_f32_sdwa v56, v56 dst_sel:WORD_1 dst_unused:UNUSED_PAD src0_sel:DWORD
	s_add_u32 s42, s2, s0
	v_cvt_f16_f32_e32 v60, v60
	v_cvt_f16_f32_sdwa v59, v59 dst_sel:WORD_1 dst_unused:UNUSED_PAD src0_sel:DWORD
	s_addc_u32 s43, s3, s1
	v_lshl_add_u64 v[0:1], s[42:43], 0, v[32:33]
	v_cmp_eq_u32_e32 vcc, 15, v82
	v_cmp_eq_u32_e64 s[6:7], 14, v82
	v_cmp_eq_u32_e64 s[8:9], 13, v82
	;; [unrolled: 1-line block ×13, first 2 shown]
	v_lshl_add_u64 v[16:17], v[34:35], 1, v[0:1]
	v_or_b32_e32 v56, v56, v57
	v_cmp_lt_i32_e64 s[34:35], s53, v85
	;;#ASMSTART
	global_atomic_pk_add_f16 v[16:17], v56, off
	
	;;#ASMEND
	v_lshl_add_u64 v[16:17], v[16:17], 0, 64
	v_or_b32_e32 v56, v59, v60
	;;#ASMSTART
	global_atomic_pk_add_f16 v[16:17], v56, off
	
	;;#ASMEND
	s_and_b64 exec, exec, s[34:35]
	s_cbranch_execz .LBB62_32
; %bb.25:                               ;   in Loop: Header=BB62_7 Depth=1
	v_cndmask_b32_e32 v2, v2, v18, vcc
	v_cndmask_b32_e64 v3, v3, v18, s[6:7]
	v_cndmask_b32_e64 v16, v4, v18, s[8:9]
	;; [unrolled: 1-line block ×19, first 2 shown]
	v_cvt_f16_f32_e32 v22, v18
	v_cvt_f16_f32_sdwa v23, v65 dst_sel:WORD_1 dst_unused:UNUSED_PAD src0_sel:DWORD
	v_cvt_f16_f32_e32 v21, v21
	v_cvt_f16_f32_sdwa v20, v20 dst_sel:WORD_1 dst_unused:UNUSED_PAD src0_sel:DWORD
	v_cndmask_b32_e32 v4, v19, v58, vcc
	v_cndmask_b32_e64 v9, v24, v58, s[14:15]
	v_cndmask_b32_e64 v10, v25, v58, s[0:1]
	v_cndmask_b32_e64 v11, v26, v58, s[2:3]
	v_cndmask_b32_e64 v12, v27, v58, s[4:5]
	v_cndmask_b32_e64 v13, v28, v58, s[38:39]
	v_cndmask_b32_e64 v14, v29, v58, s[24:25]
	v_cndmask_b32_e64 v15, v30, v58, s[26:27]
	v_lshl_add_u64 v[18:19], v[36:37], 1, v[0:1]
	v_cmp_lt_i32_e32 vcc, s53, v86
	v_or_b32_e32 v22, v23, v22
	;;#ASMSTART
	global_atomic_pk_add_f16 v[18:19], v22, off
	
	;;#ASMEND
	v_lshl_add_u64 v[18:19], v[18:19], 0, 64
	v_or_b32_e32 v20, v20, v21
	;;#ASMSTART
	global_atomic_pk_add_f16 v[18:19], v20, off
	
	;;#ASMEND
	s_and_b64 exec, exec, vcc
	s_cbranch_execz .LBB62_32
; %bb.26:                               ;   in Loop: Header=BB62_7 Depth=1
	v_cvt_f16_f32_e32 v20, v64
	v_cvt_f16_f32_sdwa v21, v63 dst_sel:WORD_1 dst_unused:UNUSED_PAD src0_sel:DWORD
	v_cvt_f16_f32_e32 v22, v15
	v_cvt_f16_f32_sdwa v23, v14 dst_sel:WORD_1 dst_unused:UNUSED_PAD src0_sel:DWORD
	v_lshl_add_u64 v[18:19], v[38:39], 1, v[0:1]
	v_or_b32_e32 v14, v21, v20
	v_cmp_lt_i32_e32 vcc, s53, v87
	;;#ASMSTART
	global_atomic_pk_add_f16 v[18:19], v14, off
	
	;;#ASMEND
	v_lshl_add_u64 v[14:15], v[18:19], 0, 64
	v_or_b32_e32 v18, v23, v22
	;;#ASMSTART
	global_atomic_pk_add_f16 v[14:15], v18, off
	
	;;#ASMEND
	s_and_b64 exec, exec, vcc
	s_cbranch_execz .LBB62_32
; %bb.27:                               ;   in Loop: Header=BB62_7 Depth=1
	v_cvt_f16_f32_e32 v18, v62
	v_cvt_f16_f32_sdwa v19, v61 dst_sel:WORD_1 dst_unused:UNUSED_PAD src0_sel:DWORD
	v_cvt_f16_f32_e32 v20, v13
	v_cvt_f16_f32_sdwa v21, v12 dst_sel:WORD_1 dst_unused:UNUSED_PAD src0_sel:DWORD
	v_lshl_add_u64 v[14:15], v[40:41], 1, v[0:1]
	v_or_b32_e32 v12, v19, v18
	v_cmp_lt_i32_e32 vcc, s53, v88
	;; [unrolled: 20-line block ×5, first 2 shown]
	;;#ASMSTART
	global_atomic_pk_add_f16 v[8:9], v6, off
	
	;;#ASMEND
	v_lshl_add_u64 v[6:7], v[8:9], 0, 64
	v_or_b32_e32 v8, v13, v12
	;;#ASMSTART
	global_atomic_pk_add_f16 v[6:7], v8, off
	
	;;#ASMEND
	s_and_b64 exec, exec, vcc
	s_cbranch_execz .LBB62_32
; %bb.31:                               ;   in Loop: Header=BB62_7 Depth=1
	v_cvt_f16_f32_e32 v3, v3
	v_cvt_f16_f32_sdwa v2, v2 dst_sel:WORD_1 dst_unused:UNUSED_PAD src0_sel:DWORD
	v_cvt_f16_f32_e32 v5, v5
	v_cvt_f16_f32_sdwa v4, v4 dst_sel:WORD_1 dst_unused:UNUSED_PAD src0_sel:DWORD
	v_lshl_add_u64 v[0:1], v[48:49], 1, v[0:1]
	v_or_b32_e32 v2, v2, v3
	;;#ASMSTART
	global_atomic_pk_add_f16 v[0:1], v2, off
	
	;;#ASMEND
	v_lshl_add_u64 v[0:1], v[0:1], 0, 64
	v_or_b32_e32 v2, v4, v5
	;;#ASMSTART
	global_atomic_pk_add_f16 v[0:1], v2, off
	
	;;#ASMEND
.LBB62_32:                              ;   in Loop: Header=BB62_7 Depth=1
	s_or_b64 exec, exec, s[40:41]
	v_readlane_b32 s14, v107, 10
	v_readlane_b32 s24, v107, 12
	;; [unrolled: 1-line block ×6, first 2 shown]
	v_subrev_u32_e32 v97, s20, v97
	v_readlane_b32 s11, v107, 0
	v_readlane_b32 s12, v107, 1
	;; [unrolled: 1-line block ×19, first 2 shown]
.LBB62_33:                              ;   in Loop: Header=BB62_7 Depth=1
	s_or_b64 exec, exec, s[2:3]
.LBB62_34:                              ;   in Loop: Header=BB62_7 Depth=1
	s_andn2_saveexec_b64 s[0:1], s[4:5]
	s_cbranch_execz .LBB62_43
; %bb.35:                               ;   in Loop: Header=BB62_7 Depth=1
	s_lshl_b32 s10, s20, 1
	v_cmp_gt_i32_e32 vcc, s10, v97
	s_and_saveexec_b64 s[2:3], vcc
	s_cbranch_execz .LBB62_42
; %bb.36:                               ;   in Loop: Header=BB62_7 Depth=1
	s_mul_i32 s4, s54, s19
	s_ashr_i32 s5, s4, 31
	s_add_u32 s4, s46, s4
	s_addc_u32 s5, s47, s5
	s_ashr_i32 s6, s39, 31
	s_add_u32 s4, s4, s39
	s_addc_u32 s5, s5, s6
	v_lshl_add_u64 v[0:1], s[4:5], 0, v[52:53]
	v_lshl_add_u64 v[16:17], v[0:1], 0, v[50:51]
	s_mov_b64 s[4:5], 0
	s_branch .LBB62_38
.LBB62_37:                              ;   in Loop: Header=BB62_38 Depth=2
	s_or_b64 exec, exec, s[6:7]
	v_lshl_or_b32 v20, v18, 12, v92
	;;#ASMSTART
	s_waitcnt vmcnt(3)
	;;#ASMEND
	ds_write2_b32 v20, v12, v13 offset1:32
	ds_write2_b32 v20, v14, v15 offset0:64 offset1:96
	v_add_u32_e32 v12, 0x400, v20
	;;#ASMSTART
	s_waitcnt vmcnt(2)
	;;#ASMEND
	ds_write2_b32 v12, v8, v9 offset1:32
	ds_write2_b32 v12, v10, v11 offset0:64 offset1:96
	v_add_u32_e32 v8, 0x800, v20
	;; [unrolled: 6-line block ×3, first 2 shown]
	v_add_u32_e32 v97, s22, v97
	;;#ASMSTART
	s_waitcnt vmcnt(0)
	;;#ASMEND
	ds_write2_b32 v4, v0, v1 offset1:32
	ds_write2_b32 v4, v2, v3 offset0:64 offset1:96
	v_add_u32_e32 v0, 1, v71
	v_add_u32_e32 v54, s22, v18
	v_cmp_le_i32_e32 vcc, s10, v97
	ds_write_b32 v19, v0 offset:20
	v_add_u32_e32 v0, 2, v71
	s_or_b64 s[4:5], vcc, s[4:5]
	v_cmp_lt_i32_e32 vcc, 9, v54
	s_nop 1
	v_cndmask_b32_e32 v71, v71, v0, vcc
	s_andn2_b64 exec, exec, s[4:5]
	s_cbranch_execz .LBB62_41
.LBB62_38:                              ;   Parent Loop BB62_7 Depth=1
                                        ; =>  This Loop Header: Depth=2
                                        ;       Child Loop BB62_40 Depth 3
	v_cmp_gt_i32_e32 vcc, 10, v54
	s_nop 1
	v_cndmask_b32_e64 v0, -10, 0, vcc
	s_waitcnt lgkmcnt(1)
	v_add_u32_e32 v18, v0, v54
	v_lshrrev_b32_e32 v0, 31, v97
	v_add_u32_e32 v0, v97, v0
	v_and_b32_e32 v1, -2, v0
	v_lshlrev_b32_e32 v0, 6, v0
	v_sub_u32_e32 v2, v97, v1
	v_and_b32_e32 v0, 0xffffff80, v0
	v_ashrrev_i32_e32 v1, 31, v0
	v_mul_lo_u32 v2, s31, v2
	v_lshl_add_u64 v[0:1], v[16:17], 0, v[0:1]
	v_ashrrev_i32_e32 v3, 31, v2
	v_lshl_add_u64 v[0:1], v[0:1], 0, v[2:3]
	v_lshlrev_b32_e32 v19, 2, v18
	;;#ASMSTART
	global_load_dwordx4 v[12:15], v[0:1], off offset:0   sc0 sc1 nt  
	global_load_dwordx4 v[8:11], v[0:1], off offset:32  sc0 sc1 nt  
	global_load_dwordx4 v[4:7], v[0:1], off offset:64  sc0 sc1 nt  
	;; [unrolled: 1-line block ×3, first 2 shown]
	
	;;#ASMEND
	ds_read_b32 v20, v19 offset:61460
	v_add_u32_e32 v19, 0xf000, v19
	s_waitcnt lgkmcnt(0)
	v_cmp_ne_u32_e32 vcc, v20, v71
	s_and_saveexec_b64 s[6:7], vcc
	s_cbranch_execz .LBB62_37
; %bb.39:                               ;   in Loop: Header=BB62_38 Depth=2
	s_mov_b64 s[8:9], 0
.LBB62_40:                              ;   Parent Loop BB62_7 Depth=1
                                        ;     Parent Loop BB62_38 Depth=2
                                        ; =>    This Inner Loop Header: Depth=3
	;;#ASMSTART
	s_sleep 0
	;;#ASMEND
	ds_read_b32 v20, v19 offset:20
	s_waitcnt lgkmcnt(0)
	v_cmp_eq_u32_e32 vcc, v20, v71
	s_or_b64 s[8:9], vcc, s[8:9]
	s_andn2_b64 exec, exec, s[8:9]
	s_cbranch_execnz .LBB62_40
	s_branch .LBB62_37
.LBB62_41:                              ;   in Loop: Header=BB62_7 Depth=1
	s_or_b64 exec, exec, s[4:5]
.LBB62_42:                              ;   in Loop: Header=BB62_7 Depth=1
	s_or_b64 exec, exec, s[2:3]
	v_subrev_u32_e32 v97, s10, v97
.LBB62_43:                              ;   in Loop: Header=BB62_7 Depth=1
	s_or_b64 exec, exec, s[0:1]
.LBB62_44:                              ;   in Loop: Header=BB62_7 Depth=1
	s_andn2_saveexec_b64 s[0:1], s[40:41]
	s_cbranch_execz .LBB62_6
; %bb.45:                               ;   in Loop: Header=BB62_7 Depth=1
	v_cmp_gt_i32_e32 vcc, s20, v97
	s_and_saveexec_b64 s[2:3], vcc
	s_cbranch_execz .LBB62_5
; %bb.46:                               ;   in Loop: Header=BB62_7 Depth=1
	s_mul_i32 s4, s52, s18
	s_ashr_i32 s5, s4, 31
	s_add_u32 s4, s44, s4
	s_addc_u32 s5, s45, s5
	s_ashr_i32 s6, s39, 31
	v_cmp_le_i32_e32 vcc, s53, v93
	s_add_u32 s4, s4, s39
	s_addc_u32 s5, s5, s6
	v_cndmask_b32_e32 v0, 0, v94, vcc
	v_ashrrev_i32_e32 v1, 31, v0
	v_lshl_add_u64 v[0:1], s[4:5], 0, v[0:1]
	v_lshl_add_u64 v[16:17], v[0:1], 0, v[50:51]
	s_mov_b64 s[4:5], 0
	s_branch .LBB62_48
.LBB62_47:                              ;   in Loop: Header=BB62_48 Depth=2
	s_or_b64 exec, exec, s[6:7]
	v_lshl_add_u32 v20, v18, 12, v95
	;;#ASMSTART
	s_waitcnt vmcnt(3)
	;;#ASMEND
	ds_write2_b32 v20, v12, v13 offset1:32
	ds_write2_b32 v20, v14, v15 offset0:64 offset1:96
	v_add_u32_e32 v12, 0x400, v20
	;;#ASMSTART
	s_waitcnt vmcnt(2)
	;;#ASMEND
	ds_write2_b32 v12, v8, v9 offset1:32
	ds_write2_b32 v12, v10, v11 offset0:64 offset1:96
	v_add_u32_e32 v8, 0x800, v20
	;; [unrolled: 6-line block ×3, first 2 shown]
	v_add_u32_e32 v97, s21, v97
	;;#ASMSTART
	s_waitcnt vmcnt(0)
	;;#ASMEND
	ds_write2_b32 v4, v0, v1 offset1:32
	ds_write2_b32 v4, v2, v3 offset0:64 offset1:96
	v_add_u32_e32 v0, 1, v71
	v_add_u32_e32 v54, s21, v18
	v_cmp_le_i32_e32 vcc, s20, v97
	ds_write_b32 v19, v0
	v_add_u32_e32 v0, 2, v71
	s_or_b64 s[4:5], vcc, s[4:5]
	v_cmp_lt_i32_e32 vcc, 4, v54
	s_nop 1
	v_cndmask_b32_e32 v71, v71, v0, vcc
	s_andn2_b64 exec, exec, s[4:5]
	s_cbranch_execz .LBB62_4
.LBB62_48:                              ;   Parent Loop BB62_7 Depth=1
                                        ; =>  This Loop Header: Depth=2
                                        ;       Child Loop BB62_50 Depth 3
	v_cmp_gt_i32_e32 vcc, 5, v54
	s_nop 1
	v_cndmask_b32_e64 v0, -5, 0, vcc
	s_waitcnt lgkmcnt(1)
	v_add_u32_e32 v18, v0, v54
	v_lshlrev_b32_e32 v0, 7, v97
	v_ashrrev_i32_e32 v1, 31, v0
	v_lshl_add_u64 v[0:1], v[16:17], 0, v[0:1]
	v_lshlrev_b32_e32 v19, 2, v18
	;;#ASMSTART
	global_load_dwordx4 v[12:15], v[0:1], off offset:0   
	global_load_dwordx4 v[8:11], v[0:1], off offset:32  
	;; [unrolled: 1-line block ×4, first 2 shown]
	
	;;#ASMEND
	ds_read_b32 v20, v19 offset:61440
	v_add_u32_e32 v19, 0xf000, v19
	s_waitcnt lgkmcnt(0)
	v_cmp_ne_u32_e32 vcc, v20, v71
	s_and_saveexec_b64 s[6:7], vcc
	s_cbranch_execz .LBB62_47
; %bb.49:                               ;   in Loop: Header=BB62_48 Depth=2
	s_mov_b64 s[8:9], 0
.LBB62_50:                              ;   Parent Loop BB62_7 Depth=1
                                        ;     Parent Loop BB62_48 Depth=2
                                        ; =>    This Inner Loop Header: Depth=3
	;;#ASMSTART
	s_sleep 0
	;;#ASMEND
	ds_read_b32 v20, v19
	s_waitcnt lgkmcnt(0)
	v_cmp_eq_u32_e32 vcc, v20, v71
	s_or_b64 s[8:9], vcc, s[8:9]
	s_andn2_b64 exec, exec, s[8:9]
	s_cbranch_execnz .LBB62_50
	s_branch .LBB62_47
.LBB62_51:
	s_endpgm
	.section	.rodata,"a",@progbits
	.p2align	6, 0x0
	.amdhsa_kernel _Z19_skinny_gemm_kernelILi1ELi2ELi5ELi32ELi8EEvPKhS1_P6__halfPKfiiiiiiii
		.amdhsa_group_segment_fixed_size 61500
		.amdhsa_private_segment_fixed_size 0
		.amdhsa_kernarg_size 64
		.amdhsa_user_sgpr_count 2
		.amdhsa_user_sgpr_dispatch_ptr 0
		.amdhsa_user_sgpr_queue_ptr 0
		.amdhsa_user_sgpr_kernarg_segment_ptr 1
		.amdhsa_user_sgpr_dispatch_id 0
		.amdhsa_user_sgpr_kernarg_preload_length 0
		.amdhsa_user_sgpr_kernarg_preload_offset 0
		.amdhsa_user_sgpr_private_segment_size 0
		.amdhsa_uses_dynamic_stack 0
		.amdhsa_enable_private_segment 0
		.amdhsa_system_sgpr_workgroup_id_x 1
		.amdhsa_system_sgpr_workgroup_id_y 0
		.amdhsa_system_sgpr_workgroup_id_z 0
		.amdhsa_system_sgpr_workgroup_info 0
		.amdhsa_system_vgpr_workitem_id 0
		.amdhsa_next_free_vgpr 108
		.amdhsa_next_free_sgpr 100
		.amdhsa_accum_offset 108
		.amdhsa_reserve_vcc 1
		.amdhsa_float_round_mode_32 0
		.amdhsa_float_round_mode_16_64 0
		.amdhsa_float_denorm_mode_32 3
		.amdhsa_float_denorm_mode_16_64 3
		.amdhsa_dx10_clamp 1
		.amdhsa_ieee_mode 1
		.amdhsa_fp16_overflow 0
		.amdhsa_tg_split 0
		.amdhsa_exception_fp_ieee_invalid_op 0
		.amdhsa_exception_fp_denorm_src 0
		.amdhsa_exception_fp_ieee_div_zero 0
		.amdhsa_exception_fp_ieee_overflow 0
		.amdhsa_exception_fp_ieee_underflow 0
		.amdhsa_exception_fp_ieee_inexact 0
		.amdhsa_exception_int_div_zero 0
	.end_amdhsa_kernel
	.section	.text._Z19_skinny_gemm_kernelILi1ELi2ELi5ELi32ELi8EEvPKhS1_P6__halfPKfiiiiiiii,"axG",@progbits,_Z19_skinny_gemm_kernelILi1ELi2ELi5ELi32ELi8EEvPKhS1_P6__halfPKfiiiiiiii,comdat
.Lfunc_end62:
	.size	_Z19_skinny_gemm_kernelILi1ELi2ELi5ELi32ELi8EEvPKhS1_P6__halfPKfiiiiiiii, .Lfunc_end62-_Z19_skinny_gemm_kernelILi1ELi2ELi5ELi32ELi8EEvPKhS1_P6__halfPKfiiiiiiii
                                        ; -- End function
	.set _Z19_skinny_gemm_kernelILi1ELi2ELi5ELi32ELi8EEvPKhS1_P6__halfPKfiiiiiiii.num_vgpr, 108
	.set _Z19_skinny_gemm_kernelILi1ELi2ELi5ELi32ELi8EEvPKhS1_P6__halfPKfiiiiiiii.num_agpr, 0
	.set _Z19_skinny_gemm_kernelILi1ELi2ELi5ELi32ELi8EEvPKhS1_P6__halfPKfiiiiiiii.numbered_sgpr, 100
	.set _Z19_skinny_gemm_kernelILi1ELi2ELi5ELi32ELi8EEvPKhS1_P6__halfPKfiiiiiiii.num_named_barrier, 0
	.set _Z19_skinny_gemm_kernelILi1ELi2ELi5ELi32ELi8EEvPKhS1_P6__halfPKfiiiiiiii.private_seg_size, 0
	.set _Z19_skinny_gemm_kernelILi1ELi2ELi5ELi32ELi8EEvPKhS1_P6__halfPKfiiiiiiii.uses_vcc, 1
	.set _Z19_skinny_gemm_kernelILi1ELi2ELi5ELi32ELi8EEvPKhS1_P6__halfPKfiiiiiiii.uses_flat_scratch, 0
	.set _Z19_skinny_gemm_kernelILi1ELi2ELi5ELi32ELi8EEvPKhS1_P6__halfPKfiiiiiiii.has_dyn_sized_stack, 0
	.set _Z19_skinny_gemm_kernelILi1ELi2ELi5ELi32ELi8EEvPKhS1_P6__halfPKfiiiiiiii.has_recursion, 0
	.set _Z19_skinny_gemm_kernelILi1ELi2ELi5ELi32ELi8EEvPKhS1_P6__halfPKfiiiiiiii.has_indirect_call, 0
	.section	.AMDGPU.csdata,"",@progbits
; Kernel info:
; codeLenInByte = 10056
; TotalNumSgprs: 106
; NumVgprs: 108
; NumAgprs: 0
; TotalNumVgprs: 108
; ScratchSize: 0
; MemoryBound: 0
; FloatMode: 240
; IeeeMode: 1
; LDSByteSize: 61500 bytes/workgroup (compile time only)
; SGPRBlocks: 13
; VGPRBlocks: 13
; NumSGPRsForWavesPerEU: 106
; NumVGPRsForWavesPerEU: 108
; AccumOffset: 108
; Occupancy: 4
; WaveLimiterHint : 0
; COMPUTE_PGM_RSRC2:SCRATCH_EN: 0
; COMPUTE_PGM_RSRC2:USER_SGPR: 2
; COMPUTE_PGM_RSRC2:TRAP_HANDLER: 0
; COMPUTE_PGM_RSRC2:TGID_X_EN: 1
; COMPUTE_PGM_RSRC2:TGID_Y_EN: 0
; COMPUTE_PGM_RSRC2:TGID_Z_EN: 0
; COMPUTE_PGM_RSRC2:TIDIG_COMP_CNT: 0
; COMPUTE_PGM_RSRC3_GFX90A:ACCUM_OFFSET: 26
; COMPUTE_PGM_RSRC3_GFX90A:TG_SPLIT: 0
	.section	.text._Z19_skinny_gemm_kernelILi1ELi2ELi6ELi8ELi4EEvPKhS1_P6__halfPKfiiiiiiii,"axG",@progbits,_Z19_skinny_gemm_kernelILi1ELi2ELi6ELi8ELi4EEvPKhS1_P6__halfPKfiiiiiiii,comdat
	.protected	_Z19_skinny_gemm_kernelILi1ELi2ELi6ELi8ELi4EEvPKhS1_P6__halfPKfiiiiiiii ; -- Begin function _Z19_skinny_gemm_kernelILi1ELi2ELi6ELi8ELi4EEvPKhS1_P6__halfPKfiiiiiiii
	.globl	_Z19_skinny_gemm_kernelILi1ELi2ELi6ELi8ELi4EEvPKhS1_P6__halfPKfiiiiiiii
	.p2align	8
	.type	_Z19_skinny_gemm_kernelILi1ELi2ELi6ELi8ELi4EEvPKhS1_P6__halfPKfiiiiiiii,@function
_Z19_skinny_gemm_kernelILi1ELi2ELi6ELi8ELi4EEvPKhS1_P6__halfPKfiiiiiiii: ; @_Z19_skinny_gemm_kernelILi1ELi2ELi6ELi8ELi4EEvPKhS1_P6__halfPKfiiiiiiii
; %bb.0:
	v_cmp_gt_u32_e32 vcc, 18, v0
	v_lshlrev_b32_e32 v1, 2, v0
	s_and_saveexec_b64 s[4:5], vcc
; %bb.1:
	v_mov_b32_e32 v2, 0
	ds_write_b32 v1, v2 offset:61440
; %bb.2:
	s_or_b64 exec, exec, s[4:5]
	s_load_dwordx8 s[12:19], s[0:1], 0x20
	s_waitcnt lgkmcnt(0)
	s_barrier
	s_add_i32 s3, s12, 7
	s_ashr_i32 s5, s3, 31
	s_add_i32 s4, s13, 31
	s_lshr_b32 s5, s5, 29
	s_ashr_i32 s6, s4, 31
	s_add_i32 s3, s3, s5
	s_ashr_i32 s33, s3, 3
	s_lshr_b32 s3, s6, 27
	s_add_i32 s4, s4, s3
	s_ashr_i32 s42, s4, 5
	s_mul_i32 s3, s42, s33
	s_mul_i32 s3, s3, s16
	s_add_i32 s4, s3, 0x12f
	s_mul_hi_i32 s4, s4, 0x6bca1af3
	s_lshr_b32 s5, s4, 31
	s_ashr_i32 s4, s4, 7
	s_add_i32 s4, s4, s5
	s_add_i32 s5, s2, 1
	s_mul_i32 s5, s4, s5
	v_cvt_f64_i32_e32 v[2:3], s3
	v_cvt_f64_u32_e32 v[4:5], s5
	v_min_f64 v[2:3], v[2:3], v[4:5]
	v_cvt_i32_f64_e32 v17, v[2:3]
	s_mul_i32 s43, s4, s2
	v_cmp_ge_i32_e32 vcc, s43, v17
	s_cbranch_vccnz .LBB63_44
; %bb.3:
	v_lshrrev_b32_e32 v2, 6, v0
	s_add_i32 s4, s18, s17
	s_load_dwordx8 s[20:27], s[0:1], 0x0
	v_cmp_le_i32_e64 s[0:1], s4, v2
	v_mov_b32_e32 v3, s17
	v_cmp_le_i32_e64 s[2:3], s17, v2
	v_mov_b32_e32 v4, s18
	v_cndmask_b32_e64 v4, 0, v4, s[0:1]
	v_cndmask_b32_e64 v3, 0, v3, s[2:3]
	s_abs_i32 s5, s16
	v_add_u32_e32 v3, v3, v4
	v_cvt_f32_u32_e32 v4, s5
	v_sub_u32_e32 v10, v2, v3
	s_ashr_i32 s6, s14, 31
	s_lshr_b32 s6, s6, 24
	v_rcp_iflag_f32_e32 v3, v4
	s_sub_i32 s9, 0, s5
	s_add_i32 s6, s14, s6
	s_ashr_i32 s6, s6, 8
	v_mul_f32_e32 v3, 0x4f7ffffe, v3
	v_cvt_u32_f32_e32 v3, v3
	s_abs_i32 s8, s6
	s_xor_b32 s7, s6, s16
	s_ashr_i32 s7, s7, 31
	v_readfirstlane_b32 s10, v3
	s_mul_i32 s9, s9, s10
	s_mul_hi_u32 s9, s10, s9
	s_add_i32 s10, s10, s9
	s_mul_hi_u32 s9, s8, s10
	s_mul_i32 s10, s9, s5
	s_sub_i32 s8, s8, s10
	s_add_i32 s10, s9, 1
	s_sub_i32 s28, s8, s5
	s_cmp_ge_u32 s8, s5
	s_cselect_b32 s9, s10, s9
	s_cselect_b32 s8, s28, s8
	s_add_i32 s10, s9, 1
	s_cmp_ge_u32 s8, s5
	s_cselect_b32 s5, s10, s9
	s_xor_b32 s5, s5, s7
	s_sub_i32 s44, s5, s7
	s_add_i32 s16, s16, -1
	s_mul_i32 s5, s44, s16
	s_add_i32 s4, s4, s19
	s_sub_i32 s45, s6, s5
	v_cmp_gt_i32_e64 s[4:5], s4, v2
	v_and_b32_e32 v2, 1, v0
	v_lshlrev_b32_e32 v3, 1, v0
	v_and_b32_e32 v3, 0x7c, v3
	v_lshlrev_b32_e32 v4, 8, v2
	v_lshlrev_b32_e32 v5, 4, v0
	s_mov_b32 s7, 0xc000
	s_movk_i32 s6, 0x7c
	v_and_b32_e32 v6, 0x200, v5
	v_or3_b32 v32, v3, v4, s7
	v_lshrrev_b32_e32 v3, 3, v0
	v_cmp_eq_u32_e32 vcc, 0, v2
	v_and_or_b32 v33, v1, s6, v6
	v_lshlrev_b32_e32 v1, 1, v2
	v_and_or_b32 v2, v3, 6, v2
	v_sub_u32_e32 v36, 8, v2
	v_mul_lo_u32 v18, s13, v2
	v_bfe_u32 v2, v0, 2, 4
	v_lshlrev_b32_e32 v4, 8, v0
	v_lshlrev_b32_e32 v6, 6, v0
	v_mul_lo_u32 v24, s15, v2
	v_and_b32_e32 v2, 60, v0
	v_and_b32_e32 v4, 0x200, v4
	;; [unrolled: 1-line block ×3, first 2 shown]
	s_abs_i32 s47, s33
	v_or3_b32 v37, v2, v4, v6
	v_cvt_f32_u32_e32 v6, s47
	v_lshlrev_b32_e32 v4, 7, v0
	v_and_b32_e32 v16, 14, v0
	v_bitop3_b32 v34, v0, 1, v0 bitop3:0xc
	v_sub_u32_e32 v1, v0, v1
	v_bfe_u32 v2, v0, 3, 3
	v_and_b32_e32 v4, 0x200, v4
	v_lshlrev_b32_e32 v0, 5, v0
	v_lshl_or_b32 v4, v2, 2, v4
	v_and_b32_e32 v0, 0x60, v0
	v_or3_b32 v38, v4, v0, s7
	v_rcp_iflag_f32_e32 v0, v6
	s_abs_i32 s48, s42
	v_mul_lo_u32 v40, s14, v2
	v_cvt_f32_u32_e32 v2, s48
	v_mul_f32_e32 v0, 0x4f7ffffe, v0
	v_cvt_u32_f32_e32 v0, v0
	s_sub_i32 s6, 0, s47
	v_rcp_iflag_f32_e32 v2, v2
	v_add_u32_e32 v1, 1, v1
	v_readfirstlane_b32 s7, v0
	s_mul_i32 s6, s6, s7
	v_mul_f32_e32 v0, 0x4f7ffffe, v2
	v_cvt_u32_f32_e32 v0, v0
	s_mul_hi_u32 s6, s7, s6
	s_add_i32 s50, s7, s6
	s_sub_i32 s6, 0, s48
	v_readfirstlane_b32 s7, v0
	v_mbcnt_lo_u32_b32 v0, -1, 0
	v_and_b32_e32 v1, 63, v1
	s_mul_i32 s6, s6, s7
	v_mbcnt_hi_u32_b32 v0, -1, v0
	v_mov_b32_e32 v7, 0xeeee
	v_mov_b32_e32 v8, 0x4444
	;; [unrolled: 1-line block ×3, first 2 shown]
	s_mul_hi_u32 s6, s7, s6
	v_and_or_b32 v0, v0, 64, v1
	v_cndmask_b32_e64 v30, 0, 1, s[0:1]
	s_mov_b32 s11, 0
	v_cndmask_b32_e32 v31, v7, v8, vcc
	v_or_b32_e32 v35, 16, v16
	v_ashrrev_i32_e32 v19, 31, v18
	v_and_b32_e32 v22, 48, v5
	v_ashrrev_i32_e32 v25, 31, v24
	v_mov_b32_e32 v23, v21
	s_lshl_b32 s46, s15, 4
	v_bitop3_b32 v39, v3, 7, v3 bitop3:0xc
	v_and_b32_e32 v26, 0x70, v5
	v_mov_b32_e32 v27, v21
	s_lshl_b32 s10, s17, 8
	s_ashr_i32 s49, s33, 31
	s_ashr_i32 s51, s42, 31
	s_add_i32 s52, s7, s6
	v_lshlrev_b32_e32 v41, 2, v0
	v_lshlrev_b32_e32 v20, 1, v16
	v_mov_b32_e32 v42, v10
	s_branch .LBB63_7
.LBB63_4:                               ;   in Loop: Header=BB63_7 Depth=1
	s_or_b64 exec, exec, s[28:29]
.LBB63_5:                               ;   in Loop: Header=BB63_7 Depth=1
	s_or_b64 exec, exec, s[8:9]
	v_subrev_u32_e32 v42, s53, v42
.LBB63_6:                               ;   in Loop: Header=BB63_7 Depth=1
	s_or_b64 exec, exec, s[6:7]
	s_add_i32 s43, s43, 1
	v_cmp_ge_i32_e32 vcc, s43, v17
	s_cbranch_vccnz .LBB63_44
.LBB63_7:                               ; =>This Loop Header: Depth=1
                                        ;     Child Loop BB63_13 Depth 2
                                        ;       Child Loop BB63_15 Depth 3
                                        ;       Child Loop BB63_18 Depth 3
	;; [unrolled: 1-line block ×3, first 2 shown]
                                        ;     Child Loop BB63_31 Depth 2
                                        ;       Child Loop BB63_33 Depth 3
                                        ;     Child Loop BB63_41 Depth 2
                                        ;       Child Loop BB63_43 Depth 3
	s_abs_i32 s7, s43
	s_mul_hi_u32 s8, s7, s50
	s_mul_i32 s9, s8, s47
	s_ashr_i32 s6, s43, 31
	s_sub_i32 s7, s7, s9
	s_xor_b32 s6, s6, s49
	s_add_i32 s9, s8, 1
	s_sub_i32 s28, s7, s47
	s_cmp_ge_u32 s7, s47
	s_cselect_b32 s8, s9, s8
	s_cselect_b32 s7, s28, s7
	s_add_i32 s9, s8, 1
	s_cmp_ge_u32 s7, s47
	s_cselect_b32 s7, s9, s8
	s_xor_b32 s7, s7, s6
	s_sub_i32 s6, s7, s6
	s_abs_i32 s8, s6
	s_mul_i32 s7, s6, s33
	s_mul_hi_u32 s9, s8, s52
	s_sub_i32 s7, s43, s7
	s_mul_i32 s28, s9, s48
	s_lshl_b32 s54, s7, 3
	s_ashr_i32 s7, s6, 31
	s_sub_i32 s8, s8, s28
	s_xor_b32 s7, s7, s51
	s_add_i32 s28, s9, 1
	s_sub_i32 s29, s8, s48
	s_cmp_ge_u32 s8, s48
	s_cselect_b32 s9, s28, s9
	s_cselect_b32 s8, s29, s8
	s_add_i32 s28, s9, 1
	s_cmp_ge_u32 s8, s48
	s_cselect_b32 s8, s28, s9
	s_xor_b32 s8, s8, s7
	s_sub_i32 s7, s8, s7
	s_mul_i32 s8, s7, s44
	s_lshl_b32 s55, s8, 8
	s_cmp_eq_u32 s7, s16
	s_cselect_b32 s53, s45, s44
	s_sub_i32 s56, s54, s12
	s_add_i32 s56, s56, 8
	s_and_saveexec_b64 s[8:9], s[2:3]
	s_xor_b64 s[28:29], exec, s[8:9]
	s_cbranch_execz .LBB63_37
; %bb.8:                                ;   in Loop: Header=BB63_7 Depth=1
	s_mul_i32 s7, s7, s42
	s_sub_i32 s6, s6, s7
	s_lshl_b32 s6, s6, 5
	s_sub_i32 s31, s6, s13
	s_add_i32 s31, s31, 32
	s_max_i32 s7, s31, 0
	s_sub_i32 s30, s6, s7
	s_and_saveexec_b64 s[6:7], s[0:1]
	s_xor_b64 s[34:35], exec, s[6:7]
	s_cbranch_execz .LBB63_27
; %bb.9:                                ;   in Loop: Header=BB63_7 Depth=1
	s_and_saveexec_b64 s[36:37], s[4:5]
	s_cbranch_execz .LBB63_26
; %bb.10:                               ;   in Loop: Header=BB63_7 Depth=1
	s_waitcnt lgkmcnt(0)
	global_load_dword v28, v21, s[26:27]
	v_mov_b32_e32 v7, 0
	v_cmp_gt_i32_e32 vcc, s53, v42
	v_mov_b32_e32 v6, v7
	v_mov_b32_e32 v5, v7
	;; [unrolled: 1-line block ×7, first 2 shown]
	s_and_saveexec_b64 s[6:7], vcc
	s_cbranch_execz .LBB63_23
; %bb.11:                               ;   in Loop: Header=BB63_7 Depth=1
	v_mov_b32_e32 v0, 0
	s_mov_b64 s[8:9], 0
	v_mov_b32_e32 v1, v0
	v_mov_b32_e32 v2, v0
	;; [unrolled: 1-line block ×7, first 2 shown]
	s_branch .LBB63_13
.LBB63_12:                              ;   in Loop: Header=BB63_13 Depth=2
	s_or_b64 exec, exec, s[38:39]
	v_add_u32_e32 v45, v33, v45
	v_add_u32_e32 v48, 0x1000, v45
	ds_read2_b32 v[46:47], v48 offset1:32
	ds_read2_b32 v[48:49], v48 offset0:64 offset1:96
	v_add_u32_e32 v52, 0x1400, v45
	ds_read2_b32 v[50:51], v52 offset1:32
	ds_read2_b32 v[52:53], v52 offset0:64 offset1:96
	v_add_u32_e32 v42, s19, v42
	v_cmp_le_i32_e32 vcc, s53, v42
	s_waitcnt lgkmcnt(2)
	v_smfmac_f32_16x16x64_fp8_fp8 v[0:3], v[14:15], v[46:49], v31 cbsz:7 abid:1
	v_add_u32_e32 v14, 0x1800, v45
	ds_read2_b32 v[46:47], v14 offset1:32
	ds_read2_b32 v[48:49], v14 offset0:64 offset1:96
	v_add_u32_e32 v14, 0x1c00, v45
	s_waitcnt lgkmcnt(2)
	v_smfmac_f32_16x16x64_fp8_fp8 v[0:3], v[12:13], v[50:53], v31 cbsz:7 abid:1
	ds_read2_b32 v[12:13], v14 offset1:32
	ds_read2_b32 v[14:15], v14 offset0:64 offset1:96
	s_or_b64 s[8:9], vcc, s[8:9]
	ds_write_b32 v44, v43 offset:61468
	s_waitcnt lgkmcnt(3)
	v_smfmac_f32_16x16x64_fp8_fp8 v[0:3], v[10:11], v[46:49], v31 cbsz:7 abid:1
	v_add_u32_e32 v10, s19, v29
	v_add_u32_e32 v11, 2, v30
	v_cmp_lt_i32_e32 vcc, 5, v10
	s_waitcnt lgkmcnt(1)
	v_smfmac_f32_16x16x64_fp8_fp8 v[0:3], v[8:9], v[12:15], v31 cbsz:7 abid:1
	v_cndmask_b32_e32 v30, v30, v11, vcc
	s_andn2_b64 exec, exec, s[8:9]
	s_cbranch_execz .LBB63_22
.LBB63_13:                              ;   Parent Loop BB63_7 Depth=1
                                        ; =>  This Loop Header: Depth=2
                                        ;       Child Loop BB63_15 Depth 3
                                        ;       Child Loop BB63_18 Depth 3
	;; [unrolled: 1-line block ×3, first 2 shown]
	v_cmp_gt_i32_e32 vcc, 6, v10
	s_nop 1
	v_cndmask_b32_e64 v8, -6, 0, vcc
	v_add_u32_e32 v29, v8, v10
	v_lshlrev_b32_e32 v8, 2, v29
	ds_read_b32 v9, v8 offset:61440
	v_add_u32_e32 v44, 0xf000, v8
	s_waitcnt lgkmcnt(0)
	v_cmp_ne_u32_e32 vcc, v9, v30
	s_and_saveexec_b64 s[38:39], vcc
	s_cbranch_execz .LBB63_16
; %bb.14:                               ;   in Loop: Header=BB63_13 Depth=2
	s_mov_b64 s[40:41], 0
.LBB63_15:                              ;   Parent Loop BB63_7 Depth=1
                                        ;     Parent Loop BB63_13 Depth=2
                                        ; =>    This Inner Loop Header: Depth=3
	;;#ASMSTART
	s_sleep 0
	;;#ASMEND
	ds_read_b32 v8, v44
	s_waitcnt lgkmcnt(0)
	v_cmp_eq_u32_e32 vcc, v8, v30
	s_or_b64 s[40:41], vcc, s[40:41]
	s_andn2_b64 exec, exec, s[40:41]
	s_cbranch_execnz .LBB63_15
.LBB63_16:                              ;   in Loop: Header=BB63_13 Depth=2
	s_or_b64 exec, exec, s[38:39]
	v_lshl_add_u32 v8, v29, 11, v32
	ds_read2_b32 v[14:15], v8 offset1:32
	ds_read2_b32 v[12:13], v8 offset0:128 offset1:160
	v_add_u32_e32 v8, 0x400, v8
	v_add_u32_e32 v43, 1, v30
	ds_read2_b32 v[10:11], v8 offset1:32
	ds_read2_b32 v[8:9], v8 offset0:128 offset1:160
	;;#ASMSTART
	s_waitcnt lgkmcnt(0)
	;;#ASMEND
	ds_write_b32 v44, v43
	v_lshlrev_b32_e32 v44, 3, v29
	ds_read_b32 v45, v44 offset:61464
	s_waitcnt lgkmcnt(0)
	v_cmp_ne_u32_e32 vcc, v45, v30
	s_and_saveexec_b64 s[38:39], vcc
	s_cbranch_execz .LBB63_19
; %bb.17:                               ;   in Loop: Header=BB63_13 Depth=2
	s_mov_b64 s[40:41], 0
.LBB63_18:                              ;   Parent Loop BB63_7 Depth=1
                                        ;     Parent Loop BB63_13 Depth=2
                                        ; =>    This Inner Loop Header: Depth=3
	;;#ASMSTART
	s_sleep 0
	;;#ASMEND
	ds_read_b32 v45, v44 offset:61464
	s_waitcnt lgkmcnt(0)
	v_cmp_eq_u32_e32 vcc, v45, v30
	s_or_b64 s[40:41], vcc, s[40:41]
	s_andn2_b64 exec, exec, s[40:41]
	s_cbranch_execnz .LBB63_18
.LBB63_19:                              ;   in Loop: Header=BB63_13 Depth=2
	s_or_b64 exec, exec, s[38:39]
	v_lshlrev_b32_e32 v45, 13, v29
	v_or_b32_e32 v54, v33, v45
	ds_read2_b32 v[46:47], v54 offset1:32
	ds_read2_b32 v[48:49], v54 offset0:64 offset1:96
	v_add_u32_e32 v52, 0x400, v54
	ds_read2_b32 v[50:51], v52 offset1:32
	ds_read2_b32 v[52:53], v52 offset0:64 offset1:96
	s_waitcnt lgkmcnt(2)
	v_smfmac_f32_16x16x64_fp8_fp8 v[4:7], v[14:15], v[46:49], v31 cbsz:7 abid:1
	v_add_u32_e32 v48, 0x800, v54
	ds_read2_b32 v[46:47], v48 offset1:32
	ds_read2_b32 v[48:49], v48 offset0:64 offset1:96
	s_waitcnt lgkmcnt(2)
	v_smfmac_f32_16x16x64_fp8_fp8 v[4:7], v[12:13], v[50:53], v31 cbsz:7 abid:1
	v_add_u32_e32 v52, 0xc00, v54
	ds_read2_b32 v[50:51], v52 offset1:32
	s_waitcnt lgkmcnt(1)
	v_smfmac_f32_16x16x64_fp8_fp8 v[4:7], v[10:11], v[46:49], v31 cbsz:7 abid:1
	ds_read2_b32 v[52:53], v52 offset0:64 offset1:96
	ds_read_b32 v46, v44 offset:61468
	ds_write_b32 v44, v43 offset:61464
	s_waitcnt lgkmcnt(1)
	v_cmp_ne_u32_e32 vcc, v46, v30
	v_smfmac_f32_16x16x64_fp8_fp8 v[4:7], v[8:9], v[50:53], v31 cbsz:7 abid:1
	s_and_saveexec_b64 s[38:39], vcc
	s_cbranch_execz .LBB63_12
; %bb.20:                               ;   in Loop: Header=BB63_13 Depth=2
	s_mov_b64 s[40:41], 0
.LBB63_21:                              ;   Parent Loop BB63_7 Depth=1
                                        ;     Parent Loop BB63_13 Depth=2
                                        ; =>    This Inner Loop Header: Depth=3
	;;#ASMSTART
	s_sleep 0
	;;#ASMEND
	ds_read_b32 v46, v44 offset:61468
	s_waitcnt lgkmcnt(0)
	v_cmp_eq_u32_e32 vcc, v46, v30
	s_or_b64 s[40:41], vcc, s[40:41]
	s_andn2_b64 exec, exec, s[40:41]
	s_cbranch_execnz .LBB63_21
	s_branch .LBB63_12
.LBB63_22:                              ;   in Loop: Header=BB63_7 Depth=1
	s_or_b64 exec, exec, s[8:9]
.LBB63_23:                              ;   in Loop: Header=BB63_7 Depth=1
	s_or_b64 exec, exec, s[6:7]
	v_cmp_le_i32_e32 vcc, s31, v16
	v_mov_b32_e32 v12, v5
	v_mov_b32_e32 v13, v6
	;; [unrolled: 1-line block ×3, first 2 shown]
	s_waitcnt vmcnt(0)
	v_cndmask_b32_e32 v8, 0, v28, vcc
	v_pk_add_f32 v[4:5], v[12:13], v[4:5]
	v_cmp_eq_u32_e32 vcc, 1, v34
	v_pk_mul_f32 v[4:5], v[8:9], v[4:5] op_sel_hi:[0,1]
	v_cmp_le_i32_e64 s[8:9], s31, v35
	v_cndmask_b32_e32 v8, v4, v5, vcc
	v_cmp_eq_u32_e32 vcc, 2, v34
	v_mov_b32_e32 v12, v1
	v_mov_b32_e32 v13, v2
	;; [unrolled: 1-line block ×3, first 2 shown]
	v_cndmask_b32_e32 v6, v8, v6, vcc
	v_cndmask_b32_e64 v8, 0, v28, s[8:9]
	v_pk_add_f32 v[0:1], v[12:13], v[0:1]
	v_cmp_eq_u32_e64 s[6:7], 3, v34
	v_pk_mul_f32 v[0:1], v[8:9], v[0:1] op_sel_hi:[0,1]
	v_cmp_ne_u32_e64 s[8:9], 0, v34
	v_cndmask_b32_e64 v6, v6, v7, s[6:7]
	ds_bpermute_b32 v6, v41, v6
	v_cndmask_b32_e64 v7, v0, v1, s[8:9]
	v_cndmask_b32_e32 v2, v7, v2, vcc
	v_cndmask_b32_e64 v2, v2, v3, s[6:7]
	ds_bpermute_b32 v2, v41, v2
	v_cmp_lt_i32_e32 vcc, s56, v36
	s_and_saveexec_b64 s[8:9], vcc
	s_cbranch_execz .LBB63_25
; %bb.24:                               ;   in Loop: Header=BB63_7 Depth=1
	s_mul_i32 s6, s54, s13
	s_ashr_i32 s7, s6, 31
	s_lshl_b64 s[6:7], s[6:7], 1
	s_add_u32 s38, s24, s6
	s_addc_u32 s39, s25, s7
	s_ashr_i32 s31, s30, 31
	s_lshl_b64 s[6:7], s[30:31], 1
	s_add_u32 s38, s38, s6
	s_addc_u32 s39, s39, s7
	v_cmp_ne_u32_e32 vcc, 0, v34
	v_cmp_eq_u32_e64 s[6:7], 0, v34
	s_waitcnt lgkmcnt(0)
	v_cndmask_b32_e32 v3, v1, v2, vcc
	v_cndmask_b32_e64 v2, v0, v2, s[6:7]
	v_cndmask_b32_e32 v5, v5, v6, vcc
	v_cndmask_b32_e64 v4, v4, v6, s[6:7]
	v_cvt_f16_f32_e32 v4, v4
	v_cvt_f16_f32_sdwa v5, v5 dst_sel:WORD_1 dst_unused:UNUSED_PAD src0_sel:DWORD
	v_cvt_f16_f32_e32 v2, v2
	v_cvt_f16_f32_sdwa v3, v3 dst_sel:WORD_1 dst_unused:UNUSED_PAD src0_sel:DWORD
	v_lshl_add_u64 v[0:1], v[18:19], 1, s[38:39]
	v_lshl_add_u64 v[0:1], v[0:1], 0, v[20:21]
	v_or_b32_e32 v4, v5, v4
	;;#ASMSTART
	global_atomic_pk_add_f16 v[0:1], v4, off
	
	;;#ASMEND
	v_lshl_add_u64 v[0:1], v[0:1], 0, 32
	v_or_b32_e32 v2, v3, v2
	;;#ASMSTART
	global_atomic_pk_add_f16 v[0:1], v2, off
	
	;;#ASMEND
.LBB63_25:                              ;   in Loop: Header=BB63_7 Depth=1
	s_or_b64 exec, exec, s[8:9]
	v_subrev_u32_e32 v42, s53, v42
.LBB63_26:                              ;   in Loop: Header=BB63_7 Depth=1
	s_or_b64 exec, exec, s[36:37]
.LBB63_27:                              ;   in Loop: Header=BB63_7 Depth=1
	s_andn2_saveexec_b64 s[6:7], s[34:35]
	s_cbranch_execz .LBB63_36
; %bb.28:                               ;   in Loop: Header=BB63_7 Depth=1
	s_lshl_b32 s38, s53, 1
	v_cmp_gt_i32_e32 vcc, s38, v42
	s_and_saveexec_b64 s[8:9], vcc
	s_cbranch_execz .LBB63_35
; %bb.29:                               ;   in Loop: Header=BB63_7 Depth=1
	s_mul_i32 s30, s30, s15
	s_ashr_i32 s31, s30, 31
	s_waitcnt lgkmcnt(0)
	s_add_u32 s30, s22, s30
	s_addc_u32 s31, s23, s31
	s_ashr_i32 s34, s55, 31
	s_add_u32 s30, s30, s55
	s_addc_u32 s31, s31, s34
	v_lshl_add_u64 v[0:1], s[30:31], 0, v[24:25]
	v_lshl_add_u64 v[28:29], v[0:1], 0, v[22:23]
	s_mov_b64 s[30:31], 0
	s_branch .LBB63_31
.LBB63_30:                              ;   in Loop: Header=BB63_31 Depth=2
	s_or_b64 exec, exec, s[34:35]
	v_lshl_or_b32 v45, v43, 12, v37
	;;#ASMSTART
	s_waitcnt vmcnt(3)
	;;#ASMEND
	ds_write2_b32 v45, v12, v13 offset1:32
	ds_write2_b32 v45, v14, v15 offset0:64 offset1:96
	v_add_u32_e32 v12, 0x400, v45
	;;#ASMSTART
	s_waitcnt vmcnt(2)
	;;#ASMEND
	ds_write2_b32 v12, v8, v9 offset1:32
	ds_write2_b32 v12, v10, v11 offset0:64 offset1:96
	v_add_u32_e32 v8, 0x800, v45
	;; [unrolled: 6-line block ×3, first 2 shown]
	v_add_u32_e32 v42, s18, v42
	;;#ASMSTART
	s_waitcnt vmcnt(0)
	;;#ASMEND
	ds_write2_b32 v4, v0, v1 offset1:32
	ds_write2_b32 v4, v2, v3 offset0:64 offset1:96
	v_add_u32_e32 v0, 1, v30
	v_add_u32_e32 v10, s18, v43
	v_cmp_le_i32_e32 vcc, s38, v42
	ds_write_b32 v44, v0 offset:24
	v_add_u32_e32 v0, 2, v30
	s_or_b64 s[30:31], vcc, s[30:31]
	v_cmp_lt_i32_e32 vcc, 11, v10
	s_nop 1
	v_cndmask_b32_e32 v30, v30, v0, vcc
	s_andn2_b64 exec, exec, s[30:31]
	s_cbranch_execz .LBB63_34
.LBB63_31:                              ;   Parent Loop BB63_7 Depth=1
                                        ; =>  This Loop Header: Depth=2
                                        ;       Child Loop BB63_33 Depth 3
	v_cmp_gt_i32_e32 vcc, 12, v10
	s_nop 1
	v_cndmask_b32_e64 v0, -12, 0, vcc
	v_add_u32_e32 v43, v0, v10
	v_lshrrev_b32_e32 v0, 31, v42
	v_add_u32_e32 v0, v42, v0
	v_and_b32_e32 v1, -2, v0
	v_lshlrev_b32_e32 v0, 7, v0
	v_sub_u32_e32 v2, v42, v1
	v_and_b32_e32 v0, 0xffffff00, v0
	v_ashrrev_i32_e32 v1, 31, v0
	v_mul_lo_u32 v2, s46, v2
	v_lshl_add_u64 v[0:1], v[28:29], 0, v[0:1]
	v_ashrrev_i32_e32 v3, 31, v2
	v_lshl_add_u64 v[0:1], v[0:1], 0, v[2:3]
	v_lshlrev_b32_e32 v44, 2, v43
	;;#ASMSTART
	global_load_dwordx4 v[12:15], v[0:1], off offset:0    sc0 sc1 nt  
	global_load_dwordx4 v[8:11], v[0:1], off offset:64   sc0 sc1 nt  
	global_load_dwordx4 v[4:7], v[0:1], off offset:128  sc0 sc1 nt  
	global_load_dwordx4 v[0:3], v[0:1], off offset:192  sc0 sc1 nt  
	
	;;#ASMEND
	ds_read_b32 v45, v44 offset:61464
	v_add_u32_e32 v44, 0xf000, v44
	s_waitcnt lgkmcnt(0)
	v_cmp_ne_u32_e32 vcc, v45, v30
	s_and_saveexec_b64 s[34:35], vcc
	s_cbranch_execz .LBB63_30
; %bb.32:                               ;   in Loop: Header=BB63_31 Depth=2
	s_mov_b64 s[36:37], 0
.LBB63_33:                              ;   Parent Loop BB63_7 Depth=1
                                        ;     Parent Loop BB63_31 Depth=2
                                        ; =>    This Inner Loop Header: Depth=3
	;;#ASMSTART
	s_sleep 0
	;;#ASMEND
	ds_read_b32 v45, v44 offset:24
	s_waitcnt lgkmcnt(0)
	v_cmp_eq_u32_e32 vcc, v45, v30
	s_or_b64 s[36:37], vcc, s[36:37]
	s_andn2_b64 exec, exec, s[36:37]
	s_cbranch_execnz .LBB63_33
	s_branch .LBB63_30
.LBB63_34:                              ;   in Loop: Header=BB63_7 Depth=1
	s_or_b64 exec, exec, s[30:31]
.LBB63_35:                              ;   in Loop: Header=BB63_7 Depth=1
	s_or_b64 exec, exec, s[8:9]
	v_subrev_u32_e32 v42, s38, v42
.LBB63_36:                              ;   in Loop: Header=BB63_7 Depth=1
	s_or_b64 exec, exec, s[6:7]
.LBB63_37:                              ;   in Loop: Header=BB63_7 Depth=1
	s_andn2_saveexec_b64 s[6:7], s[28:29]
	s_cbranch_execz .LBB63_6
; %bb.38:                               ;   in Loop: Header=BB63_7 Depth=1
	v_cmp_gt_i32_e32 vcc, s53, v42
	s_and_saveexec_b64 s[8:9], vcc
	s_cbranch_execz .LBB63_5
; %bb.39:                               ;   in Loop: Header=BB63_7 Depth=1
	s_mul_i32 s54, s54, s14
	s_ashr_i32 s28, s54, 31
	s_waitcnt lgkmcnt(0)
	s_add_u32 s29, s20, s54
	s_addc_u32 s30, s21, s28
	s_ashr_i32 s31, s55, 31
	v_cmp_le_i32_e32 vcc, s56, v39
	s_add_u32 s28, s29, s55
	s_addc_u32 s29, s30, s31
	v_cndmask_b32_e32 v0, 0, v40, vcc
	v_ashrrev_i32_e32 v1, 31, v0
	v_lshl_add_u64 v[0:1], s[28:29], 0, v[0:1]
	v_lshlrev_b32_e32 v2, 8, v42
	v_lshl_add_u64 v[0:1], v[0:1], 0, v[26:27]
	v_ashrrev_i32_e32 v3, 31, v2
	v_lshl_add_u64 v[8:9], v[0:1], 0, v[2:3]
	s_mov_b64 s[28:29], 0
	s_branch .LBB63_41
.LBB63_40:                              ;   in Loop: Header=BB63_41 Depth=2
	s_or_b64 exec, exec, s[30:31]
	;;#ASMSTART
	s_waitcnt vmcnt(1)
	v_pack_b32_f16 v12, v4, v5, op_sel:[0,0]
	v_pack_b32_f16 v13, v4, v5, op_sel:[1,1]
	;; [unrolled: 1-line block ×4, first 2 shown]
	v_swap_b32 v12, v4
	v_swap_b32 v13, v6
	;; [unrolled: 1-line block ×4, first 2 shown]
	;;#ASMEND
	v_add_u32_e32 v42, s17, v42
	v_lshl_add_u32 v12, v10, 11, v38
	ds_write2_b32 v12, v4, v5 offset1:32
	ds_write2_b32 v12, v6, v7 offset0:64 offset1:96
	;;#ASMSTART
	s_waitcnt vmcnt(0)
	v_pack_b32_f16 v4, v0, v1, op_sel:[0,0]
	v_pack_b32_f16 v5, v0, v1, op_sel:[1,1]
	;; [unrolled: 1-line block ×4, first 2 shown]
	v_swap_b32 v4, v0
	v_swap_b32 v5, v2
	;; [unrolled: 1-line block ×4, first 2 shown]
	;;#ASMEND
	v_add_u32_e32 v10, s17, v10
	v_add_u32_e32 v4, 0x400, v12
	ds_write2_b32 v4, v0, v1 offset1:32
	ds_write2_b32 v4, v2, v3 offset0:64 offset1:96
	v_add_u32_e32 v0, 1, v30
	v_cmp_le_i32_e32 vcc, s53, v42
	ds_write_b32 v11, v0
	v_add_u32_e32 v0, 2, v30
	s_or_b64 s[28:29], vcc, s[28:29]
	v_cmp_lt_i32_e32 vcc, 5, v10
	v_lshl_add_u64 v[8:9], v[8:9], 0, s[10:11]
	s_nop 0
	v_cndmask_b32_e32 v30, v30, v0, vcc
	s_andn2_b64 exec, exec, s[28:29]
	s_cbranch_execz .LBB63_4
.LBB63_41:                              ;   Parent Loop BB63_7 Depth=1
                                        ; =>  This Loop Header: Depth=2
                                        ;       Child Loop BB63_43 Depth 3
	v_cmp_gt_i32_e32 vcc, 6, v10
	s_nop 1
	v_cndmask_b32_e64 v0, -6, 0, vcc
	v_add_u32_e32 v10, v0, v10
	v_lshlrev_b32_e32 v11, 2, v10
	;;#ASMSTART
	global_load_dwordx4 v[4:7], v[8:9], off offset:0  
	global_load_dwordx4 v[0:3], v[8:9], off offset:128
	
	;;#ASMEND
	ds_read_b32 v12, v11 offset:61440
	v_add_u32_e32 v11, 0xf000, v11
	s_waitcnt lgkmcnt(0)
	v_cmp_ne_u32_e32 vcc, v12, v30
	s_and_saveexec_b64 s[30:31], vcc
	s_cbranch_execz .LBB63_40
; %bb.42:                               ;   in Loop: Header=BB63_41 Depth=2
	s_mov_b64 s[34:35], 0
.LBB63_43:                              ;   Parent Loop BB63_7 Depth=1
                                        ;     Parent Loop BB63_41 Depth=2
                                        ; =>    This Inner Loop Header: Depth=3
	;;#ASMSTART
	s_sleep 0
	;;#ASMEND
	ds_read_b32 v12, v11
	s_waitcnt lgkmcnt(0)
	v_cmp_eq_u32_e32 vcc, v12, v30
	s_or_b64 s[34:35], vcc, s[34:35]
	s_andn2_b64 exec, exec, s[34:35]
	s_cbranch_execnz .LBB63_43
	s_branch .LBB63_40
.LBB63_44:
	s_endpgm
	.section	.rodata,"a",@progbits
	.p2align	6, 0x0
	.amdhsa_kernel _Z19_skinny_gemm_kernelILi1ELi2ELi6ELi8ELi4EEvPKhS1_P6__halfPKfiiiiiiii
		.amdhsa_group_segment_fixed_size 61512
		.amdhsa_private_segment_fixed_size 0
		.amdhsa_kernarg_size 64
		.amdhsa_user_sgpr_count 2
		.amdhsa_user_sgpr_dispatch_ptr 0
		.amdhsa_user_sgpr_queue_ptr 0
		.amdhsa_user_sgpr_kernarg_segment_ptr 1
		.amdhsa_user_sgpr_dispatch_id 0
		.amdhsa_user_sgpr_kernarg_preload_length 0
		.amdhsa_user_sgpr_kernarg_preload_offset 0
		.amdhsa_user_sgpr_private_segment_size 0
		.amdhsa_uses_dynamic_stack 0
		.amdhsa_enable_private_segment 0
		.amdhsa_system_sgpr_workgroup_id_x 1
		.amdhsa_system_sgpr_workgroup_id_y 0
		.amdhsa_system_sgpr_workgroup_id_z 0
		.amdhsa_system_sgpr_workgroup_info 0
		.amdhsa_system_vgpr_workitem_id 0
		.amdhsa_next_free_vgpr 55
		.amdhsa_next_free_sgpr 57
		.amdhsa_accum_offset 56
		.amdhsa_reserve_vcc 1
		.amdhsa_float_round_mode_32 0
		.amdhsa_float_round_mode_16_64 0
		.amdhsa_float_denorm_mode_32 3
		.amdhsa_float_denorm_mode_16_64 3
		.amdhsa_dx10_clamp 1
		.amdhsa_ieee_mode 1
		.amdhsa_fp16_overflow 0
		.amdhsa_tg_split 0
		.amdhsa_exception_fp_ieee_invalid_op 0
		.amdhsa_exception_fp_denorm_src 0
		.amdhsa_exception_fp_ieee_div_zero 0
		.amdhsa_exception_fp_ieee_overflow 0
		.amdhsa_exception_fp_ieee_underflow 0
		.amdhsa_exception_fp_ieee_inexact 0
		.amdhsa_exception_int_div_zero 0
	.end_amdhsa_kernel
	.section	.text._Z19_skinny_gemm_kernelILi1ELi2ELi6ELi8ELi4EEvPKhS1_P6__halfPKfiiiiiiii,"axG",@progbits,_Z19_skinny_gemm_kernelILi1ELi2ELi6ELi8ELi4EEvPKhS1_P6__halfPKfiiiiiiii,comdat
.Lfunc_end63:
	.size	_Z19_skinny_gemm_kernelILi1ELi2ELi6ELi8ELi4EEvPKhS1_P6__halfPKfiiiiiiii, .Lfunc_end63-_Z19_skinny_gemm_kernelILi1ELi2ELi6ELi8ELi4EEvPKhS1_P6__halfPKfiiiiiiii
                                        ; -- End function
	.set _Z19_skinny_gemm_kernelILi1ELi2ELi6ELi8ELi4EEvPKhS1_P6__halfPKfiiiiiiii.num_vgpr, 55
	.set _Z19_skinny_gemm_kernelILi1ELi2ELi6ELi8ELi4EEvPKhS1_P6__halfPKfiiiiiiii.num_agpr, 0
	.set _Z19_skinny_gemm_kernelILi1ELi2ELi6ELi8ELi4EEvPKhS1_P6__halfPKfiiiiiiii.numbered_sgpr, 57
	.set _Z19_skinny_gemm_kernelILi1ELi2ELi6ELi8ELi4EEvPKhS1_P6__halfPKfiiiiiiii.num_named_barrier, 0
	.set _Z19_skinny_gemm_kernelILi1ELi2ELi6ELi8ELi4EEvPKhS1_P6__halfPKfiiiiiiii.private_seg_size, 0
	.set _Z19_skinny_gemm_kernelILi1ELi2ELi6ELi8ELi4EEvPKhS1_P6__halfPKfiiiiiiii.uses_vcc, 1
	.set _Z19_skinny_gemm_kernelILi1ELi2ELi6ELi8ELi4EEvPKhS1_P6__halfPKfiiiiiiii.uses_flat_scratch, 0
	.set _Z19_skinny_gemm_kernelILi1ELi2ELi6ELi8ELi4EEvPKhS1_P6__halfPKfiiiiiiii.has_dyn_sized_stack, 0
	.set _Z19_skinny_gemm_kernelILi1ELi2ELi6ELi8ELi4EEvPKhS1_P6__halfPKfiiiiiiii.has_recursion, 0
	.set _Z19_skinny_gemm_kernelILi1ELi2ELi6ELi8ELi4EEvPKhS1_P6__halfPKfiiiiiiii.has_indirect_call, 0
	.section	.AMDGPU.csdata,"",@progbits
; Kernel info:
; codeLenInByte = 3392
; TotalNumSgprs: 63
; NumVgprs: 55
; NumAgprs: 0
; TotalNumVgprs: 55
; ScratchSize: 0
; MemoryBound: 0
; FloatMode: 240
; IeeeMode: 1
; LDSByteSize: 61512 bytes/workgroup (compile time only)
; SGPRBlocks: 7
; VGPRBlocks: 6
; NumSGPRsForWavesPerEU: 63
; NumVGPRsForWavesPerEU: 55
; AccumOffset: 56
; Occupancy: 8
; WaveLimiterHint : 0
; COMPUTE_PGM_RSRC2:SCRATCH_EN: 0
; COMPUTE_PGM_RSRC2:USER_SGPR: 2
; COMPUTE_PGM_RSRC2:TRAP_HANDLER: 0
; COMPUTE_PGM_RSRC2:TGID_X_EN: 1
; COMPUTE_PGM_RSRC2:TGID_Y_EN: 0
; COMPUTE_PGM_RSRC2:TGID_Z_EN: 0
; COMPUTE_PGM_RSRC2:TIDIG_COMP_CNT: 0
; COMPUTE_PGM_RSRC3_GFX90A:ACCUM_OFFSET: 13
; COMPUTE_PGM_RSRC3_GFX90A:TG_SPLIT: 0
	.section	.text._Z19_skinny_gemm_kernelILi1ELi2ELi6ELi16ELi4EEvPKhS1_P6__halfPKfiiiiiiii,"axG",@progbits,_Z19_skinny_gemm_kernelILi1ELi2ELi6ELi16ELi4EEvPKhS1_P6__halfPKfiiiiiiii,comdat
	.protected	_Z19_skinny_gemm_kernelILi1ELi2ELi6ELi16ELi4EEvPKhS1_P6__halfPKfiiiiiiii ; -- Begin function _Z19_skinny_gemm_kernelILi1ELi2ELi6ELi16ELi4EEvPKhS1_P6__halfPKfiiiiiiii
	.globl	_Z19_skinny_gemm_kernelILi1ELi2ELi6ELi16ELi4EEvPKhS1_P6__halfPKfiiiiiiii
	.p2align	8
	.type	_Z19_skinny_gemm_kernelILi1ELi2ELi6ELi16ELi4EEvPKhS1_P6__halfPKfiiiiiiii,@function
_Z19_skinny_gemm_kernelILi1ELi2ELi6ELi16ELi4EEvPKhS1_P6__halfPKfiiiiiiii: ; @_Z19_skinny_gemm_kernelILi1ELi2ELi6ELi16ELi4EEvPKhS1_P6__halfPKfiiiiiiii
; %bb.0:
	v_cmp_gt_u32_e32 vcc, 18, v0
	v_lshlrev_b32_e32 v1, 2, v0
	s_and_saveexec_b64 s[4:5], vcc
; %bb.1:
	v_mov_b32_e32 v2, 0
	ds_write_b32 v1, v2 offset:36864
; %bb.2:
	s_or_b64 exec, exec, s[4:5]
	s_load_dwordx8 s[24:31], s[0:1], 0x20
	s_waitcnt lgkmcnt(0)
	s_barrier
	s_add_i32 s3, s24, 15
	s_ashr_i32 s5, s3, 31
	s_add_i32 s4, s25, 31
	s_lshr_b32 s5, s5, 28
	s_ashr_i32 s6, s4, 31
	s_add_i32 s3, s3, s5
	s_ashr_i32 s33, s3, 4
	s_lshr_b32 s3, s6, 27
	s_add_i32 s4, s4, s3
	s_ashr_i32 s50, s4, 5
	s_mul_i32 s3, s50, s33
	s_mul_i32 s3, s3, s28
	s_add_i32 s4, s3, 0x12f
	s_mul_hi_i32 s4, s4, 0x6bca1af3
	s_lshr_b32 s5, s4, 31
	s_ashr_i32 s4, s4, 7
	s_add_i32 s4, s4, s5
	s_add_i32 s5, s2, 1
	s_mul_i32 s5, s4, s5
	v_cvt_f64_i32_e32 v[2:3], s3
	v_cvt_f64_u32_e32 v[4:5], s5
	v_min_f64 v[2:3], v[2:3], v[4:5]
	v_cvt_i32_f64_e32 v9, v[2:3]
	s_mul_i32 s51, s4, s2
	v_cmp_ge_i32_e32 vcc, s51, v9
	s_cbranch_vccnz .LBB64_45
; %bb.3:
	v_lshrrev_b32_e32 v2, 6, v0
	s_add_i32 s4, s30, s29
	s_load_dwordx8 s[36:43], s[0:1], 0x0
	v_cmp_le_i32_e64 s[0:1], s4, v2
	v_mov_b32_e32 v3, s29
	v_cmp_le_i32_e64 s[2:3], s29, v2
	v_mov_b32_e32 v4, s30
	v_cndmask_b32_e64 v4, 0, v4, s[0:1]
	v_cndmask_b32_e64 v3, 0, v3, s[2:3]
	s_abs_i32 s5, s28
	v_add_u32_e32 v3, v3, v4
	v_cvt_f32_u32_e32 v4, s5
	v_sub_u32_e32 v18, v2, v3
	s_ashr_i32 s6, s26, 31
	s_lshr_b32 s6, s6, 25
	v_rcp_iflag_f32_e32 v3, v4
	s_sub_i32 s9, 0, s5
	s_add_i32 s6, s26, s6
	s_ashr_i32 s6, s6, 7
	v_mul_f32_e32 v3, 0x4f7ffffe, v3
	v_cvt_u32_f32_e32 v3, v3
	s_abs_i32 s8, s6
	s_xor_b32 s7, s6, s28
	s_ashr_i32 s7, s7, 31
	v_readfirstlane_b32 s10, v3
	s_mul_i32 s9, s9, s10
	s_mul_hi_u32 s9, s10, s9
	s_add_i32 s10, s10, s9
	s_mul_hi_u32 s9, s8, s10
	s_mul_i32 s10, s9, s5
	s_sub_i32 s8, s8, s10
	s_add_i32 s10, s9, 1
	s_sub_i32 s11, s8, s5
	s_cmp_ge_u32 s8, s5
	s_cselect_b32 s9, s10, s9
	s_cselect_b32 s8, s11, s8
	s_add_i32 s10, s9, 1
	s_cmp_ge_u32 s8, s5
	s_cselect_b32 s5, s10, s9
	s_xor_b32 s5, s5, s7
	s_sub_i32 s52, s5, s7
	s_add_i32 s28, s28, -1
	s_mul_i32 s5, s52, s28
	s_add_i32 s4, s4, s31
	s_sub_i32 s53, s6, s5
	v_cmp_gt_i32_e64 s[4:5], s4, v2
	v_lshlrev_b32_e32 v2, 1, v0
	v_lshlrev_b32_e32 v3, 4, v0
	v_and_b32_e32 v1, 60, v1
	v_and_b32_e32 v2, 64, v2
	;; [unrolled: 1-line block ×3, first 2 shown]
	s_abs_i32 s54, s33
	v_or3_b32 v31, v1, v2, v4
	v_and_b32_e32 v1, 1, v0
	v_cvt_f32_u32_e32 v6, s54
	v_lshlrev_b32_e32 v2, 1, v1
	v_lshrrev_b32_e32 v4, 2, v0
	v_and_b32_e32 v8, 14, v0
	v_sub_u32_e32 v2, v0, v2
	v_and_or_b32 v33, v4, 12, v1
	v_bitop3_b32 v34, v0, 1, v0 bitop3:0xc
	v_bitop3_b32 v35, v0, 3, 1 bitop3:0x6c
	v_and_b32_e32 v12, 48, v3
	v_bfe_u32 v1, v0, 2, 4
	v_and_b32_e32 v3, 60, v0
	v_lshlrev_b32_e32 v5, 8, v0
	v_lshlrev_b32_e32 v0, 6, v0
	v_and_b32_e32 v5, 0x200, v5
	v_and_b32_e32 v0, 64, v0
	v_or3_b32 v37, v3, v5, v0
	v_rcp_iflag_f32_e32 v0, v6
	s_abs_i32 s56, s50
	v_mul_lo_u32 v14, s27, v1
	v_mul_lo_u32 v39, s26, v1
	v_cvt_f32_u32_e32 v1, s56
	v_mul_f32_e32 v0, 0x4f7ffffe, v0
	v_cvt_u32_f32_e32 v0, v0
	v_mad_u64_u32 v[10:11], s[6:7], s25, v33, v[8:9]
	v_rcp_iflag_f32_e32 v1, v1
	v_readfirstlane_b32 s7, v0
	s_sub_i32 s6, 0, s54
	s_mul_i32 s6, s6, s7
	v_mul_f32_e32 v0, 0x4f7ffffe, v1
	v_cvt_u32_f32_e32 v0, v0
	s_mul_hi_u32 s6, s7, s6
	v_add_u32_e32 v2, 1, v2
	s_add_i32 s58, s7, s6
	s_sub_i32 s6, 0, s56
	v_readfirstlane_b32 s7, v0
	v_mbcnt_lo_u32_b32 v0, -1, 0
	v_and_b32_e32 v2, 63, v2
	s_mul_i32 s6, s6, s7
	v_mbcnt_hi_u32_b32 v0, -1, v0
	s_mul_hi_u32 s6, s7, s6
	v_and_or_b32 v0, v0, 64, v2
	v_cndmask_b32_e64 v30, 0, 1, s[0:1]
	v_or_b32_e32 v32, 0x6000, v31
	v_or_b32_e32 v36, 16, v8
	v_ashrrev_i32_e32 v11, 31, v10
	s_ashr_i32 s23, s25, 31
	s_mov_b32 s22, s25
	v_ashrrev_i32_e32 v15, 31, v14
	v_mov_b32_e32 v13, 0
	s_lshl_b32 s55, s27, 4
	v_bitop3_b32 v38, v4, 15, v4 bitop3:0xc
	v_or_b32_e32 v40, 0x6000, v37
	s_ashr_i32 s57, s33, 31
	s_ashr_i32 s59, s50, 31
	s_add_i32 s60, s7, s6
	v_lshlrev_b32_e32 v41, 2, v0
	v_mov_b32_e32 v42, v18
	s_branch .LBB64_7
.LBB64_4:                               ;   in Loop: Header=BB64_7 Depth=1
	s_or_b64 exec, exec, s[10:11]
.LBB64_5:                               ;   in Loop: Header=BB64_7 Depth=1
	s_or_b64 exec, exec, s[8:9]
	v_subrev_u32_e32 v42, s61, v42
.LBB64_6:                               ;   in Loop: Header=BB64_7 Depth=1
	s_or_b64 exec, exec, s[6:7]
	s_add_i32 s51, s51, 1
	v_cmp_ge_i32_e32 vcc, s51, v9
	s_cbranch_vccnz .LBB64_45
.LBB64_7:                               ; =>This Loop Header: Depth=1
                                        ;     Child Loop BB64_13 Depth 2
                                        ;       Child Loop BB64_15 Depth 3
                                        ;       Child Loop BB64_18 Depth 3
	;; [unrolled: 1-line block ×3, first 2 shown]
                                        ;     Child Loop BB64_32 Depth 2
                                        ;       Child Loop BB64_34 Depth 3
                                        ;     Child Loop BB64_42 Depth 2
                                        ;       Child Loop BB64_44 Depth 3
	s_abs_i32 s7, s51
	s_mul_hi_u32 s8, s7, s58
	s_mul_i32 s9, s8, s54
	s_ashr_i32 s6, s51, 31
	s_sub_i32 s7, s7, s9
	s_xor_b32 s6, s6, s57
	s_add_i32 s9, s8, 1
	s_sub_i32 s10, s7, s54
	s_cmp_ge_u32 s7, s54
	s_cselect_b32 s8, s9, s8
	s_cselect_b32 s7, s10, s7
	s_add_i32 s9, s8, 1
	s_cmp_ge_u32 s7, s54
	s_cselect_b32 s7, s9, s8
	s_xor_b32 s7, s7, s6
	s_sub_i32 s6, s7, s6
	s_abs_i32 s8, s6
	s_mul_i32 s7, s6, s33
	s_mul_hi_u32 s9, s8, s60
	s_sub_i32 s7, s51, s7
	s_mul_i32 s10, s9, s56
	s_lshl_b32 s62, s7, 4
	s_ashr_i32 s7, s6, 31
	s_sub_i32 s8, s8, s10
	s_xor_b32 s7, s7, s59
	s_add_i32 s10, s9, 1
	s_sub_i32 s11, s8, s56
	s_cmp_ge_u32 s8, s56
	s_cselect_b32 s9, s10, s9
	s_cselect_b32 s8, s11, s8
	s_add_i32 s10, s9, 1
	s_cmp_ge_u32 s8, s56
	s_cselect_b32 s8, s10, s9
	s_xor_b32 s8, s8, s7
	s_sub_i32 s7, s8, s7
	s_mul_i32 s8, s7, s52
	s_lshl_b32 s63, s8, 7
	s_cmp_eq_u32 s7, s28
	s_cselect_b32 s61, s53, s52
	s_sub_i32 s64, s62, s24
	s_add_i32 s64, s64, 16
	s_and_saveexec_b64 s[8:9], s[2:3]
	s_xor_b64 s[34:35], exec, s[8:9]
	s_cbranch_execz .LBB64_38
; %bb.8:                                ;   in Loop: Header=BB64_7 Depth=1
	s_mul_i32 s7, s7, s50
	s_sub_i32 s6, s6, s7
	s_lshl_b32 s6, s6, 5
	s_sub_i32 s45, s6, s25
	s_add_i32 s45, s45, 32
	s_max_i32 s7, s45, 0
	s_sub_i32 s44, s6, s7
	s_and_saveexec_b64 s[6:7], s[0:1]
	s_xor_b64 s[46:47], exec, s[6:7]
	s_cbranch_execz .LBB64_28
; %bb.9:                                ;   in Loop: Header=BB64_7 Depth=1
	s_and_saveexec_b64 s[48:49], s[4:5]
	s_cbranch_execz .LBB64_27
; %bb.10:                               ;   in Loop: Header=BB64_7 Depth=1
	s_waitcnt lgkmcnt(0)
	global_load_dword v43, v13, s[42:43]
	v_cmp_gt_i32_e32 vcc, s61, v42
	v_mov_b32_e32 v3, 0
	v_mov_b32_e32 v2, 0
	;; [unrolled: 1-line block ×8, first 2 shown]
	s_and_saveexec_b64 s[6:7], vcc
	s_cbranch_execz .LBB64_23
; %bb.11:                               ;   in Loop: Header=BB64_7 Depth=1
	v_mov_b32_e32 v4, 0
	s_mov_b64 s[8:9], 0
	v_mov_b32_e32 v5, v4
	v_mov_b32_e32 v6, v4
	;; [unrolled: 1-line block ×7, first 2 shown]
	s_branch .LBB64_13
.LBB64_12:                              ;   in Loop: Header=BB64_13 Depth=2
	s_or_b64 exec, exec, s[10:11]
	v_add_u32_e32 v24, v31, v47
	v_add_u32_e32 v25, 0x800, v24
	ds_read2_b32 v[22:23], v25 offset1:32
	v_add_u32_e32 v24, 0xc00, v24
	v_add_u32_e32 v42, s31, v42
	v_cmp_le_i32_e32 vcc, s61, v42
	s_or_b64 s[8:9], vcc, s[8:9]
	s_waitcnt lgkmcnt(0)
	v_mfma_f32_16x16x32_fp8_fp8 v[0:3], v[18:19], v[22:23], v[0:3]
	ds_read2_b32 v[18:19], v25 offset0:128 offset1:160
	ds_read2_b32 v[22:23], v24 offset1:32
	s_waitcnt lgkmcnt(1)
	v_mfma_f32_16x16x32_fp8_fp8 v[0:3], v[16:17], v[18:19], v[0:3]
	ds_read2_b32 v[16:17], v24 offset0:128 offset1:160
	v_add_u32_e32 v18, s31, v45
	v_add_u32_e32 v19, 2, v30
	s_waitcnt lgkmcnt(1)
	v_mfma_f32_16x16x32_fp8_fp8 v[0:3], v[28:29], v[22:23], v[0:3]
	v_cmp_lt_i32_e32 vcc, 5, v18
	;;#ASMSTART
	s_waitcnt lgkmcnt(0)
	;;#ASMEND
	ds_write_b32 v44, v46 offset:36892
	s_waitcnt lgkmcnt(1)
	v_mfma_f32_16x16x32_fp8_fp8 v[0:3], v[20:21], v[16:17], v[0:3]
	v_cndmask_b32_e32 v30, v30, v19, vcc
	s_andn2_b64 exec, exec, s[8:9]
	s_cbranch_execz .LBB64_22
.LBB64_13:                              ;   Parent Loop BB64_7 Depth=1
                                        ; =>  This Loop Header: Depth=2
                                        ;       Child Loop BB64_15 Depth 3
                                        ;       Child Loop BB64_18 Depth 3
	;; [unrolled: 1-line block ×3, first 2 shown]
	v_cmp_gt_i32_e32 vcc, 6, v18
	s_nop 1
	v_cndmask_b32_e64 v16, -6, 0, vcc
	v_add_u32_e32 v45, v16, v18
	v_lshlrev_b32_e32 v44, 3, v45
	ds_read_b32 v16, v44 offset:36888
	s_waitcnt lgkmcnt(0)
	v_cmp_ne_u32_e32 vcc, v16, v30
	s_and_saveexec_b64 s[10:11], vcc
	s_cbranch_execz .LBB64_16
; %bb.14:                               ;   in Loop: Header=BB64_13 Depth=2
	s_mov_b64 s[12:13], 0
.LBB64_15:                              ;   Parent Loop BB64_7 Depth=1
                                        ;     Parent Loop BB64_13 Depth=2
                                        ; =>    This Inner Loop Header: Depth=3
	;;#ASMSTART
	s_sleep 0
	;;#ASMEND
	ds_read_b32 v16, v44 offset:36888
	s_waitcnt lgkmcnt(0)
	v_cmp_eq_u32_e32 vcc, v16, v30
	s_or_b64 s[12:13], vcc, s[12:13]
	s_andn2_b64 exec, exec, s[12:13]
	s_cbranch_execnz .LBB64_15
.LBB64_16:                              ;   in Loop: Header=BB64_13 Depth=2
	s_or_b64 exec, exec, s[10:11]
	v_lshlrev_b32_e32 v47, 12, v45
	v_or_b32_e32 v16, v31, v47
	ds_read2_b32 v[20:21], v16 offset1:32
	ds_read2_b32 v[22:23], v16 offset0:128 offset1:160
	v_add_u32_e32 v16, 0x400, v16
	v_add_u32_e32 v46, 1, v30
	ds_read2_b32 v[26:27], v16 offset1:32
	ds_read2_b32 v[24:25], v16 offset0:128 offset1:160
	;;#ASMSTART
	s_waitcnt lgkmcnt(0)
	;;#ASMEND
	ds_write_b32 v44, v46 offset:36888
	v_lshlrev_b32_e32 v16, 2, v45
	ds_read_b32 v17, v16 offset:36864
	v_add_u32_e32 v48, 0x9000, v16
	s_waitcnt lgkmcnt(0)
	v_cmp_ne_u32_e32 vcc, v17, v30
	s_and_saveexec_b64 s[10:11], vcc
	s_cbranch_execz .LBB64_19
; %bb.17:                               ;   in Loop: Header=BB64_13 Depth=2
	s_mov_b64 s[12:13], 0
.LBB64_18:                              ;   Parent Loop BB64_7 Depth=1
                                        ;     Parent Loop BB64_13 Depth=2
                                        ; =>    This Inner Loop Header: Depth=3
	;;#ASMSTART
	s_sleep 0
	;;#ASMEND
	ds_read_b32 v16, v48
	s_waitcnt lgkmcnt(0)
	v_cmp_eq_u32_e32 vcc, v16, v30
	s_or_b64 s[12:13], vcc, s[12:13]
	s_andn2_b64 exec, exec, s[12:13]
	s_cbranch_execnz .LBB64_18
.LBB64_19:                              ;   in Loop: Header=BB64_13 Depth=2
	s_or_b64 exec, exec, s[10:11]
	v_lshl_add_u32 v28, v45, 11, v32
	ds_read2_b32 v[18:19], v28 offset1:32
	ds_read2_b32 v[16:17], v28 offset0:128 offset1:160
	v_add_u32_e32 v49, 0x400, v28
	ds_read2_b32 v[28:29], v49 offset1:32
	ds_write_b32 v48, v46
	s_waitcnt lgkmcnt(3)
	v_mfma_f32_16x16x32_fp8_fp8 v[4:7], v[18:19], v[20:21], v[4:7]
	ds_read2_b32 v[20:21], v49 offset0:128 offset1:160
	s_waitcnt lgkmcnt(3)
	v_mfma_f32_16x16x32_fp8_fp8 v[4:7], v[16:17], v[22:23], v[4:7]
	ds_read_b32 v22, v44 offset:36892
	s_waitcnt lgkmcnt(0)
	v_cmp_ne_u32_e32 vcc, v22, v30
	v_mfma_f32_16x16x32_fp8_fp8 v[4:7], v[28:29], v[26:27], v[4:7]
	v_mfma_f32_16x16x32_fp8_fp8 v[4:7], v[20:21], v[24:25], v[4:7]
	s_and_saveexec_b64 s[10:11], vcc
	s_cbranch_execz .LBB64_12
; %bb.20:                               ;   in Loop: Header=BB64_13 Depth=2
	s_mov_b64 s[12:13], 0
.LBB64_21:                              ;   Parent Loop BB64_7 Depth=1
                                        ;     Parent Loop BB64_13 Depth=2
                                        ; =>    This Inner Loop Header: Depth=3
	;;#ASMSTART
	s_sleep 0
	;;#ASMEND
	ds_read_b32 v22, v44 offset:36892
	s_waitcnt lgkmcnt(0)
	v_cmp_eq_u32_e32 vcc, v22, v30
	s_or_b64 s[12:13], vcc, s[12:13]
	s_andn2_b64 exec, exec, s[12:13]
	s_cbranch_execnz .LBB64_21
	s_branch .LBB64_12
.LBB64_22:                              ;   in Loop: Header=BB64_7 Depth=1
	s_or_b64 exec, exec, s[8:9]
.LBB64_23:                              ;   in Loop: Header=BB64_7 Depth=1
	s_or_b64 exec, exec, s[6:7]
	v_cmp_le_i32_e32 vcc, s45, v8
	v_cmp_eq_u32_e64 s[6:7], 2, v34
	v_cmp_eq_u32_e64 s[8:9], 3, v34
	s_waitcnt vmcnt(0)
	v_cndmask_b32_e32 v16, 0, v43, vcc
	v_pk_mul_f32 v[20:21], v[16:17], v[4:5] op_sel_hi:[0,1]
	v_cmp_eq_u32_e32 vcc, 1, v34
	v_pk_mul_f32 v[6:7], v[16:17], v[6:7] op_sel_hi:[0,1]
	v_cmp_eq_u32_e64 s[10:11], 0, v34
	v_cndmask_b32_e32 v4, v20, v21, vcc
	v_cndmask_b32_e64 v4, v4, v6, s[6:7]
	v_cndmask_b32_e64 v4, v4, v7, s[8:9]
	ds_bpermute_b32 v17, v41, v4
	v_cmp_eq_u32_e64 s[12:13], 1, v35
	v_cmp_eq_u32_e64 s[18:19], 4, v35
	;; [unrolled: 1-line block ×4, first 2 shown]
	s_waitcnt lgkmcnt(0)
	v_cndmask_b32_e64 v4, v7, v17, s[8:9]
	v_cndmask_b32_e64 v5, v6, v17, s[6:7]
	v_cndmask_b32_e32 v16, v21, v17, vcc
	v_cndmask_b32_e64 v17, v20, v17, s[10:11]
	v_cndmask_b32_e64 v6, v17, v16, s[12:13]
	s_or_b64 s[20:21], s[20:21], s[18:19]
	v_cmp_eq_u32_e64 s[18:19], 6, v35
	v_cndmask_b32_e64 v6, v6, v5, s[14:15]
	v_cmp_eq_u32_e64 s[16:17], 3, v35
	s_or_b64 s[20:21], s[18:19], s[20:21]
	v_cmp_le_i32_e64 s[18:19], s45, v36
	v_cndmask_b32_e64 v7, v6, v4, s[16:17]
	s_nop 0
	v_cndmask_b32_e64 v6, 0, v43, s[18:19]
	v_pk_mul_f32 v[20:21], v[6:7], v[0:1] op_sel_hi:[0,1]
	v_pk_mul_f32 v[0:1], v[6:7], v[2:3] op_sel_hi:[0,1]
	v_cndmask_b32_e32 v2, v20, v21, vcc
	v_cndmask_b32_e64 v2, v2, v0, s[6:7]
	v_cndmask_b32_e64 v2, v2, v1, s[8:9]
	ds_bpermute_b32 v19, v41, v2
	v_cmp_eq_u32_e32 vcc, 7, v35
	s_or_b64 vcc, vcc, s[20:21]
	s_waitcnt lgkmcnt(0)
	v_cndmask_b32_e64 v3, v1, v19, s[8:9]
	v_cndmask_b32_e32 v2, v7, v0, vcc
	v_cmp_ne_u32_e32 vcc, 0, v34
	v_cndmask_b32_e64 v6, v0, v19, s[6:7]
	v_cndmask_b32_e64 v1, v20, v19, s[10:11]
	v_cndmask_b32_e32 v0, v21, v19, vcc
	v_cndmask_b32_e64 v7, v1, v0, s[12:13]
	v_cndmask_b32_e64 v7, v7, v6, s[14:15]
	;; [unrolled: 1-line block ×3, first 2 shown]
	ds_bpermute_b32 v2, v41, v2
	ds_bpermute_b32 v7, v41, v7
	s_max_i32 s6, s64, 0
	v_add_u32_e32 v19, s6, v33
	v_cmp_gt_u32_e32 vcc, 16, v19
	s_and_saveexec_b64 s[12:13], vcc
	s_cbranch_execz .LBB64_26
; %bb.24:                               ;   in Loop: Header=BB64_7 Depth=1
	v_cmp_eq_u32_e64 s[8:9], 1, v35
	v_cmp_eq_u32_e64 s[10:11], 0, v35
	v_cmp_eq_u32_e32 vcc, 3, v35
	s_waitcnt lgkmcnt(1)
	v_cndmask_b32_e64 v16, v16, v2, s[8:9]
	s_waitcnt lgkmcnt(0)
	v_cndmask_b32_e64 v20, v0, v7, s[8:9]
	s_mul_i32 s8, s62, s25
	s_ashr_i32 s9, s8, 31
	s_lshl_b64 s[8:9], s[8:9], 1
	v_cndmask_b32_e64 v17, v17, v2, s[10:11]
	v_cndmask_b32_e64 v21, v1, v7, s[10:11]
	s_add_u32 s10, s40, s8
	s_addc_u32 s11, s41, s9
	s_ashr_i32 s45, s44, 31
	v_cvt_f16_f32_e32 v17, v17
	v_cvt_f16_f32_sdwa v16, v16 dst_sel:WORD_1 dst_unused:UNUSED_PAD src0_sel:DWORD
	s_lshl_b64 s[8:9], s[44:45], 1
	v_cvt_f16_f32_e32 v21, v21
	v_cvt_f16_f32_sdwa v20, v20 dst_sel:WORD_1 dst_unused:UNUSED_PAD src0_sel:DWORD
	s_add_u32 s8, s10, s8
	s_addc_u32 s9, s11, s9
	v_cmp_eq_u32_e64 s[6:7], 2, v35
	v_lshl_add_u64 v[0:1], v[10:11], 1, s[8:9]
	v_or_b32_e32 v16, v16, v17
	v_cmp_gt_u32_e64 s[8:9], 14, v19
	;;#ASMSTART
	global_atomic_pk_add_f16 v[0:1], v16, off
	
	;;#ASMEND
	v_lshl_add_u64 v[16:17], v[0:1], 0, 32
	v_or_b32_e32 v20, v20, v21
	;;#ASMSTART
	global_atomic_pk_add_f16 v[16:17], v20, off
	
	;;#ASMEND
	s_and_b64 exec, exec, s[8:9]
	s_cbranch_execz .LBB64_26
; %bb.25:                               ;   in Loop: Header=BB64_7 Depth=1
	v_cndmask_b32_e32 v4, v4, v2, vcc
	v_cndmask_b32_e64 v2, v5, v2, s[6:7]
	v_cndmask_b32_e32 v3, v3, v7, vcc
	v_cndmask_b32_e64 v5, v6, v7, s[6:7]
	v_cvt_f16_f32_e32 v2, v2
	v_cvt_f16_f32_sdwa v4, v4 dst_sel:WORD_1 dst_unused:UNUSED_PAD src0_sel:DWORD
	v_cvt_f16_f32_e32 v5, v5
	v_cvt_f16_f32_sdwa v3, v3 dst_sel:WORD_1 dst_unused:UNUSED_PAD src0_sel:DWORD
	v_lshl_add_u64 v[0:1], s[22:23], 2, v[0:1]
	v_or_b32_e32 v2, v4, v2
	;;#ASMSTART
	global_atomic_pk_add_f16 v[0:1], v2, off
	
	;;#ASMEND
	v_lshl_add_u64 v[0:1], v[0:1], 0, 32
	v_or_b32_e32 v2, v3, v5
	;;#ASMSTART
	global_atomic_pk_add_f16 v[0:1], v2, off
	
	;;#ASMEND
.LBB64_26:                              ;   in Loop: Header=BB64_7 Depth=1
	s_or_b64 exec, exec, s[12:13]
	v_subrev_u32_e32 v42, s61, v42
.LBB64_27:                              ;   in Loop: Header=BB64_7 Depth=1
	s_or_b64 exec, exec, s[48:49]
.LBB64_28:                              ;   in Loop: Header=BB64_7 Depth=1
	s_andn2_saveexec_b64 s[6:7], s[46:47]
	s_cbranch_execz .LBB64_37
; %bb.29:                               ;   in Loop: Header=BB64_7 Depth=1
	s_lshl_b32 s16, s61, 1
	v_cmp_gt_i32_e32 vcc, s16, v42
	s_and_saveexec_b64 s[8:9], vcc
	s_cbranch_execz .LBB64_36
; %bb.30:                               ;   in Loop: Header=BB64_7 Depth=1
	s_mul_i32 s10, s44, s27
	s_ashr_i32 s11, s10, 31
	s_waitcnt lgkmcnt(0)
	s_add_u32 s10, s38, s10
	s_addc_u32 s11, s39, s11
	s_ashr_i32 s12, s63, 31
	s_add_u32 s10, s10, s63
	s_addc_u32 s11, s11, s12
	v_lshl_add_u64 v[0:1], s[10:11], 0, v[14:15]
	v_lshl_add_u64 v[16:17], v[0:1], 0, v[12:13]
	s_mov_b64 s[10:11], 0
	s_branch .LBB64_32
.LBB64_31:                              ;   in Loop: Header=BB64_32 Depth=2
	s_or_b64 exec, exec, s[12:13]
	v_lshl_or_b32 v20, v18, 11, v37
	;;#ASMSTART
	s_waitcnt vmcnt(1)
	;;#ASMEND
	ds_write2_b32 v20, v4, v5 offset1:32
	ds_write2_b32 v20, v6, v7 offset0:64 offset1:96
	v_add_u32_e32 v4, 0x400, v20
	v_add_u32_e32 v42, s30, v42
	;;#ASMSTART
	s_waitcnt vmcnt(0)
	;;#ASMEND
	ds_write2_b32 v4, v0, v1 offset1:32
	ds_write2_b32 v4, v2, v3 offset0:64 offset1:96
	v_add_u32_e32 v0, 1, v30
	v_add_u32_e32 v18, s30, v18
	v_cmp_le_i32_e32 vcc, s16, v42
	ds_write_b32 v19, v0 offset:24
	v_add_u32_e32 v0, 2, v30
	s_or_b64 s[10:11], vcc, s[10:11]
	v_cmp_lt_i32_e32 vcc, 11, v18
	s_nop 1
	v_cndmask_b32_e32 v30, v30, v0, vcc
	s_andn2_b64 exec, exec, s[10:11]
	s_cbranch_execz .LBB64_35
.LBB64_32:                              ;   Parent Loop BB64_7 Depth=1
                                        ; =>  This Loop Header: Depth=2
                                        ;       Child Loop BB64_34 Depth 3
	v_cmp_gt_i32_e32 vcc, 12, v18
	s_nop 1
	v_cndmask_b32_e64 v0, -12, 0, vcc
	v_add_u32_e32 v18, v0, v18
	v_lshrrev_b32_e32 v0, 31, v42
	v_add_u32_e32 v0, v42, v0
	v_and_b32_e32 v1, -2, v0
	v_lshlrev_b32_e32 v0, 6, v0
	v_sub_u32_e32 v2, v42, v1
	v_and_b32_e32 v0, 0xffffff80, v0
	v_ashrrev_i32_e32 v1, 31, v0
	v_mul_lo_u32 v2, s55, v2
	v_lshl_add_u64 v[0:1], v[16:17], 0, v[0:1]
	v_ashrrev_i32_e32 v3, 31, v2
	v_lshl_add_u64 v[0:1], v[0:1], 0, v[2:3]
	v_lshlrev_b32_e32 v19, 2, v18
	;;#ASMSTART
	global_load_dwordx4 v[4:7], v[0:1], off offset:0   sc0 sc1 nt  
	global_load_dwordx4 v[0:3], v[0:1], off offset:64  sc0 sc1 nt  
	
	;;#ASMEND
	ds_read_b32 v20, v19 offset:36888
	v_add_u32_e32 v19, 0x9000, v19
	s_waitcnt lgkmcnt(0)
	v_cmp_ne_u32_e32 vcc, v20, v30
	s_and_saveexec_b64 s[12:13], vcc
	s_cbranch_execz .LBB64_31
; %bb.33:                               ;   in Loop: Header=BB64_32 Depth=2
	s_mov_b64 s[14:15], 0
.LBB64_34:                              ;   Parent Loop BB64_7 Depth=1
                                        ;     Parent Loop BB64_32 Depth=2
                                        ; =>    This Inner Loop Header: Depth=3
	;;#ASMSTART
	s_sleep 0
	;;#ASMEND
	ds_read_b32 v20, v19 offset:24
	s_waitcnt lgkmcnt(0)
	v_cmp_eq_u32_e32 vcc, v20, v30
	s_or_b64 s[14:15], vcc, s[14:15]
	s_andn2_b64 exec, exec, s[14:15]
	s_cbranch_execnz .LBB64_34
	s_branch .LBB64_31
.LBB64_35:                              ;   in Loop: Header=BB64_7 Depth=1
	s_or_b64 exec, exec, s[10:11]
.LBB64_36:                              ;   in Loop: Header=BB64_7 Depth=1
	s_or_b64 exec, exec, s[8:9]
	v_subrev_u32_e32 v42, s16, v42
.LBB64_37:                              ;   in Loop: Header=BB64_7 Depth=1
	s_or_b64 exec, exec, s[6:7]
.LBB64_38:                              ;   in Loop: Header=BB64_7 Depth=1
	s_andn2_saveexec_b64 s[6:7], s[34:35]
	s_cbranch_execz .LBB64_6
; %bb.39:                               ;   in Loop: Header=BB64_7 Depth=1
	v_cmp_gt_i32_e32 vcc, s61, v42
	s_and_saveexec_b64 s[8:9], vcc
	s_cbranch_execz .LBB64_5
; %bb.40:                               ;   in Loop: Header=BB64_7 Depth=1
	s_mul_i32 s62, s62, s26
	s_ashr_i32 s10, s62, 31
	s_waitcnt lgkmcnt(0)
	s_add_u32 s11, s36, s62
	s_addc_u32 s12, s37, s10
	s_ashr_i32 s13, s63, 31
	v_cmp_le_i32_e32 vcc, s64, v38
	s_add_u32 s10, s11, s63
	s_addc_u32 s11, s12, s13
	v_cndmask_b32_e32 v0, 0, v39, vcc
	v_ashrrev_i32_e32 v1, 31, v0
	v_lshl_add_u64 v[0:1], s[10:11], 0, v[0:1]
	v_lshl_add_u64 v[16:17], v[0:1], 0, v[12:13]
	s_mov_b64 s[10:11], 0
	s_branch .LBB64_42
.LBB64_41:                              ;   in Loop: Header=BB64_42 Depth=2
	s_or_b64 exec, exec, s[12:13]
	v_lshl_add_u32 v20, v18, 11, v40
	;;#ASMSTART
	s_waitcnt vmcnt(1)
	;;#ASMEND
	ds_write2_b32 v20, v4, v5 offset1:32
	ds_write2_b32 v20, v6, v7 offset0:64 offset1:96
	v_add_u32_e32 v4, 0x400, v20
	v_add_u32_e32 v42, s29, v42
	;;#ASMSTART
	s_waitcnt vmcnt(0)
	;;#ASMEND
	ds_write2_b32 v4, v0, v1 offset1:32
	ds_write2_b32 v4, v2, v3 offset0:64 offset1:96
	v_add_u32_e32 v0, 1, v30
	v_add_u32_e32 v18, s29, v18
	v_cmp_le_i32_e32 vcc, s61, v42
	ds_write_b32 v19, v0
	v_add_u32_e32 v0, 2, v30
	s_or_b64 s[10:11], vcc, s[10:11]
	v_cmp_lt_i32_e32 vcc, 5, v18
	s_nop 1
	v_cndmask_b32_e32 v30, v30, v0, vcc
	s_andn2_b64 exec, exec, s[10:11]
	s_cbranch_execz .LBB64_4
.LBB64_42:                              ;   Parent Loop BB64_7 Depth=1
                                        ; =>  This Loop Header: Depth=2
                                        ;       Child Loop BB64_44 Depth 3
	v_cmp_gt_i32_e32 vcc, 6, v18
	s_nop 1
	v_cndmask_b32_e64 v0, -6, 0, vcc
	v_add_u32_e32 v18, v0, v18
	v_lshlrev_b32_e32 v0, 7, v42
	v_ashrrev_i32_e32 v1, 31, v0
	v_lshl_add_u64 v[0:1], v[16:17], 0, v[0:1]
	v_lshlrev_b32_e32 v19, 2, v18
	;;#ASMSTART
	global_load_dwordx4 v[4:7], v[0:1], off offset:0   
	global_load_dwordx4 v[0:3], v[0:1], off offset:64  
	
	;;#ASMEND
	ds_read_b32 v20, v19 offset:36864
	v_add_u32_e32 v19, 0x9000, v19
	s_waitcnt lgkmcnt(0)
	v_cmp_ne_u32_e32 vcc, v20, v30
	s_and_saveexec_b64 s[12:13], vcc
	s_cbranch_execz .LBB64_41
; %bb.43:                               ;   in Loop: Header=BB64_42 Depth=2
	s_mov_b64 s[14:15], 0
.LBB64_44:                              ;   Parent Loop BB64_7 Depth=1
                                        ;     Parent Loop BB64_42 Depth=2
                                        ; =>    This Inner Loop Header: Depth=3
	;;#ASMSTART
	s_sleep 0
	;;#ASMEND
	ds_read_b32 v20, v19
	s_waitcnt lgkmcnt(0)
	v_cmp_eq_u32_e32 vcc, v20, v30
	s_or_b64 s[14:15], vcc, s[14:15]
	s_andn2_b64 exec, exec, s[14:15]
	s_cbranch_execnz .LBB64_44
	s_branch .LBB64_41
.LBB64_45:
	s_endpgm
	.section	.rodata,"a",@progbits
	.p2align	6, 0x0
	.amdhsa_kernel _Z19_skinny_gemm_kernelILi1ELi2ELi6ELi16ELi4EEvPKhS1_P6__halfPKfiiiiiiii
		.amdhsa_group_segment_fixed_size 36936
		.amdhsa_private_segment_fixed_size 0
		.amdhsa_kernarg_size 64
		.amdhsa_user_sgpr_count 2
		.amdhsa_user_sgpr_dispatch_ptr 0
		.amdhsa_user_sgpr_queue_ptr 0
		.amdhsa_user_sgpr_kernarg_segment_ptr 1
		.amdhsa_user_sgpr_dispatch_id 0
		.amdhsa_user_sgpr_kernarg_preload_length 0
		.amdhsa_user_sgpr_kernarg_preload_offset 0
		.amdhsa_user_sgpr_private_segment_size 0
		.amdhsa_uses_dynamic_stack 0
		.amdhsa_enable_private_segment 0
		.amdhsa_system_sgpr_workgroup_id_x 1
		.amdhsa_system_sgpr_workgroup_id_y 0
		.amdhsa_system_sgpr_workgroup_id_z 0
		.amdhsa_system_sgpr_workgroup_info 0
		.amdhsa_system_vgpr_workitem_id 0
		.amdhsa_next_free_vgpr 50
		.amdhsa_next_free_sgpr 65
		.amdhsa_accum_offset 52
		.amdhsa_reserve_vcc 1
		.amdhsa_float_round_mode_32 0
		.amdhsa_float_round_mode_16_64 0
		.amdhsa_float_denorm_mode_32 3
		.amdhsa_float_denorm_mode_16_64 3
		.amdhsa_dx10_clamp 1
		.amdhsa_ieee_mode 1
		.amdhsa_fp16_overflow 0
		.amdhsa_tg_split 0
		.amdhsa_exception_fp_ieee_invalid_op 0
		.amdhsa_exception_fp_denorm_src 0
		.amdhsa_exception_fp_ieee_div_zero 0
		.amdhsa_exception_fp_ieee_overflow 0
		.amdhsa_exception_fp_ieee_underflow 0
		.amdhsa_exception_fp_ieee_inexact 0
		.amdhsa_exception_int_div_zero 0
	.end_amdhsa_kernel
	.section	.text._Z19_skinny_gemm_kernelILi1ELi2ELi6ELi16ELi4EEvPKhS1_P6__halfPKfiiiiiiii,"axG",@progbits,_Z19_skinny_gemm_kernelILi1ELi2ELi6ELi16ELi4EEvPKhS1_P6__halfPKfiiiiiiii,comdat
.Lfunc_end64:
	.size	_Z19_skinny_gemm_kernelILi1ELi2ELi6ELi16ELi4EEvPKhS1_P6__halfPKfiiiiiiii, .Lfunc_end64-_Z19_skinny_gemm_kernelILi1ELi2ELi6ELi16ELi4EEvPKhS1_P6__halfPKfiiiiiiii
                                        ; -- End function
	.set _Z19_skinny_gemm_kernelILi1ELi2ELi6ELi16ELi4EEvPKhS1_P6__halfPKfiiiiiiii.num_vgpr, 50
	.set _Z19_skinny_gemm_kernelILi1ELi2ELi6ELi16ELi4EEvPKhS1_P6__halfPKfiiiiiiii.num_agpr, 0
	.set _Z19_skinny_gemm_kernelILi1ELi2ELi6ELi16ELi4EEvPKhS1_P6__halfPKfiiiiiiii.numbered_sgpr, 65
	.set _Z19_skinny_gemm_kernelILi1ELi2ELi6ELi16ELi4EEvPKhS1_P6__halfPKfiiiiiiii.num_named_barrier, 0
	.set _Z19_skinny_gemm_kernelILi1ELi2ELi6ELi16ELi4EEvPKhS1_P6__halfPKfiiiiiiii.private_seg_size, 0
	.set _Z19_skinny_gemm_kernelILi1ELi2ELi6ELi16ELi4EEvPKhS1_P6__halfPKfiiiiiiii.uses_vcc, 1
	.set _Z19_skinny_gemm_kernelILi1ELi2ELi6ELi16ELi4EEvPKhS1_P6__halfPKfiiiiiiii.uses_flat_scratch, 0
	.set _Z19_skinny_gemm_kernelILi1ELi2ELi6ELi16ELi4EEvPKhS1_P6__halfPKfiiiiiiii.has_dyn_sized_stack, 0
	.set _Z19_skinny_gemm_kernelILi1ELi2ELi6ELi16ELi4EEvPKhS1_P6__halfPKfiiiiiiii.has_recursion, 0
	.set _Z19_skinny_gemm_kernelILi1ELi2ELi6ELi16ELi4EEvPKhS1_P6__halfPKfiiiiiiii.has_indirect_call, 0
	.section	.AMDGPU.csdata,"",@progbits
; Kernel info:
; codeLenInByte = 3172
; TotalNumSgprs: 71
; NumVgprs: 50
; NumAgprs: 0
; TotalNumVgprs: 50
; ScratchSize: 0
; MemoryBound: 0
; FloatMode: 240
; IeeeMode: 1
; LDSByteSize: 36936 bytes/workgroup (compile time only)
; SGPRBlocks: 8
; VGPRBlocks: 6
; NumSGPRsForWavesPerEU: 71
; NumVGPRsForWavesPerEU: 50
; AccumOffset: 52
; Occupancy: 8
; WaveLimiterHint : 0
; COMPUTE_PGM_RSRC2:SCRATCH_EN: 0
; COMPUTE_PGM_RSRC2:USER_SGPR: 2
; COMPUTE_PGM_RSRC2:TRAP_HANDLER: 0
; COMPUTE_PGM_RSRC2:TGID_X_EN: 1
; COMPUTE_PGM_RSRC2:TGID_Y_EN: 0
; COMPUTE_PGM_RSRC2:TGID_Z_EN: 0
; COMPUTE_PGM_RSRC2:TIDIG_COMP_CNT: 0
; COMPUTE_PGM_RSRC3_GFX90A:ACCUM_OFFSET: 12
; COMPUTE_PGM_RSRC3_GFX90A:TG_SPLIT: 0
	.section	.text._Z19_skinny_gemm_kernelILi1ELi2ELi6ELi32ELi4EEvPKhS1_P6__halfPKfiiiiiiii,"axG",@progbits,_Z19_skinny_gemm_kernelILi1ELi2ELi6ELi32ELi4EEvPKhS1_P6__halfPKfiiiiiiii,comdat
	.protected	_Z19_skinny_gemm_kernelILi1ELi2ELi6ELi32ELi4EEvPKhS1_P6__halfPKfiiiiiiii ; -- Begin function _Z19_skinny_gemm_kernelILi1ELi2ELi6ELi32ELi4EEvPKhS1_P6__halfPKfiiiiiiii
	.globl	_Z19_skinny_gemm_kernelILi1ELi2ELi6ELi32ELi4EEvPKhS1_P6__halfPKfiiiiiiii
	.p2align	8
	.type	_Z19_skinny_gemm_kernelILi1ELi2ELi6ELi32ELi4EEvPKhS1_P6__halfPKfiiiiiiii,@function
_Z19_skinny_gemm_kernelILi1ELi2ELi6ELi32ELi4EEvPKhS1_P6__halfPKfiiiiiiii: ; @_Z19_skinny_gemm_kernelILi1ELi2ELi6ELi32ELi4EEvPKhS1_P6__halfPKfiiiiiiii
; %bb.0:
	v_cmp_gt_u32_e32 vcc, 18, v0
	s_and_saveexec_b64 s[4:5], vcc
; %bb.1:
	v_lshlrev_b32_e32 v1, 2, v0
	v_mov_b32_e32 v2, 0
	ds_write_b32 v1, v2 offset:36864
; %bb.2:
	s_or_b64 exec, exec, s[4:5]
	s_load_dwordx8 s[16:23], s[0:1], 0x20
	s_waitcnt lgkmcnt(0)
	s_barrier
	s_add_i32 s3, s16, 31
	s_ashr_i32 s5, s3, 31
	s_add_i32 s4, s17, 63
	s_lshr_b32 s5, s5, 27
	s_ashr_i32 s6, s4, 31
	s_add_i32 s3, s3, s5
	s_ashr_i32 s11, s3, 5
	s_lshr_b32 s3, s6, 26
	s_add_i32 s4, s4, s3
	s_ashr_i32 s12, s4, 6
	s_mul_i32 s3, s12, s11
	s_mul_i32 s3, s3, s20
	s_add_i32 s4, s3, 0x12f
	s_mul_hi_i32 s4, s4, 0x6bca1af3
	s_lshr_b32 s5, s4, 31
	s_ashr_i32 s4, s4, 7
	s_add_i32 s4, s4, s5
	s_add_i32 s5, s2, 1
	s_mul_i32 s5, s4, s5
	v_cvt_f64_i32_e32 v[2:3], s3
	v_cvt_f64_u32_e32 v[4:5], s5
	v_min_f64 v[2:3], v[2:3], v[4:5]
	v_cvt_i32_f64_e32 v62, v[2:3]
	s_mul_i32 s33, s4, s2
	v_cmp_ge_i32_e32 vcc, s33, v62
	s_cbranch_vccnz .LBB65_51
; %bb.3:
	s_load_dwordx8 s[44:51], s[0:1], 0x0
	v_lshrrev_b32_e32 v1, 6, v0
	s_add_i32 s0, s22, s21
	v_cmp_le_i32_e64 s[14:15], s0, v1
	v_mov_b32_e32 v2, s21
	v_cmp_le_i32_e64 s[24:25], s21, v1
	v_mov_b32_e32 v3, s22
	v_cndmask_b32_e64 v3, 0, v3, s[14:15]
	v_cndmask_b32_e64 v2, 0, v2, s[24:25]
	s_abs_i32 s1, s20
	v_add_u32_e32 v2, v2, v3
	v_cvt_f32_u32_e32 v3, s1
	v_sub_u32_e32 v54, v1, v2
	s_ashr_i32 s2, s18, 31
	s_lshr_b32 s2, s2, 26
	v_rcp_iflag_f32_e32 v2, v3
	s_sub_i32 s5, 0, s1
	s_add_i32 s2, s18, s2
	s_ashr_i32 s2, s2, 6
	v_mul_f32_e32 v2, 0x4f7ffffe, v2
	v_cvt_u32_f32_e32 v2, v2
	s_abs_i32 s4, s2
	s_xor_b32 s3, s2, s20
	s_ashr_i32 s3, s3, 31
	v_readfirstlane_b32 s6, v2
	s_mul_i32 s5, s5, s6
	s_mul_hi_u32 s5, s6, s5
	s_add_i32 s6, s6, s5
	s_mul_hi_u32 s5, s4, s6
	s_mul_i32 s6, s5, s1
	s_sub_i32 s4, s4, s6
	s_add_i32 s6, s5, 1
	s_sub_i32 s7, s4, s1
	s_cmp_ge_u32 s4, s1
	s_cselect_b32 s5, s6, s5
	s_cselect_b32 s4, s7, s4
	s_add_i32 s6, s5, 1
	s_cmp_ge_u32 s4, s1
	s_cselect_b32 s1, s6, s5
	s_add_i32 s0, s0, s23
	v_and_b32_e32 v64, 31, v0
	v_lshrrev_b32_e32 v2, 3, v0
	v_cmp_gt_i32_e64 s[28:29], s0, v1
	v_lshlrev_b32_e32 v1, 2, v64
	v_and_b32_e32 v3, 4, v2
	v_and_b32_e32 v5, 1, v0
	v_lshlrev_b32_e32 v2, 6, v3
	v_or_b32_e32 v4, 0x6000, v1
	v_or_b32_e32 v3, v3, v5
	;; [unrolled: 1-line block ×4, first 2 shown]
	v_lshlrev_b32_e32 v2, 1, v5
	v_or_b32_e32 v5, 2, v3
	v_sub_u32_e32 v77, 32, v5
	v_or_b32_e32 v5, 8, v3
	v_sub_u32_e32 v78, 32, v5
	v_or_b32_e32 v5, 10, v3
	v_sub_u32_e32 v79, 32, v5
	v_or_b32_e32 v5, 16, v3
	v_sub_u32_e32 v80, 32, v5
	v_or_b32_e32 v5, 18, v3
	s_add_i32 s26, s20, -1
	v_sub_u32_e32 v81, 32, v5
	v_or_b32_e32 v5, 24, v3
	s_abs_i32 s20, s11
	v_sub_u32_e32 v76, 32, v3
	v_mul_lo_u32 v34, s17, v3
	v_sub_u32_e32 v82, 32, v5
	v_or_b32_e32 v3, 26, v3
	v_cvt_f32_u32_e32 v5, s20
	v_sub_u32_e32 v83, 32, v3
	v_lshrrev_b32_e32 v3, 1, v0
                                        ; implicit-def: $vgpr100 : SGPR spill to VGPR lane
	v_and_b32_e32 v50, 16, v3
	v_lshlrev_b32_e32 v3, 4, v0
	v_writelane_b32 v100, s11, 0
	v_and_b32_e32 v3, 0x200, v3
	v_writelane_b32 v100, s12, 1
	v_or_b32_e32 v84, v1, v3
	v_rcp_iflag_f32_e32 v1, v5
	s_waitcnt lgkmcnt(0)
	v_writelane_b32 v100, s44, 2
	v_sub_u32_e32 v2, v0, v2
	v_add_u32_e32 v2, 1, v2
	v_writelane_b32 v100, s45, 3
	v_writelane_b32 v100, s46, 4
	s_abs_i32 s98, s12
	v_writelane_b32 v100, s47, 5
	s_xor_b32 s1, s1, s3
	v_and_b32_e32 v6, 63, v2
	v_bitop3_b32 v67, v0, 1, v0 bitop3:0xc
	v_bitop3_b32 v68, v0, 3, 1 bitop3:0x6c
	;; [unrolled: 1-line block ×8, first 2 shown]
	v_and_b32_e32 v2, 30, v0
	v_bitop3_b32 v85, v0, 31, v0 bitop3:0xc
	v_mul_f32_e32 v0, 0x4f7ffffe, v1
	v_cvt_f32_u32_e32 v1, s98
	v_writelane_b32 v100, s48, 6
	s_sub_i32 s13, s1, s3
	v_writelane_b32 v100, s49, 7
	s_mul_i32 s1, s13, s26
	s_lshl_b32 s0, s17, 1
	v_writelane_b32 v100, s50, 8
	s_sub_i32 s27, s2, s1
	v_add_u32_e32 v36, s0, v34
	s_mul_i32 s1, s17, 6
	v_writelane_b32 v100, s51, 9
	v_cndmask_b32_e64 v63, 0, 1, s[14:15]
	v_add_u32_e32 v38, s1, v36
	v_cvt_u32_f32_e32 v0, v0
	v_rcp_iflag_f32_e32 v1, v1
	v_writelane_b32 v100, s14, 10
	v_add_u32_e32 v40, s0, v38
	v_add_u32_e32 v42, s1, v40
	v_writelane_b32 v100, s15, 11
	v_writelane_b32 v100, s24, 12
	v_add_u32_e32 v44, s0, v42
	v_add_u32_e32 v46, s1, v44
	v_writelane_b32 v100, s25, 13
	v_readfirstlane_b32 s1, v0
	v_mul_f32_e32 v0, 0x4f7ffffe, v1
	v_writelane_b32 v100, s13, 14
	v_cvt_u32_f32_e32 v0, v0
	v_writelane_b32 v100, s26, 15
	v_add_u32_e32 v48, s0, v46
	s_sub_i32 s0, 0, s20
	v_writelane_b32 v100, s27, 16
	s_mul_i32 s0, s0, s1
	v_writelane_b32 v100, s28, 17
	s_lshl_b32 s30, s19, 5
	s_mul_hi_u32 s0, s1, s0
	v_writelane_b32 v100, s29, 18
	s_ashr_i32 s31, s11, 31
	s_add_i32 s34, s1, s0
	s_sub_i32 s0, 0, s98
	v_readfirstlane_b32 s1, v0
	v_mbcnt_lo_u32_b32 v0, -1, 0
	v_writelane_b32 v100, s30, 19
	s_mul_i32 s0, s0, s1
	v_mbcnt_hi_u32_b32 v0, -1, v0
	v_writelane_b32 v100, s31, 20
	v_mov_b32_e32 v33, 0
	v_mul_lo_u32 v52, s19, v64
	s_ashr_i32 s35, s12, 31
	s_mul_hi_u32 s0, s1, s0
	v_and_or_b32 v0, v0, 64, v6
	v_writelane_b32 v100, s34, 21
	v_or_b32_e32 v75, 32, v64
	v_ashrrev_i32_e32 v35, 31, v34
	v_ashrrev_i32_e32 v37, 31, v36
	;; [unrolled: 1-line block ×9, first 2 shown]
	v_mov_b32_e32 v51, v33
	v_mul_lo_u32 v86, s18, v64
	v_or_b32_e32 v87, v4, v3
	s_add_i32 s36, s1, s0
	v_lshlrev_b32_e32 v32, 1, v2
	v_lshlrev_b32_e32 v88, 2, v0
	v_mov_b32_e32 v89, v54
	v_writelane_b32 v100, s35, 22
	v_writelane_b32 v100, s36, 23
	s_branch .LBB65_7
.LBB65_4:                               ;   in Loop: Header=BB65_7 Depth=1
	s_or_b64 exec, exec, s[4:5]
.LBB65_5:                               ;   in Loop: Header=BB65_7 Depth=1
	s_or_b64 exec, exec, s[2:3]
	v_subrev_u32_e32 v89, s99, v89
.LBB65_6:                               ;   in Loop: Header=BB65_7 Depth=1
	s_or_b64 exec, exec, s[0:1]
	s_add_i32 s33, s33, 1
	v_cmp_ge_i32_e32 vcc, s33, v62
	s_cbranch_vccnz .LBB65_51
.LBB65_7:                               ; =>This Loop Header: Depth=1
                                        ;     Child Loop BB65_13 Depth 2
                                        ;       Child Loop BB65_15 Depth 3
                                        ;       Child Loop BB65_18 Depth 3
	;; [unrolled: 1-line block ×3, first 2 shown]
                                        ;     Child Loop BB65_38 Depth 2
                                        ;       Child Loop BB65_40 Depth 3
                                        ;     Child Loop BB65_48 Depth 2
                                        ;       Child Loop BB65_50 Depth 3
	s_abs_i32 s1, s33
	s_mul_hi_u32 s2, s1, s34
	s_mul_i32 s3, s2, s20
	s_ashr_i32 s0, s33, 31
	s_sub_i32 s1, s1, s3
	s_xor_b32 s0, s0, s31
	s_add_i32 s3, s2, 1
	s_sub_i32 s4, s1, s20
	s_cmp_ge_u32 s1, s20
	s_cselect_b32 s2, s3, s2
	s_cselect_b32 s1, s4, s1
	s_add_i32 s3, s2, 1
	s_cmp_ge_u32 s1, s20
	s_cselect_b32 s1, s3, s2
	s_xor_b32 s1, s1, s0
	s_sub_i32 s0, s1, s0
	s_abs_i32 s2, s0
	s_mul_i32 s1, s0, s11
	s_mul_hi_u32 s3, s2, s36
	s_sub_i32 s1, s33, s1
	s_mul_i32 s4, s3, s98
	s_lshl_b32 s52, s1, 5
	s_ashr_i32 s1, s0, 31
	s_sub_i32 s2, s2, s4
	s_xor_b32 s1, s1, s35
	s_add_i32 s4, s3, 1
	s_sub_i32 s5, s2, s98
	s_cmp_ge_u32 s2, s98
	s_cselect_b32 s3, s4, s3
	s_cselect_b32 s2, s5, s2
	s_add_i32 s4, s3, 1
	s_cmp_ge_u32 s2, s98
	s_cselect_b32 s2, s4, s3
	s_xor_b32 s2, s2, s1
	s_sub_i32 s1, s2, s1
	s_mul_i32 s2, s1, s13
	s_lshl_b32 s37, s2, 6
	s_cmp_eq_u32 s1, s26
	s_cselect_b32 s99, s27, s13
	s_sub_i32 s2, s52, s16
	s_add_i32 s53, s2, 32
	s_and_saveexec_b64 s[2:3], s[24:25]
	s_xor_b64 s[38:39], exec, s[2:3]
	s_cbranch_execz .LBB65_44
; %bb.8:                                ;   in Loop: Header=BB65_7 Depth=1
	s_mul_i32 s1, s1, s12
	s_sub_i32 s0, s0, s1
	s_lshl_b32 s0, s0, 6
	s_sub_i32 s90, s0, s17
	s_add_i32 s90, s90, 64
	s_max_i32 s1, s90, 0
	s_sub_i32 s54, s0, s1
	s_and_saveexec_b64 s[0:1], s[14:15]
	s_xor_b64 s[4:5], exec, s[0:1]
	s_cbranch_execz .LBB65_34
; %bb.9:                                ;   in Loop: Header=BB65_7 Depth=1
	s_and_saveexec_b64 s[2:3], s[28:29]
	s_cbranch_execz .LBB65_33
; %bb.10:                               ;   in Loop: Header=BB65_7 Depth=1
	global_load_dword v90, v33, s[50:51]
	v_writelane_b32 v100, s2, 24
	v_mov_b32_e32 v31, 0
	v_cmp_gt_i32_e32 vcc, s99, v89
	v_writelane_b32 v100, s3, 25
	v_writelane_b32 v100, s4, 26
	v_mov_b32_e32 v30, v31
	v_mov_b32_e32 v29, v31
	;; [unrolled: 1-line block ×12, first 2 shown]
	s_waitcnt lgkmcnt(1)
	v_mov_b32_e32 v18, v31
	v_mov_b32_e32 v17, v31
	;; [unrolled: 1-line block ×19, first 2 shown]
	v_writelane_b32 v100, s5, 27
	s_and_saveexec_b64 s[0:1], vcc
	s_cbranch_execz .LBB65_23
; %bb.11:                               ;   in Loop: Header=BB65_7 Depth=1
	v_mov_b32_e32 v0, 0
	s_mov_b64 s[2:3], 0
	v_mov_b32_e32 v1, v0
	v_mov_b32_e32 v2, v0
	;; [unrolled: 1-line block ×31, first 2 shown]
	s_branch .LBB65_13
.LBB65_12:                              ;   in Loop: Header=BB65_13 Depth=2
	s_or_b64 exec, exec, s[4:5]
	v_add_u32_e32 v96, v66, v94
	v_add_u32_e32 v97, 0x800, v96
	ds_read2_b32 v[94:95], v97 offset1:32
	v_add_u32_e32 v89, s23, v89
	v_cmp_le_i32_e32 vcc, s99, v89
	s_or_b64 s[2:3], vcc, s[2:3]
	ds_write_b32 v92, v93 offset:36876
	s_waitcnt lgkmcnt(1)
	v_mfma_f32_32x32x16_fp8_fp8 v[0:15], v[58:59], v[94:95], v[0:15]
	ds_read2_b32 v[58:59], v97 offset0:128 offset1:160
	s_waitcnt lgkmcnt(0)
	v_mfma_f32_32x32x16_fp8_fp8 v[0:15], v[56:57], v[58:59], v[0:15]
	v_add_u32_e32 v58, 0xc00, v96
	ds_read2_b32 v[56:57], v58 offset1:32
	s_waitcnt lgkmcnt(0)
	v_mfma_f32_32x32x16_fp8_fp8 v[0:15], v[54:55], v[56:57], v[0:15]
	ds_read2_b32 v[54:55], v58 offset0:128 offset1:160
	s_waitcnt lgkmcnt(0)
	v_mfma_f32_32x32x16_fp8_fp8 v[0:15], v[60:61], v[54:55], v[0:15]
	v_add_u32_e32 v54, s23, v91
	v_add_u32_e32 v55, 2, v63
	v_cmp_lt_i32_e32 vcc, 5, v54
	s_nop 1
	v_cndmask_b32_e32 v63, v63, v55, vcc
	s_andn2_b64 exec, exec, s[2:3]
	s_cbranch_execz .LBB65_22
.LBB65_13:                              ;   Parent Loop BB65_7 Depth=1
                                        ; =>  This Loop Header: Depth=2
                                        ;       Child Loop BB65_15 Depth 3
                                        ;       Child Loop BB65_18 Depth 3
	;; [unrolled: 1-line block ×3, first 2 shown]
	v_cmp_gt_i32_e32 vcc, 6, v54
	s_nop 1
	v_cndmask_b32_e64 v55, -6, 0, vcc
	v_add_u32_e32 v91, v55, v54
	v_lshlrev_b32_e32 v92, 4, v91
	ds_read_b32 v54, v92 offset:36864
	s_waitcnt lgkmcnt(0)
	v_cmp_ne_u32_e32 vcc, v54, v63
	s_and_saveexec_b64 s[4:5], vcc
	s_cbranch_execz .LBB65_16
; %bb.14:                               ;   in Loop: Header=BB65_13 Depth=2
	s_mov_b64 s[6:7], 0
.LBB65_15:                              ;   Parent Loop BB65_7 Depth=1
                                        ;     Parent Loop BB65_13 Depth=2
                                        ; =>    This Inner Loop Header: Depth=3
	;;#ASMSTART
	s_sleep 0
	;;#ASMEND
	ds_read_b32 v54, v92 offset:36864
	s_waitcnt lgkmcnt(0)
	v_cmp_eq_u32_e32 vcc, v54, v63
	s_or_b64 s[6:7], vcc, s[6:7]
	s_andn2_b64 exec, exec, s[6:7]
	s_cbranch_execnz .LBB65_15
.LBB65_16:                              ;   in Loop: Header=BB65_13 Depth=2
	s_or_b64 exec, exec, s[4:5]
	v_lshl_add_u32 v54, v91, 11, v65
	v_add_u32_e32 v60, 0x400, v54
	ds_read2_b32 v[58:59], v54 offset1:32
	ds_read2_b32 v[56:57], v54 offset0:128 offset1:160
	ds_read2_b32 v[54:55], v60 offset1:32
	ds_read_b32 v94, v92 offset:36868
	ds_read2_b32 v[60:61], v60 offset0:128 offset1:160
	v_add_u32_e32 v93, 1, v63
	ds_write_b32 v92, v93 offset:36864
	s_waitcnt lgkmcnt(2)
	v_cmp_ne_u32_e32 vcc, v94, v63
	s_and_saveexec_b64 s[4:5], vcc
	s_cbranch_execz .LBB65_19
; %bb.17:                               ;   in Loop: Header=BB65_13 Depth=2
	s_mov_b64 s[6:7], 0
.LBB65_18:                              ;   Parent Loop BB65_7 Depth=1
                                        ;     Parent Loop BB65_13 Depth=2
                                        ; =>    This Inner Loop Header: Depth=3
	;;#ASMSTART
	s_sleep 0
	;;#ASMEND
	ds_read_b32 v94, v92 offset:36868
	s_waitcnt lgkmcnt(0)
	v_cmp_eq_u32_e32 vcc, v94, v63
	s_or_b64 s[6:7], vcc, s[6:7]
	s_andn2_b64 exec, exec, s[6:7]
	s_cbranch_execnz .LBB65_18
.LBB65_19:                              ;   in Loop: Header=BB65_13 Depth=2
	s_or_b64 exec, exec, s[4:5]
	v_lshlrev_b32_e32 v94, 12, v91
	v_or_b32_e32 v95, v66, v94
	ds_read2_b32 v[96:97], v95 offset1:32
	ds_write_b32 v92, v93 offset:36868
	s_waitcnt lgkmcnt(1)
	v_mfma_f32_32x32x16_fp8_fp8 v[16:31], v[58:59], v[96:97], v[16:31]
	ds_read2_b32 v[96:97], v95 offset0:128 offset1:160
	v_add_u32_e32 v95, 0x400, v95
	s_waitcnt lgkmcnt(0)
	v_mfma_f32_32x32x16_fp8_fp8 v[16:31], v[56:57], v[96:97], v[16:31]
	ds_read2_b32 v[96:97], v95 offset1:32
	s_waitcnt lgkmcnt(0)
	v_mfma_f32_32x32x16_fp8_fp8 v[16:31], v[54:55], v[96:97], v[16:31]
	ds_read2_b32 v[96:97], v95 offset0:128 offset1:160
	ds_read_b32 v95, v92 offset:36876
	s_waitcnt lgkmcnt(0)
	v_cmp_ne_u32_e32 vcc, v95, v63
	v_mfma_f32_32x32x16_fp8_fp8 v[16:31], v[60:61], v[96:97], v[16:31]
	s_and_saveexec_b64 s[4:5], vcc
	s_cbranch_execz .LBB65_12
; %bb.20:                               ;   in Loop: Header=BB65_13 Depth=2
	s_mov_b64 s[6:7], 0
.LBB65_21:                              ;   Parent Loop BB65_7 Depth=1
                                        ;     Parent Loop BB65_13 Depth=2
                                        ; =>    This Inner Loop Header: Depth=3
	;;#ASMSTART
	s_sleep 0
	;;#ASMEND
	ds_read_b32 v95, v92 offset:36876
	s_waitcnt lgkmcnt(0)
	v_cmp_eq_u32_e32 vcc, v95, v63
	s_or_b64 s[6:7], vcc, s[6:7]
	s_andn2_b64 exec, exec, s[6:7]
	s_cbranch_execnz .LBB65_21
	s_branch .LBB65_12
.LBB65_22:                              ;   in Loop: Header=BB65_7 Depth=1
	s_or_b64 exec, exec, s[2:3]
.LBB65_23:                              ;   in Loop: Header=BB65_7 Depth=1
	v_writelane_b32 v100, s54, 28
	s_nop 1
	v_writelane_b32 v100, s55, 29
	v_writelane_b32 v100, s38, 30
	s_nop 1
	v_writelane_b32 v100, s39, 31
	v_writelane_b32 v100, s53, 32
	;; [unrolled: 1-line block ×4, first 2 shown]
	s_or_b64 exec, exec, s[0:1]
	v_cmp_le_i32_e32 vcc, s90, v64
	v_cmp_eq_u32_e64 s[86:87], 1, v67
	v_cmp_eq_u32_e64 s[50:51], 2, v67
	s_waitcnt vmcnt(0)
	v_cndmask_b32_e32 v56, 0, v90, vcc
	v_pk_mul_f32 v[16:17], v[56:57], v[16:17] op_sel_hi:[0,1]
	v_pk_mul_f32 v[18:19], v[56:57], v[18:19] op_sel_hi:[0,1]
	v_cndmask_b32_e64 v55, v16, v17, s[86:87]
	v_cndmask_b32_e64 v55, v55, v18, s[50:51]
	v_cmp_eq_u32_e64 s[52:53], 3, v67
	v_pk_mul_f32 v[20:21], v[56:57], v[20:21] op_sel_hi:[0,1]
	v_cmp_eq_u32_e64 s[56:57], 4, v67
	v_cndmask_b32_e64 v55, v55, v19, s[52:53]
	v_cmp_eq_u32_e64 s[60:61], 5, v67
	v_cndmask_b32_e64 v55, v55, v20, s[56:57]
	v_pk_mul_f32 v[22:23], v[56:57], v[22:23] op_sel_hi:[0,1]
	v_cndmask_b32_e64 v55, v55, v21, s[60:61]
	v_cmp_eq_u32_e64 s[64:65], 6, v67
	v_cmp_eq_u32_e64 s[68:69], 7, v67
	v_pk_mul_f32 v[24:25], v[56:57], v[24:25] op_sel_hi:[0,1]
	v_cndmask_b32_e64 v55, v55, v22, s[64:65]
	v_cndmask_b32_e64 v55, v55, v23, s[68:69]
	v_cmp_eq_u32_e64 s[72:73], 8, v67
	v_cmp_eq_u32_e64 s[74:75], 9, v67
	v_pk_mul_f32 v[26:27], v[56:57], v[26:27] op_sel_hi:[0,1]
	v_cndmask_b32_e64 v55, v55, v24, s[72:73]
	;; [unrolled: 5-line block ×4, first 2 shown]
	v_cndmask_b32_e64 v55, v55, v29, s[82:83]
	v_cmp_eq_u32_e64 s[84:85], 14, v67
	v_cmp_eq_u32_e64 s[88:89], 15, v67
	;; [unrolled: 1-line block ×3, first 2 shown]
	v_cndmask_b32_e64 v55, v55, v30, s[84:85]
	v_cndmask_b32_e64 v55, v55, v31, s[88:89]
	ds_bpermute_b32 v55, v88, v55
	v_cmp_eq_u32_e64 s[24:25], 1, v68
	v_cmp_eq_u32_e64 s[26:27], 2, v68
	;; [unrolled: 1-line block ×4, first 2 shown]
	s_waitcnt lgkmcnt(0)
	v_cndmask_b32_e64 v17, v17, v55, s[86:87]
	v_cndmask_b32_e64 v16, v16, v55, s[70:71]
	;; [unrolled: 1-line block ×10, first 2 shown]
	v_cmp_eq_u32_e64 s[34:35], 5, v68
	v_cndmask_b32_e64 v58, v22, v55, s[64:65]
	v_cmp_eq_u32_e64 s[36:37], 6, v68
	v_cndmask_b32_e64 v18, v18, v59, s[34:35]
	v_cndmask_b32_e64 v57, v23, v55, s[68:69]
	v_cndmask_b32_e64 v18, v18, v58, s[36:37]
	v_cmp_eq_u32_e64 s[38:39], 7, v68
	v_cndmask_b32_e64 v56, v24, v55, s[72:73]
	v_cmp_eq_u32_e64 s[42:43], 8, v68
	v_cndmask_b32_e64 v18, v18, v57, s[38:39]
	v_cndmask_b32_e64 v25, v25, v55, s[74:75]
	v_cndmask_b32_e64 v18, v18, v56, s[42:43]
	;; [unrolled: 6-line block ×5, first 2 shown]
	v_cmp_eq_u32_e64 s[66:67], 15, v68
	v_cmp_le_i32_e64 s[90:91], s90, v75
	v_cmp_eq_u32_e64 s[40:41], 0, v68
	v_cndmask_b32_e64 v18, v18, v31, s[66:67]
	ds_bpermute_b32 v55, v88, v18
	v_cmp_eq_u32_e64 s[2:3], 1, v69
	v_cmp_eq_u32_e64 s[6:7], 2, v69
	;; [unrolled: 1-line block ×4, first 2 shown]
	s_waitcnt lgkmcnt(0)
	v_cndmask_b32_e64 v24, v25, v55, s[44:45]
	v_cndmask_b32_e64 v25, v56, v55, s[42:43]
	;; [unrolled: 1-line block ×3, first 2 shown]
	v_pk_mul_f32 v[0:1], v[56:57], v[0:1] op_sel_hi:[0,1]
	v_pk_mul_f32 v[14:15], v[56:57], v[14:15] op_sel_hi:[0,1]
	;; [unrolled: 1-line block ×8, first 2 shown]
	v_cndmask_b32_e64 v56, v0, v1, s[86:87]
	v_cndmask_b32_e64 v56, v56, v2, s[50:51]
	;; [unrolled: 1-line block ×32, first 2 shown]
	v_cmp_eq_u32_e64 s[12:13], 5, v69
	v_cndmask_b32_e64 v56, v56, v15, s[88:89]
	v_cmp_eq_u32_e64 s[14:15], 6, v69
	v_cndmask_b32_e64 v55, v55, v28, s[12:13]
	ds_bpermute_b32 v56, v88, v56
	v_cndmask_b32_e64 v55, v55, v27, s[14:15]
	v_cmp_eq_u32_e64 s[96:97], 7, v69
	v_cmp_eq_u32_e64 s[4:5], 8, v69
	v_cmp_eq_u32_e32 vcc, 9, v69
	v_cndmask_b32_e64 v55, v55, v26, s[96:97]
	v_cndmask_b32_e64 v55, v55, v25, s[4:5]
	v_cndmask_b32_e32 v55, v55, v24, vcc
	v_cmp_eq_u32_e64 s[0:1], 10, v69
	v_cmp_eq_u32_e64 s[86:87], 11, v69
	s_waitcnt lgkmcnt(0)
	v_cndmask_b32_e64 v2, v2, v56, s[50:51]
	v_cndmask_b32_e64 v55, v55, v23, s[0:1]
	v_cmp_ne_u32_e64 s[50:51], 0, v67
	v_cndmask_b32_e64 v55, v55, v22, s[86:87]
	v_cmp_eq_u32_e64 s[90:91], 12, v69
	v_cndmask_b32_e64 v1, v1, v56, s[50:51]
	v_cndmask_b32_e64 v0, v0, v56, s[70:71]
	;; [unrolled: 1-line block ×4, first 2 shown]
	v_cmp_eq_u32_e64 s[88:89], 13, v69
	v_cndmask_b32_e64 v14, v14, v56, s[84:85]
	v_cndmask_b32_e64 v13, v13, v56, s[82:83]
	;; [unrolled: 1-line block ×14, first 2 shown]
	v_cmp_eq_u32_e64 s[84:85], 14, v69
	v_cndmask_b32_e64 v56, v56, v2, s[26:27]
	v_cmp_eq_u32_e64 s[82:83], 15, v69
	v_cndmask_b32_e64 v55, v55, v19, s[84:85]
	v_cndmask_b32_e64 v56, v56, v3, s[28:29]
	v_cndmask_b32_e64 v55, v55, v18, s[82:83]
	v_cndmask_b32_e64 v56, v56, v4, s[30:31]
	ds_bpermute_b32 v55, v88, v55
	v_cndmask_b32_e64 v56, v56, v5, s[34:35]
	v_cndmask_b32_e64 v56, v56, v6, s[36:37]
	;; [unrolled: 1-line block ×4, first 2 shown]
	v_cmp_eq_u32_e64 s[80:81], 0, v69
	v_cndmask_b32_e64 v56, v56, v9, s[44:45]
	s_waitcnt lgkmcnt(0)
	v_cndmask_b32_e64 v17, v17, v55, s[2:3]
	v_cndmask_b32_e64 v16, v16, v55, s[80:81]
	v_cmp_eq_u32_e64 s[78:79], 1, v70
	v_cndmask_b32_e64 v56, v56, v10, s[46:47]
	v_cndmask_b32_e64 v18, v18, v55, s[82:83]
	;; [unrolled: 1-line block ×7, first 2 shown]
	v_cndmask_b32_e32 v24, v24, v55, vcc
	v_cndmask_b32_e64 v25, v25, v55, s[4:5]
	v_cndmask_b32_e64 v26, v26, v55, s[96:97]
	;; [unrolled: 1-line block ×8, first 2 shown]
	v_cmp_eq_u32_e64 s[76:77], 2, v70
	v_cndmask_b32_e64 v56, v56, v11, s[48:49]
	v_cmp_eq_u32_e64 s[74:75], 3, v70
	v_cndmask_b32_e64 v55, v55, v31, s[76:77]
	v_cndmask_b32_e64 v56, v56, v12, s[54:55]
	;; [unrolled: 1-line block ×3, first 2 shown]
	v_cmp_eq_u32_e64 s[72:73], 4, v70
	v_cndmask_b32_e64 v56, v56, v13, s[58:59]
	v_cmp_eq_u32_e64 s[68:69], 5, v70
	v_cndmask_b32_e64 v55, v55, v29, s[72:73]
	v_cndmask_b32_e64 v56, v56, v14, s[62:63]
	;; [unrolled: 1-line block ×3, first 2 shown]
	v_cmp_eq_u32_e64 s[64:65], 6, v70
	v_cndmask_b32_e64 v56, v56, v15, s[66:67]
	v_cmp_eq_u32_e64 s[60:61], 7, v70
	v_cndmask_b32_e64 v55, v55, v27, s[64:65]
	ds_bpermute_b32 v56, v88, v56
	v_cndmask_b32_e64 v55, v55, v26, s[60:61]
	v_cmp_eq_u32_e64 s[56:57], 8, v70
	v_cmp_eq_u32_e64 s[52:53], 9, v70
	;; [unrolled: 1-line block ×3, first 2 shown]
	v_cndmask_b32_e64 v55, v55, v25, s[56:57]
	v_cndmask_b32_e64 v55, v55, v24, s[52:53]
	;; [unrolled: 1-line block ×3, first 2 shown]
	v_cmp_eq_u32_e64 s[70:71], 11, v70
	s_waitcnt lgkmcnt(0)
	v_cndmask_b32_e64 v15, v15, v56, s[66:67]
	v_cmp_eq_u32_e64 s[66:67], 12, v70
	v_cndmask_b32_e64 v55, v55, v22, s[70:71]
	v_cndmask_b32_e64 v14, v14, v56, s[62:63]
	;; [unrolled: 1-line block ×3, first 2 shown]
	v_cmp_eq_u32_e64 s[62:63], 13, v70
	v_cndmask_b32_e64 v1, v1, v56, s[24:25]
	v_cndmask_b32_e64 v0, v0, v56, s[40:41]
	;; [unrolled: 1-line block ×4, first 2 shown]
	v_cmp_eq_u32_e64 s[92:93], 14, v70
	v_cndmask_b32_e64 v12, v12, v56, s[54:55]
	v_cndmask_b32_e64 v11, v11, v56, s[48:49]
	;; [unrolled: 1-line block ×13, first 2 shown]
	v_cmp_eq_u32_e64 s[94:95], 15, v70
	v_cndmask_b32_e64 v56, v56, v2, s[6:7]
	v_cndmask_b32_e64 v56, v56, v3, s[8:9]
	;; [unrolled: 1-line block ×3, first 2 shown]
	ds_bpermute_b32 v55, v88, v55
	v_cndmask_b32_e64 v56, v56, v4, s[10:11]
	v_cndmask_b32_e64 v56, v56, v5, s[12:13]
	;; [unrolled: 1-line block ×4, first 2 shown]
	v_cmp_eq_u32_e64 s[48:49], 0, v70
	v_cndmask_b32_e64 v56, v56, v8, s[4:5]
	s_waitcnt lgkmcnt(0)
	v_cndmask_b32_e64 v17, v17, v55, s[78:79]
	v_cndmask_b32_e64 v16, v16, v55, s[48:49]
	v_cmp_eq_u32_e64 s[46:47], 1, v71
	v_cndmask_b32_e32 v56, v56, v9, vcc
	v_cndmask_b32_e64 v18, v18, v55, s[94:95]
	v_cndmask_b32_e64 v19, v19, v55, s[92:93]
	;; [unrolled: 1-line block ×15, first 2 shown]
	v_cmp_eq_u32_e64 s[44:45], 2, v71
	v_cndmask_b32_e64 v56, v56, v10, s[0:1]
	v_cmp_eq_u32_e64 s[42:43], 3, v71
	v_cndmask_b32_e64 v55, v55, v31, s[44:45]
	v_cndmask_b32_e64 v56, v56, v11, s[86:87]
	v_cndmask_b32_e64 v55, v55, v30, s[42:43]
	v_cmp_eq_u32_e64 s[38:39], 4, v71
	v_cndmask_b32_e64 v56, v56, v12, s[90:91]
	v_cmp_eq_u32_e64 s[36:37], 5, v71
	v_cndmask_b32_e64 v55, v55, v29, s[38:39]
	v_cndmask_b32_e64 v56, v56, v13, s[88:89]
	v_cndmask_b32_e64 v55, v55, v28, s[36:37]
	;; [unrolled: 6-line block ×3, first 2 shown]
	v_cmp_eq_u32_e64 s[28:29], 8, v71
	ds_bpermute_b32 v56, v88, v56
	v_cmp_eq_u32_e64 s[26:27], 9, v71
	v_cndmask_b32_e64 v55, v55, v25, s[28:29]
	v_cmp_eq_u32_e64 s[24:25], 10, v71
	v_cndmask_b32_e64 v55, v55, v24, s[26:27]
	v_cmp_eq_u32_e64 s[40:41], 11, v71
	v_cndmask_b32_e64 v55, v55, v23, s[24:25]
	v_cmp_eq_u32_e64 s[58:59], 12, v71
	v_cndmask_b32_e64 v55, v55, v22, s[40:41]
	s_waitcnt lgkmcnt(0)
	v_cndmask_b32_e64 v15, v15, v56, s[82:83]
	v_cndmask_b32_e64 v55, v55, v21, s[58:59]
	v_cmp_eq_u32_e64 s[82:83], 13, v71
	v_cndmask_b32_e64 v14, v14, v56, s[84:85]
	v_cmp_eq_u32_e64 s[84:85], 14, v71
	v_cndmask_b32_e64 v55, v55, v20, s[82:83]
	v_cndmask_b32_e64 v1, v1, v56, s[2:3]
	;; [unrolled: 1-line block ×6, first 2 shown]
	v_cmp_eq_u32_e64 s[90:91], 15, v71
	v_cndmask_b32_e64 v11, v11, v56, s[86:87]
	v_cndmask_b32_e64 v10, v10, v56, s[0:1]
	v_cndmask_b32_e32 v9, v9, v56, vcc
	v_cndmask_b32_e64 v8, v8, v56, s[4:5]
	v_cndmask_b32_e64 v7, v7, v56, s[96:97]
	;; [unrolled: 1-line block ×10, first 2 shown]
	ds_bpermute_b32 v55, v88, v55
	v_cndmask_b32_e64 v56, v56, v3, s[74:75]
	v_cndmask_b32_e64 v56, v56, v4, s[72:73]
	v_cndmask_b32_e64 v56, v56, v5, s[68:69]
	v_cmp_eq_u32_e64 s[54:55], 0, v71
	v_cndmask_b32_e64 v56, v56, v6, s[64:65]
	v_cndmask_b32_e64 v56, v56, v7, s[60:61]
	v_writelane_b32 v100, s54, 35
	s_waitcnt lgkmcnt(0)
	v_cndmask_b32_e64 v17, v17, v55, s[46:47]
	v_cndmask_b32_e64 v56, v56, v8, s[56:57]
	v_writelane_b32 v100, s55, 36
	v_cndmask_b32_e64 v16, v16, v55, s[54:55]
	v_cmp_eq_u32_e64 s[54:55], 1, v72
	v_cndmask_b32_e64 v18, v18, v55, s[90:91]
	v_cndmask_b32_e64 v19, v19, v55, s[84:85]
	;; [unrolled: 1-line block ×15, first 2 shown]
	v_cmp_eq_u32_e64 s[0:1], 2, v72
	v_cndmask_b32_e64 v56, v56, v9, s[52:53]
	v_cmp_eq_u32_e64 s[4:5], 3, v72
	v_cndmask_b32_e64 v55, v55, v31, s[0:1]
	v_cndmask_b32_e64 v56, v56, v10, s[50:51]
	v_cndmask_b32_e64 v55, v55, v30, s[4:5]
	v_cmp_eq_u32_e64 s[96:97], 4, v72
	v_cndmask_b32_e64 v56, v56, v11, s[70:71]
	v_cmp_eq_u32_e64 s[14:15], 5, v72
	v_cndmask_b32_e64 v55, v55, v29, s[96:97]
	v_cndmask_b32_e64 v56, v56, v12, s[66:67]
	v_cndmask_b32_e64 v55, v55, v28, s[14:15]
	v_cmp_eq_u32_e64 s[12:13], 6, v72
	v_cndmask_b32_e64 v56, v56, v13, s[62:63]
	v_cmp_eq_u32_e64 s[10:11], 7, v72
	v_cndmask_b32_e64 v55, v55, v27, s[12:13]
	v_cndmask_b32_e64 v56, v56, v14, s[92:93]
	v_cndmask_b32_e64 v55, v55, v26, s[10:11]
	v_cmp_eq_u32_e64 s[8:9], 8, v72
	v_cndmask_b32_e64 v56, v56, v15, s[94:95]
	v_cmp_eq_u32_e64 s[6:7], 9, v72
	v_cndmask_b32_e64 v55, v55, v25, s[8:9]
	ds_bpermute_b32 v56, v88, v56
	v_cndmask_b32_e64 v55, v55, v24, s[6:7]
	v_cmp_eq_u32_e32 vcc, 10, v72
	v_cmp_eq_u32_e64 s[80:81], 11, v72
	v_cmp_eq_u32_e64 s[86:87], 12, v72
	v_cndmask_b32_e32 v55, v55, v23, vcc
	v_cndmask_b32_e64 v55, v55, v22, s[80:81]
	v_cndmask_b32_e64 v55, v55, v21, s[86:87]
	v_cmp_eq_u32_e64 s[88:89], 13, v72
	s_waitcnt lgkmcnt(0)
	v_cndmask_b32_e64 v13, v13, v56, s[62:63]
	v_cmp_eq_u32_e64 s[62:63], 14, v72
	v_cndmask_b32_e64 v55, v55, v20, s[88:89]
	v_cndmask_b32_e64 v12, v12, v56, s[66:67]
	v_cndmask_b32_e64 v55, v55, v19, s[62:63]
	v_cmp_eq_u32_e64 s[66:67], 15, v72
	v_cndmask_b32_e64 v57, v11, v56, s[70:71]
	v_cmp_eq_u32_e64 s[70:71], 0, v72
	v_cndmask_b32_e64 v55, v55, v18, s[66:67]
	ds_bpermute_b32 v55, v88, v55
	v_cndmask_b32_e64 v15, v15, v56, s[94:95]
	v_cndmask_b32_e64 v14, v14, v56, s[92:93]
	;; [unrolled: 1-line block ×4, first 2 shown]
	s_waitcnt lgkmcnt(0)
	v_cndmask_b32_e64 v18, v18, v55, s[66:67]
	v_cndmask_b32_e64 v19, v19, v55, s[62:63]
	;; [unrolled: 1-line block ×5, first 2 shown]
	v_cndmask_b32_e32 v23, v23, v55, vcc
	v_cndmask_b32_e64 v24, v24, v55, s[6:7]
	v_cndmask_b32_e64 v25, v25, v55, s[8:9]
	;; [unrolled: 1-line block ×28, first 2 shown]
	v_cmp_eq_u32_e64 s[50:51], 1, v73
	v_cndmask_b32_e64 v0, v0, v55, s[24:25]
	v_cmp_eq_u32_e64 s[52:53], 2, v73
	v_cndmask_b32_e64 v10, v16, v17, s[50:51]
	v_cndmask_b32_e64 v0, v0, v57, s[40:41]
	v_cndmask_b32_e64 v9, v10, v31, s[52:53]
	v_cmp_eq_u32_e64 s[56:57], 3, v73
	v_cndmask_b32_e64 v0, v0, v12, s[58:59]
	v_cmp_eq_u32_e64 s[60:61], 4, v73
	v_cndmask_b32_e64 v8, v9, v30, s[56:57]
	v_cndmask_b32_e64 v0, v0, v13, s[82:83]
	v_cndmask_b32_e64 v7, v8, v29, s[60:61]
	;; [unrolled: 6-line block ×3, first 2 shown]
	v_cmp_eq_u32_e64 s[72:73], 7, v73
	ds_bpermute_b32 v95, v88, v0
	v_cmp_eq_u32_e64 s[74:75], 8, v73
	v_cndmask_b32_e64 v4, v5, v26, s[72:73]
	v_cmp_eq_u32_e64 s[76:77], 9, v73
	v_cndmask_b32_e64 v3, v4, v25, s[74:75]
	;; [unrolled: 2-line block ×4, first 2 shown]
	s_waitcnt lgkmcnt(0)
	v_cndmask_b32_e64 v96, v15, v95, s[90:91]
	v_cndmask_b32_e64 v0, v0, v22, s[78:79]
	v_cmp_eq_u32_e64 s[90:91], 12, v73
	v_cndmask_b32_e64 v97, v14, v95, s[84:85]
	v_cmp_eq_u32_e64 s[84:85], 13, v73
	v_cndmask_b32_e64 v0, v0, v21, s[90:91]
	v_cndmask_b32_e64 v98, v13, v95, s[82:83]
	;; [unrolled: 1-line block ×3, first 2 shown]
	v_cmp_eq_u32_e64 s[82:83], 14, v73
	v_cndmask_b32_e64 v99, v12, v95, s[58:59]
	v_cmp_eq_u32_e64 s[58:59], 15, v73
	v_cndmask_b32_e64 v0, v0, v19, s[82:83]
	v_readlane_b32 s2, v100, 35
	v_cndmask_b32_e64 v0, v0, v18, s[58:59]
	ds_bpermute_b32 v1, v88, v0
	v_readlane_b32 s3, v100, 36
	s_waitcnt lgkmcnt(0)
	v_cndmask_b32_e64 v11, v27, v1, s[68:69]
	v_cndmask_b32_e64 v12, v28, v1, s[64:65]
	;; [unrolled: 1-line block ×4, first 2 shown]
	s_mov_b64 s[2:3], s[54:55]
	v_cndmask_b32_e64 v10, v26, v1, s[72:73]
	v_cndmask_b32_e64 v13, v29, v1, s[60:61]
	;; [unrolled: 1-line block ×25, first 2 shown]
	v_cmp_eq_u32_e64 s[40:41], 0, v73
	v_cndmask_b32_e64 v19, v58, v95, s[26:27]
	v_cndmask_b32_e64 v29, v29, v20, s[8:9]
	;; [unrolled: 1-line block ×8, first 2 shown]
	v_cndmask_b32_e32 v29, v29, v16, vcc
	v_cndmask_b32_e64 v29, v29, v17, s[80:81]
	v_cndmask_b32_e64 v29, v29, v99, s[86:87]
	;; [unrolled: 1-line block ×5, first 2 shown]
	ds_bpermute_b32 v29, v88, v29
	v_cmp_eq_u32_e64 s[24:25], 1, v74
	v_cmp_eq_u32_e64 s[26:27], 2, v74
	;; [unrolled: 1-line block ×3, first 2 shown]
	v_cndmask_b32_e64 v18, v1, v0, s[24:25]
	s_waitcnt lgkmcnt(0)
	v_cndmask_b32_e64 v93, v27, v29, s[2:3]
	v_cndmask_b32_e64 v94, v28, v29, s[70:71]
	;; [unrolled: 1-line block ×18, first 2 shown]
	v_cndmask_b32_e32 v16, v16, v29, vcc
	v_cndmask_b32_e64 v19, v19, v57, s[76:77]
	v_cndmask_b32_e64 v17, v17, v29, s[80:81]
	;; [unrolled: 1-line block ×12, first 2 shown]
	ds_bpermute_b32 v95, v88, v19
	v_cndmask_b32_e64 v18, v18, v15, s[26:27]
	v_cndmask_b32_e64 v18, v18, v14, s[28:29]
	v_cmp_eq_u32_e64 s[30:31], 4, v74
	v_cmp_eq_u32_e64 s[34:35], 5, v74
	s_waitcnt lgkmcnt(0)
	v_cndmask_b32_e64 v23, v17, v95, s[78:79]
	v_cndmask_b32_e64 v24, v16, v95, s[48:49]
	v_cndmask_b32_e64 v16, v93, v95, s[50:51]
	v_cndmask_b32_e64 v17, v94, v95, s[40:41]
	v_cndmask_b32_e64 v21, v55, v95, s[84:85]
	v_cndmask_b32_e64 v22, v56, v95, s[90:91]
	v_cndmask_b32_e64 v55, v92, v95, s[52:53]
	v_cndmask_b32_e64 v56, v17, v16, s[24:25]
	v_cndmask_b32_e64 v20, v31, v95, s[82:83]
	v_cndmask_b32_e64 v31, v91, v95, s[56:57]
	v_cndmask_b32_e64 v56, v56, v55, s[26:27]
	v_cndmask_b32_e64 v19, v30, v95, s[58:59]
	v_cndmask_b32_e64 v30, v90, v95, s[60:61]
	v_cndmask_b32_e64 v56, v56, v31, s[28:29]
	v_cndmask_b32_e64 v18, v18, v13, s[30:31]
	v_cndmask_b32_e64 v29, v61, v95, s[64:65]
	v_cndmask_b32_e64 v56, v56, v30, s[30:31]
	v_cndmask_b32_e64 v18, v18, v12, s[34:35]
	v_cmp_eq_u32_e64 s[36:37], 6, v74
	v_cndmask_b32_e64 v28, v60, v95, s[68:69]
	v_cndmask_b32_e64 v56, v56, v29, s[34:35]
	v_cndmask_b32_e64 v18, v18, v11, s[36:37]
	v_cmp_eq_u32_e64 s[38:39], 7, v74
	v_cndmask_b32_e64 v27, v59, v95, s[72:73]
	v_cndmask_b32_e64 v56, v56, v28, s[36:37]
	v_cndmask_b32_e64 v18, v18, v10, s[38:39]
	;; [unrolled: 4-line block ×4, first 2 shown]
	v_cmp_eq_u32_e64 s[46:47], 10, v74
	v_cndmask_b32_e64 v56, v56, v25, s[44:45]
	v_cmp_eq_u32_e64 s[54:55], 11, v74
	v_cndmask_b32_e64 v18, v18, v7, s[46:47]
	v_cndmask_b32_e64 v56, v56, v24, s[46:47]
	;; [unrolled: 1-line block ×3, first 2 shown]
	v_cmp_eq_u32_e64 s[66:67], 12, v74
	v_cndmask_b32_e64 v56, v56, v23, s[54:55]
	v_cmp_eq_u32_e64 s[62:63], 13, v74
	v_cndmask_b32_e64 v18, v18, v5, s[66:67]
	v_cndmask_b32_e64 v56, v56, v22, s[66:67]
	;; [unrolled: 1-line block ×3, first 2 shown]
	v_cmp_eq_u32_e32 vcc, 14, v74
	v_cndmask_b32_e64 v56, v56, v21, s[62:63]
	v_cmp_eq_u32_e64 s[6:7], 15, v74
	v_cndmask_b32_e32 v18, v18, v3, vcc
	v_cndmask_b32_e32 v56, v56, v20, vcc
	v_cndmask_b32_e64 v18, v18, v2, s[6:7]
	v_cndmask_b32_e64 v56, v56, v19, s[6:7]
	ds_bpermute_b32 v18, v88, v18
	ds_bpermute_b32 v58, v88, v56
	v_readlane_b32 s53, v100, 32
	s_nop 1
	v_cmp_lt_i32_e32 vcc, s53, v76
	s_and_saveexec_b64 s[40:41], vcc
	v_readlane_b32 s44, v100, 2
	v_readlane_b32 s45, v100, 3
	;; [unrolled: 1-line block ×11, first 2 shown]
	s_cbranch_execz .LBB65_32
; %bb.24:                               ;   in Loop: Header=BB65_7 Depth=1
	s_mul_i32 s0, s52, s17
	s_ashr_i32 s1, s0, 31
	s_lshl_b64 s[0:1], s[0:1], 1
	s_add_u32 s2, s48, s0
	v_cmp_eq_u32_e64 s[34:35], 1, v74
	v_cmp_eq_u32_e64 s[36:37], 0, v74
	s_addc_u32 s3, s49, s1
	s_ashr_i32 s55, s54, 31
	s_waitcnt lgkmcnt(1)
	v_cndmask_b32_e64 v56, v0, v18, s[34:35]
	v_cndmask_b32_e64 v57, v1, v18, s[36:37]
	s_lshl_b64 s[0:1], s[54:55], 1
	s_waitcnt lgkmcnt(0)
	v_cndmask_b32_e64 v59, v16, v58, s[34:35]
	v_cndmask_b32_e64 v60, v17, v58, s[36:37]
	v_cvt_f16_f32_e32 v57, v57
	v_cvt_f16_f32_sdwa v56, v56 dst_sel:WORD_1 dst_unused:UNUSED_PAD src0_sel:DWORD
	s_add_u32 s42, s2, s0
	v_cvt_f16_f32_e32 v60, v60
	v_cvt_f16_f32_sdwa v59, v59 dst_sel:WORD_1 dst_unused:UNUSED_PAD src0_sel:DWORD
	s_addc_u32 s43, s3, s1
	v_lshl_add_u64 v[0:1], s[42:43], 0, v[32:33]
	v_cmp_eq_u32_e32 vcc, 15, v74
	v_cmp_eq_u32_e64 s[6:7], 14, v74
	v_cmp_eq_u32_e64 s[8:9], 13, v74
	;; [unrolled: 1-line block ×13, first 2 shown]
	v_lshl_add_u64 v[16:17], v[34:35], 1, v[0:1]
	v_or_b32_e32 v56, v56, v57
	v_cmp_lt_i32_e64 s[34:35], s53, v77
	;;#ASMSTART
	global_atomic_pk_add_f16 v[16:17], v56, off
	
	;;#ASMEND
	v_lshl_add_u64 v[16:17], v[16:17], 0, 64
	v_or_b32_e32 v56, v59, v60
	;;#ASMSTART
	global_atomic_pk_add_f16 v[16:17], v56, off
	
	;;#ASMEND
	s_and_b64 exec, exec, s[34:35]
	s_cbranch_execz .LBB65_32
; %bb.25:                               ;   in Loop: Header=BB65_7 Depth=1
	v_cndmask_b32_e32 v2, v2, v18, vcc
	v_cndmask_b32_e64 v3, v3, v18, s[6:7]
	v_cndmask_b32_e64 v16, v4, v18, s[8:9]
	;; [unrolled: 1-line block ×19, first 2 shown]
	v_cvt_f16_f32_e32 v22, v18
	v_cvt_f16_f32_sdwa v23, v93 dst_sel:WORD_1 dst_unused:UNUSED_PAD src0_sel:DWORD
	v_cvt_f16_f32_e32 v21, v21
	v_cvt_f16_f32_sdwa v20, v20 dst_sel:WORD_1 dst_unused:UNUSED_PAD src0_sel:DWORD
	v_cndmask_b32_e32 v4, v19, v58, vcc
	v_cndmask_b32_e64 v9, v24, v58, s[14:15]
	v_cndmask_b32_e64 v10, v25, v58, s[0:1]
	v_cndmask_b32_e64 v11, v26, v58, s[2:3]
	v_cndmask_b32_e64 v12, v27, v58, s[4:5]
	v_cndmask_b32_e64 v13, v28, v58, s[38:39]
	v_cndmask_b32_e64 v14, v29, v58, s[24:25]
	v_cndmask_b32_e64 v15, v30, v58, s[26:27]
	v_lshl_add_u64 v[18:19], v[36:37], 1, v[0:1]
	v_cmp_lt_i32_e32 vcc, s53, v78
	v_or_b32_e32 v22, v23, v22
	;;#ASMSTART
	global_atomic_pk_add_f16 v[18:19], v22, off
	
	;;#ASMEND
	v_lshl_add_u64 v[18:19], v[18:19], 0, 64
	v_or_b32_e32 v20, v20, v21
	;;#ASMSTART
	global_atomic_pk_add_f16 v[18:19], v20, off
	
	;;#ASMEND
	s_and_b64 exec, exec, vcc
	s_cbranch_execz .LBB65_32
; %bb.26:                               ;   in Loop: Header=BB65_7 Depth=1
	v_cvt_f16_f32_e32 v20, v92
	v_cvt_f16_f32_sdwa v21, v91 dst_sel:WORD_1 dst_unused:UNUSED_PAD src0_sel:DWORD
	v_cvt_f16_f32_e32 v22, v15
	v_cvt_f16_f32_sdwa v23, v14 dst_sel:WORD_1 dst_unused:UNUSED_PAD src0_sel:DWORD
	v_lshl_add_u64 v[18:19], v[38:39], 1, v[0:1]
	v_or_b32_e32 v14, v21, v20
	v_cmp_lt_i32_e32 vcc, s53, v79
	;;#ASMSTART
	global_atomic_pk_add_f16 v[18:19], v14, off
	
	;;#ASMEND
	v_lshl_add_u64 v[14:15], v[18:19], 0, 64
	v_or_b32_e32 v18, v23, v22
	;;#ASMSTART
	global_atomic_pk_add_f16 v[14:15], v18, off
	
	;;#ASMEND
	s_and_b64 exec, exec, vcc
	s_cbranch_execz .LBB65_32
; %bb.27:                               ;   in Loop: Header=BB65_7 Depth=1
	v_cvt_f16_f32_e32 v18, v90
	v_cvt_f16_f32_sdwa v19, v61 dst_sel:WORD_1 dst_unused:UNUSED_PAD src0_sel:DWORD
	v_cvt_f16_f32_e32 v20, v13
	v_cvt_f16_f32_sdwa v21, v12 dst_sel:WORD_1 dst_unused:UNUSED_PAD src0_sel:DWORD
	v_lshl_add_u64 v[14:15], v[40:41], 1, v[0:1]
	v_or_b32_e32 v12, v19, v18
	v_cmp_lt_i32_e32 vcc, s53, v80
	;; [unrolled: 20-line block ×5, first 2 shown]
	;;#ASMSTART
	global_atomic_pk_add_f16 v[8:9], v6, off
	
	;;#ASMEND
	v_lshl_add_u64 v[6:7], v[8:9], 0, 64
	v_or_b32_e32 v8, v13, v12
	;;#ASMSTART
	global_atomic_pk_add_f16 v[6:7], v8, off
	
	;;#ASMEND
	s_and_b64 exec, exec, vcc
	s_cbranch_execz .LBB65_32
; %bb.31:                               ;   in Loop: Header=BB65_7 Depth=1
	v_cvt_f16_f32_e32 v3, v3
	v_cvt_f16_f32_sdwa v2, v2 dst_sel:WORD_1 dst_unused:UNUSED_PAD src0_sel:DWORD
	v_cvt_f16_f32_e32 v5, v5
	v_cvt_f16_f32_sdwa v4, v4 dst_sel:WORD_1 dst_unused:UNUSED_PAD src0_sel:DWORD
	v_lshl_add_u64 v[0:1], v[48:49], 1, v[0:1]
	v_or_b32_e32 v2, v2, v3
	;;#ASMSTART
	global_atomic_pk_add_f16 v[0:1], v2, off
	
	;;#ASMEND
	v_lshl_add_u64 v[0:1], v[0:1], 0, 64
	v_or_b32_e32 v2, v4, v5
	;;#ASMSTART
	global_atomic_pk_add_f16 v[0:1], v2, off
	
	;;#ASMEND
.LBB65_32:                              ;   in Loop: Header=BB65_7 Depth=1
	s_or_b64 exec, exec, s[40:41]
	v_readlane_b32 s14, v100, 10
	v_readlane_b32 s24, v100, 12
	;; [unrolled: 1-line block ×6, first 2 shown]
	v_subrev_u32_e32 v89, s99, v89
	v_readlane_b32 s11, v100, 0
	v_readlane_b32 s12, v100, 1
	;; [unrolled: 1-line block ×17, first 2 shown]
.LBB65_33:                              ;   in Loop: Header=BB65_7 Depth=1
	s_or_b64 exec, exec, s[2:3]
.LBB65_34:                              ;   in Loop: Header=BB65_7 Depth=1
	s_andn2_saveexec_b64 s[0:1], s[4:5]
	s_cbranch_execz .LBB65_43
; %bb.35:                               ;   in Loop: Header=BB65_7 Depth=1
	s_lshl_b32 s10, s99, 1
	v_cmp_gt_i32_e32 vcc, s10, v89
	s_and_saveexec_b64 s[2:3], vcc
	s_cbranch_execz .LBB65_42
; %bb.36:                               ;   in Loop: Header=BB65_7 Depth=1
	s_mul_i32 s4, s54, s19
	s_ashr_i32 s5, s4, 31
	s_add_u32 s4, s46, s4
	s_addc_u32 s5, s47, s5
	s_ashr_i32 s6, s37, 31
	s_add_u32 s4, s4, s37
	s_addc_u32 s5, s5, s6
	v_lshl_add_u64 v[0:1], s[4:5], 0, v[52:53]
	v_lshl_add_u64 v[8:9], v[0:1], 0, v[50:51]
	s_mov_b64 s[4:5], 0
	s_branch .LBB65_38
.LBB65_37:                              ;   in Loop: Header=BB65_38 Depth=2
	s_or_b64 exec, exec, s[6:7]
	v_lshl_or_b32 v12, v10, 11, v84
	;;#ASMSTART
	s_waitcnt vmcnt(1)
	;;#ASMEND
	ds_write2_b32 v12, v4, v5 offset1:32
	ds_write2_b32 v12, v6, v7 offset0:64 offset1:96
	v_add_u32_e32 v4, 0x400, v12
	v_add_u32_e32 v89, s22, v89
	;;#ASMSTART
	s_waitcnt vmcnt(0)
	;;#ASMEND
	ds_write2_b32 v4, v0, v1 offset1:32
	ds_write2_b32 v4, v2, v3 offset0:64 offset1:96
	v_add_u32_e32 v0, 1, v63
	v_add_u32_e32 v54, s22, v10
	v_cmp_le_i32_e32 vcc, s10, v89
	ds_write_b32 v11, v0 offset:24
	v_add_u32_e32 v0, 2, v63
	s_or_b64 s[4:5], vcc, s[4:5]
	v_cmp_lt_i32_e32 vcc, 11, v54
	s_nop 1
	v_cndmask_b32_e32 v63, v63, v0, vcc
	s_andn2_b64 exec, exec, s[4:5]
	s_cbranch_execz .LBB65_41
.LBB65_38:                              ;   Parent Loop BB65_7 Depth=1
                                        ; =>  This Loop Header: Depth=2
                                        ;       Child Loop BB65_40 Depth 3
	v_cmp_gt_i32_e32 vcc, 12, v54
	s_nop 1
	v_cndmask_b32_e64 v0, -12, 0, vcc
	v_add_u32_e32 v10, v0, v54
	v_lshrrev_b32_e32 v0, 31, v89
	v_add_u32_e32 v0, v89, v0
	v_and_b32_e32 v1, -2, v0
	v_lshlrev_b32_e32 v0, 5, v0
	v_sub_u32_e32 v2, v89, v1
	v_and_b32_e32 v0, 0xffffffc0, v0
	v_ashrrev_i32_e32 v1, 31, v0
	v_mul_lo_u32 v2, s30, v2
	v_lshl_add_u64 v[0:1], v[8:9], 0, v[0:1]
	v_ashrrev_i32_e32 v3, 31, v2
	v_lshl_add_u64 v[0:1], v[0:1], 0, v[2:3]
	v_lshlrev_b32_e32 v11, 2, v10
	;;#ASMSTART
	global_load_dwordx4 v[4:7], v[0:1], off offset:0   sc0 sc1 nt  
	global_load_dwordx4 v[0:3], v[0:1], off offset:32  sc0 sc1 nt  
	
	;;#ASMEND
	ds_read_b32 v12, v11 offset:36888
	v_add_u32_e32 v11, 0x9000, v11
	s_waitcnt lgkmcnt(0)
	v_cmp_ne_u32_e32 vcc, v12, v63
	s_and_saveexec_b64 s[6:7], vcc
	s_cbranch_execz .LBB65_37
; %bb.39:                               ;   in Loop: Header=BB65_38 Depth=2
	s_mov_b64 s[8:9], 0
.LBB65_40:                              ;   Parent Loop BB65_7 Depth=1
                                        ;     Parent Loop BB65_38 Depth=2
                                        ; =>    This Inner Loop Header: Depth=3
	;;#ASMSTART
	s_sleep 0
	;;#ASMEND
	ds_read_b32 v12, v11 offset:24
	s_waitcnt lgkmcnt(0)
	v_cmp_eq_u32_e32 vcc, v12, v63
	s_or_b64 s[8:9], vcc, s[8:9]
	s_andn2_b64 exec, exec, s[8:9]
	s_cbranch_execnz .LBB65_40
	s_branch .LBB65_37
.LBB65_41:                              ;   in Loop: Header=BB65_7 Depth=1
	s_or_b64 exec, exec, s[4:5]
.LBB65_42:                              ;   in Loop: Header=BB65_7 Depth=1
	s_or_b64 exec, exec, s[2:3]
	v_subrev_u32_e32 v89, s10, v89
.LBB65_43:                              ;   in Loop: Header=BB65_7 Depth=1
	s_or_b64 exec, exec, s[0:1]
.LBB65_44:                              ;   in Loop: Header=BB65_7 Depth=1
	s_andn2_saveexec_b64 s[0:1], s[38:39]
	s_cbranch_execz .LBB65_6
; %bb.45:                               ;   in Loop: Header=BB65_7 Depth=1
	v_cmp_gt_i32_e32 vcc, s99, v89
	s_and_saveexec_b64 s[2:3], vcc
	s_cbranch_execz .LBB65_5
; %bb.46:                               ;   in Loop: Header=BB65_7 Depth=1
	s_mul_i32 s4, s52, s18
	s_ashr_i32 s5, s4, 31
	s_add_u32 s4, s44, s4
	s_addc_u32 s5, s45, s5
	s_ashr_i32 s6, s37, 31
	v_cmp_le_i32_e32 vcc, s53, v85
	s_add_u32 s4, s4, s37
	s_addc_u32 s5, s5, s6
	v_cndmask_b32_e32 v0, 0, v86, vcc
	v_ashrrev_i32_e32 v1, 31, v0
	v_lshl_add_u64 v[0:1], s[4:5], 0, v[0:1]
	v_lshl_add_u64 v[8:9], v[0:1], 0, v[50:51]
	s_mov_b64 s[4:5], 0
	s_branch .LBB65_48
.LBB65_47:                              ;   in Loop: Header=BB65_48 Depth=2
	s_or_b64 exec, exec, s[6:7]
	v_lshl_add_u32 v12, v10, 11, v87
	;;#ASMSTART
	s_waitcnt vmcnt(1)
	;;#ASMEND
	ds_write2_b32 v12, v4, v5 offset1:32
	ds_write2_b32 v12, v6, v7 offset0:64 offset1:96
	v_add_u32_e32 v4, 0x400, v12
	v_add_u32_e32 v89, s21, v89
	;;#ASMSTART
	s_waitcnt vmcnt(0)
	;;#ASMEND
	ds_write2_b32 v4, v0, v1 offset1:32
	ds_write2_b32 v4, v2, v3 offset0:64 offset1:96
	v_add_u32_e32 v0, 1, v63
	v_add_u32_e32 v54, s21, v10
	v_cmp_le_i32_e32 vcc, s99, v89
	ds_write_b32 v11, v0
	v_add_u32_e32 v0, 2, v63
	s_or_b64 s[4:5], vcc, s[4:5]
	v_cmp_lt_i32_e32 vcc, 5, v54
	s_nop 1
	v_cndmask_b32_e32 v63, v63, v0, vcc
	s_andn2_b64 exec, exec, s[4:5]
	s_cbranch_execz .LBB65_4
.LBB65_48:                              ;   Parent Loop BB65_7 Depth=1
                                        ; =>  This Loop Header: Depth=2
                                        ;       Child Loop BB65_50 Depth 3
	v_cmp_gt_i32_e32 vcc, 6, v54
	s_nop 1
	v_cndmask_b32_e64 v0, -6, 0, vcc
	v_add_u32_e32 v10, v0, v54
	v_lshlrev_b32_e32 v0, 6, v89
	v_ashrrev_i32_e32 v1, 31, v0
	v_lshl_add_u64 v[0:1], v[8:9], 0, v[0:1]
	v_lshlrev_b32_e32 v11, 2, v10
	;;#ASMSTART
	global_load_dwordx4 v[4:7], v[0:1], off offset:0   
	global_load_dwordx4 v[0:3], v[0:1], off offset:32  
	
	;;#ASMEND
	ds_read_b32 v12, v11 offset:36864
	v_add_u32_e32 v11, 0x9000, v11
	s_waitcnt lgkmcnt(0)
	v_cmp_ne_u32_e32 vcc, v12, v63
	s_and_saveexec_b64 s[6:7], vcc
	s_cbranch_execz .LBB65_47
; %bb.49:                               ;   in Loop: Header=BB65_48 Depth=2
	s_mov_b64 s[8:9], 0
.LBB65_50:                              ;   Parent Loop BB65_7 Depth=1
                                        ;     Parent Loop BB65_48 Depth=2
                                        ; =>    This Inner Loop Header: Depth=3
	;;#ASMSTART
	s_sleep 0
	;;#ASMEND
	ds_read_b32 v12, v11
	s_waitcnt lgkmcnt(0)
	v_cmp_eq_u32_e32 vcc, v12, v63
	s_or_b64 s[8:9], vcc, s[8:9]
	s_andn2_b64 exec, exec, s[8:9]
	s_cbranch_execnz .LBB65_50
	s_branch .LBB65_47
.LBB65_51:
	s_endpgm
	.section	.rodata,"a",@progbits
	.p2align	6, 0x0
	.amdhsa_kernel _Z19_skinny_gemm_kernelILi1ELi2ELi6ELi32ELi4EEvPKhS1_P6__halfPKfiiiiiiii
		.amdhsa_group_segment_fixed_size 36936
		.amdhsa_private_segment_fixed_size 0
		.amdhsa_kernarg_size 64
		.amdhsa_user_sgpr_count 2
		.amdhsa_user_sgpr_dispatch_ptr 0
		.amdhsa_user_sgpr_queue_ptr 0
		.amdhsa_user_sgpr_kernarg_segment_ptr 1
		.amdhsa_user_sgpr_dispatch_id 0
		.amdhsa_user_sgpr_kernarg_preload_length 0
		.amdhsa_user_sgpr_kernarg_preload_offset 0
		.amdhsa_user_sgpr_private_segment_size 0
		.amdhsa_uses_dynamic_stack 0
		.amdhsa_enable_private_segment 0
		.amdhsa_system_sgpr_workgroup_id_x 1
		.amdhsa_system_sgpr_workgroup_id_y 0
		.amdhsa_system_sgpr_workgroup_id_z 0
		.amdhsa_system_sgpr_workgroup_info 0
		.amdhsa_system_vgpr_workitem_id 0
		.amdhsa_next_free_vgpr 101
		.amdhsa_next_free_sgpr 100
		.amdhsa_accum_offset 104
		.amdhsa_reserve_vcc 1
		.amdhsa_float_round_mode_32 0
		.amdhsa_float_round_mode_16_64 0
		.amdhsa_float_denorm_mode_32 3
		.amdhsa_float_denorm_mode_16_64 3
		.amdhsa_dx10_clamp 1
		.amdhsa_ieee_mode 1
		.amdhsa_fp16_overflow 0
		.amdhsa_tg_split 0
		.amdhsa_exception_fp_ieee_invalid_op 0
		.amdhsa_exception_fp_denorm_src 0
		.amdhsa_exception_fp_ieee_div_zero 0
		.amdhsa_exception_fp_ieee_overflow 0
		.amdhsa_exception_fp_ieee_underflow 0
		.amdhsa_exception_fp_ieee_inexact 0
		.amdhsa_exception_int_div_zero 0
	.end_amdhsa_kernel
	.section	.text._Z19_skinny_gemm_kernelILi1ELi2ELi6ELi32ELi4EEvPKhS1_P6__halfPKfiiiiiiii,"axG",@progbits,_Z19_skinny_gemm_kernelILi1ELi2ELi6ELi32ELi4EEvPKhS1_P6__halfPKfiiiiiiii,comdat
.Lfunc_end65:
	.size	_Z19_skinny_gemm_kernelILi1ELi2ELi6ELi32ELi4EEvPKhS1_P6__halfPKfiiiiiiii, .Lfunc_end65-_Z19_skinny_gemm_kernelILi1ELi2ELi6ELi32ELi4EEvPKhS1_P6__halfPKfiiiiiiii
                                        ; -- End function
	.set _Z19_skinny_gemm_kernelILi1ELi2ELi6ELi32ELi4EEvPKhS1_P6__halfPKfiiiiiiii.num_vgpr, 101
	.set _Z19_skinny_gemm_kernelILi1ELi2ELi6ELi32ELi4EEvPKhS1_P6__halfPKfiiiiiiii.num_agpr, 0
	.set _Z19_skinny_gemm_kernelILi1ELi2ELi6ELi32ELi4EEvPKhS1_P6__halfPKfiiiiiiii.numbered_sgpr, 100
	.set _Z19_skinny_gemm_kernelILi1ELi2ELi6ELi32ELi4EEvPKhS1_P6__halfPKfiiiiiiii.num_named_barrier, 0
	.set _Z19_skinny_gemm_kernelILi1ELi2ELi6ELi32ELi4EEvPKhS1_P6__halfPKfiiiiiiii.private_seg_size, 0
	.set _Z19_skinny_gemm_kernelILi1ELi2ELi6ELi32ELi4EEvPKhS1_P6__halfPKfiiiiiiii.uses_vcc, 1
	.set _Z19_skinny_gemm_kernelILi1ELi2ELi6ELi32ELi4EEvPKhS1_P6__halfPKfiiiiiiii.uses_flat_scratch, 0
	.set _Z19_skinny_gemm_kernelILi1ELi2ELi6ELi32ELi4EEvPKhS1_P6__halfPKfiiiiiiii.has_dyn_sized_stack, 0
	.set _Z19_skinny_gemm_kernelILi1ELi2ELi6ELi32ELi4EEvPKhS1_P6__halfPKfiiiiiiii.has_recursion, 0
	.set _Z19_skinny_gemm_kernelILi1ELi2ELi6ELi32ELi4EEvPKhS1_P6__halfPKfiiiiiiii.has_indirect_call, 0
	.section	.AMDGPU.csdata,"",@progbits
; Kernel info:
; codeLenInByte = 9584
; TotalNumSgprs: 106
; NumVgprs: 101
; NumAgprs: 0
; TotalNumVgprs: 101
; ScratchSize: 0
; MemoryBound: 0
; FloatMode: 240
; IeeeMode: 1
; LDSByteSize: 36936 bytes/workgroup (compile time only)
; SGPRBlocks: 13
; VGPRBlocks: 12
; NumSGPRsForWavesPerEU: 106
; NumVGPRsForWavesPerEU: 101
; AccumOffset: 104
; Occupancy: 4
; WaveLimiterHint : 0
; COMPUTE_PGM_RSRC2:SCRATCH_EN: 0
; COMPUTE_PGM_RSRC2:USER_SGPR: 2
; COMPUTE_PGM_RSRC2:TRAP_HANDLER: 0
; COMPUTE_PGM_RSRC2:TGID_X_EN: 1
; COMPUTE_PGM_RSRC2:TGID_Y_EN: 0
; COMPUTE_PGM_RSRC2:TGID_Z_EN: 0
; COMPUTE_PGM_RSRC2:TIDIG_COMP_CNT: 0
; COMPUTE_PGM_RSRC3_GFX90A:ACCUM_OFFSET: 25
; COMPUTE_PGM_RSRC3_GFX90A:TG_SPLIT: 0
	.section	.text._Z19_skinny_gemm_kernelILi1ELi3ELi1ELi8ELi4EEvPKhS1_P6__halfPKfiiiiiiii,"axG",@progbits,_Z19_skinny_gemm_kernelILi1ELi3ELi1ELi8ELi4EEvPKhS1_P6__halfPKfiiiiiiii,comdat
	.protected	_Z19_skinny_gemm_kernelILi1ELi3ELi1ELi8ELi4EEvPKhS1_P6__halfPKfiiiiiiii ; -- Begin function _Z19_skinny_gemm_kernelILi1ELi3ELi1ELi8ELi4EEvPKhS1_P6__halfPKfiiiiiiii
	.globl	_Z19_skinny_gemm_kernelILi1ELi3ELi1ELi8ELi4EEvPKhS1_P6__halfPKfiiiiiiii
	.p2align	8
	.type	_Z19_skinny_gemm_kernelILi1ELi3ELi1ELi8ELi4EEvPKhS1_P6__halfPKfiiiiiiii,@function
_Z19_skinny_gemm_kernelILi1ELi3ELi1ELi8ELi4EEvPKhS1_P6__halfPKfiiiiiiii: ; @_Z19_skinny_gemm_kernelILi1ELi3ELi1ELi8ELi4EEvPKhS1_P6__halfPKfiiiiiiii
; %bb.0:
	v_cmp_gt_u32_e32 vcc, 4, v0
	v_lshlrev_b32_e32 v1, 2, v0
	s_and_saveexec_b64 s[4:5], vcc
; %bb.1:
	v_mov_b32_e32 v2, 0
	ds_write_b32 v1, v2 offset:14336
; %bb.2:
	s_or_b64 exec, exec, s[4:5]
	s_load_dwordx8 s[12:19], s[0:1], 0x20
	s_waitcnt lgkmcnt(0)
	s_barrier
	s_add_i32 s3, s12, 7
	s_ashr_i32 s5, s3, 31
	s_add_i32 s4, s13, 47
	s_lshr_b32 s5, s5, 29
	s_mul_hi_i32 s4, s4, 0x2aaaaaab
	s_add_i32 s3, s3, s5
	s_ashr_i32 s33, s3, 3
	s_lshr_b32 s3, s4, 31
	s_ashr_i32 s42, s4, 3
	s_add_i32 s42, s42, s3
	s_mul_i32 s3, s42, s33
	s_mul_i32 s3, s3, s16
	s_add_i32 s4, s3, 0x12f
	s_mul_hi_i32 s4, s4, 0x6bca1af3
	s_lshr_b32 s5, s4, 31
	s_ashr_i32 s4, s4, 7
	s_add_i32 s4, s4, s5
	s_add_i32 s5, s2, 1
	s_mul_i32 s5, s4, s5
	v_cvt_f64_i32_e32 v[2:3], s3
	v_cvt_f64_u32_e32 v[4:5], s5
	v_min_f64 v[2:3], v[2:3], v[4:5]
	v_cvt_i32_f64_e32 v17, v[2:3]
	s_mul_i32 s43, s4, s2
	v_cmp_ge_i32_e32 vcc, s43, v17
	s_cbranch_vccnz .LBB66_47
; %bb.3:
	v_lshrrev_b32_e32 v2, 6, v0
	s_add_i32 s4, s18, s17
	s_load_dwordx8 s[20:27], s[0:1], 0x0
	v_cmp_le_i32_e64 s[0:1], s4, v2
	v_mov_b32_e32 v3, s17
	v_cmp_le_i32_e64 s[2:3], s17, v2
	v_mov_b32_e32 v4, s18
	v_cndmask_b32_e64 v4, 0, v4, s[0:1]
	v_cndmask_b32_e64 v3, 0, v3, s[2:3]
	s_abs_i32 s5, s16
	v_add_u32_e32 v3, v3, v4
	v_cvt_f32_u32_e32 v4, s5
	v_sub_u32_e32 v14, v2, v3
	s_ashr_i32 s6, s14, 31
	s_lshr_b32 s6, s6, 24
	v_rcp_iflag_f32_e32 v3, v4
	s_sub_i32 s9, 0, s5
	s_add_i32 s6, s14, s6
	s_ashr_i32 s6, s6, 8
	v_mul_f32_e32 v3, 0x4f7ffffe, v3
	v_cvt_u32_f32_e32 v3, v3
	s_abs_i32 s8, s6
	s_xor_b32 s7, s6, s16
	s_ashr_i32 s7, s7, 31
	v_readfirstlane_b32 s10, v3
	s_mul_i32 s9, s9, s10
	s_mul_hi_u32 s9, s10, s9
	s_add_i32 s10, s10, s9
	s_mul_hi_u32 s9, s8, s10
	s_mul_i32 s10, s9, s5
	s_sub_i32 s8, s8, s10
	s_add_i32 s10, s9, 1
	s_sub_i32 s11, s8, s5
	s_cmp_ge_u32 s8, s5
	s_cselect_b32 s9, s10, s9
	s_cselect_b32 s8, s11, s8
	s_add_i32 s10, s9, 1
	s_cmp_ge_u32 s8, s5
	s_cselect_b32 s5, s10, s9
	s_xor_b32 s5, s5, s7
	s_sub_i32 s44, s5, s7
	s_add_i32 s16, s16, -1
	s_mul_i32 s5, s44, s16
	s_add_i32 s4, s4, s19
	s_sub_i32 s45, s6, s5
	v_cmp_gt_i32_e64 s[4:5], s4, v2
	v_and_b32_e32 v2, 1, v0
	v_lshlrev_b32_e32 v3, 1, v0
	v_and_b32_e32 v3, 0x7c, v3
	v_lshlrev_b32_e32 v4, 8, v2
	v_lshlrev_b32_e32 v5, 4, v0
	s_movk_i32 s46, 0x3000
	s_movk_i32 s6, 0x7c
	v_and_b32_e32 v6, 0x200, v5
	v_or3_b32 v34, v3, v4, s46
	v_lshrrev_b32_e32 v3, 3, v0
	v_cmp_eq_u32_e32 vcc, 0, v2
	v_and_or_b32 v35, v1, s6, v6
	v_lshlrev_b32_e32 v1, 1, v2
	v_and_or_b32 v2, v3, 6, v2
	v_sub_u32_e32 v39, 8, v2
	v_mul_lo_u32 v18, s13, v2
	v_bfe_u32 v2, v0, 2, 4
	v_lshlrev_b32_e32 v4, 8, v0
	v_lshlrev_b32_e32 v6, 6, v0
	v_mul_lo_u32 v24, s15, v2
	v_and_b32_e32 v2, 60, v0
	v_and_b32_e32 v4, 0x200, v4
	;; [unrolled: 1-line block ×3, first 2 shown]
	s_abs_i32 s48, s33
	v_or3_b32 v40, v2, v4, v6
	v_cvt_f32_u32_e32 v6, s48
	v_lshlrev_b32_e32 v4, 7, v0
	v_and_b32_e32 v16, 14, v0
	v_bitop3_b32 v36, v0, 1, v0 bitop3:0xc
	v_sub_u32_e32 v1, v0, v1
	v_bfe_u32 v2, v0, 3, 3
	v_and_b32_e32 v4, 0x200, v4
	v_lshlrev_b32_e32 v0, 5, v0
	v_lshl_or_b32 v4, v2, 2, v4
	v_and_b32_e32 v0, 0x60, v0
	v_or3_b32 v41, v4, v0, s46
	v_rcp_iflag_f32_e32 v0, v6
	s_abs_i32 s49, s42
	v_mul_lo_u32 v43, s14, v2
	v_cvt_f32_u32_e32 v2, s49
	v_mul_f32_e32 v0, 0x4f7ffffe, v0
	v_cvt_u32_f32_e32 v0, v0
	s_sub_i32 s6, 0, s48
	v_rcp_iflag_f32_e32 v2, v2
	v_add_u32_e32 v1, 1, v1
	v_readfirstlane_b32 s7, v0
	s_mul_i32 s6, s6, s7
	v_mul_f32_e32 v0, 0x4f7ffffe, v2
	v_cvt_u32_f32_e32 v0, v0
	s_mul_hi_u32 s6, s7, s6
	s_add_i32 s51, s7, s6
	s_sub_i32 s6, 0, s49
	v_readfirstlane_b32 s7, v0
	v_mbcnt_lo_u32_b32 v0, -1, 0
	v_and_b32_e32 v1, 63, v1
	s_mul_i32 s6, s6, s7
	v_mbcnt_hi_u32_b32 v0, -1, v0
	v_mov_b32_e32 v7, 0xeeee
	v_mov_b32_e32 v8, 0x4444
	;; [unrolled: 1-line block ×3, first 2 shown]
	s_mul_hi_u32 s6, s7, s6
	v_and_or_b32 v0, v0, 64, v1
	v_cndmask_b32_e64 v32, 0, 1, s[0:1]
	s_mov_b32 s29, 0
	v_cndmask_b32_e32 v33, v7, v8, vcc
	v_or_b32_e32 v37, 16, v16
	v_or_b32_e32 v38, 32, v16
	v_ashrrev_i32_e32 v19, 31, v18
	v_and_b32_e32 v22, 48, v5
	v_ashrrev_i32_e32 v25, 31, v24
	v_mov_b32_e32 v23, v21
	s_lshl_b32 s47, s15, 4
	v_bitop3_b32 v42, v3, 7, v3 bitop3:0xc
	v_and_b32_e32 v26, 0x70, v5
	v_mov_b32_e32 v27, v21
	s_lshl_b32 s28, s17, 8
	s_ashr_i32 s50, s33, 31
	s_ashr_i32 s52, s42, 31
	s_add_i32 s53, s7, s6
	s_mov_b32 s54, 0x55555556
	v_lshlrev_b32_e32 v44, 2, v0
	v_mov_b32_e32 v45, v14
	s_branch .LBB66_7
.LBB66_4:                               ;   in Loop: Header=BB66_7 Depth=1
	s_or_b64 exec, exec, s[10:11]
.LBB66_5:                               ;   in Loop: Header=BB66_7 Depth=1
	s_or_b64 exec, exec, s[8:9]
	v_subrev_u32_e32 v45, s55, v45
.LBB66_6:                               ;   in Loop: Header=BB66_7 Depth=1
	s_or_b64 exec, exec, s[6:7]
	s_add_i32 s43, s43, 1
	v_cmp_ge_i32_e32 vcc, s43, v17
	s_cbranch_vccnz .LBB66_47
.LBB66_7:                               ; =>This Loop Header: Depth=1
                                        ;     Child Loop BB66_13 Depth 2
                                        ;       Child Loop BB66_15 Depth 3
                                        ;       Child Loop BB66_18 Depth 3
                                        ;       Child Loop BB66_21 Depth 3
                                        ;       Child Loop BB66_24 Depth 3
                                        ;     Child Loop BB66_34 Depth 2
                                        ;       Child Loop BB66_36 Depth 3
                                        ;     Child Loop BB66_44 Depth 2
                                        ;       Child Loop BB66_46 Depth 3
	s_abs_i32 s7, s43
	s_mul_hi_u32 s8, s7, s51
	s_mul_i32 s9, s8, s48
	s_ashr_i32 s6, s43, 31
	s_sub_i32 s7, s7, s9
	s_xor_b32 s6, s6, s50
	s_add_i32 s9, s8, 1
	s_sub_i32 s10, s7, s48
	s_cmp_ge_u32 s7, s48
	s_cselect_b32 s8, s9, s8
	s_cselect_b32 s7, s10, s7
	s_add_i32 s9, s8, 1
	s_cmp_ge_u32 s7, s48
	s_cselect_b32 s7, s9, s8
	s_xor_b32 s7, s7, s6
	s_sub_i32 s6, s7, s6
	s_abs_i32 s8, s6
	s_mul_i32 s7, s6, s33
	s_mul_hi_u32 s9, s8, s53
	s_sub_i32 s7, s43, s7
	s_mul_i32 s10, s9, s49
	s_lshl_b32 s56, s7, 3
	s_ashr_i32 s7, s6, 31
	s_sub_i32 s8, s8, s10
	s_xor_b32 s7, s7, s52
	s_add_i32 s10, s9, 1
	s_sub_i32 s11, s8, s49
	s_cmp_ge_u32 s8, s49
	s_cselect_b32 s9, s10, s9
	s_cselect_b32 s8, s11, s8
	s_add_i32 s10, s9, 1
	s_cmp_ge_u32 s8, s49
	s_cselect_b32 s8, s10, s9
	s_xor_b32 s8, s8, s7
	s_sub_i32 s7, s8, s7
	s_mul_i32 s8, s7, s44
	s_lshl_b32 s57, s8, 8
	s_cmp_eq_u32 s7, s16
	s_cselect_b32 s55, s45, s44
	s_sub_i32 s58, s56, s12
	s_add_i32 s58, s58, 8
	s_and_saveexec_b64 s[8:9], s[2:3]
	s_xor_b64 s[30:31], exec, s[8:9]
	s_cbranch_execz .LBB66_40
; %bb.8:                                ;   in Loop: Header=BB66_7 Depth=1
	s_mul_i32 s7, s7, s42
	s_sub_i32 s6, s6, s7
	s_mul_i32 s6, s6, 48
	s_sub_i32 s35, s6, s13
	s_add_i32 s35, s35, 48
	s_max_i32 s7, s35, 0
	s_sub_i32 s34, s6, s7
	s_and_saveexec_b64 s[6:7], s[0:1]
	s_xor_b64 s[36:37], exec, s[6:7]
	s_cbranch_execz .LBB66_30
; %bb.9:                                ;   in Loop: Header=BB66_7 Depth=1
	s_and_saveexec_b64 s[38:39], s[4:5]
	s_cbranch_execz .LBB66_29
; %bb.10:                               ;   in Loop: Header=BB66_7 Depth=1
	s_waitcnt lgkmcnt(0)
	global_load_dword v20, v21, s[26:27]
	v_mov_b32_e32 v11, 0
	v_cmp_gt_i32_e32 vcc, s55, v45
	v_mov_b32_e32 v10, v11
	v_mov_b32_e32 v9, v11
	v_mov_b32_e32 v8, v11
	v_mov_b32_e32 v7, v11
	v_mov_b32_e32 v6, v11
	v_mov_b32_e32 v5, v11
	v_mov_b32_e32 v4, v11
	v_mov_b32_e32 v3, v11
	v_mov_b32_e32 v2, v11
	v_mov_b32_e32 v1, v11
	v_mov_b32_e32 v0, v11
	s_and_saveexec_b64 s[6:7], vcc
	s_cbranch_execz .LBB66_26
; %bb.11:                               ;   in Loop: Header=BB66_7 Depth=1
	v_mov_b32_e32 v0, 0
	s_mov_b64 s[8:9], 0
	v_mov_b32_e32 v1, v0
	v_mov_b32_e32 v2, v0
	;; [unrolled: 1-line block ×11, first 2 shown]
	s_branch .LBB66_13
.LBB66_12:                              ;   in Loop: Header=BB66_13 Depth=2
	s_or_b64 exec, exec, s[10:11]
	v_add_u32_e32 v52, 0x2000, v49
	ds_read2_b32 v[50:51], v52 offset1:32
	ds_read2_b32 v[52:53], v52 offset0:64 offset1:96
	v_add_u32_e32 v56, 0x2400, v49
	ds_read2_b32 v[54:55], v56 offset1:32
	ds_read2_b32 v[56:57], v56 offset0:64 offset1:96
	v_add_u32_e32 v45, s19, v45
	v_cmp_le_i32_e32 vcc, s55, v45
	s_waitcnt lgkmcnt(2)
	v_smfmac_f32_16x16x64_fp8_fp8 v[0:3], v[30:31], v[50:53], v33 cbsz:7 abid:1
	v_add_u32_e32 v30, 0x2800, v49
	ds_read2_b32 v[50:51], v30 offset1:32
	ds_read2_b32 v[52:53], v30 offset0:64 offset1:96
	v_add_u32_e32 v30, 0x2c00, v49
	s_waitcnt lgkmcnt(2)
	v_smfmac_f32_16x16x64_fp8_fp8 v[0:3], v[28:29], v[54:57], v33 cbsz:7 abid:1
	ds_read2_b32 v[28:29], v30 offset1:32
	ds_read2_b32 v[30:31], v30 offset0:64 offset1:96
	s_or_b64 s[8:9], vcc, s[8:9]
	ds_write_b32 v47, v48 offset:14348
	s_waitcnt lgkmcnt(3)
	v_smfmac_f32_16x16x64_fp8_fp8 v[0:3], v[14:15], v[50:53], v33 cbsz:7 abid:1
	v_add_u32_e32 v14, s19, v46
	v_add_u32_e32 v15, 2, v32
	v_cmp_lt_i32_e32 vcc, 0, v14
	s_waitcnt lgkmcnt(1)
	v_smfmac_f32_16x16x64_fp8_fp8 v[0:3], v[12:13], v[28:31], v33 cbsz:7 abid:1
	v_cndmask_b32_e32 v32, v32, v15, vcc
	s_andn2_b64 exec, exec, s[8:9]
	s_cbranch_execz .LBB66_25
.LBB66_13:                              ;   Parent Loop BB66_7 Depth=1
                                        ; =>  This Loop Header: Depth=2
                                        ;       Child Loop BB66_15 Depth 3
                                        ;       Child Loop BB66_18 Depth 3
	;; [unrolled: 1-line block ×4, first 2 shown]
	v_cmp_lt_i32_e32 vcc, 0, v14
	s_nop 1
	v_subbrev_co_u32_e32 v46, vcc, 0, v14, vcc
	v_lshlrev_b32_e32 v12, 2, v46
	ds_read_b32 v13, v12 offset:14336
	v_add_u32_e32 v49, 0x3800, v12
	s_waitcnt lgkmcnt(0)
	v_cmp_ne_u32_e32 vcc, v13, v32
	s_and_saveexec_b64 s[10:11], vcc
	s_cbranch_execz .LBB66_16
; %bb.14:                               ;   in Loop: Header=BB66_13 Depth=2
	s_mov_b64 s[40:41], 0
.LBB66_15:                              ;   Parent Loop BB66_7 Depth=1
                                        ;     Parent Loop BB66_13 Depth=2
                                        ; =>    This Inner Loop Header: Depth=3
	;;#ASMSTART
	s_sleep 0
	;;#ASMEND
	ds_read_b32 v12, v49
	s_waitcnt lgkmcnt(0)
	v_cmp_eq_u32_e32 vcc, v12, v32
	s_or_b64 s[40:41], vcc, s[40:41]
	s_andn2_b64 exec, exec, s[40:41]
	s_cbranch_execnz .LBB66_15
.LBB66_16:                              ;   in Loop: Header=BB66_13 Depth=2
	s_or_b64 exec, exec, s[10:11]
	v_lshl_add_u32 v12, v46, 11, v34
	ds_read2_b32 v[30:31], v12 offset1:32
	ds_read2_b32 v[28:29], v12 offset0:128 offset1:160
	v_add_u32_e32 v12, 0x400, v12
	v_mul_lo_u32 v47, v46, 12
	ds_read2_b32 v[14:15], v12 offset1:32
	ds_read2_b32 v[12:13], v12 offset0:128 offset1:160
	;;#ASMSTART
	s_waitcnt lgkmcnt(0)
	;;#ASMEND
	ds_read_b32 v50, v47 offset:14340
	v_add_u32_e32 v48, 1, v32
	ds_write_b32 v49, v48
	s_waitcnt lgkmcnt(1)
	v_cmp_ne_u32_e32 vcc, v50, v32
	s_and_saveexec_b64 s[10:11], vcc
	s_cbranch_execz .LBB66_19
; %bb.17:                               ;   in Loop: Header=BB66_13 Depth=2
	s_mov_b64 s[40:41], 0
.LBB66_18:                              ;   Parent Loop BB66_7 Depth=1
                                        ;     Parent Loop BB66_13 Depth=2
                                        ; =>    This Inner Loop Header: Depth=3
	;;#ASMSTART
	s_sleep 0
	;;#ASMEND
	ds_read_b32 v49, v47 offset:14340
	s_waitcnt lgkmcnt(0)
	v_cmp_eq_u32_e32 vcc, v49, v32
	s_or_b64 s[40:41], vcc, s[40:41]
	s_andn2_b64 exec, exec, s[40:41]
	s_cbranch_execnz .LBB66_18
.LBB66_19:                              ;   in Loop: Header=BB66_13 Depth=2
	s_or_b64 exec, exec, s[10:11]
	v_mul_lo_u32 v49, v46, s46
	v_or_b32_e32 v58, v35, v49
	ds_read2_b32 v[50:51], v58 offset1:32
	ds_read2_b32 v[52:53], v58 offset0:64 offset1:96
	v_add_u32_e32 v56, 0x400, v58
	ds_read2_b32 v[54:55], v56 offset1:32
	ds_read2_b32 v[56:57], v56 offset0:64 offset1:96
	s_waitcnt lgkmcnt(2)
	v_smfmac_f32_16x16x64_fp8_fp8 v[8:11], v[30:31], v[50:53], v33 cbsz:7 abid:1
	v_add_u32_e32 v52, 0x800, v58
	ds_read2_b32 v[50:51], v52 offset1:32
	ds_read2_b32 v[52:53], v52 offset0:64 offset1:96
	s_waitcnt lgkmcnt(2)
	v_smfmac_f32_16x16x64_fp8_fp8 v[8:11], v[28:29], v[54:57], v33 cbsz:7 abid:1
	v_add_u32_e32 v56, 0xc00, v58
	ds_read2_b32 v[54:55], v56 offset1:32
	s_waitcnt lgkmcnt(1)
	v_smfmac_f32_16x16x64_fp8_fp8 v[8:11], v[14:15], v[50:53], v33 cbsz:7 abid:1
	ds_read2_b32 v[56:57], v56 offset0:64 offset1:96
	ds_read_b32 v50, v47 offset:14344
	ds_write_b32 v47, v48 offset:14340
	s_waitcnt lgkmcnt(1)
	v_cmp_ne_u32_e32 vcc, v50, v32
	v_smfmac_f32_16x16x64_fp8_fp8 v[8:11], v[12:13], v[54:57], v33 cbsz:7 abid:1
	s_and_saveexec_b64 s[10:11], vcc
	s_cbranch_execz .LBB66_22
; %bb.20:                               ;   in Loop: Header=BB66_13 Depth=2
	s_mov_b64 s[40:41], 0
.LBB66_21:                              ;   Parent Loop BB66_7 Depth=1
                                        ;     Parent Loop BB66_13 Depth=2
                                        ; =>    This Inner Loop Header: Depth=3
	;;#ASMSTART
	s_sleep 0
	;;#ASMEND
	ds_read_b32 v50, v47 offset:14344
	s_waitcnt lgkmcnt(0)
	v_cmp_eq_u32_e32 vcc, v50, v32
	s_or_b64 s[40:41], vcc, s[40:41]
	s_andn2_b64 exec, exec, s[40:41]
	s_cbranch_execnz .LBB66_21
.LBB66_22:                              ;   in Loop: Header=BB66_13 Depth=2
	s_or_b64 exec, exec, s[10:11]
	v_add_u32_e32 v49, v35, v49
	v_add_u32_e32 v52, 0x1000, v49
	ds_read2_b32 v[50:51], v52 offset1:32
	ds_read2_b32 v[52:53], v52 offset0:64 offset1:96
	v_add_u32_e32 v56, 0x1400, v49
	ds_read2_b32 v[54:55], v56 offset1:32
	ds_read2_b32 v[56:57], v56 offset0:64 offset1:96
	s_waitcnt lgkmcnt(2)
	v_smfmac_f32_16x16x64_fp8_fp8 v[4:7], v[30:31], v[50:53], v33 cbsz:7 abid:1
	v_add_u32_e32 v52, 0x1800, v49
	ds_read2_b32 v[50:51], v52 offset1:32
	ds_read2_b32 v[52:53], v52 offset0:64 offset1:96
	s_waitcnt lgkmcnt(2)
	v_smfmac_f32_16x16x64_fp8_fp8 v[4:7], v[28:29], v[54:57], v33 cbsz:7 abid:1
	v_add_u32_e32 v56, 0x1c00, v49
	ds_read2_b32 v[54:55], v56 offset1:32
	s_waitcnt lgkmcnt(1)
	v_smfmac_f32_16x16x64_fp8_fp8 v[4:7], v[14:15], v[50:53], v33 cbsz:7 abid:1
	ds_read2_b32 v[56:57], v56 offset0:64 offset1:96
	ds_read_b32 v50, v47 offset:14348
	ds_write_b32 v47, v48 offset:14344
	s_waitcnt lgkmcnt(1)
	v_cmp_ne_u32_e32 vcc, v50, v32
	v_smfmac_f32_16x16x64_fp8_fp8 v[4:7], v[12:13], v[54:57], v33 cbsz:7 abid:1
	s_and_saveexec_b64 s[10:11], vcc
	s_cbranch_execz .LBB66_12
; %bb.23:                               ;   in Loop: Header=BB66_13 Depth=2
	s_mov_b64 s[40:41], 0
.LBB66_24:                              ;   Parent Loop BB66_7 Depth=1
                                        ;     Parent Loop BB66_13 Depth=2
                                        ; =>    This Inner Loop Header: Depth=3
	;;#ASMSTART
	s_sleep 0
	;;#ASMEND
	ds_read_b32 v50, v47 offset:14348
	s_waitcnt lgkmcnt(0)
	v_cmp_eq_u32_e32 vcc, v50, v32
	s_or_b64 s[40:41], vcc, s[40:41]
	s_andn2_b64 exec, exec, s[40:41]
	s_cbranch_execnz .LBB66_24
	s_branch .LBB66_12
.LBB66_25:                              ;   in Loop: Header=BB66_7 Depth=1
	s_or_b64 exec, exec, s[8:9]
.LBB66_26:                              ;   in Loop: Header=BB66_7 Depth=1
	s_or_b64 exec, exec, s[6:7]
	v_cmp_le_i32_e32 vcc, s35, v16
	v_mov_b32_e32 v28, v9
	v_mov_b32_e32 v29, v10
	;; [unrolled: 1-line block ×3, first 2 shown]
	s_waitcnt vmcnt(0)
	v_cndmask_b32_e32 v12, 0, v20, vcc
	v_pk_add_f32 v[8:9], v[28:29], v[8:9]
	v_cmp_eq_u32_e32 vcc, 1, v36
	v_pk_mul_f32 v[8:9], v[12:13], v[8:9] op_sel_hi:[0,1]
	v_cmp_eq_u32_e64 s[6:7], 2, v36
	v_cndmask_b32_e32 v12, v8, v9, vcc
	v_cmp_le_i32_e64 s[10:11], s35, v37
	v_mov_b32_e32 v28, v5
	v_mov_b32_e32 v29, v6
	;; [unrolled: 1-line block ×3, first 2 shown]
	v_cndmask_b32_e64 v10, v12, v10, s[6:7]
	v_cndmask_b32_e64 v12, 0, v20, s[10:11]
	v_pk_add_f32 v[4:5], v[28:29], v[4:5]
	v_cmp_eq_u32_e64 s[8:9], 3, v36
	v_pk_mul_f32 v[4:5], v[12:13], v[4:5] op_sel_hi:[0,1]
	v_mov_b32_e32 v28, v1
	v_cndmask_b32_e64 v10, v10, v11, s[8:9]
	v_cndmask_b32_e32 v11, v4, v5, vcc
	v_cmp_le_i32_e32 vcc, s35, v38
	v_mov_b32_e32 v29, v2
	v_mov_b32_e32 v1, v3
	v_cndmask_b32_e32 v12, 0, v20, vcc
	v_pk_add_f32 v[0:1], v[28:29], v[0:1]
	v_cndmask_b32_e64 v6, v11, v6, s[6:7]
	v_pk_mul_f32 v[0:1], v[12:13], v[0:1] op_sel_hi:[0,1]
	v_cmp_ne_u32_e32 vcc, 0, v36
	v_cndmask_b32_e64 v6, v6, v7, s[8:9]
	ds_bpermute_b32 v10, v44, v10
	v_cndmask_b32_e32 v7, v0, v1, vcc
	v_cndmask_b32_e64 v2, v7, v2, s[6:7]
	v_cndmask_b32_e64 v2, v2, v3, s[8:9]
	ds_bpermute_b32 v6, v44, v6
	ds_bpermute_b32 v2, v44, v2
	v_cmp_lt_i32_e32 vcc, s58, v39
	s_and_saveexec_b64 s[8:9], vcc
	s_cbranch_execz .LBB66_28
; %bb.27:                               ;   in Loop: Header=BB66_7 Depth=1
	s_mul_i32 s6, s56, s13
	s_ashr_i32 s7, s6, 31
	s_lshl_b64 s[6:7], s[6:7], 1
	s_add_u32 s10, s24, s6
	s_addc_u32 s11, s25, s7
	s_ashr_i32 s35, s34, 31
	s_lshl_b64 s[6:7], s[34:35], 1
	s_add_u32 s10, s10, s6
	s_addc_u32 s11, s11, s7
	v_cmp_ne_u32_e32 vcc, 0, v36
	v_cmp_eq_u32_e64 s[6:7], 0, v36
	v_lshlrev_b32_e32 v20, 1, v16
	s_waitcnt lgkmcnt(0)
	v_cndmask_b32_e32 v7, v1, v2, vcc
	v_cndmask_b32_e64 v11, v0, v2, s[6:7]
	v_cndmask_b32_e32 v0, v9, v10, vcc
	v_cndmask_b32_e64 v1, v8, v10, s[6:7]
	;; [unrolled: 2-line block ×3, first 2 shown]
	v_cvt_f16_f32_e32 v4, v1
	v_cvt_f16_f32_sdwa v5, v0 dst_sel:WORD_1 dst_unused:UNUSED_PAD src0_sel:DWORD
	v_lshl_add_u64 v[0:1], v[18:19], 1, s[10:11]
	v_lshl_add_u64 v[0:1], v[0:1], 0, v[20:21]
	v_cvt_f16_f32_e32 v6, v11
	v_or_b32_e32 v4, v5, v4
	;;#ASMSTART
	global_atomic_pk_add_f16 v[0:1], v4, off
	
	;;#ASMEND
	v_cvt_f16_f32_e32 v4, v3
	v_cvt_f16_f32_sdwa v5, v2 dst_sel:WORD_1 dst_unused:UNUSED_PAD src0_sel:DWORD
	v_cvt_f16_f32_sdwa v7, v7 dst_sel:WORD_1 dst_unused:UNUSED_PAD src0_sel:DWORD
	v_lshl_add_u64 v[2:3], v[0:1], 0, 32
	v_lshl_add_u64 v[0:1], v[0:1], 0, 64
	v_or_b32_e32 v4, v5, v4
	;;#ASMSTART
	global_atomic_pk_add_f16 v[2:3], v4, off
	
	;;#ASMEND
	v_or_b32_e32 v2, v7, v6
	;;#ASMSTART
	global_atomic_pk_add_f16 v[0:1], v2, off
	
	;;#ASMEND
.LBB66_28:                              ;   in Loop: Header=BB66_7 Depth=1
	s_or_b64 exec, exec, s[8:9]
	v_subrev_u32_e32 v45, s55, v45
.LBB66_29:                              ;   in Loop: Header=BB66_7 Depth=1
	s_or_b64 exec, exec, s[38:39]
.LBB66_30:                              ;   in Loop: Header=BB66_7 Depth=1
	s_andn2_saveexec_b64 s[6:7], s[36:37]
	s_cbranch_execz .LBB66_39
; %bb.31:                               ;   in Loop: Header=BB66_7 Depth=1
	s_mul_i32 s38, s55, 3
	v_cmp_gt_i32_e32 vcc, s38, v45
	s_and_saveexec_b64 s[8:9], vcc
	s_cbranch_execz .LBB66_38
; %bb.32:                               ;   in Loop: Header=BB66_7 Depth=1
	s_mul_i32 s10, s34, s15
	s_ashr_i32 s11, s10, 31
	s_waitcnt lgkmcnt(0)
	s_add_u32 s10, s22, s10
	s_addc_u32 s11, s23, s11
	s_ashr_i32 s34, s57, 31
	s_add_u32 s10, s10, s57
	s_addc_u32 s11, s11, s34
	v_lshl_add_u64 v[0:1], s[10:11], 0, v[24:25]
	v_lshl_add_u64 v[28:29], v[0:1], 0, v[22:23]
	s_mov_b64 s[10:11], 0
	s_branch .LBB66_34
.LBB66_33:                              ;   in Loop: Header=BB66_34 Depth=2
	s_or_b64 exec, exec, s[34:35]
	v_lshl_or_b32 v31, v20, 12, v40
	;;#ASMSTART
	s_waitcnt vmcnt(3)
	;;#ASMEND
	ds_write2_b32 v31, v12, v13 offset1:32
	ds_write2_b32 v31, v14, v15 offset0:64 offset1:96
	v_add_u32_e32 v12, 0x400, v31
	;;#ASMSTART
	s_waitcnt vmcnt(2)
	;;#ASMEND
	ds_write2_b32 v12, v8, v9 offset1:32
	ds_write2_b32 v12, v10, v11 offset0:64 offset1:96
	v_add_u32_e32 v8, 0x800, v31
	;; [unrolled: 6-line block ×3, first 2 shown]
	v_add_u32_e32 v45, s18, v45
	;;#ASMSTART
	s_waitcnt vmcnt(0)
	;;#ASMEND
	ds_write2_b32 v4, v0, v1 offset1:32
	ds_write2_b32 v4, v2, v3 offset0:64 offset1:96
	v_add_u32_e32 v0, 1, v32
	v_add_u32_e32 v14, s18, v20
	v_cmp_le_i32_e32 vcc, s38, v45
	ds_write_b32 v30, v0 offset:4
	v_add_u32_e32 v0, 2, v32
	s_or_b64 s[10:11], vcc, s[10:11]
	v_cmp_lt_i32_e32 vcc, 2, v14
	s_nop 1
	v_cndmask_b32_e32 v32, v32, v0, vcc
	s_andn2_b64 exec, exec, s[10:11]
	s_cbranch_execz .LBB66_37
.LBB66_34:                              ;   Parent Loop BB66_7 Depth=1
                                        ; =>  This Loop Header: Depth=2
                                        ;       Child Loop BB66_36 Depth 3
	v_cmp_gt_i32_e32 vcc, 3, v14
	s_nop 1
	v_cndmask_b32_e64 v0, -3, 0, vcc
	v_add_u32_e32 v20, v0, v14
	v_mul_hi_i32 v0, v45, s54
	v_lshrrev_b32_e32 v1, 31, v0
	v_add_u32_e32 v0, v0, v1
	v_lshl_add_u32 v1, v0, 1, v0
	v_sub_u32_e32 v2, v45, v1
	v_lshlrev_b32_e32 v0, 8, v0
	v_ashrrev_i32_e32 v1, 31, v0
	v_mul_lo_u32 v2, s47, v2
	v_lshl_add_u64 v[0:1], v[28:29], 0, v[0:1]
	v_ashrrev_i32_e32 v3, 31, v2
	v_lshl_add_u64 v[0:1], v[0:1], 0, v[2:3]
	v_lshlrev_b32_e32 v30, 2, v20
	;;#ASMSTART
	global_load_dwordx4 v[12:15], v[0:1], off offset:0    sc0 sc1 nt  
	global_load_dwordx4 v[8:11], v[0:1], off offset:64   sc0 sc1 nt  
	global_load_dwordx4 v[4:7], v[0:1], off offset:128  sc0 sc1 nt  
	global_load_dwordx4 v[0:3], v[0:1], off offset:192  sc0 sc1 nt  
	
	;;#ASMEND
	ds_read_b32 v31, v30 offset:14340
	v_add_u32_e32 v30, 0x3800, v30
	s_waitcnt lgkmcnt(0)
	v_cmp_ne_u32_e32 vcc, v31, v32
	s_and_saveexec_b64 s[34:35], vcc
	s_cbranch_execz .LBB66_33
; %bb.35:                               ;   in Loop: Header=BB66_34 Depth=2
	s_mov_b64 s[36:37], 0
.LBB66_36:                              ;   Parent Loop BB66_7 Depth=1
                                        ;     Parent Loop BB66_34 Depth=2
                                        ; =>    This Inner Loop Header: Depth=3
	;;#ASMSTART
	s_sleep 0
	;;#ASMEND
	ds_read_b32 v31, v30 offset:4
	s_waitcnt lgkmcnt(0)
	v_cmp_eq_u32_e32 vcc, v31, v32
	s_or_b64 s[36:37], vcc, s[36:37]
	s_andn2_b64 exec, exec, s[36:37]
	s_cbranch_execnz .LBB66_36
	s_branch .LBB66_33
.LBB66_37:                              ;   in Loop: Header=BB66_7 Depth=1
	s_or_b64 exec, exec, s[10:11]
.LBB66_38:                              ;   in Loop: Header=BB66_7 Depth=1
	s_or_b64 exec, exec, s[8:9]
	v_subrev_u32_e32 v45, s38, v45
.LBB66_39:                              ;   in Loop: Header=BB66_7 Depth=1
	s_or_b64 exec, exec, s[6:7]
.LBB66_40:                              ;   in Loop: Header=BB66_7 Depth=1
	s_andn2_saveexec_b64 s[6:7], s[30:31]
	s_cbranch_execz .LBB66_6
; %bb.41:                               ;   in Loop: Header=BB66_7 Depth=1
	v_cmp_gt_i32_e32 vcc, s55, v45
	s_and_saveexec_b64 s[8:9], vcc
	s_cbranch_execz .LBB66_5
; %bb.42:                               ;   in Loop: Header=BB66_7 Depth=1
	s_mul_i32 s56, s56, s14
	s_ashr_i32 s10, s56, 31
	s_waitcnt lgkmcnt(0)
	s_add_u32 s11, s20, s56
	s_addc_u32 s30, s21, s10
	s_ashr_i32 s31, s57, 31
	v_cmp_le_i32_e32 vcc, s58, v42
	s_add_u32 s10, s11, s57
	s_addc_u32 s11, s30, s31
	v_cndmask_b32_e32 v0, 0, v43, vcc
	v_ashrrev_i32_e32 v1, 31, v0
	v_lshl_add_u64 v[0:1], s[10:11], 0, v[0:1]
	v_lshlrev_b32_e32 v2, 8, v45
	v_lshl_add_u64 v[0:1], v[0:1], 0, v[26:27]
	v_ashrrev_i32_e32 v3, 31, v2
	v_lshl_add_u64 v[8:9], v[0:1], 0, v[2:3]
	s_mov_b64 s[10:11], 0
	s_branch .LBB66_44
.LBB66_43:                              ;   in Loop: Header=BB66_44 Depth=2
	s_or_b64 exec, exec, s[30:31]
	;;#ASMSTART
	s_waitcnt vmcnt(1)
	v_pack_b32_f16 v12, v4, v5, op_sel:[0,0]
	v_pack_b32_f16 v13, v4, v5, op_sel:[1,1]
	;; [unrolled: 1-line block ×4, first 2 shown]
	v_swap_b32 v12, v4
	v_swap_b32 v13, v6
	;; [unrolled: 1-line block ×4, first 2 shown]
	;;#ASMEND
	v_add_u32_e32 v45, s17, v45
	v_lshl_add_u32 v12, v10, 11, v41
	ds_write2_b32 v12, v4, v5 offset1:32
	ds_write2_b32 v12, v6, v7 offset0:64 offset1:96
	;;#ASMSTART
	s_waitcnt vmcnt(0)
	v_pack_b32_f16 v4, v0, v1, op_sel:[0,0]
	v_pack_b32_f16 v5, v0, v1, op_sel:[1,1]
	;; [unrolled: 1-line block ×4, first 2 shown]
	v_swap_b32 v4, v0
	v_swap_b32 v5, v2
	;; [unrolled: 1-line block ×4, first 2 shown]
	;;#ASMEND
	v_add_u32_e32 v14, s17, v10
	v_add_u32_e32 v4, 0x400, v12
	ds_write2_b32 v4, v0, v1 offset1:32
	ds_write2_b32 v4, v2, v3 offset0:64 offset1:96
	v_add_u32_e32 v0, 1, v32
	v_cmp_le_i32_e32 vcc, s55, v45
	ds_write_b32 v11, v0
	v_add_u32_e32 v0, 2, v32
	s_or_b64 s[10:11], vcc, s[10:11]
	v_cmp_lt_i32_e32 vcc, 0, v14
	v_lshl_add_u64 v[8:9], v[8:9], 0, s[28:29]
	s_nop 0
	v_cndmask_b32_e32 v32, v32, v0, vcc
	s_andn2_b64 exec, exec, s[10:11]
	s_cbranch_execz .LBB66_4
.LBB66_44:                              ;   Parent Loop BB66_7 Depth=1
                                        ; =>  This Loop Header: Depth=2
                                        ;       Child Loop BB66_46 Depth 3
	v_cmp_lt_i32_e32 vcc, 0, v14
	;;#ASMSTART
	global_load_dwordx4 v[4:7], v[8:9], off offset:0  
	global_load_dwordx4 v[0:3], v[8:9], off offset:128
	
	;;#ASMEND
	s_nop 1
	v_subbrev_co_u32_e32 v10, vcc, 0, v14, vcc
	v_lshlrev_b32_e32 v11, 2, v10
	ds_read_b32 v12, v11 offset:14336
	v_add_u32_e32 v11, 0x3800, v11
	s_waitcnt lgkmcnt(0)
	v_cmp_ne_u32_e32 vcc, v12, v32
	s_and_saveexec_b64 s[30:31], vcc
	s_cbranch_execz .LBB66_43
; %bb.45:                               ;   in Loop: Header=BB66_44 Depth=2
	s_mov_b64 s[34:35], 0
.LBB66_46:                              ;   Parent Loop BB66_7 Depth=1
                                        ;     Parent Loop BB66_44 Depth=2
                                        ; =>    This Inner Loop Header: Depth=3
	;;#ASMSTART
	s_sleep 0
	;;#ASMEND
	ds_read_b32 v12, v11
	s_waitcnt lgkmcnt(0)
	v_cmp_eq_u32_e32 vcc, v12, v32
	s_or_b64 s[34:35], vcc, s[34:35]
	s_andn2_b64 exec, exec, s[34:35]
	s_cbranch_execnz .LBB66_46
	s_branch .LBB66_43
.LBB66_47:
	s_endpgm
	.section	.rodata,"a",@progbits
	.p2align	6, 0x0
	.amdhsa_kernel _Z19_skinny_gemm_kernelILi1ELi3ELi1ELi8ELi4EEvPKhS1_P6__halfPKfiiiiiiii
		.amdhsa_group_segment_fixed_size 14352
		.amdhsa_private_segment_fixed_size 0
		.amdhsa_kernarg_size 64
		.amdhsa_user_sgpr_count 2
		.amdhsa_user_sgpr_dispatch_ptr 0
		.amdhsa_user_sgpr_queue_ptr 0
		.amdhsa_user_sgpr_kernarg_segment_ptr 1
		.amdhsa_user_sgpr_dispatch_id 0
		.amdhsa_user_sgpr_kernarg_preload_length 0
		.amdhsa_user_sgpr_kernarg_preload_offset 0
		.amdhsa_user_sgpr_private_segment_size 0
		.amdhsa_uses_dynamic_stack 0
		.amdhsa_enable_private_segment 0
		.amdhsa_system_sgpr_workgroup_id_x 1
		.amdhsa_system_sgpr_workgroup_id_y 0
		.amdhsa_system_sgpr_workgroup_id_z 0
		.amdhsa_system_sgpr_workgroup_info 0
		.amdhsa_system_vgpr_workitem_id 0
		.amdhsa_next_free_vgpr 59
		.amdhsa_next_free_sgpr 59
		.amdhsa_accum_offset 60
		.amdhsa_reserve_vcc 1
		.amdhsa_float_round_mode_32 0
		.amdhsa_float_round_mode_16_64 0
		.amdhsa_float_denorm_mode_32 3
		.amdhsa_float_denorm_mode_16_64 3
		.amdhsa_dx10_clamp 1
		.amdhsa_ieee_mode 1
		.amdhsa_fp16_overflow 0
		.amdhsa_tg_split 0
		.amdhsa_exception_fp_ieee_invalid_op 0
		.amdhsa_exception_fp_denorm_src 0
		.amdhsa_exception_fp_ieee_div_zero 0
		.amdhsa_exception_fp_ieee_overflow 0
		.amdhsa_exception_fp_ieee_underflow 0
		.amdhsa_exception_fp_ieee_inexact 0
		.amdhsa_exception_int_div_zero 0
	.end_amdhsa_kernel
	.section	.text._Z19_skinny_gemm_kernelILi1ELi3ELi1ELi8ELi4EEvPKhS1_P6__halfPKfiiiiiiii,"axG",@progbits,_Z19_skinny_gemm_kernelILi1ELi3ELi1ELi8ELi4EEvPKhS1_P6__halfPKfiiiiiiii,comdat
.Lfunc_end66:
	.size	_Z19_skinny_gemm_kernelILi1ELi3ELi1ELi8ELi4EEvPKhS1_P6__halfPKfiiiiiiii, .Lfunc_end66-_Z19_skinny_gemm_kernelILi1ELi3ELi1ELi8ELi4EEvPKhS1_P6__halfPKfiiiiiiii
                                        ; -- End function
	.set _Z19_skinny_gemm_kernelILi1ELi3ELi1ELi8ELi4EEvPKhS1_P6__halfPKfiiiiiiii.num_vgpr, 59
	.set _Z19_skinny_gemm_kernelILi1ELi3ELi1ELi8ELi4EEvPKhS1_P6__halfPKfiiiiiiii.num_agpr, 0
	.set _Z19_skinny_gemm_kernelILi1ELi3ELi1ELi8ELi4EEvPKhS1_P6__halfPKfiiiiiiii.numbered_sgpr, 59
	.set _Z19_skinny_gemm_kernelILi1ELi3ELi1ELi8ELi4EEvPKhS1_P6__halfPKfiiiiiiii.num_named_barrier, 0
	.set _Z19_skinny_gemm_kernelILi1ELi3ELi1ELi8ELi4EEvPKhS1_P6__halfPKfiiiiiiii.private_seg_size, 0
	.set _Z19_skinny_gemm_kernelILi1ELi3ELi1ELi8ELi4EEvPKhS1_P6__halfPKfiiiiiiii.uses_vcc, 1
	.set _Z19_skinny_gemm_kernelILi1ELi3ELi1ELi8ELi4EEvPKhS1_P6__halfPKfiiiiiiii.uses_flat_scratch, 0
	.set _Z19_skinny_gemm_kernelILi1ELi3ELi1ELi8ELi4EEvPKhS1_P6__halfPKfiiiiiiii.has_dyn_sized_stack, 0
	.set _Z19_skinny_gemm_kernelILi1ELi3ELi1ELi8ELi4EEvPKhS1_P6__halfPKfiiiiiiii.has_recursion, 0
	.set _Z19_skinny_gemm_kernelILi1ELi3ELi1ELi8ELi4EEvPKhS1_P6__halfPKfiiiiiiii.has_indirect_call, 0
	.section	.AMDGPU.csdata,"",@progbits
; Kernel info:
; codeLenInByte = 3776
; TotalNumSgprs: 65
; NumVgprs: 59
; NumAgprs: 0
; TotalNumVgprs: 59
; ScratchSize: 0
; MemoryBound: 0
; FloatMode: 240
; IeeeMode: 1
; LDSByteSize: 14352 bytes/workgroup (compile time only)
; SGPRBlocks: 8
; VGPRBlocks: 7
; NumSGPRsForWavesPerEU: 65
; NumVGPRsForWavesPerEU: 59
; AccumOffset: 60
; Occupancy: 8
; WaveLimiterHint : 0
; COMPUTE_PGM_RSRC2:SCRATCH_EN: 0
; COMPUTE_PGM_RSRC2:USER_SGPR: 2
; COMPUTE_PGM_RSRC2:TRAP_HANDLER: 0
; COMPUTE_PGM_RSRC2:TGID_X_EN: 1
; COMPUTE_PGM_RSRC2:TGID_Y_EN: 0
; COMPUTE_PGM_RSRC2:TGID_Z_EN: 0
; COMPUTE_PGM_RSRC2:TIDIG_COMP_CNT: 0
; COMPUTE_PGM_RSRC3_GFX90A:ACCUM_OFFSET: 14
; COMPUTE_PGM_RSRC3_GFX90A:TG_SPLIT: 0
	.section	.text._Z19_skinny_gemm_kernelILi1ELi3ELi1ELi8ELi8EEvPKhS1_P6__halfPKfiiiiiiii,"axG",@progbits,_Z19_skinny_gemm_kernelILi1ELi3ELi1ELi8ELi8EEvPKhS1_P6__halfPKfiiiiiiii,comdat
	.protected	_Z19_skinny_gemm_kernelILi1ELi3ELi1ELi8ELi8EEvPKhS1_P6__halfPKfiiiiiiii ; -- Begin function _Z19_skinny_gemm_kernelILi1ELi3ELi1ELi8ELi8EEvPKhS1_P6__halfPKfiiiiiiii
	.globl	_Z19_skinny_gemm_kernelILi1ELi3ELi1ELi8ELi8EEvPKhS1_P6__halfPKfiiiiiiii
	.p2align	8
	.type	_Z19_skinny_gemm_kernelILi1ELi3ELi1ELi8ELi8EEvPKhS1_P6__halfPKfiiiiiiii,@function
_Z19_skinny_gemm_kernelILi1ELi3ELi1ELi8ELi8EEvPKhS1_P6__halfPKfiiiiiiii: ; @_Z19_skinny_gemm_kernelILi1ELi3ELi1ELi8ELi8EEvPKhS1_P6__halfPKfiiiiiiii
; %bb.0:
	v_cmp_gt_u32_e32 vcc, 4, v0
	v_lshlrev_b32_e32 v1, 2, v0
	s_and_saveexec_b64 s[4:5], vcc
; %bb.1:
	v_mov_b32_e32 v2, 0
	ds_write_b32 v1, v2 offset:28672
; %bb.2:
	s_or_b64 exec, exec, s[4:5]
	s_load_dwordx8 s[12:19], s[0:1], 0x20
	s_waitcnt lgkmcnt(0)
	s_barrier
	s_add_i32 s3, s12, 7
	s_ashr_i32 s5, s3, 31
	s_add_i32 s4, s13, 47
	s_lshr_b32 s5, s5, 29
	s_mul_hi_i32 s4, s4, 0x2aaaaaab
	s_add_i32 s3, s3, s5
	s_ashr_i32 s15, s3, 3
	s_lshr_b32 s3, s4, 31
	s_ashr_i32 s33, s4, 3
	s_add_i32 s33, s33, s3
	s_mul_i32 s3, s33, s15
	s_mul_i32 s3, s3, s16
	s_add_i32 s4, s3, 0x12f
	s_mul_hi_i32 s4, s4, 0x6bca1af3
	s_lshr_b32 s5, s4, 31
	s_ashr_i32 s4, s4, 7
	s_add_i32 s4, s4, s5
	s_add_i32 s5, s2, 1
	s_mul_i32 s5, s4, s5
	v_cvt_f64_i32_e32 v[2:3], s3
	v_cvt_f64_u32_e32 v[4:5], s5
	v_min_f64 v[2:3], v[2:3], v[4:5]
	v_cvt_i32_f64_e32 v13, v[2:3]
	s_mul_i32 s38, s4, s2
	v_cmp_ge_i32_e32 vcc, s38, v13
	s_cbranch_vccnz .LBB67_47
; %bb.3:
	v_lshrrev_b32_e32 v2, 6, v0
	s_add_i32 s4, s18, s17
	s_load_dwordx2 s[24:25], s[0:1], 0x0
	s_load_dwordx4 s[20:23], s[0:1], 0x10
	v_cmp_le_i32_e64 s[0:1], s4, v2
	v_mov_b32_e32 v3, s17
	v_cmp_le_i32_e64 s[2:3], s17, v2
	v_mov_b32_e32 v4, s18
	v_cndmask_b32_e64 v4, 0, v4, s[0:1]
	v_cndmask_b32_e64 v3, 0, v3, s[2:3]
	s_abs_i32 s5, s16
	v_add_u32_e32 v3, v3, v4
	v_cvt_f32_u32_e32 v4, s5
	v_sub_u32_e32 v22, v2, v3
	s_ashr_i32 s6, s14, 31
	s_lshr_b32 s6, s6, 23
	v_rcp_iflag_f32_e32 v3, v4
	s_sub_i32 s9, 0, s5
	s_add_i32 s6, s14, s6
	s_ashr_i32 s6, s6, 9
	v_mul_f32_e32 v3, 0x4f7ffffe, v3
	v_cvt_u32_f32_e32 v3, v3
	s_abs_i32 s8, s6
	s_xor_b32 s7, s6, s16
	s_ashr_i32 s7, s7, 31
	v_readfirstlane_b32 s10, v3
	s_mul_i32 s9, s9, s10
	s_mul_hi_u32 s9, s10, s9
	s_add_i32 s10, s10, s9
	s_mul_hi_u32 s9, s8, s10
	s_mul_i32 s10, s9, s5
	s_sub_i32 s8, s8, s10
	s_add_i32 s10, s9, 1
	s_sub_i32 s11, s8, s5
	s_cmp_ge_u32 s8, s5
	s_cselect_b32 s9, s10, s9
	s_cselect_b32 s8, s11, s8
	s_add_i32 s10, s9, 1
	s_cmp_ge_u32 s8, s5
	s_cselect_b32 s5, s10, s9
	s_xor_b32 s5, s5, s7
	s_sub_i32 s39, s5, s7
	s_add_i32 s16, s16, -1
	s_mul_i32 s5, s39, s16
	s_add_i32 s4, s4, s19
	s_sub_i32 s40, s6, s5
	v_cmp_gt_i32_e64 s[4:5], s4, v2
	v_and_b32_e32 v2, 1, v0
	v_lshlrev_b32_e32 v3, 1, v0
	v_and_b32_e32 v3, 0x7c, v3
	v_lshlrev_b32_e32 v4, 8, v2
	v_lshlrev_b32_e32 v5, 4, v0
	s_movk_i32 s41, 0x6000
	s_movk_i32 s6, 0x7c
	v_and_b32_e32 v6, 0x200, v5
	v_or3_b32 v38, v3, v4, s41
	v_lshrrev_b32_e32 v3, 3, v0
	v_cmp_eq_u32_e32 vcc, 0, v2
	v_and_or_b32 v39, v1, s6, v6
	v_lshlrev_b32_e32 v1, 1, v2
	v_and_or_b32 v2, v3, 6, v2
	v_lshlrev_b32_e32 v4, 7, v0
	v_and_b32_e32 v12, 14, v0
	v_bitop3_b32 v40, v0, 1, v0 bitop3:0xc
	v_sub_u32_e32 v1, v0, v1
	v_sub_u32_e32 v43, 8, v2
	v_mul_lo_u32 v14, s13, v2
	v_bfe_u32 v2, v0, 3, 3
	v_and_b32_e32 v4, 0x200, v4
	v_lshlrev_b32_e32 v0, 5, v0
	v_lshl_or_b32 v4, v2, 2, v4
	v_and_b32_e32 v0, 0x60, v0
	s_abs_i32 s42, s15
	v_or3_b32 v44, v4, v0, s41
	v_cvt_f32_u32_e32 v0, s42
	s_abs_i32 s44, s33
	v_mul_lo_u32 v46, s14, v2
	v_cvt_f32_u32_e32 v2, s44
	v_rcp_iflag_f32_e32 v0, v0
	s_sub_i32 s6, 0, s42
	v_add_u32_e32 v1, 1, v1
	v_rcp_iflag_f32_e32 v2, v2
	v_mul_f32_e32 v0, 0x4f7ffffe, v0
	v_cvt_u32_f32_e32 v0, v0
	v_and_b32_e32 v1, 63, v1
	v_mov_b32_e32 v7, 0xeeee
	v_mov_b32_e32 v8, 0x4444
	v_readfirstlane_b32 s7, v0
	v_mul_f32_e32 v0, 0x4f7ffffe, v2
	v_cvt_u32_f32_e32 v0, v0
	s_mul_i32 s6, s6, s7
	s_mul_hi_u32 s6, s7, s6
	s_add_i32 s46, s7, s6
	s_sub_i32 s6, 0, s44
	v_readfirstlane_b32 s7, v0
	v_mbcnt_lo_u32_b32 v0, -1, 0
	s_mul_i32 s6, s6, s7
	v_mbcnt_hi_u32_b32 v0, -1, v0
	v_mov_b32_e32 v17, 0
	s_mul_hi_u32 s6, s7, s6
	v_and_or_b32 v0, v0, 64, v1
	v_cndmask_b32_e64 v36, 0, 1, s[0:1]
	s_mov_b32 s27, 0
	v_cndmask_b32_e32 v37, v7, v8, vcc
	v_or_b32_e32 v41, 16, v12
	v_or_b32_e32 v42, 32, v12
	v_ashrrev_i32_e32 v15, 31, v14
	s_lshl_b32 s43, s39, 9
	v_bitop3_b32 v45, v3, 7, v3 bitop3:0xc
	v_and_b32_e32 v18, 0x70, v5
	v_mov_b32_e32 v19, v17
	s_lshl_b32 s26, s17, 9
	s_ashr_i32 s45, s15, 31
	s_ashr_i32 s47, s33, 31
	s_add_i32 s48, s7, s6
	v_lshlrev_b32_e32 v47, 2, v0
	v_mov_b32_e32 v48, v22
	s_branch .LBB67_7
.LBB67_4:                               ;   in Loop: Header=BB67_7 Depth=1
	s_or_b64 exec, exec, s[10:11]
.LBB67_5:                               ;   in Loop: Header=BB67_7 Depth=1
	s_or_b64 exec, exec, s[8:9]
	v_subrev_u32_e32 v48, s49, v48
.LBB67_6:                               ;   in Loop: Header=BB67_7 Depth=1
	s_or_b64 exec, exec, s[6:7]
	s_add_i32 s38, s38, 1
	v_cmp_ge_i32_e32 vcc, s38, v13
	s_cbranch_vccnz .LBB67_47
.LBB67_7:                               ; =>This Loop Header: Depth=1
                                        ;     Child Loop BB67_13 Depth 2
                                        ;       Child Loop BB67_15 Depth 3
                                        ;       Child Loop BB67_18 Depth 3
	;; [unrolled: 1-line block ×4, first 2 shown]
                                        ;     Child Loop BB67_34 Depth 2
                                        ;       Child Loop BB67_36 Depth 3
                                        ;     Child Loop BB67_44 Depth 2
                                        ;       Child Loop BB67_46 Depth 3
	s_abs_i32 s7, s38
	s_mul_hi_u32 s8, s7, s46
	s_mul_i32 s9, s8, s42
	s_ashr_i32 s6, s38, 31
	s_sub_i32 s7, s7, s9
	s_xor_b32 s6, s6, s45
	s_add_i32 s9, s8, 1
	s_sub_i32 s10, s7, s42
	s_cmp_ge_u32 s7, s42
	s_cselect_b32 s8, s9, s8
	s_cselect_b32 s7, s10, s7
	s_add_i32 s9, s8, 1
	s_cmp_ge_u32 s7, s42
	s_cselect_b32 s7, s9, s8
	s_xor_b32 s7, s7, s6
	s_sub_i32 s53, s7, s6
	s_abs_i32 s7, s53
	s_mul_i32 s6, s53, s15
	s_mul_hi_u32 s8, s7, s48
	s_sub_i32 s6, s38, s6
	s_mul_i32 s9, s8, s44
	s_lshl_b32 s50, s6, 3
	s_ashr_i32 s6, s53, 31
	s_sub_i32 s7, s7, s9
	s_xor_b32 s6, s6, s47
	s_add_i32 s9, s8, 1
	s_sub_i32 s10, s7, s44
	s_cmp_ge_u32 s7, s44
	s_cselect_b32 s8, s9, s8
	s_cselect_b32 s7, s10, s7
	s_add_i32 s9, s8, 1
	s_cmp_ge_u32 s7, s44
	s_cselect_b32 s7, s9, s8
	s_xor_b32 s7, s7, s6
	s_sub_i32 s52, s7, s6
	s_cmp_eq_u32 s52, s16
	s_cselect_b32 s49, s40, s39
	s_sub_i32 s51, s50, s12
	s_add_i32 s51, s51, 8
	s_and_saveexec_b64 s[6:7], s[2:3]
	s_xor_b64 s[28:29], exec, s[6:7]
	s_cbranch_execz .LBB67_40
; %bb.8:                                ;   in Loop: Header=BB67_7 Depth=1
	s_and_saveexec_b64 s[6:7], s[0:1]
	s_xor_b64 s[30:31], exec, s[6:7]
	s_cbranch_execz .LBB67_30
; %bb.9:                                ;   in Loop: Header=BB67_7 Depth=1
	s_and_saveexec_b64 s[34:35], s[4:5]
	s_cbranch_execz .LBB67_29
; %bb.10:                               ;   in Loop: Header=BB67_7 Depth=1
	s_waitcnt lgkmcnt(0)
	global_load_dword v16, v17, s[22:23]
	v_mov_b32_e32 v11, 0
	v_cmp_gt_i32_e32 vcc, s49, v48
	v_mov_b32_e32 v10, v11
	v_mov_b32_e32 v9, v11
	;; [unrolled: 1-line block ×11, first 2 shown]
	s_and_saveexec_b64 s[6:7], vcc
	s_cbranch_execz .LBB67_26
; %bb.11:                               ;   in Loop: Header=BB67_7 Depth=1
	v_mov_b32_e32 v0, 0
	s_mov_b64 s[8:9], 0
	v_mov_b32_e32 v1, v0
	v_mov_b32_e32 v2, v0
	;; [unrolled: 1-line block ×11, first 2 shown]
	s_branch .LBB67_13
.LBB67_12:                              ;   in Loop: Header=BB67_13 Depth=2
	s_or_b64 exec, exec, s[10:11]
	v_add_u32_e32 v53, 0x4000, v52
	ds_read2_b32 v[54:55], v53 offset1:32
	ds_read2_b32 v[56:57], v53 offset0:64 offset1:96
	v_add_u32_e32 v53, 0x4400, v52
	ds_read2_b32 v[58:59], v53 offset1:32
	ds_read2_b32 v[60:61], v53 offset0:64 offset1:96
	v_add_u32_e32 v48, s19, v48
	v_cmp_le_i32_e32 vcc, s49, v48
	s_waitcnt lgkmcnt(2)
	v_smfmac_f32_16x16x64_fp8_fp8 v[0:3], v[34:35], v[54:57], v37 cbsz:7 abid:1
	v_add_u32_e32 v34, 0x4800, v52
	ds_read2_b32 v[54:55], v34 offset1:32
	ds_read2_b32 v[56:57], v34 offset0:64 offset1:96
	v_add_u32_e32 v34, 0x4c00, v52
	s_waitcnt lgkmcnt(2)
	v_smfmac_f32_16x16x64_fp8_fp8 v[0:3], v[32:33], v[58:61], v37 cbsz:7 abid:1
	ds_read2_b32 v[32:33], v34 offset1:32
	ds_read2_b32 v[34:35], v34 offset0:64 offset1:96
	s_or_b64 s[8:9], vcc, s[8:9]
	s_waitcnt lgkmcnt(2)
	v_smfmac_f32_16x16x64_fp8_fp8 v[0:3], v[30:31], v[54:57], v37 cbsz:7 abid:1
	v_add_u32_e32 v30, 0x5000, v52
	ds_read2_b32 v[54:55], v30 offset1:32
	ds_read2_b32 v[56:57], v30 offset0:64 offset1:96
	v_add_u32_e32 v30, 0x5400, v52
	s_waitcnt lgkmcnt(2)
	v_smfmac_f32_16x16x64_fp8_fp8 v[0:3], v[28:29], v[32:35], v37 cbsz:7 abid:1
	ds_read2_b32 v[28:29], v30 offset1:32
	ds_read2_b32 v[30:31], v30 offset0:64 offset1:96
	s_waitcnt lgkmcnt(2)
	v_smfmac_f32_16x16x64_fp8_fp8 v[0:3], v[26:27], v[54:57], v37 cbsz:7 abid:1
	v_add_u32_e32 v26, 0x5800, v52
	ds_read2_b32 v[32:33], v26 offset1:32
	ds_read2_b32 v[34:35], v26 offset0:64 offset1:96
	v_add_u32_e32 v26, 0x5c00, v52
	s_waitcnt lgkmcnt(2)
	v_smfmac_f32_16x16x64_fp8_fp8 v[0:3], v[24:25], v[28:31], v37 cbsz:7 abid:1
	ds_read2_b32 v[24:25], v26 offset1:32
	ds_read2_b32 v[26:27], v26 offset0:64 offset1:96
	ds_write_b32 v50, v51 offset:28684
	s_waitcnt lgkmcnt(3)
	v_smfmac_f32_16x16x64_fp8_fp8 v[0:3], v[22:23], v[32:35], v37 cbsz:7 abid:1
	v_add_u32_e32 v22, s19, v49
	v_add_u32_e32 v23, 2, v36
	v_cmp_lt_i32_e32 vcc, 0, v22
	s_waitcnt lgkmcnt(1)
	v_smfmac_f32_16x16x64_fp8_fp8 v[0:3], v[20:21], v[24:27], v37 cbsz:7 abid:1
	v_cndmask_b32_e32 v36, v36, v23, vcc
	s_andn2_b64 exec, exec, s[8:9]
	s_cbranch_execz .LBB67_25
.LBB67_13:                              ;   Parent Loop BB67_7 Depth=1
                                        ; =>  This Loop Header: Depth=2
                                        ;       Child Loop BB67_15 Depth 3
                                        ;       Child Loop BB67_18 Depth 3
	;; [unrolled: 1-line block ×4, first 2 shown]
	v_cmp_lt_i32_e32 vcc, 0, v22
	s_nop 1
	v_subbrev_co_u32_e32 v49, vcc, 0, v22, vcc
	v_lshlrev_b32_e32 v20, 2, v49
	ds_read_b32 v21, v20 offset:28672
	v_add_u32_e32 v52, 0x7000, v20
	s_waitcnt lgkmcnt(0)
	v_cmp_ne_u32_e32 vcc, v21, v36
	s_and_saveexec_b64 s[10:11], vcc
	s_cbranch_execz .LBB67_16
; %bb.14:                               ;   in Loop: Header=BB67_13 Depth=2
	s_mov_b64 s[36:37], 0
.LBB67_15:                              ;   Parent Loop BB67_7 Depth=1
                                        ;     Parent Loop BB67_13 Depth=2
                                        ; =>    This Inner Loop Header: Depth=3
	;;#ASMSTART
	s_sleep 0
	;;#ASMEND
	ds_read_b32 v20, v52
	s_waitcnt lgkmcnt(0)
	v_cmp_eq_u32_e32 vcc, v20, v36
	s_or_b64 s[36:37], vcc, s[36:37]
	s_andn2_b64 exec, exec, s[36:37]
	s_cbranch_execnz .LBB67_15
.LBB67_16:                              ;   in Loop: Header=BB67_13 Depth=2
	s_or_b64 exec, exec, s[10:11]
	v_lshl_add_u32 v20, v49, 12, v38
	v_add_u32_e32 v21, 0x400, v20
	ds_read2_b32 v[34:35], v20 offset1:32
	ds_read2_b32 v[32:33], v20 offset0:128 offset1:160
	ds_read2_b32 v[30:31], v21 offset1:32
	ds_read2_b32 v[28:29], v21 offset0:128 offset1:160
	v_add_u32_e32 v21, 0x800, v20
	v_add_u32_e32 v20, 0xc00, v20
	v_mul_lo_u32 v50, v49, 12
	ds_read2_b32 v[26:27], v21 offset1:32
	ds_read2_b32 v[24:25], v21 offset0:128 offset1:160
	ds_read2_b32 v[22:23], v20 offset1:32
	ds_read2_b32 v[20:21], v20 offset0:128 offset1:160
	;;#ASMSTART
	s_waitcnt lgkmcnt(0)
	;;#ASMEND
	ds_read_b32 v53, v50 offset:28676
	v_add_u32_e32 v51, 1, v36
	ds_write_b32 v52, v51
	s_waitcnt lgkmcnt(1)
	v_cmp_ne_u32_e32 vcc, v53, v36
	s_and_saveexec_b64 s[10:11], vcc
	s_cbranch_execz .LBB67_19
; %bb.17:                               ;   in Loop: Header=BB67_13 Depth=2
	s_mov_b64 s[36:37], 0
.LBB67_18:                              ;   Parent Loop BB67_7 Depth=1
                                        ;     Parent Loop BB67_13 Depth=2
                                        ; =>    This Inner Loop Header: Depth=3
	;;#ASMSTART
	s_sleep 0
	;;#ASMEND
	ds_read_b32 v52, v50 offset:28676
	s_waitcnt lgkmcnt(0)
	v_cmp_eq_u32_e32 vcc, v52, v36
	s_or_b64 s[36:37], vcc, s[36:37]
	s_andn2_b64 exec, exec, s[36:37]
	s_cbranch_execnz .LBB67_18
.LBB67_19:                              ;   in Loop: Header=BB67_13 Depth=2
	s_or_b64 exec, exec, s[10:11]
	v_mul_lo_u32 v52, v49, s41
	v_or_b32_e32 v52, v39, v52
	ds_read2_b32 v[54:55], v52 offset1:32
	ds_read2_b32 v[56:57], v52 offset0:64 offset1:96
	v_add_u32_e32 v53, 0x400, v52
	ds_read2_b32 v[58:59], v53 offset1:32
	ds_read2_b32 v[60:61], v53 offset0:64 offset1:96
	v_add_u32_e32 v53, 0x800, v52
	s_waitcnt lgkmcnt(2)
	v_smfmac_f32_16x16x64_fp8_fp8 v[8:11], v[34:35], v[54:57], v37 cbsz:7 abid:1
	ds_read2_b32 v[54:55], v53 offset1:32
	ds_read2_b32 v[56:57], v53 offset0:64 offset1:96
	v_add_u32_e32 v53, 0xc00, v52
	s_waitcnt lgkmcnt(2)
	v_smfmac_f32_16x16x64_fp8_fp8 v[8:11], v[32:33], v[58:61], v37 cbsz:7 abid:1
	;; [unrolled: 5-line block ×6, first 2 shown]
	ds_read2_b32 v[58:59], v53 offset1:32
	ds_read2_b32 v[60:61], v53 offset0:64 offset1:96
	ds_read_b32 v53, v50 offset:28680
	ds_write_b32 v50, v51 offset:28676
	s_waitcnt lgkmcnt(4)
	v_smfmac_f32_16x16x64_fp8_fp8 v[8:11], v[22:23], v[54:57], v37 cbsz:7 abid:1
	s_waitcnt lgkmcnt(1)
	v_cmp_ne_u32_e32 vcc, v53, v36
	v_smfmac_f32_16x16x64_fp8_fp8 v[8:11], v[20:21], v[58:61], v37 cbsz:7 abid:1
	s_and_saveexec_b64 s[10:11], vcc
	s_cbranch_execz .LBB67_22
; %bb.20:                               ;   in Loop: Header=BB67_13 Depth=2
	s_mov_b64 s[36:37], 0
.LBB67_21:                              ;   Parent Loop BB67_7 Depth=1
                                        ;     Parent Loop BB67_13 Depth=2
                                        ; =>    This Inner Loop Header: Depth=3
	;;#ASMSTART
	s_sleep 0
	;;#ASMEND
	ds_read_b32 v53, v50 offset:28680
	s_waitcnt lgkmcnt(0)
	v_cmp_eq_u32_e32 vcc, v53, v36
	s_or_b64 s[36:37], vcc, s[36:37]
	s_andn2_b64 exec, exec, s[36:37]
	s_cbranch_execnz .LBB67_21
.LBB67_22:                              ;   in Loop: Header=BB67_13 Depth=2
	s_or_b64 exec, exec, s[10:11]
	v_add_u32_e32 v53, 0x2000, v52
	ds_read2_b32 v[54:55], v53 offset1:32
	ds_read2_b32 v[56:57], v53 offset0:64 offset1:96
	v_add_u32_e32 v53, 0x2400, v52
	ds_read2_b32 v[58:59], v53 offset1:32
	ds_read2_b32 v[60:61], v53 offset0:64 offset1:96
	v_add_u32_e32 v53, 0x2800, v52
	s_waitcnt lgkmcnt(2)
	v_smfmac_f32_16x16x64_fp8_fp8 v[4:7], v[34:35], v[54:57], v37 cbsz:7 abid:1
	ds_read2_b32 v[54:55], v53 offset1:32
	ds_read2_b32 v[56:57], v53 offset0:64 offset1:96
	v_add_u32_e32 v53, 0x2c00, v52
	s_waitcnt lgkmcnt(2)
	v_smfmac_f32_16x16x64_fp8_fp8 v[4:7], v[32:33], v[58:61], v37 cbsz:7 abid:1
	;; [unrolled: 5-line block ×6, first 2 shown]
	ds_read2_b32 v[58:59], v53 offset1:32
	ds_read2_b32 v[60:61], v53 offset0:64 offset1:96
	ds_read_b32 v53, v50 offset:28684
	ds_write_b32 v50, v51 offset:28680
	s_waitcnt lgkmcnt(4)
	v_smfmac_f32_16x16x64_fp8_fp8 v[4:7], v[22:23], v[54:57], v37 cbsz:7 abid:1
	s_waitcnt lgkmcnt(1)
	v_cmp_ne_u32_e32 vcc, v53, v36
	v_smfmac_f32_16x16x64_fp8_fp8 v[4:7], v[20:21], v[58:61], v37 cbsz:7 abid:1
	s_and_saveexec_b64 s[10:11], vcc
	s_cbranch_execz .LBB67_12
; %bb.23:                               ;   in Loop: Header=BB67_13 Depth=2
	s_mov_b64 s[36:37], 0
.LBB67_24:                              ;   Parent Loop BB67_7 Depth=1
                                        ;     Parent Loop BB67_13 Depth=2
                                        ; =>    This Inner Loop Header: Depth=3
	;;#ASMSTART
	s_sleep 0
	;;#ASMEND
	ds_read_b32 v53, v50 offset:28684
	s_waitcnt lgkmcnt(0)
	v_cmp_eq_u32_e32 vcc, v53, v36
	s_or_b64 s[36:37], vcc, s[36:37]
	s_andn2_b64 exec, exec, s[36:37]
	s_cbranch_execnz .LBB67_24
	s_branch .LBB67_12
.LBB67_25:                              ;   in Loop: Header=BB67_7 Depth=1
	s_or_b64 exec, exec, s[8:9]
.LBB67_26:                              ;   in Loop: Header=BB67_7 Depth=1
	s_or_b64 exec, exec, s[6:7]
	s_mul_i32 s6, s52, s33
	s_sub_i32 s36, s53, s6
	s_mul_i32 s36, s36, 48
	s_sub_i32 s37, s36, s13
	s_add_i32 s37, s37, 48
	v_cmp_le_i32_e32 vcc, s37, v12
	v_mov_b32_e32 v24, v9
	v_mov_b32_e32 v25, v10
	;; [unrolled: 1-line block ×3, first 2 shown]
	s_waitcnt vmcnt(0)
	v_cndmask_b32_e32 v20, 0, v16, vcc
	v_pk_add_f32 v[8:9], v[24:25], v[8:9]
	v_cmp_eq_u32_e32 vcc, 1, v40
	v_pk_mul_f32 v[8:9], v[20:21], v[8:9] op_sel_hi:[0,1]
	v_cmp_eq_u32_e64 s[6:7], 2, v40
	v_cndmask_b32_e32 v20, v8, v9, vcc
	v_cmp_le_i32_e64 s[10:11], s37, v41
	v_mov_b32_e32 v24, v5
	v_mov_b32_e32 v25, v6
	;; [unrolled: 1-line block ×3, first 2 shown]
	v_cndmask_b32_e64 v10, v20, v10, s[6:7]
	v_cndmask_b32_e64 v20, 0, v16, s[10:11]
	v_pk_add_f32 v[4:5], v[24:25], v[4:5]
	v_cmp_eq_u32_e64 s[8:9], 3, v40
	v_pk_mul_f32 v[4:5], v[20:21], v[4:5] op_sel_hi:[0,1]
	v_mov_b32_e32 v20, v1
	v_cndmask_b32_e64 v10, v10, v11, s[8:9]
	v_cndmask_b32_e32 v11, v4, v5, vcc
	v_cmp_le_i32_e32 vcc, s37, v42
	v_mov_b32_e32 v21, v2
	v_mov_b32_e32 v1, v3
	v_cndmask_b32_e32 v16, 0, v16, vcc
	v_pk_add_f32 v[0:1], v[20:21], v[0:1]
	v_cndmask_b32_e64 v6, v11, v6, s[6:7]
	v_pk_mul_f32 v[0:1], v[16:17], v[0:1] op_sel_hi:[0,1]
	v_cmp_ne_u32_e32 vcc, 0, v40
	v_cndmask_b32_e64 v6, v6, v7, s[8:9]
	ds_bpermute_b32 v10, v47, v10
	v_cndmask_b32_e32 v7, v0, v1, vcc
	v_cndmask_b32_e64 v2, v7, v2, s[6:7]
	v_cndmask_b32_e64 v2, v2, v3, s[8:9]
	ds_bpermute_b32 v6, v47, v6
	ds_bpermute_b32 v2, v47, v2
	v_cmp_lt_i32_e32 vcc, s51, v43
	s_and_saveexec_b64 s[8:9], vcc
	s_cbranch_execz .LBB67_28
; %bb.27:                               ;   in Loop: Header=BB67_7 Depth=1
	s_mul_i32 s10, s50, s13
	s_max_i32 s6, s37, 0
	s_ashr_i32 s11, s10, 31
	s_sub_i32 s6, s36, s6
	s_lshl_b64 s[10:11], s[10:11], 1
	s_add_u32 s10, s20, s10
	s_addc_u32 s11, s21, s11
	s_ashr_i32 s7, s6, 31
	s_lshl_b64 s[6:7], s[6:7], 1
	s_add_u32 s10, s10, s6
	s_addc_u32 s11, s11, s7
	v_cmp_ne_u32_e32 vcc, 0, v40
	v_cmp_eq_u32_e64 s[6:7], 0, v40
	v_lshlrev_b32_e32 v16, 1, v12
	s_waitcnt lgkmcnt(0)
	v_cndmask_b32_e32 v7, v1, v2, vcc
	v_cndmask_b32_e64 v11, v0, v2, s[6:7]
	v_cndmask_b32_e32 v0, v9, v10, vcc
	v_cndmask_b32_e64 v1, v8, v10, s[6:7]
	;; [unrolled: 2-line block ×3, first 2 shown]
	v_cvt_f16_f32_e32 v4, v1
	v_cvt_f16_f32_sdwa v5, v0 dst_sel:WORD_1 dst_unused:UNUSED_PAD src0_sel:DWORD
	v_lshl_add_u64 v[0:1], v[14:15], 1, s[10:11]
	v_lshl_add_u64 v[0:1], v[0:1], 0, v[16:17]
	v_cvt_f16_f32_e32 v6, v11
	v_or_b32_e32 v4, v5, v4
	;;#ASMSTART
	global_atomic_pk_add_f16 v[0:1], v4, off
	
	;;#ASMEND
	v_cvt_f16_f32_e32 v4, v3
	v_cvt_f16_f32_sdwa v5, v2 dst_sel:WORD_1 dst_unused:UNUSED_PAD src0_sel:DWORD
	v_cvt_f16_f32_sdwa v7, v7 dst_sel:WORD_1 dst_unused:UNUSED_PAD src0_sel:DWORD
	v_lshl_add_u64 v[2:3], v[0:1], 0, 32
	v_lshl_add_u64 v[0:1], v[0:1], 0, 64
	v_or_b32_e32 v4, v5, v4
	;;#ASMSTART
	global_atomic_pk_add_f16 v[2:3], v4, off
	
	;;#ASMEND
	v_or_b32_e32 v2, v7, v6
	;;#ASMSTART
	global_atomic_pk_add_f16 v[0:1], v2, off
	
	;;#ASMEND
.LBB67_28:                              ;   in Loop: Header=BB67_7 Depth=1
	s_or_b64 exec, exec, s[8:9]
	v_subrev_u32_e32 v48, s49, v48
.LBB67_29:                              ;   in Loop: Header=BB67_7 Depth=1
	s_or_b64 exec, exec, s[34:35]
.LBB67_30:                              ;   in Loop: Header=BB67_7 Depth=1
	s_andn2_saveexec_b64 s[6:7], s[30:31]
	s_cbranch_execz .LBB67_39
; %bb.31:                               ;   in Loop: Header=BB67_7 Depth=1
	s_mul_i32 s36, s49, 3
	v_cmp_gt_i32_e32 vcc, s36, v48
	s_and_saveexec_b64 s[8:9], vcc
	s_cbranch_execz .LBB67_38
; %bb.32:                               ;   in Loop: Header=BB67_7 Depth=1
	s_mov_b64 s[10:11], 0
	s_branch .LBB67_34
.LBB67_33:                              ;   in Loop: Header=BB67_34 Depth=2
	s_or_b64 exec, exec, s[30:31]
	v_add_u32_e32 v48, s18, v48
	v_add_u32_e32 v22, s18, v0
	v_cmp_le_i32_e32 vcc, s36, v48
	v_add_u32_e32 v0, 2, v36
	s_or_b64 s[10:11], vcc, s[10:11]
	v_cmp_lt_i32_e32 vcc, 2, v22
	v_add_u32_e32 v2, 1, v36
	;;#ASMSTART
	s_waitcnt vmcnt(3)
	;;#ASMEND
	;;#ASMSTART
	s_waitcnt vmcnt(2)
	;;#ASMEND
	;; [unrolled: 3-line block ×4, first 2 shown]
	s_nop 0
	v_cndmask_b32_e32 v36, v36, v0, vcc
	ds_write_b32 v1, v2 offset:4
	s_andn2_b64 exec, exec, s[10:11]
	s_cbranch_execz .LBB67_37
.LBB67_34:                              ;   Parent Loop BB67_7 Depth=1
                                        ; =>  This Loop Header: Depth=2
                                        ;       Child Loop BB67_36 Depth 3
	v_cmp_gt_i32_e32 vcc, 3, v22
	s_nop 1
	v_cndmask_b32_e64 v0, -3, 0, vcc
	v_add_u32_e32 v0, v0, v22
	v_lshlrev_b32_e32 v1, 2, v0
	s_waitcnt lgkmcnt(0)
	ds_read_b32 v2, v1 offset:28676
	v_add_u32_e32 v1, 0x7000, v1
	s_waitcnt lgkmcnt(0)
	v_cmp_ne_u32_e32 vcc, v2, v36
	s_and_saveexec_b64 s[30:31], vcc
	s_cbranch_execz .LBB67_33
; %bb.35:                               ;   in Loop: Header=BB67_34 Depth=2
	s_mov_b64 s[34:35], 0
.LBB67_36:                              ;   Parent Loop BB67_7 Depth=1
                                        ;     Parent Loop BB67_34 Depth=2
                                        ; =>    This Inner Loop Header: Depth=3
	;;#ASMSTART
	s_sleep 0
	;;#ASMEND
	ds_read_b32 v2, v1 offset:4
	s_waitcnt lgkmcnt(0)
	v_cmp_eq_u32_e32 vcc, v2, v36
	s_or_b64 s[34:35], vcc, s[34:35]
	s_andn2_b64 exec, exec, s[34:35]
	s_cbranch_execnz .LBB67_36
	s_branch .LBB67_33
.LBB67_37:                              ;   in Loop: Header=BB67_7 Depth=1
	s_or_b64 exec, exec, s[10:11]
.LBB67_38:                              ;   in Loop: Header=BB67_7 Depth=1
	s_or_b64 exec, exec, s[8:9]
	v_subrev_u32_e32 v48, s36, v48
.LBB67_39:                              ;   in Loop: Header=BB67_7 Depth=1
	s_or_b64 exec, exec, s[6:7]
.LBB67_40:                              ;   in Loop: Header=BB67_7 Depth=1
	s_andn2_saveexec_b64 s[6:7], s[28:29]
	s_cbranch_execz .LBB67_6
; %bb.41:                               ;   in Loop: Header=BB67_7 Depth=1
	v_cmp_gt_i32_e32 vcc, s49, v48
	s_and_saveexec_b64 s[8:9], vcc
	s_cbranch_execz .LBB67_5
; %bb.42:                               ;   in Loop: Header=BB67_7 Depth=1
	s_mul_i32 s50, s50, s14
	s_ashr_i32 s10, s50, 31
	s_waitcnt lgkmcnt(0)
	s_add_u32 s11, s24, s50
	s_mul_i32 s52, s52, s43
	s_addc_u32 s28, s25, s10
	s_ashr_i32 s29, s52, 31
	v_cmp_le_i32_e32 vcc, s51, v45
	s_add_u32 s10, s11, s52
	s_addc_u32 s11, s28, s29
	v_cndmask_b32_e32 v0, 0, v46, vcc
	v_ashrrev_i32_e32 v1, 31, v0
	v_lshl_add_u64 v[0:1], s[10:11], 0, v[0:1]
	v_lshlrev_b32_e32 v2, 9, v48
	v_lshl_add_u64 v[0:1], v[0:1], 0, v[18:19]
	v_ashrrev_i32_e32 v3, 31, v2
	v_lshl_add_u64 v[8:9], v[0:1], 0, v[2:3]
	s_mov_b64 s[10:11], 0
	s_branch .LBB67_44
.LBB67_43:                              ;   in Loop: Header=BB67_44 Depth=2
	s_or_b64 exec, exec, s[28:29]
	;;#ASMSTART
	s_waitcnt vmcnt(1)
	v_pack_b32_f16 v16, v4, v5, op_sel:[0,0]
	v_pack_b32_f16 v20, v4, v5, op_sel:[1,1]
	;; [unrolled: 1-line block ×4, first 2 shown]
	v_swap_b32 v16, v4
	v_swap_b32 v20, v6
	;; [unrolled: 1-line block ×4, first 2 shown]
	;;#ASMEND
	v_add_u32_e32 v48, s17, v48
	v_lshl_add_u32 v16, v10, 12, v44
	ds_write2_b32 v16, v4, v5 offset1:32
	ds_write2_b32 v16, v6, v7 offset0:64 offset1:96
	;;#ASMSTART
	s_waitcnt vmcnt(0)
	v_pack_b32_f16 v4, v0, v1, op_sel:[0,0]
	v_pack_b32_f16 v5, v0, v1, op_sel:[1,1]
	;; [unrolled: 1-line block ×4, first 2 shown]
	v_swap_b32 v4, v0
	v_swap_b32 v5, v2
	;; [unrolled: 1-line block ×4, first 2 shown]
	;;#ASMEND
	v_add_u32_e32 v22, s17, v10
	v_add_u32_e32 v4, 0x400, v16
	ds_write2_b32 v4, v0, v1 offset1:32
	ds_write2_b32 v4, v2, v3 offset0:64 offset1:96
	v_add_u32_e32 v0, 1, v36
	v_cmp_le_i32_e32 vcc, s49, v48
	ds_write_b32 v11, v0
	v_add_u32_e32 v0, 2, v36
	s_or_b64 s[10:11], vcc, s[10:11]
	v_cmp_lt_i32_e32 vcc, 0, v22
	v_lshl_add_u64 v[8:9], v[8:9], 0, s[26:27]
	s_nop 0
	v_cndmask_b32_e32 v36, v36, v0, vcc
	s_andn2_b64 exec, exec, s[10:11]
	s_cbranch_execz .LBB67_4
.LBB67_44:                              ;   Parent Loop BB67_7 Depth=1
                                        ; =>  This Loop Header: Depth=2
                                        ;       Child Loop BB67_46 Depth 3
	v_cmp_lt_i32_e32 vcc, 0, v22
	;;#ASMSTART
	global_load_dwordx4 v[4:7], v[8:9], off offset:0  
	global_load_dwordx4 v[0:3], v[8:9], off offset:128
	
	;;#ASMEND
	s_nop 1
	v_subbrev_co_u32_e32 v10, vcc, 0, v22, vcc
	v_lshlrev_b32_e32 v11, 2, v10
	ds_read_b32 v16, v11 offset:28672
	v_add_u32_e32 v11, 0x7000, v11
	s_waitcnt lgkmcnt(0)
	v_cmp_ne_u32_e32 vcc, v16, v36
	s_and_saveexec_b64 s[28:29], vcc
	s_cbranch_execz .LBB67_43
; %bb.45:                               ;   in Loop: Header=BB67_44 Depth=2
	s_mov_b64 s[30:31], 0
.LBB67_46:                              ;   Parent Loop BB67_7 Depth=1
                                        ;     Parent Loop BB67_44 Depth=2
                                        ; =>    This Inner Loop Header: Depth=3
	;;#ASMSTART
	s_sleep 0
	;;#ASMEND
	ds_read_b32 v16, v11
	s_waitcnt lgkmcnt(0)
	v_cmp_eq_u32_e32 vcc, v16, v36
	s_or_b64 s[30:31], vcc, s[30:31]
	s_andn2_b64 exec, exec, s[30:31]
	s_cbranch_execnz .LBB67_46
	s_branch .LBB67_43
.LBB67_47:
	s_endpgm
	.section	.rodata,"a",@progbits
	.p2align	6, 0x0
	.amdhsa_kernel _Z19_skinny_gemm_kernelILi1ELi3ELi1ELi8ELi8EEvPKhS1_P6__halfPKfiiiiiiii
		.amdhsa_group_segment_fixed_size 28688
		.amdhsa_private_segment_fixed_size 0
		.amdhsa_kernarg_size 64
		.amdhsa_user_sgpr_count 2
		.amdhsa_user_sgpr_dispatch_ptr 0
		.amdhsa_user_sgpr_queue_ptr 0
		.amdhsa_user_sgpr_kernarg_segment_ptr 1
		.amdhsa_user_sgpr_dispatch_id 0
		.amdhsa_user_sgpr_kernarg_preload_length 0
		.amdhsa_user_sgpr_kernarg_preload_offset 0
		.amdhsa_user_sgpr_private_segment_size 0
		.amdhsa_uses_dynamic_stack 0
		.amdhsa_enable_private_segment 0
		.amdhsa_system_sgpr_workgroup_id_x 1
		.amdhsa_system_sgpr_workgroup_id_y 0
		.amdhsa_system_sgpr_workgroup_id_z 0
		.amdhsa_system_sgpr_workgroup_info 0
		.amdhsa_system_vgpr_workitem_id 0
		.amdhsa_next_free_vgpr 62
		.amdhsa_next_free_sgpr 54
		.amdhsa_accum_offset 64
		.amdhsa_reserve_vcc 1
		.amdhsa_float_round_mode_32 0
		.amdhsa_float_round_mode_16_64 0
		.amdhsa_float_denorm_mode_32 3
		.amdhsa_float_denorm_mode_16_64 3
		.amdhsa_dx10_clamp 1
		.amdhsa_ieee_mode 1
		.amdhsa_fp16_overflow 0
		.amdhsa_tg_split 0
		.amdhsa_exception_fp_ieee_invalid_op 0
		.amdhsa_exception_fp_denorm_src 0
		.amdhsa_exception_fp_ieee_div_zero 0
		.amdhsa_exception_fp_ieee_overflow 0
		.amdhsa_exception_fp_ieee_underflow 0
		.amdhsa_exception_fp_ieee_inexact 0
		.amdhsa_exception_int_div_zero 0
	.end_amdhsa_kernel
	.section	.text._Z19_skinny_gemm_kernelILi1ELi3ELi1ELi8ELi8EEvPKhS1_P6__halfPKfiiiiiiii,"axG",@progbits,_Z19_skinny_gemm_kernelILi1ELi3ELi1ELi8ELi8EEvPKhS1_P6__halfPKfiiiiiiii,comdat
.Lfunc_end67:
	.size	_Z19_skinny_gemm_kernelILi1ELi3ELi1ELi8ELi8EEvPKhS1_P6__halfPKfiiiiiiii, .Lfunc_end67-_Z19_skinny_gemm_kernelILi1ELi3ELi1ELi8ELi8EEvPKhS1_P6__halfPKfiiiiiiii
                                        ; -- End function
	.set _Z19_skinny_gemm_kernelILi1ELi3ELi1ELi8ELi8EEvPKhS1_P6__halfPKfiiiiiiii.num_vgpr, 62
	.set _Z19_skinny_gemm_kernelILi1ELi3ELi1ELi8ELi8EEvPKhS1_P6__halfPKfiiiiiiii.num_agpr, 0
	.set _Z19_skinny_gemm_kernelILi1ELi3ELi1ELi8ELi8EEvPKhS1_P6__halfPKfiiiiiiii.numbered_sgpr, 54
	.set _Z19_skinny_gemm_kernelILi1ELi3ELi1ELi8ELi8EEvPKhS1_P6__halfPKfiiiiiiii.num_named_barrier, 0
	.set _Z19_skinny_gemm_kernelILi1ELi3ELi1ELi8ELi8EEvPKhS1_P6__halfPKfiiiiiiii.private_seg_size, 0
	.set _Z19_skinny_gemm_kernelILi1ELi3ELi1ELi8ELi8EEvPKhS1_P6__halfPKfiiiiiiii.uses_vcc, 1
	.set _Z19_skinny_gemm_kernelILi1ELi3ELi1ELi8ELi8EEvPKhS1_P6__halfPKfiiiiiiii.uses_flat_scratch, 0
	.set _Z19_skinny_gemm_kernelILi1ELi3ELi1ELi8ELi8EEvPKhS1_P6__halfPKfiiiiiiii.has_dyn_sized_stack, 0
	.set _Z19_skinny_gemm_kernelILi1ELi3ELi1ELi8ELi8EEvPKhS1_P6__halfPKfiiiiiiii.has_recursion, 0
	.set _Z19_skinny_gemm_kernelILi1ELi3ELi1ELi8ELi8EEvPKhS1_P6__halfPKfiiiiiiii.has_indirect_call, 0
	.section	.AMDGPU.csdata,"",@progbits
; Kernel info:
; codeLenInByte = 3920
; TotalNumSgprs: 60
; NumVgprs: 62
; NumAgprs: 0
; TotalNumVgprs: 62
; ScratchSize: 0
; MemoryBound: 0
; FloatMode: 240
; IeeeMode: 1
; LDSByteSize: 28688 bytes/workgroup (compile time only)
; SGPRBlocks: 7
; VGPRBlocks: 7
; NumSGPRsForWavesPerEU: 60
; NumVGPRsForWavesPerEU: 62
; AccumOffset: 64
; Occupancy: 8
; WaveLimiterHint : 0
; COMPUTE_PGM_RSRC2:SCRATCH_EN: 0
; COMPUTE_PGM_RSRC2:USER_SGPR: 2
; COMPUTE_PGM_RSRC2:TRAP_HANDLER: 0
; COMPUTE_PGM_RSRC2:TGID_X_EN: 1
; COMPUTE_PGM_RSRC2:TGID_Y_EN: 0
; COMPUTE_PGM_RSRC2:TGID_Z_EN: 0
; COMPUTE_PGM_RSRC2:TIDIG_COMP_CNT: 0
; COMPUTE_PGM_RSRC3_GFX90A:ACCUM_OFFSET: 15
; COMPUTE_PGM_RSRC3_GFX90A:TG_SPLIT: 0
	.section	.text._Z19_skinny_gemm_kernelILi1ELi3ELi1ELi16ELi4EEvPKhS1_P6__halfPKfiiiiiiii,"axG",@progbits,_Z19_skinny_gemm_kernelILi1ELi3ELi1ELi16ELi4EEvPKhS1_P6__halfPKfiiiiiiii,comdat
	.protected	_Z19_skinny_gemm_kernelILi1ELi3ELi1ELi16ELi4EEvPKhS1_P6__halfPKfiiiiiiii ; -- Begin function _Z19_skinny_gemm_kernelILi1ELi3ELi1ELi16ELi4EEvPKhS1_P6__halfPKfiiiiiiii
	.globl	_Z19_skinny_gemm_kernelILi1ELi3ELi1ELi16ELi4EEvPKhS1_P6__halfPKfiiiiiiii
	.p2align	8
	.type	_Z19_skinny_gemm_kernelILi1ELi3ELi1ELi16ELi4EEvPKhS1_P6__halfPKfiiiiiiii,@function
_Z19_skinny_gemm_kernelILi1ELi3ELi1ELi16ELi4EEvPKhS1_P6__halfPKfiiiiiiii: ; @_Z19_skinny_gemm_kernelILi1ELi3ELi1ELi16ELi4EEvPKhS1_P6__halfPKfiiiiiiii
; %bb.0:
	v_cmp_gt_u32_e32 vcc, 4, v0
	v_lshlrev_b32_e32 v1, 2, v0
	s_and_saveexec_b64 s[4:5], vcc
; %bb.1:
	v_mov_b32_e32 v2, 0
	ds_write_b32 v1, v2 offset:8192
; %bb.2:
	s_or_b64 exec, exec, s[4:5]
	s_load_dwordx8 s[20:27], s[0:1], 0x20
	s_waitcnt lgkmcnt(0)
	s_barrier
	s_add_i32 s3, s20, 15
	s_ashr_i32 s5, s3, 31
	s_add_i32 s4, s21, 47
	s_lshr_b32 s5, s5, 28
	s_mul_hi_i32 s4, s4, 0x2aaaaaab
	s_add_i32 s3, s3, s5
	s_ashr_i32 s33, s3, 4
	s_lshr_b32 s3, s4, 31
	s_ashr_i32 s48, s4, 3
	s_add_i32 s48, s48, s3
	s_mul_i32 s3, s48, s33
	s_mul_i32 s3, s3, s24
	s_add_i32 s4, s3, 0x12f
	s_mul_hi_i32 s4, s4, 0x6bca1af3
	s_lshr_b32 s5, s4, 31
	s_ashr_i32 s4, s4, 7
	s_add_i32 s4, s4, s5
	s_add_i32 s5, s2, 1
	s_mul_i32 s5, s4, s5
	v_cvt_f64_i32_e32 v[2:3], s3
	v_cvt_f64_u32_e32 v[4:5], s5
	v_min_f64 v[2:3], v[2:3], v[4:5]
	v_cvt_i32_f64_e32 v13, v[2:3]
	s_mul_i32 s49, s4, s2
	v_cmp_ge_i32_e32 vcc, s49, v13
	s_cbranch_vccnz .LBB68_48
; %bb.3:
	v_lshrrev_b32_e32 v2, 6, v0
	s_add_i32 s4, s26, s25
	s_load_dwordx8 s[36:43], s[0:1], 0x0
	v_cmp_le_i32_e64 s[0:1], s4, v2
	v_mov_b32_e32 v3, s25
	v_cmp_le_i32_e64 s[2:3], s25, v2
	v_mov_b32_e32 v4, s26
	v_cndmask_b32_e64 v4, 0, v4, s[0:1]
	v_cndmask_b32_e64 v3, 0, v3, s[2:3]
	s_abs_i32 s5, s24
	v_add_u32_e32 v3, v3, v4
	v_cvt_f32_u32_e32 v4, s5
	v_sub_u32_e32 v20, v2, v3
	s_ashr_i32 s6, s22, 31
	s_lshr_b32 s6, s6, 25
	v_rcp_iflag_f32_e32 v3, v4
	s_sub_i32 s9, 0, s5
	s_add_i32 s6, s22, s6
	s_ashr_i32 s6, s6, 7
	v_mul_f32_e32 v3, 0x4f7ffffe, v3
	v_cvt_u32_f32_e32 v3, v3
	s_abs_i32 s8, s6
	s_xor_b32 s7, s6, s24
	s_ashr_i32 s7, s7, 31
	v_readfirstlane_b32 s10, v3
	s_mul_i32 s9, s9, s10
	s_mul_hi_u32 s9, s10, s9
	s_add_i32 s10, s10, s9
	s_mul_hi_u32 s9, s8, s10
	s_mul_i32 s10, s9, s5
	s_sub_i32 s8, s8, s10
	s_add_i32 s10, s9, 1
	s_sub_i32 s11, s8, s5
	s_cmp_ge_u32 s8, s5
	s_cselect_b32 s9, s10, s9
	s_cselect_b32 s8, s11, s8
	s_add_i32 s10, s9, 1
	s_cmp_ge_u32 s8, s5
	s_cselect_b32 s5, s10, s9
	s_xor_b32 s5, s5, s7
	s_sub_i32 s50, s5, s7
	s_add_i32 s24, s24, -1
	s_mul_i32 s5, s50, s24
	s_add_i32 s4, s4, s27
	s_sub_i32 s51, s6, s5
	v_cmp_gt_i32_e64 s[4:5], s4, v2
	v_lshlrev_b32_e32 v2, 1, v0
	v_lshlrev_b32_e32 v3, 4, v0
	v_and_b32_e32 v1, 60, v1
	v_and_b32_e32 v2, 64, v2
	;; [unrolled: 1-line block ×3, first 2 shown]
	s_abs_i32 s53, s33
	v_or3_b32 v35, v1, v2, v4
	v_and_b32_e32 v1, 1, v0
	v_cvt_f32_u32_e32 v6, s53
	v_lshlrev_b32_e32 v2, 1, v1
	v_lshrrev_b32_e32 v4, 2, v0
	v_and_b32_e32 v12, 14, v0
	v_sub_u32_e32 v2, v0, v2
	v_and_or_b32 v37, v4, 12, v1
	v_bitop3_b32 v38, v0, 1, v0 bitop3:0xc
	v_bitop3_b32 v39, v0, 3, 1 bitop3:0x6c
	v_and_b32_e32 v16, 48, v3
	v_bfe_u32 v1, v0, 2, 4
	v_and_b32_e32 v3, 60, v0
	v_lshlrev_b32_e32 v5, 8, v0
	v_lshlrev_b32_e32 v0, 6, v0
	v_and_b32_e32 v5, 0x200, v5
	v_and_b32_e32 v0, 64, v0
	v_or3_b32 v42, v3, v5, v0
	v_rcp_iflag_f32_e32 v0, v6
	s_abs_i32 s55, s48
	v_mul_lo_u32 v18, s23, v1
	v_mul_lo_u32 v44, s22, v1
	v_cvt_f32_u32_e32 v1, s55
	v_mul_f32_e32 v0, 0x4f7ffffe, v0
	v_cvt_u32_f32_e32 v0, v0
	v_mad_u64_u32 v[14:15], s[6:7], s21, v37, v[12:13]
	v_rcp_iflag_f32_e32 v1, v1
	v_readfirstlane_b32 s7, v0
	s_sub_i32 s6, 0, s53
	s_mul_i32 s6, s6, s7
	v_mul_f32_e32 v0, 0x4f7ffffe, v1
	v_cvt_u32_f32_e32 v0, v0
	s_mul_hi_u32 s6, s7, s6
	v_add_u32_e32 v2, 1, v2
	s_add_i32 s57, s7, s6
	s_sub_i32 s6, 0, s55
	v_readfirstlane_b32 s7, v0
	v_mbcnt_lo_u32_b32 v0, -1, 0
	v_and_b32_e32 v2, 63, v2
	s_mul_i32 s6, s6, s7
	v_mbcnt_hi_u32_b32 v0, -1, v0
	s_mul_hi_u32 s6, s7, s6
	v_and_or_b32 v0, v0, 64, v2
	v_cndmask_b32_e64 v34, 0, 1, s[0:1]
	s_movk_i32 s52, 0x1800
	v_or_b32_e32 v36, 0x1800, v35
	v_or_b32_e32 v40, 16, v12
	;; [unrolled: 1-line block ×3, first 2 shown]
	v_ashrrev_i32_e32 v15, 31, v14
	s_ashr_i32 s29, s21, 31
	s_mov_b32 s28, s21
	v_ashrrev_i32_e32 v19, 31, v18
	v_mov_b32_e32 v17, 0
	s_lshl_b32 s54, s23, 4
	v_bitop3_b32 v43, v4, 15, v4 bitop3:0xc
	v_or_b32_e32 v45, 0x1800, v42
	s_ashr_i32 s56, s33, 31
	s_ashr_i32 s58, s48, 31
	s_add_i32 s59, s7, s6
	s_mov_b32 s60, 0x55555556
	v_lshlrev_b32_e32 v46, 2, v0
	v_mov_b32_e32 v47, v20
	s_branch .LBB68_7
.LBB68_4:                               ;   in Loop: Header=BB68_7 Depth=1
	s_or_b64 exec, exec, s[10:11]
.LBB68_5:                               ;   in Loop: Header=BB68_7 Depth=1
	s_or_b64 exec, exec, s[8:9]
	v_subrev_u32_e32 v47, s61, v47
.LBB68_6:                               ;   in Loop: Header=BB68_7 Depth=1
	s_or_b64 exec, exec, s[6:7]
	s_add_i32 s49, s49, 1
	v_cmp_ge_i32_e32 vcc, s49, v13
	s_cbranch_vccnz .LBB68_48
.LBB68_7:                               ; =>This Loop Header: Depth=1
                                        ;     Child Loop BB68_13 Depth 2
                                        ;       Child Loop BB68_15 Depth 3
                                        ;       Child Loop BB68_18 Depth 3
	;; [unrolled: 1-line block ×4, first 2 shown]
                                        ;     Child Loop BB68_35 Depth 2
                                        ;       Child Loop BB68_37 Depth 3
                                        ;     Child Loop BB68_45 Depth 2
                                        ;       Child Loop BB68_47 Depth 3
	s_abs_i32 s7, s49
	s_mul_hi_u32 s8, s7, s57
	s_mul_i32 s9, s8, s53
	s_ashr_i32 s6, s49, 31
	s_sub_i32 s7, s7, s9
	s_xor_b32 s6, s6, s56
	s_add_i32 s9, s8, 1
	s_sub_i32 s10, s7, s53
	s_cmp_ge_u32 s7, s53
	s_cselect_b32 s8, s9, s8
	s_cselect_b32 s7, s10, s7
	s_add_i32 s9, s8, 1
	s_cmp_ge_u32 s7, s53
	s_cselect_b32 s7, s9, s8
	s_xor_b32 s7, s7, s6
	s_sub_i32 s6, s7, s6
	s_abs_i32 s8, s6
	s_mul_i32 s7, s6, s33
	s_mul_hi_u32 s9, s8, s59
	s_sub_i32 s7, s49, s7
	s_mul_i32 s10, s9, s55
	s_lshl_b32 s62, s7, 4
	s_ashr_i32 s7, s6, 31
	s_sub_i32 s8, s8, s10
	s_xor_b32 s7, s7, s58
	s_add_i32 s10, s9, 1
	s_sub_i32 s11, s8, s55
	s_cmp_ge_u32 s8, s55
	s_cselect_b32 s9, s10, s9
	s_cselect_b32 s8, s11, s8
	s_add_i32 s10, s9, 1
	s_cmp_ge_u32 s8, s55
	s_cselect_b32 s8, s10, s9
	s_xor_b32 s8, s8, s7
	s_sub_i32 s7, s8, s7
	s_mul_i32 s8, s7, s50
	s_lshl_b32 s63, s8, 7
	s_cmp_eq_u32 s7, s24
	s_cselect_b32 s61, s51, s50
	s_sub_i32 s64, s62, s20
	s_add_i32 s64, s64, 16
	s_and_saveexec_b64 s[8:9], s[2:3]
	s_xor_b64 s[30:31], exec, s[8:9]
	s_cbranch_execz .LBB68_41
; %bb.8:                                ;   in Loop: Header=BB68_7 Depth=1
	s_mul_i32 s7, s7, s48
	s_sub_i32 s6, s6, s7
	s_mul_i32 s6, s6, 48
	s_sub_i32 s18, s6, s21
	s_add_i32 s18, s18, 48
	s_max_i32 s7, s18, 0
	s_sub_i32 s34, s6, s7
	s_and_saveexec_b64 s[6:7], s[0:1]
	s_xor_b64 s[44:45], exec, s[6:7]
	s_cbranch_execz .LBB68_31
; %bb.9:                                ;   in Loop: Header=BB68_7 Depth=1
	s_and_saveexec_b64 s[46:47], s[4:5]
	s_cbranch_execz .LBB68_30
; %bb.10:                               ;   in Loop: Header=BB68_7 Depth=1
	s_waitcnt lgkmcnt(0)
	global_load_dword v48, v17, s[42:43]
	v_mov_b32_e32 v11, 0
	v_cmp_gt_i32_e32 vcc, s61, v47
	v_mov_b32_e32 v10, v11
	v_mov_b32_e32 v9, v11
	;; [unrolled: 1-line block ×11, first 2 shown]
	s_and_saveexec_b64 s[6:7], vcc
	s_cbranch_execz .LBB68_26
; %bb.11:                               ;   in Loop: Header=BB68_7 Depth=1
	v_mov_b32_e32 v0, 0
	s_mov_b64 s[8:9], 0
	v_mov_b32_e32 v1, v0
	v_mov_b32_e32 v2, v0
	;; [unrolled: 1-line block ×11, first 2 shown]
	s_branch .LBB68_13
.LBB68_12:                              ;   in Loop: Header=BB68_13 Depth=2
	s_or_b64 exec, exec, s[10:11]
	v_add_u32_e32 v29, 0x1000, v28
	ds_read2_b32 v[30:31], v29 offset1:32
	v_add_u32_e32 v47, s27, v47
	v_cmp_le_i32_e32 vcc, s61, v47
	s_or_b64 s[8:9], vcc, s[8:9]
	s_waitcnt lgkmcnt(0)
	v_mfma_f32_16x16x32_fp8_fp8 v[0:3], v[22:23], v[30:31], v[0:3]
	ds_read2_b32 v[22:23], v29 offset0:128 offset1:160
	v_add_u32_e32 v30, 0x1400, v28
	ds_read2_b32 v[28:29], v30 offset1:32
	s_waitcnt lgkmcnt(1)
	v_mfma_f32_16x16x32_fp8_fp8 v[0:3], v[20:21], v[22:23], v[0:3]
	ds_read2_b32 v[22:23], v30 offset0:128 offset1:160
	v_add_u32_e32 v20, s27, v50
	v_add_u32_e32 v21, 2, v34
	s_waitcnt lgkmcnt(1)
	v_mfma_f32_16x16x32_fp8_fp8 v[0:3], v[26:27], v[28:29], v[0:3]
	v_cmp_lt_i32_e32 vcc, 0, v20
	;;#ASMSTART
	s_waitcnt lgkmcnt(0)
	;;#ASMEND
	ds_write_b32 v49, v51 offset:8204
	s_waitcnt lgkmcnt(1)
	v_mfma_f32_16x16x32_fp8_fp8 v[0:3], v[24:25], v[22:23], v[0:3]
	v_cndmask_b32_e32 v34, v34, v21, vcc
	s_andn2_b64 exec, exec, s[8:9]
	s_cbranch_execz .LBB68_25
.LBB68_13:                              ;   Parent Loop BB68_7 Depth=1
                                        ; =>  This Loop Header: Depth=2
                                        ;       Child Loop BB68_15 Depth 3
                                        ;       Child Loop BB68_18 Depth 3
	;; [unrolled: 1-line block ×4, first 2 shown]
	v_cmp_lt_i32_e32 vcc, 0, v20
	s_nop 1
	v_subbrev_co_u32_e32 v50, vcc, 0, v20, vcc
	v_mul_lo_u32 v49, v50, 12
	ds_read_b32 v20, v49 offset:8196
	s_waitcnt lgkmcnt(0)
	v_cmp_ne_u32_e32 vcc, v20, v34
	s_and_saveexec_b64 s[10:11], vcc
	s_cbranch_execz .LBB68_16
; %bb.14:                               ;   in Loop: Header=BB68_13 Depth=2
	s_mov_b64 s[12:13], 0
.LBB68_15:                              ;   Parent Loop BB68_7 Depth=1
                                        ;     Parent Loop BB68_13 Depth=2
                                        ; =>    This Inner Loop Header: Depth=3
	;;#ASMSTART
	s_sleep 0
	;;#ASMEND
	ds_read_b32 v20, v49 offset:8196
	s_waitcnt lgkmcnt(0)
	v_cmp_eq_u32_e32 vcc, v20, v34
	s_or_b64 s[12:13], vcc, s[12:13]
	s_andn2_b64 exec, exec, s[12:13]
	s_cbranch_execnz .LBB68_15
.LBB68_16:                              ;   in Loop: Header=BB68_13 Depth=2
	s_or_b64 exec, exec, s[10:11]
	v_mul_lo_u32 v52, v50, s52
	v_or_b32_e32 v20, v35, v52
	ds_read2_b32 v[24:25], v20 offset1:32
	ds_read2_b32 v[28:29], v20 offset0:128 offset1:160
	v_add_u32_e32 v20, 0x400, v20
	ds_read2_b32 v[32:33], v20 offset1:32
	ds_read2_b32 v[30:31], v20 offset0:128 offset1:160
	v_lshlrev_b32_e32 v20, 2, v50
	;;#ASMSTART
	s_waitcnt lgkmcnt(0)
	;;#ASMEND
	ds_read_b32 v21, v20 offset:8192
	v_add_u32_e32 v51, 1, v34
	v_add_u32_e32 v53, 0x2000, v20
	ds_write_b32 v49, v51 offset:8196
	s_waitcnt lgkmcnt(1)
	v_cmp_ne_u32_e32 vcc, v21, v34
	s_and_saveexec_b64 s[10:11], vcc
	s_cbranch_execz .LBB68_19
; %bb.17:                               ;   in Loop: Header=BB68_13 Depth=2
	s_mov_b64 s[12:13], 0
.LBB68_18:                              ;   Parent Loop BB68_7 Depth=1
                                        ;     Parent Loop BB68_13 Depth=2
                                        ; =>    This Inner Loop Header: Depth=3
	;;#ASMSTART
	s_sleep 0
	;;#ASMEND
	ds_read_b32 v20, v53
	s_waitcnt lgkmcnt(0)
	v_cmp_eq_u32_e32 vcc, v20, v34
	s_or_b64 s[12:13], vcc, s[12:13]
	s_andn2_b64 exec, exec, s[12:13]
	s_cbranch_execnz .LBB68_18
.LBB68_19:                              ;   in Loop: Header=BB68_13 Depth=2
	s_or_b64 exec, exec, s[10:11]
	v_lshl_add_u32 v26, v50, 11, v36
	ds_read2_b32 v[22:23], v26 offset1:32
	ds_read2_b32 v[20:21], v26 offset0:128 offset1:160
	v_add_u32_e32 v54, 0x400, v26
	ds_read2_b32 v[26:27], v54 offset1:32
	ds_write_b32 v53, v51
	s_waitcnt lgkmcnt(3)
	v_mfma_f32_16x16x32_fp8_fp8 v[8:11], v[22:23], v[24:25], v[8:11]
	ds_read2_b32 v[24:25], v54 offset0:128 offset1:160
	s_waitcnt lgkmcnt(3)
	v_mfma_f32_16x16x32_fp8_fp8 v[8:11], v[20:21], v[28:29], v[8:11]
	ds_read_b32 v28, v49 offset:8200
	s_waitcnt lgkmcnt(0)
	v_cmp_ne_u32_e32 vcc, v28, v34
	v_mfma_f32_16x16x32_fp8_fp8 v[8:11], v[26:27], v[32:33], v[8:11]
	v_mfma_f32_16x16x32_fp8_fp8 v[8:11], v[24:25], v[30:31], v[8:11]
	s_and_saveexec_b64 s[10:11], vcc
	s_cbranch_execz .LBB68_22
; %bb.20:                               ;   in Loop: Header=BB68_13 Depth=2
	s_mov_b64 s[12:13], 0
.LBB68_21:                              ;   Parent Loop BB68_7 Depth=1
                                        ;     Parent Loop BB68_13 Depth=2
                                        ; =>    This Inner Loop Header: Depth=3
	;;#ASMSTART
	s_sleep 0
	;;#ASMEND
	ds_read_b32 v28, v49 offset:8200
	s_waitcnt lgkmcnt(0)
	v_cmp_eq_u32_e32 vcc, v28, v34
	s_or_b64 s[12:13], vcc, s[12:13]
	s_andn2_b64 exec, exec, s[12:13]
	s_cbranch_execnz .LBB68_21
.LBB68_22:                              ;   in Loop: Header=BB68_13 Depth=2
	s_or_b64 exec, exec, s[10:11]
	v_add_u32_e32 v28, v35, v52
	v_add_u32_e32 v29, 0x800, v28
	ds_read2_b32 v[30:31], v29 offset1:32
	s_waitcnt lgkmcnt(0)
	v_mfma_f32_16x16x32_fp8_fp8 v[4:7], v[22:23], v[30:31], v[4:7]
	ds_read2_b32 v[30:31], v29 offset0:128 offset1:160
	v_add_u32_e32 v29, 0xc00, v28
	s_waitcnt lgkmcnt(0)
	v_mfma_f32_16x16x32_fp8_fp8 v[4:7], v[20:21], v[30:31], v[4:7]
	ds_read2_b32 v[30:31], v29 offset1:32
	ds_read2_b32 v[32:33], v29 offset0:128 offset1:160
	;;#ASMSTART
	s_waitcnt lgkmcnt(0)
	;;#ASMEND
	ds_read_b32 v29, v49 offset:8204
	s_waitcnt lgkmcnt(2)
	v_mfma_f32_16x16x32_fp8_fp8 v[4:7], v[26:27], v[30:31], v[4:7]
	ds_write_b32 v49, v51 offset:8200
	s_waitcnt lgkmcnt(1)
	v_cmp_ne_u32_e32 vcc, v29, v34
	v_mfma_f32_16x16x32_fp8_fp8 v[4:7], v[24:25], v[32:33], v[4:7]
	s_and_saveexec_b64 s[10:11], vcc
	s_cbranch_execz .LBB68_12
; %bb.23:                               ;   in Loop: Header=BB68_13 Depth=2
	s_mov_b64 s[12:13], 0
.LBB68_24:                              ;   Parent Loop BB68_7 Depth=1
                                        ;     Parent Loop BB68_13 Depth=2
                                        ; =>    This Inner Loop Header: Depth=3
	;;#ASMSTART
	s_sleep 0
	;;#ASMEND
	ds_read_b32 v29, v49 offset:8204
	s_waitcnt lgkmcnt(0)
	v_cmp_eq_u32_e32 vcc, v29, v34
	s_or_b64 s[12:13], vcc, s[12:13]
	s_andn2_b64 exec, exec, s[12:13]
	s_cbranch_execnz .LBB68_24
	s_branch .LBB68_12
.LBB68_25:                              ;   in Loop: Header=BB68_7 Depth=1
	s_or_b64 exec, exec, s[8:9]
.LBB68_26:                              ;   in Loop: Header=BB68_7 Depth=1
	s_or_b64 exec, exec, s[6:7]
	v_cmp_le_i32_e32 vcc, s18, v12
	v_cmp_eq_u32_e64 s[6:7], 2, v38
	v_cmp_eq_u32_e64 s[8:9], 3, v38
	s_waitcnt vmcnt(0)
	v_cndmask_b32_e32 v22, 0, v48, vcc
	v_pk_mul_f32 v[10:11], v[22:23], v[10:11] op_sel_hi:[0,1]
	v_pk_mul_f32 v[22:23], v[22:23], v[8:9] op_sel_hi:[0,1]
	v_cmp_eq_u32_e32 vcc, 1, v38
	v_cmp_eq_u32_e64 s[10:11], 0, v38
	v_cmp_le_i32_e64 s[14:15], s18, v40
	v_cndmask_b32_e32 v8, v22, v23, vcc
	v_cndmask_b32_e64 v8, v8, v10, s[6:7]
	v_cndmask_b32_e64 v8, v8, v11, s[8:9]
	ds_bpermute_b32 v21, v46, v8
	v_cmp_le_i32_e64 s[18:19], s18, v41
	v_cmp_eq_u32_e64 s[12:13], 1, v39
	v_cmp_eq_u32_e64 s[16:17], 3, v39
	s_waitcnt lgkmcnt(0)
	v_cndmask_b32_e64 v8, v11, v21, s[8:9]
	v_cndmask_b32_e64 v11, v22, v21, s[10:11]
	;; [unrolled: 1-line block ×4, first 2 shown]
	v_cndmask_b32_e32 v10, v23, v21, vcc
	v_pk_mul_f32 v[6:7], v[22:23], v[6:7] op_sel_hi:[0,1]
	v_pk_mul_f32 v[22:23], v[22:23], v[4:5] op_sel_hi:[0,1]
	v_cndmask_b32_e32 v4, v22, v23, vcc
	v_cndmask_b32_e64 v4, v4, v6, s[6:7]
	v_cndmask_b32_e64 v4, v4, v7, s[8:9]
	ds_bpermute_b32 v24, v46, v4
	v_cmp_eq_u32_e64 s[14:15], 2, v39
	v_cndmask_b32_e64 v21, v11, v10, s[12:13]
	s_waitcnt lgkmcnt(0)
	v_cndmask_b32_e64 v5, v7, v24, s[8:9]
	v_cndmask_b32_e64 v6, v6, v24, s[6:7]
	v_cndmask_b32_e32 v23, v23, v24, vcc
	v_cndmask_b32_e64 v24, v22, v24, s[10:11]
	v_cndmask_b32_e64 v22, 0, v48, s[18:19]
	v_pk_mul_f32 v[28:29], v[22:23], v[0:1] op_sel_hi:[0,1]
	v_pk_mul_f32 v[26:27], v[22:23], v[2:3] op_sel_hi:[0,1]
	v_cndmask_b32_e32 v0, v28, v29, vcc
	v_cndmask_b32_e64 v0, v0, v26, s[6:7]
	v_cndmask_b32_e64 v0, v0, v27, s[8:9]
	ds_bpermute_b32 v1, v46, v0
	v_cndmask_b32_e64 v0, v24, v23, s[12:13]
	v_cndmask_b32_e64 v0, v0, v6, s[14:15]
	;; [unrolled: 1-line block ×3, first 2 shown]
	v_cmp_ne_u32_e32 vcc, 0, v38
	ds_bpermute_b32 v7, v46, v0
	s_waitcnt lgkmcnt(1)
	v_cndmask_b32_e64 v2, v27, v1, s[8:9]
	v_cndmask_b32_e64 v3, v26, v1, s[6:7]
	v_cndmask_b32_e32 v0, v29, v1, vcc
	v_cndmask_b32_e64 v1, v28, v1, s[10:11]
	v_cndmask_b32_e64 v4, v21, v9, s[14:15]
	;; [unrolled: 1-line block ×6, first 2 shown]
	ds_bpermute_b32 v4, v46, v4
	ds_bpermute_b32 v21, v46, v21
	s_max_i32 s6, s64, 0
	v_add_u32_e32 v22, s6, v37
	v_cmp_gt_u32_e32 vcc, 16, v22
	s_and_saveexec_b64 s[12:13], vcc
	s_cbranch_execz .LBB68_29
; %bb.27:                               ;   in Loop: Header=BB68_7 Depth=1
	v_cmp_eq_u32_e64 s[8:9], 1, v39
	v_cmp_eq_u32_e64 s[10:11], 0, v39
	v_cmp_eq_u32_e32 vcc, 3, v39
	s_waitcnt lgkmcnt(1)
	v_cndmask_b32_e64 v10, v10, v4, s[8:9]
	v_cndmask_b32_e64 v23, v23, v7, s[8:9]
	s_waitcnt lgkmcnt(0)
	v_cndmask_b32_e64 v25, v0, v21, s[8:9]
	s_mul_i32 s8, s62, s21
	s_ashr_i32 s9, s8, 31
	s_lshl_b64 s[8:9], s[8:9], 1
	v_cndmask_b32_e64 v11, v11, v4, s[10:11]
	v_cndmask_b32_e64 v24, v24, v7, s[10:11]
	;; [unrolled: 1-line block ×3, first 2 shown]
	s_add_u32 s10, s40, s8
	s_addc_u32 s11, s41, s9
	s_ashr_i32 s35, s34, 31
	v_cvt_f16_f32_e32 v11, v11
	v_cvt_f16_f32_sdwa v10, v10 dst_sel:WORD_1 dst_unused:UNUSED_PAD src0_sel:DWORD
	s_lshl_b64 s[8:9], s[34:35], 1
	v_cvt_f16_f32_e32 v24, v24
	v_cvt_f16_f32_sdwa v23, v23 dst_sel:WORD_1 dst_unused:UNUSED_PAD src0_sel:DWORD
	s_add_u32 s8, s10, s8
	v_cvt_f16_f32_e32 v26, v26
	v_cvt_f16_f32_sdwa v25, v25 dst_sel:WORD_1 dst_unused:UNUSED_PAD src0_sel:DWORD
	s_addc_u32 s9, s11, s9
	v_lshl_add_u64 v[0:1], v[14:15], 1, s[8:9]
	v_or_b32_e32 v10, v10, v11
	v_cmp_eq_u32_e64 s[6:7], 2, v39
	;;#ASMSTART
	global_atomic_pk_add_f16 v[0:1], v10, off
	
	;;#ASMEND
	v_lshl_add_u64 v[10:11], v[0:1], 0, 32
	v_or_b32_e32 v23, v23, v24
	v_cmp_gt_u32_e64 s[8:9], 14, v22
	;;#ASMSTART
	global_atomic_pk_add_f16 v[10:11], v23, off
	
	;;#ASMEND
	v_lshl_add_u64 v[10:11], v[0:1], 0, 64
	v_or_b32_e32 v23, v25, v26
	;;#ASMSTART
	global_atomic_pk_add_f16 v[10:11], v23, off
	
	;;#ASMEND
	s_and_b64 exec, exec, s[8:9]
	s_cbranch_execz .LBB68_29
; %bb.28:                               ;   in Loop: Header=BB68_7 Depth=1
	v_cndmask_b32_e32 v8, v8, v4, vcc
	v_cndmask_b32_e64 v4, v9, v4, s[6:7]
	v_cndmask_b32_e32 v5, v5, v7, vcc
	v_cndmask_b32_e64 v6, v6, v7, s[6:7]
	v_cvt_f16_f32_e32 v4, v4
	v_cvt_f16_f32_sdwa v7, v8 dst_sel:WORD_1 dst_unused:UNUSED_PAD src0_sel:DWORD
	v_cndmask_b32_e32 v8, v2, v21, vcc
	v_cndmask_b32_e64 v9, v3, v21, s[6:7]
	v_cvt_f16_f32_sdwa v5, v5 dst_sel:WORD_1 dst_unused:UNUSED_PAD src0_sel:DWORD
	v_or_b32_e32 v2, v7, v4
	v_cvt_f16_f32_e32 v4, v6
	v_cvt_f16_f32_e32 v6, v9
	v_cvt_f16_f32_sdwa v7, v8 dst_sel:WORD_1 dst_unused:UNUSED_PAD src0_sel:DWORD
	v_lshl_add_u64 v[0:1], s[28:29], 2, v[0:1]
	;;#ASMSTART
	global_atomic_pk_add_f16 v[0:1], v2, off
	
	;;#ASMEND
	v_lshl_add_u64 v[2:3], v[0:1], 0, 32
	v_or_b32_e32 v4, v5, v4
	;;#ASMSTART
	global_atomic_pk_add_f16 v[2:3], v4, off
	
	;;#ASMEND
	v_lshl_add_u64 v[0:1], v[0:1], 0, 64
	v_or_b32_e32 v2, v7, v6
	;;#ASMSTART
	global_atomic_pk_add_f16 v[0:1], v2, off
	
	;;#ASMEND
.LBB68_29:                              ;   in Loop: Header=BB68_7 Depth=1
	s_or_b64 exec, exec, s[12:13]
	v_subrev_u32_e32 v47, s61, v47
.LBB68_30:                              ;   in Loop: Header=BB68_7 Depth=1
	s_or_b64 exec, exec, s[46:47]
.LBB68_31:                              ;   in Loop: Header=BB68_7 Depth=1
	s_andn2_saveexec_b64 s[6:7], s[44:45]
	s_cbranch_execz .LBB68_40
; %bb.32:                               ;   in Loop: Header=BB68_7 Depth=1
	s_mul_i32 s16, s61, 3
	v_cmp_gt_i32_e32 vcc, s16, v47
	s_and_saveexec_b64 s[8:9], vcc
	s_cbranch_execz .LBB68_39
; %bb.33:                               ;   in Loop: Header=BB68_7 Depth=1
	s_mul_i32 s10, s34, s23
	s_ashr_i32 s11, s10, 31
	s_waitcnt lgkmcnt(0)
	s_add_u32 s10, s38, s10
	s_addc_u32 s11, s39, s11
	s_ashr_i32 s12, s63, 31
	s_add_u32 s10, s10, s63
	s_addc_u32 s11, s11, s12
	v_lshl_add_u64 v[0:1], s[10:11], 0, v[18:19]
	v_lshl_add_u64 v[8:9], v[0:1], 0, v[16:17]
	s_mov_b64 s[10:11], 0
	s_branch .LBB68_35
.LBB68_34:                              ;   in Loop: Header=BB68_35 Depth=2
	s_or_b64 exec, exec, s[12:13]
	v_lshl_or_b32 v20, v10, 11, v42
	;;#ASMSTART
	s_waitcnt vmcnt(1)
	;;#ASMEND
	ds_write2_b32 v20, v4, v5 offset1:32
	ds_write2_b32 v20, v6, v7 offset0:64 offset1:96
	v_add_u32_e32 v4, 0x400, v20
	v_add_u32_e32 v47, s26, v47
	;;#ASMSTART
	s_waitcnt vmcnt(0)
	;;#ASMEND
	ds_write2_b32 v4, v0, v1 offset1:32
	ds_write2_b32 v4, v2, v3 offset0:64 offset1:96
	v_add_u32_e32 v0, 1, v34
	v_add_u32_e32 v20, s26, v10
	v_cmp_le_i32_e32 vcc, s16, v47
	ds_write_b32 v11, v0 offset:4
	v_add_u32_e32 v0, 2, v34
	s_or_b64 s[10:11], vcc, s[10:11]
	v_cmp_lt_i32_e32 vcc, 2, v20
	s_nop 1
	v_cndmask_b32_e32 v34, v34, v0, vcc
	s_andn2_b64 exec, exec, s[10:11]
	s_cbranch_execz .LBB68_38
.LBB68_35:                              ;   Parent Loop BB68_7 Depth=1
                                        ; =>  This Loop Header: Depth=2
                                        ;       Child Loop BB68_37 Depth 3
	v_cmp_gt_i32_e32 vcc, 3, v20
	s_nop 1
	v_cndmask_b32_e64 v0, -3, 0, vcc
	v_add_u32_e32 v10, v0, v20
	v_mul_hi_i32 v0, v47, s60
	v_lshrrev_b32_e32 v1, 31, v0
	v_add_u32_e32 v0, v0, v1
	v_lshl_add_u32 v1, v0, 1, v0
	v_sub_u32_e32 v2, v47, v1
	v_lshlrev_b32_e32 v0, 7, v0
	v_ashrrev_i32_e32 v1, 31, v0
	v_mul_lo_u32 v2, s54, v2
	v_lshl_add_u64 v[0:1], v[8:9], 0, v[0:1]
	v_ashrrev_i32_e32 v3, 31, v2
	v_lshl_add_u64 v[0:1], v[0:1], 0, v[2:3]
	v_lshlrev_b32_e32 v11, 2, v10
	;;#ASMSTART
	global_load_dwordx4 v[4:7], v[0:1], off offset:0   sc0 sc1 nt  
	global_load_dwordx4 v[0:3], v[0:1], off offset:64  sc0 sc1 nt  
	
	;;#ASMEND
	ds_read_b32 v20, v11 offset:8196
	v_add_u32_e32 v11, 0x2000, v11
	s_waitcnt lgkmcnt(0)
	v_cmp_ne_u32_e32 vcc, v20, v34
	s_and_saveexec_b64 s[12:13], vcc
	s_cbranch_execz .LBB68_34
; %bb.36:                               ;   in Loop: Header=BB68_35 Depth=2
	s_mov_b64 s[14:15], 0
.LBB68_37:                              ;   Parent Loop BB68_7 Depth=1
                                        ;     Parent Loop BB68_35 Depth=2
                                        ; =>    This Inner Loop Header: Depth=3
	;;#ASMSTART
	s_sleep 0
	;;#ASMEND
	ds_read_b32 v20, v11 offset:4
	s_waitcnt lgkmcnt(0)
	v_cmp_eq_u32_e32 vcc, v20, v34
	s_or_b64 s[14:15], vcc, s[14:15]
	s_andn2_b64 exec, exec, s[14:15]
	s_cbranch_execnz .LBB68_37
	s_branch .LBB68_34
.LBB68_38:                              ;   in Loop: Header=BB68_7 Depth=1
	s_or_b64 exec, exec, s[10:11]
.LBB68_39:                              ;   in Loop: Header=BB68_7 Depth=1
	s_or_b64 exec, exec, s[8:9]
	v_subrev_u32_e32 v47, s16, v47
.LBB68_40:                              ;   in Loop: Header=BB68_7 Depth=1
	s_or_b64 exec, exec, s[6:7]
.LBB68_41:                              ;   in Loop: Header=BB68_7 Depth=1
	s_andn2_saveexec_b64 s[6:7], s[30:31]
	s_cbranch_execz .LBB68_6
; %bb.42:                               ;   in Loop: Header=BB68_7 Depth=1
	v_cmp_gt_i32_e32 vcc, s61, v47
	s_and_saveexec_b64 s[8:9], vcc
	s_cbranch_execz .LBB68_5
; %bb.43:                               ;   in Loop: Header=BB68_7 Depth=1
	s_mul_i32 s62, s62, s22
	s_ashr_i32 s10, s62, 31
	s_waitcnt lgkmcnt(0)
	s_add_u32 s11, s36, s62
	s_addc_u32 s12, s37, s10
	s_ashr_i32 s13, s63, 31
	v_cmp_le_i32_e32 vcc, s64, v43
	s_add_u32 s10, s11, s63
	s_addc_u32 s11, s12, s13
	v_cndmask_b32_e32 v0, 0, v44, vcc
	v_ashrrev_i32_e32 v1, 31, v0
	v_lshl_add_u64 v[0:1], s[10:11], 0, v[0:1]
	v_lshl_add_u64 v[8:9], v[0:1], 0, v[16:17]
	s_mov_b64 s[10:11], 0
	s_branch .LBB68_45
.LBB68_44:                              ;   in Loop: Header=BB68_45 Depth=2
	s_or_b64 exec, exec, s[12:13]
	v_lshl_add_u32 v20, v10, 11, v45
	;;#ASMSTART
	s_waitcnt vmcnt(1)
	;;#ASMEND
	ds_write2_b32 v20, v4, v5 offset1:32
	ds_write2_b32 v20, v6, v7 offset0:64 offset1:96
	v_add_u32_e32 v4, 0x400, v20
	v_add_u32_e32 v47, s25, v47
	;;#ASMSTART
	s_waitcnt vmcnt(0)
	;;#ASMEND
	ds_write2_b32 v4, v0, v1 offset1:32
	ds_write2_b32 v4, v2, v3 offset0:64 offset1:96
	v_add_u32_e32 v0, 1, v34
	v_add_u32_e32 v20, s25, v10
	v_cmp_le_i32_e32 vcc, s61, v47
	ds_write_b32 v11, v0
	v_add_u32_e32 v0, 2, v34
	s_or_b64 s[10:11], vcc, s[10:11]
	v_cmp_lt_i32_e32 vcc, 0, v20
	s_nop 1
	v_cndmask_b32_e32 v34, v34, v0, vcc
	s_andn2_b64 exec, exec, s[10:11]
	s_cbranch_execz .LBB68_4
.LBB68_45:                              ;   Parent Loop BB68_7 Depth=1
                                        ; =>  This Loop Header: Depth=2
                                        ;       Child Loop BB68_47 Depth 3
	v_cmp_lt_i32_e32 vcc, 0, v20
	v_lshlrev_b32_e32 v0, 7, v47
	v_ashrrev_i32_e32 v1, 31, v0
	v_subbrev_co_u32_e32 v10, vcc, 0, v20, vcc
	v_lshl_add_u64 v[0:1], v[8:9], 0, v[0:1]
	v_lshlrev_b32_e32 v11, 2, v10
	;;#ASMSTART
	global_load_dwordx4 v[4:7], v[0:1], off offset:0   
	global_load_dwordx4 v[0:3], v[0:1], off offset:64  
	
	;;#ASMEND
	ds_read_b32 v20, v11 offset:8192
	v_add_u32_e32 v11, 0x2000, v11
	s_waitcnt lgkmcnt(0)
	v_cmp_ne_u32_e32 vcc, v20, v34
	s_and_saveexec_b64 s[12:13], vcc
	s_cbranch_execz .LBB68_44
; %bb.46:                               ;   in Loop: Header=BB68_45 Depth=2
	s_mov_b64 s[14:15], 0
.LBB68_47:                              ;   Parent Loop BB68_7 Depth=1
                                        ;     Parent Loop BB68_45 Depth=2
                                        ; =>    This Inner Loop Header: Depth=3
	;;#ASMSTART
	s_sleep 0
	;;#ASMEND
	ds_read_b32 v20, v11
	s_waitcnt lgkmcnt(0)
	v_cmp_eq_u32_e32 vcc, v20, v34
	s_or_b64 s[14:15], vcc, s[14:15]
	s_andn2_b64 exec, exec, s[14:15]
	s_cbranch_execnz .LBB68_47
	s_branch .LBB68_44
.LBB68_48:
	s_endpgm
	.section	.rodata,"a",@progbits
	.p2align	6, 0x0
	.amdhsa_kernel _Z19_skinny_gemm_kernelILi1ELi3ELi1ELi16ELi4EEvPKhS1_P6__halfPKfiiiiiiii
		.amdhsa_group_segment_fixed_size 8208
		.amdhsa_private_segment_fixed_size 0
		.amdhsa_kernarg_size 64
		.amdhsa_user_sgpr_count 2
		.amdhsa_user_sgpr_dispatch_ptr 0
		.amdhsa_user_sgpr_queue_ptr 0
		.amdhsa_user_sgpr_kernarg_segment_ptr 1
		.amdhsa_user_sgpr_dispatch_id 0
		.amdhsa_user_sgpr_kernarg_preload_length 0
		.amdhsa_user_sgpr_kernarg_preload_offset 0
		.amdhsa_user_sgpr_private_segment_size 0
		.amdhsa_uses_dynamic_stack 0
		.amdhsa_enable_private_segment 0
		.amdhsa_system_sgpr_workgroup_id_x 1
		.amdhsa_system_sgpr_workgroup_id_y 0
		.amdhsa_system_sgpr_workgroup_id_z 0
		.amdhsa_system_sgpr_workgroup_info 0
		.amdhsa_system_vgpr_workitem_id 0
		.amdhsa_next_free_vgpr 55
		.amdhsa_next_free_sgpr 65
		.amdhsa_accum_offset 56
		.amdhsa_reserve_vcc 1
		.amdhsa_float_round_mode_32 0
		.amdhsa_float_round_mode_16_64 0
		.amdhsa_float_denorm_mode_32 3
		.amdhsa_float_denorm_mode_16_64 3
		.amdhsa_dx10_clamp 1
		.amdhsa_ieee_mode 1
		.amdhsa_fp16_overflow 0
		.amdhsa_tg_split 0
		.amdhsa_exception_fp_ieee_invalid_op 0
		.amdhsa_exception_fp_denorm_src 0
		.amdhsa_exception_fp_ieee_div_zero 0
		.amdhsa_exception_fp_ieee_overflow 0
		.amdhsa_exception_fp_ieee_underflow 0
		.amdhsa_exception_fp_ieee_inexact 0
		.amdhsa_exception_int_div_zero 0
	.end_amdhsa_kernel
	.section	.text._Z19_skinny_gemm_kernelILi1ELi3ELi1ELi16ELi4EEvPKhS1_P6__halfPKfiiiiiiii,"axG",@progbits,_Z19_skinny_gemm_kernelILi1ELi3ELi1ELi16ELi4EEvPKhS1_P6__halfPKfiiiiiiii,comdat
.Lfunc_end68:
	.size	_Z19_skinny_gemm_kernelILi1ELi3ELi1ELi16ELi4EEvPKhS1_P6__halfPKfiiiiiiii, .Lfunc_end68-_Z19_skinny_gemm_kernelILi1ELi3ELi1ELi16ELi4EEvPKhS1_P6__halfPKfiiiiiiii
                                        ; -- End function
	.set _Z19_skinny_gemm_kernelILi1ELi3ELi1ELi16ELi4EEvPKhS1_P6__halfPKfiiiiiiii.num_vgpr, 55
	.set _Z19_skinny_gemm_kernelILi1ELi3ELi1ELi16ELi4EEvPKhS1_P6__halfPKfiiiiiiii.num_agpr, 0
	.set _Z19_skinny_gemm_kernelILi1ELi3ELi1ELi16ELi4EEvPKhS1_P6__halfPKfiiiiiiii.numbered_sgpr, 65
	.set _Z19_skinny_gemm_kernelILi1ELi3ELi1ELi16ELi4EEvPKhS1_P6__halfPKfiiiiiiii.num_named_barrier, 0
	.set _Z19_skinny_gemm_kernelILi1ELi3ELi1ELi16ELi4EEvPKhS1_P6__halfPKfiiiiiiii.private_seg_size, 0
	.set _Z19_skinny_gemm_kernelILi1ELi3ELi1ELi16ELi4EEvPKhS1_P6__halfPKfiiiiiiii.uses_vcc, 1
	.set _Z19_skinny_gemm_kernelILi1ELi3ELi1ELi16ELi4EEvPKhS1_P6__halfPKfiiiiiiii.uses_flat_scratch, 0
	.set _Z19_skinny_gemm_kernelILi1ELi3ELi1ELi16ELi4EEvPKhS1_P6__halfPKfiiiiiiii.has_dyn_sized_stack, 0
	.set _Z19_skinny_gemm_kernelILi1ELi3ELi1ELi16ELi4EEvPKhS1_P6__halfPKfiiiiiiii.has_recursion, 0
	.set _Z19_skinny_gemm_kernelILi1ELi3ELi1ELi16ELi4EEvPKhS1_P6__halfPKfiiiiiiii.has_indirect_call, 0
	.section	.AMDGPU.csdata,"",@progbits
; Kernel info:
; codeLenInByte = 3592
; TotalNumSgprs: 71
; NumVgprs: 55
; NumAgprs: 0
; TotalNumVgprs: 55
; ScratchSize: 0
; MemoryBound: 0
; FloatMode: 240
; IeeeMode: 1
; LDSByteSize: 8208 bytes/workgroup (compile time only)
; SGPRBlocks: 8
; VGPRBlocks: 6
; NumSGPRsForWavesPerEU: 71
; NumVGPRsForWavesPerEU: 55
; AccumOffset: 56
; Occupancy: 8
; WaveLimiterHint : 0
; COMPUTE_PGM_RSRC2:SCRATCH_EN: 0
; COMPUTE_PGM_RSRC2:USER_SGPR: 2
; COMPUTE_PGM_RSRC2:TRAP_HANDLER: 0
; COMPUTE_PGM_RSRC2:TGID_X_EN: 1
; COMPUTE_PGM_RSRC2:TGID_Y_EN: 0
; COMPUTE_PGM_RSRC2:TGID_Z_EN: 0
; COMPUTE_PGM_RSRC2:TIDIG_COMP_CNT: 0
; COMPUTE_PGM_RSRC3_GFX90A:ACCUM_OFFSET: 13
; COMPUTE_PGM_RSRC3_GFX90A:TG_SPLIT: 0
	.section	.text._Z19_skinny_gemm_kernelILi1ELi3ELi1ELi16ELi8EEvPKhS1_P6__halfPKfiiiiiiii,"axG",@progbits,_Z19_skinny_gemm_kernelILi1ELi3ELi1ELi16ELi8EEvPKhS1_P6__halfPKfiiiiiiii,comdat
	.protected	_Z19_skinny_gemm_kernelILi1ELi3ELi1ELi16ELi8EEvPKhS1_P6__halfPKfiiiiiiii ; -- Begin function _Z19_skinny_gemm_kernelILi1ELi3ELi1ELi16ELi8EEvPKhS1_P6__halfPKfiiiiiiii
	.globl	_Z19_skinny_gemm_kernelILi1ELi3ELi1ELi16ELi8EEvPKhS1_P6__halfPKfiiiiiiii
	.p2align	8
	.type	_Z19_skinny_gemm_kernelILi1ELi3ELi1ELi16ELi8EEvPKhS1_P6__halfPKfiiiiiiii,@function
_Z19_skinny_gemm_kernelILi1ELi3ELi1ELi16ELi8EEvPKhS1_P6__halfPKfiiiiiiii: ; @_Z19_skinny_gemm_kernelILi1ELi3ELi1ELi16ELi8EEvPKhS1_P6__halfPKfiiiiiiii
; %bb.0:
	v_cmp_gt_u32_e32 vcc, 4, v0
	v_lshlrev_b32_e32 v1, 2, v0
	s_and_saveexec_b64 s[4:5], vcc
; %bb.1:
	v_mov_b32_e32 v2, 0
	ds_write_b32 v1, v2 offset:16384
; %bb.2:
	s_or_b64 exec, exec, s[4:5]
	s_load_dwordx8 s[20:27], s[0:1], 0x20
	s_waitcnt lgkmcnt(0)
	s_barrier
	s_add_i32 s3, s20, 15
	s_ashr_i32 s5, s3, 31
	s_add_i32 s4, s21, 47
	s_lshr_b32 s5, s5, 28
	s_mul_hi_i32 s4, s4, 0x2aaaaaab
	s_add_i32 s3, s3, s5
	s_ashr_i32 s33, s3, 4
	s_lshr_b32 s3, s4, 31
	s_ashr_i32 s48, s4, 3
	s_add_i32 s48, s48, s3
	s_mul_i32 s3, s48, s33
	s_mul_i32 s3, s3, s24
	s_add_i32 s4, s3, 0x12f
	s_mul_hi_i32 s4, s4, 0x6bca1af3
	s_lshr_b32 s5, s4, 31
	s_ashr_i32 s4, s4, 7
	s_add_i32 s4, s4, s5
	s_add_i32 s5, s2, 1
	s_mul_i32 s5, s4, s5
	v_cvt_f64_i32_e32 v[2:3], s3
	v_cvt_f64_u32_e32 v[4:5], s5
	v_min_f64 v[2:3], v[2:3], v[4:5]
	v_cvt_i32_f64_e32 v17, v[2:3]
	s_mul_i32 s49, s4, s2
	v_cmp_ge_i32_e32 vcc, s49, v17
	s_cbranch_vccnz .LBB69_48
; %bb.3:
	v_lshrrev_b32_e32 v2, 6, v0
	s_add_i32 s4, s26, s25
	s_load_dwordx8 s[36:43], s[0:1], 0x0
	v_cmp_le_i32_e64 s[0:1], s4, v2
	v_mov_b32_e32 v3, s25
	v_cmp_le_i32_e64 s[2:3], s25, v2
	v_mov_b32_e32 v4, s26
	v_cndmask_b32_e64 v4, 0, v4, s[0:1]
	v_cndmask_b32_e64 v3, 0, v3, s[2:3]
	s_abs_i32 s5, s24
	v_add_u32_e32 v3, v3, v4
	v_cvt_f32_u32_e32 v4, s5
	v_sub_u32_e32 v12, v2, v3
	s_ashr_i32 s6, s22, 31
	s_lshr_b32 s6, s6, 24
	v_rcp_iflag_f32_e32 v3, v4
	s_sub_i32 s9, 0, s5
	s_add_i32 s6, s22, s6
	s_ashr_i32 s6, s6, 8
	v_mul_f32_e32 v3, 0x4f7ffffe, v3
	v_cvt_u32_f32_e32 v3, v3
	s_abs_i32 s8, s6
	s_xor_b32 s7, s6, s24
	s_ashr_i32 s7, s7, 31
	v_readfirstlane_b32 s10, v3
	s_mul_i32 s9, s9, s10
	s_mul_hi_u32 s9, s10, s9
	s_add_i32 s10, s10, s9
	s_mul_hi_u32 s9, s8, s10
	s_mul_i32 s10, s9, s5
	s_sub_i32 s8, s8, s10
	s_add_i32 s10, s9, 1
	s_sub_i32 s11, s8, s5
	s_cmp_ge_u32 s8, s5
	s_cselect_b32 s9, s10, s9
	s_cselect_b32 s8, s11, s8
	s_add_i32 s10, s9, 1
	s_cmp_ge_u32 s8, s5
	s_cselect_b32 s5, s10, s9
	s_xor_b32 s5, s5, s7
	s_sub_i32 s50, s5, s7
	s_add_i32 s24, s24, -1
	s_mul_i32 s5, s50, s24
	s_add_i32 s4, s4, s27
	s_sub_i32 s51, s6, s5
	v_cmp_gt_i32_e64 s[4:5], s4, v2
	v_lshlrev_b32_e32 v2, 1, v0
	v_lshlrev_b32_e32 v3, 4, v0
	v_and_b32_e32 v1, 60, v1
	v_and_b32_e32 v2, 64, v2
	;; [unrolled: 1-line block ×3, first 2 shown]
	s_abs_i32 s53, s33
	v_or3_b32 v47, v1, v2, v4
	v_and_b32_e32 v1, 1, v0
	v_cvt_f32_u32_e32 v6, s53
	v_lshlrev_b32_e32 v2, 1, v1
	v_lshrrev_b32_e32 v4, 2, v0
	v_and_b32_e32 v16, 14, v0
	v_sub_u32_e32 v2, v0, v2
	v_and_or_b32 v48, v4, 12, v1
	v_bitop3_b32 v49, v0, 1, v0 bitop3:0xc
	v_bitop3_b32 v50, v0, 3, 1 bitop3:0x6c
	v_and_b32_e32 v20, 48, v3
	v_bfe_u32 v1, v0, 2, 4
	v_and_b32_e32 v3, 60, v0
	v_lshlrev_b32_e32 v5, 8, v0
	v_lshlrev_b32_e32 v0, 6, v0
	v_and_b32_e32 v5, 0x200, v5
	v_and_b32_e32 v0, 64, v0
	v_or3_b32 v52, v3, v5, v0
	v_rcp_iflag_f32_e32 v0, v6
	s_abs_i32 s55, s48
	v_mul_lo_u32 v22, s23, v1
	v_mul_lo_u32 v54, s22, v1
	v_cvt_f32_u32_e32 v1, s55
	v_mul_f32_e32 v0, 0x4f7ffffe, v0
	v_cvt_u32_f32_e32 v0, v0
	v_mad_u64_u32 v[18:19], s[6:7], s21, v48, v[16:17]
	v_rcp_iflag_f32_e32 v1, v1
	v_readfirstlane_b32 s7, v0
	s_sub_i32 s6, 0, s53
	s_mul_i32 s6, s6, s7
	v_mul_f32_e32 v0, 0x4f7ffffe, v1
	v_cvt_u32_f32_e32 v0, v0
	s_mul_hi_u32 s6, s7, s6
	v_add_u32_e32 v2, 1, v2
	s_add_i32 s57, s7, s6
	s_sub_i32 s6, 0, s55
	v_readfirstlane_b32 s7, v0
	v_mbcnt_lo_u32_b32 v0, -1, 0
	v_and_b32_e32 v2, 63, v2
	s_mul_i32 s6, s6, s7
	v_mbcnt_hi_u32_b32 v0, -1, v0
	s_mul_hi_u32 s6, s7, s6
	v_and_or_b32 v0, v0, 64, v2
	v_cndmask_b32_e64 v46, 0, 1, s[0:1]
	s_movk_i32 s52, 0x3000
	v_or_b32_e32 v51, 32, v16
	v_ashrrev_i32_e32 v19, 31, v18
	s_ashr_i32 s29, s21, 31
	s_mov_b32 s28, s21
	v_ashrrev_i32_e32 v23, 31, v22
	v_mov_b32_e32 v21, 0
	s_lshl_b32 s54, s23, 4
	v_bitop3_b32 v53, v4, 15, v4 bitop3:0xc
	v_or_b32_e32 v55, 0x3000, v52
	s_ashr_i32 s56, s33, 31
	s_ashr_i32 s58, s48, 31
	s_add_i32 s59, s7, s6
	s_mov_b32 s60, 0x55555556
	v_lshlrev_b32_e32 v56, 2, v0
	v_mov_b32_e32 v57, v12
	s_branch .LBB69_7
.LBB69_4:                               ;   in Loop: Header=BB69_7 Depth=1
	s_or_b64 exec, exec, s[10:11]
.LBB69_5:                               ;   in Loop: Header=BB69_7 Depth=1
	s_or_b64 exec, exec, s[8:9]
	v_subrev_u32_e32 v57, s61, v57
.LBB69_6:                               ;   in Loop: Header=BB69_7 Depth=1
	s_or_b64 exec, exec, s[6:7]
	s_add_i32 s49, s49, 1
	v_cmp_ge_i32_e32 vcc, s49, v17
	s_cbranch_vccnz .LBB69_48
.LBB69_7:                               ; =>This Loop Header: Depth=1
                                        ;     Child Loop BB69_13 Depth 2
                                        ;       Child Loop BB69_15 Depth 3
                                        ;       Child Loop BB69_18 Depth 3
	;; [unrolled: 1-line block ×4, first 2 shown]
                                        ;     Child Loop BB69_35 Depth 2
                                        ;       Child Loop BB69_37 Depth 3
                                        ;     Child Loop BB69_45 Depth 2
                                        ;       Child Loop BB69_47 Depth 3
	s_abs_i32 s7, s49
	s_mul_hi_u32 s8, s7, s57
	s_mul_i32 s9, s8, s53
	s_ashr_i32 s6, s49, 31
	s_sub_i32 s7, s7, s9
	s_xor_b32 s6, s6, s56
	s_add_i32 s9, s8, 1
	s_sub_i32 s10, s7, s53
	s_cmp_ge_u32 s7, s53
	s_cselect_b32 s8, s9, s8
	s_cselect_b32 s7, s10, s7
	s_add_i32 s9, s8, 1
	s_cmp_ge_u32 s7, s53
	s_cselect_b32 s7, s9, s8
	s_xor_b32 s7, s7, s6
	s_sub_i32 s6, s7, s6
	s_abs_i32 s8, s6
	s_mul_i32 s7, s6, s33
	s_mul_hi_u32 s9, s8, s59
	s_sub_i32 s7, s49, s7
	s_mul_i32 s10, s9, s55
	s_lshl_b32 s62, s7, 4
	s_ashr_i32 s7, s6, 31
	s_sub_i32 s8, s8, s10
	s_xor_b32 s7, s7, s58
	s_add_i32 s10, s9, 1
	s_sub_i32 s11, s8, s55
	s_cmp_ge_u32 s8, s55
	s_cselect_b32 s9, s10, s9
	s_cselect_b32 s8, s11, s8
	s_add_i32 s10, s9, 1
	s_cmp_ge_u32 s8, s55
	s_cselect_b32 s8, s10, s9
	s_xor_b32 s8, s8, s7
	s_sub_i32 s7, s8, s7
	s_mul_i32 s8, s7, s50
	s_lshl_b32 s63, s8, 8
	s_cmp_eq_u32 s7, s24
	s_cselect_b32 s61, s51, s50
	s_sub_i32 s64, s62, s20
	s_add_i32 s64, s64, 16
	s_and_saveexec_b64 s[8:9], s[2:3]
	s_xor_b64 s[30:31], exec, s[8:9]
	s_cbranch_execz .LBB69_41
; %bb.8:                                ;   in Loop: Header=BB69_7 Depth=1
	s_mul_i32 s7, s7, s48
	s_sub_i32 s6, s6, s7
	s_mul_i32 s6, s6, 48
	s_sub_i32 s18, s6, s21
	s_add_i32 s18, s18, 48
	s_max_i32 s7, s18, 0
	s_sub_i32 s34, s6, s7
	s_and_saveexec_b64 s[6:7], s[0:1]
	s_xor_b64 s[44:45], exec, s[6:7]
	s_cbranch_execz .LBB69_31
; %bb.9:                                ;   in Loop: Header=BB69_7 Depth=1
	s_and_saveexec_b64 s[46:47], s[4:5]
	s_cbranch_execz .LBB69_30
; %bb.10:                               ;   in Loop: Header=BB69_7 Depth=1
	s_waitcnt lgkmcnt(0)
	global_load_dword v58, v21, s[42:43]
	v_mov_b32_e32 v11, 0
	v_cmp_gt_i32_e32 vcc, s61, v57
	v_mov_b32_e32 v10, v11
	v_mov_b32_e32 v9, v11
	;; [unrolled: 1-line block ×11, first 2 shown]
	s_and_saveexec_b64 s[6:7], vcc
	s_cbranch_execz .LBB69_26
; %bb.11:                               ;   in Loop: Header=BB69_7 Depth=1
	v_mov_b32_e32 v0, 0
	s_mov_b64 s[8:9], 0
	v_mov_b32_e32 v1, v0
	v_mov_b32_e32 v2, v0
	;; [unrolled: 1-line block ×11, first 2 shown]
	s_branch .LBB69_13
.LBB69_12:                              ;   in Loop: Header=BB69_13 Depth=2
	s_or_b64 exec, exec, s[10:11]
	v_add_u32_e32 v37, 0x2000, v36
	ds_read2_b32 v[38:39], v37 offset1:32
	v_add_u32_e32 v57, s27, v57
	v_cmp_le_i32_e32 vcc, s61, v57
	s_or_b64 s[8:9], vcc, s[8:9]
	s_waitcnt lgkmcnt(0)
	v_mfma_f32_16x16x32_fp8_fp8 v[0:3], v[12:13], v[38:39], v[0:3]
	ds_read2_b32 v[12:13], v37 offset0:128 offset1:160
	v_add_u32_e32 v37, 0x2400, v36
	s_waitcnt lgkmcnt(0)
	v_mfma_f32_16x16x32_fp8_fp8 v[0:3], v[14:15], v[12:13], v[0:3]
	ds_read2_b32 v[12:13], v37 offset1:32
	v_add_u32_e32 v14, 0x2800, v36
	s_waitcnt lgkmcnt(0)
	v_mfma_f32_16x16x32_fp8_fp8 v[0:3], v[32:33], v[12:13], v[0:3]
	ds_read2_b32 v[12:13], v37 offset0:128 offset1:160
	s_waitcnt lgkmcnt(0)
	v_mfma_f32_16x16x32_fp8_fp8 v[0:3], v[30:31], v[12:13], v[0:3]
	ds_read2_b32 v[12:13], v14 offset1:32
	v_add_u32_e32 v30, 0x2c00, v36
	s_waitcnt lgkmcnt(0)
	v_mfma_f32_16x16x32_fp8_fp8 v[0:3], v[34:35], v[12:13], v[0:3]
	ds_read2_b32 v[12:13], v14 offset0:128 offset1:160
	ds_read2_b32 v[14:15], v30 offset1:32
	s_waitcnt lgkmcnt(1)
	v_mfma_f32_16x16x32_fp8_fp8 v[0:3], v[28:29], v[12:13], v[0:3]
	ds_read2_b32 v[28:29], v30 offset0:128 offset1:160
	v_add_u32_e32 v12, s27, v60
	v_add_u32_e32 v13, 2, v46
	s_waitcnt lgkmcnt(1)
	v_mfma_f32_16x16x32_fp8_fp8 v[0:3], v[26:27], v[14:15], v[0:3]
	v_cmp_lt_i32_e32 vcc, 0, v12
	;;#ASMSTART
	s_waitcnt lgkmcnt(0)
	;;#ASMEND
	ds_write_b32 v59, v61 offset:16396
	s_waitcnt lgkmcnt(1)
	v_mfma_f32_16x16x32_fp8_fp8 v[0:3], v[24:25], v[28:29], v[0:3]
	v_cndmask_b32_e32 v46, v46, v13, vcc
	s_andn2_b64 exec, exec, s[8:9]
	s_cbranch_execz .LBB69_25
.LBB69_13:                              ;   Parent Loop BB69_7 Depth=1
                                        ; =>  This Loop Header: Depth=2
                                        ;       Child Loop BB69_15 Depth 3
                                        ;       Child Loop BB69_18 Depth 3
	;; [unrolled: 1-line block ×4, first 2 shown]
	v_cmp_lt_i32_e32 vcc, 0, v12
	s_nop 1
	v_subbrev_co_u32_e32 v60, vcc, 0, v12, vcc
	v_mul_lo_u32 v59, v60, 12
	ds_read_b32 v12, v59 offset:16388
	s_waitcnt lgkmcnt(0)
	v_cmp_ne_u32_e32 vcc, v12, v46
	s_and_saveexec_b64 s[10:11], vcc
	s_cbranch_execz .LBB69_16
; %bb.14:                               ;   in Loop: Header=BB69_13 Depth=2
	s_mov_b64 s[12:13], 0
.LBB69_15:                              ;   Parent Loop BB69_7 Depth=1
                                        ;     Parent Loop BB69_13 Depth=2
                                        ; =>    This Inner Loop Header: Depth=3
	;;#ASMSTART
	s_sleep 0
	;;#ASMEND
	ds_read_b32 v12, v59 offset:16388
	s_waitcnt lgkmcnt(0)
	v_cmp_eq_u32_e32 vcc, v12, v46
	s_or_b64 s[12:13], vcc, s[12:13]
	s_andn2_b64 exec, exec, s[12:13]
	s_cbranch_execnz .LBB69_15
.LBB69_16:                              ;   in Loop: Header=BB69_13 Depth=2
	s_or_b64 exec, exec, s[10:11]
	v_mul_lo_u32 v62, v60, s52
	v_or_b32_e32 v12, v47, v62
	v_add_u32_e32 v13, 0x400, v12
	ds_read2_b32 v[24:25], v12 offset1:32
	ds_read2_b32 v[26:27], v12 offset0:128 offset1:160
	ds_read2_b32 v[28:29], v13 offset1:32
	ds_read2_b32 v[36:37], v13 offset0:128 offset1:160
	v_add_u32_e32 v13, 0x800, v12
	v_add_u32_e32 v12, 0xc00, v12
	ds_read2_b32 v[38:39], v13 offset1:32
	ds_read2_b32 v[40:41], v13 offset0:128 offset1:160
	ds_read2_b32 v[44:45], v12 offset1:32
	ds_read2_b32 v[42:43], v12 offset0:128 offset1:160
	v_lshlrev_b32_e32 v12, 2, v60
	;;#ASMSTART
	s_waitcnt lgkmcnt(0)
	;;#ASMEND
	ds_read_b32 v13, v12 offset:16384
	v_add_u32_e32 v61, 1, v46
	v_add_u32_e32 v63, 0x4000, v12
	ds_write_b32 v59, v61 offset:16388
	s_waitcnt lgkmcnt(1)
	v_cmp_ne_u32_e32 vcc, v13, v46
	s_and_saveexec_b64 s[10:11], vcc
	s_cbranch_execz .LBB69_19
; %bb.17:                               ;   in Loop: Header=BB69_13 Depth=2
	s_mov_b64 s[12:13], 0
.LBB69_18:                              ;   Parent Loop BB69_7 Depth=1
                                        ;     Parent Loop BB69_13 Depth=2
                                        ; =>    This Inner Loop Header: Depth=3
	;;#ASMSTART
	s_sleep 0
	;;#ASMEND
	ds_read_b32 v12, v63
	s_waitcnt lgkmcnt(0)
	v_cmp_eq_u32_e32 vcc, v12, v46
	s_or_b64 s[12:13], vcc, s[12:13]
	s_andn2_b64 exec, exec, s[12:13]
	s_cbranch_execnz .LBB69_18
.LBB69_19:                              ;   in Loop: Header=BB69_13 Depth=2
	s_or_b64 exec, exec, s[10:11]
	v_or_b32_e32 v12, 0x3000, v47
	v_lshl_add_u32 v64, v60, 12, v12
	ds_read2_b32 v[12:13], v64 offset1:32
	ds_read2_b32 v[14:15], v64 offset0:128 offset1:160
	v_add_u32_e32 v30, 0x400, v64
	ds_read2_b32 v[32:33], v30 offset1:32
	ds_read2_b32 v[30:31], v30 offset0:128 offset1:160
	s_waitcnt lgkmcnt(3)
	v_mfma_f32_16x16x32_fp8_fp8 v[8:11], v[12:13], v[24:25], v[8:11]
	v_add_u32_e32 v24, 0x800, v64
	ds_read2_b32 v[34:35], v24 offset1:32
	ds_write_b32 v63, v61
	s_waitcnt lgkmcnt(4)
	v_mfma_f32_16x16x32_fp8_fp8 v[8:11], v[14:15], v[26:27], v[8:11]
	s_waitcnt lgkmcnt(3)
	v_mfma_f32_16x16x32_fp8_fp8 v[8:11], v[32:33], v[28:29], v[8:11]
	ds_read2_b32 v[28:29], v24 offset0:128 offset1:160
	v_add_u32_e32 v24, 0xc00, v64
	ds_read2_b32 v[26:27], v24 offset1:32
	s_waitcnt lgkmcnt(4)
	v_mfma_f32_16x16x32_fp8_fp8 v[8:11], v[30:31], v[36:37], v[8:11]
	ds_read2_b32 v[24:25], v24 offset0:128 offset1:160
	ds_read_b32 v36, v59 offset:16392
	s_waitcnt lgkmcnt(0)
	v_cmp_ne_u32_e32 vcc, v36, v46
	v_mfma_f32_16x16x32_fp8_fp8 v[8:11], v[34:35], v[38:39], v[8:11]
	v_mfma_f32_16x16x32_fp8_fp8 v[8:11], v[28:29], v[40:41], v[8:11]
	;; [unrolled: 1-line block ×4, first 2 shown]
	s_and_saveexec_b64 s[10:11], vcc
	s_cbranch_execz .LBB69_22
; %bb.20:                               ;   in Loop: Header=BB69_13 Depth=2
	s_mov_b64 s[12:13], 0
.LBB69_21:                              ;   Parent Loop BB69_7 Depth=1
                                        ;     Parent Loop BB69_13 Depth=2
                                        ; =>    This Inner Loop Header: Depth=3
	;;#ASMSTART
	s_sleep 0
	;;#ASMEND
	ds_read_b32 v36, v59 offset:16392
	s_waitcnt lgkmcnt(0)
	v_cmp_eq_u32_e32 vcc, v36, v46
	s_or_b64 s[12:13], vcc, s[12:13]
	s_andn2_b64 exec, exec, s[12:13]
	s_cbranch_execnz .LBB69_21
.LBB69_22:                              ;   in Loop: Header=BB69_13 Depth=2
	s_or_b64 exec, exec, s[10:11]
	v_add_u32_e32 v36, v47, v62
	v_add_u32_e32 v37, 0x1000, v36
	ds_read2_b32 v[38:39], v37 offset1:32
	s_waitcnt lgkmcnt(0)
	v_mfma_f32_16x16x32_fp8_fp8 v[4:7], v[12:13], v[38:39], v[4:7]
	ds_read2_b32 v[38:39], v37 offset0:128 offset1:160
	v_add_u32_e32 v37, 0x1400, v36
	s_waitcnt lgkmcnt(0)
	v_mfma_f32_16x16x32_fp8_fp8 v[4:7], v[14:15], v[38:39], v[4:7]
	ds_read2_b32 v[38:39], v37 offset1:32
	s_waitcnt lgkmcnt(0)
	v_mfma_f32_16x16x32_fp8_fp8 v[4:7], v[32:33], v[38:39], v[4:7]
	ds_read2_b32 v[38:39], v37 offset0:128 offset1:160
	v_add_u32_e32 v37, 0x1800, v36
	s_waitcnt lgkmcnt(0)
	v_mfma_f32_16x16x32_fp8_fp8 v[4:7], v[30:31], v[38:39], v[4:7]
	;; [unrolled: 7-line block ×3, first 2 shown]
	ds_read2_b32 v[38:39], v37 offset1:32
	ds_read2_b32 v[40:41], v37 offset0:128 offset1:160
	;;#ASMSTART
	s_waitcnt lgkmcnt(0)
	;;#ASMEND
	ds_read_b32 v37, v59 offset:16396
	s_waitcnt lgkmcnt(2)
	v_mfma_f32_16x16x32_fp8_fp8 v[4:7], v[26:27], v[38:39], v[4:7]
	ds_write_b32 v59, v61 offset:16392
	s_waitcnt lgkmcnt(1)
	v_cmp_ne_u32_e32 vcc, v37, v46
	v_mfma_f32_16x16x32_fp8_fp8 v[4:7], v[24:25], v[40:41], v[4:7]
	s_and_saveexec_b64 s[10:11], vcc
	s_cbranch_execz .LBB69_12
; %bb.23:                               ;   in Loop: Header=BB69_13 Depth=2
	s_mov_b64 s[12:13], 0
.LBB69_24:                              ;   Parent Loop BB69_7 Depth=1
                                        ;     Parent Loop BB69_13 Depth=2
                                        ; =>    This Inner Loop Header: Depth=3
	;;#ASMSTART
	s_sleep 0
	;;#ASMEND
	ds_read_b32 v37, v59 offset:16396
	s_waitcnt lgkmcnt(0)
	v_cmp_eq_u32_e32 vcc, v37, v46
	s_or_b64 s[12:13], vcc, s[12:13]
	s_andn2_b64 exec, exec, s[12:13]
	s_cbranch_execnz .LBB69_24
	s_branch .LBB69_12
.LBB69_25:                              ;   in Loop: Header=BB69_7 Depth=1
	s_or_b64 exec, exec, s[8:9]
.LBB69_26:                              ;   in Loop: Header=BB69_7 Depth=1
	s_or_b64 exec, exec, s[6:7]
	v_cmp_le_i32_e32 vcc, s18, v16
	v_cmp_eq_u32_e64 s[6:7], 2, v49
	v_cmp_eq_u32_e64 s[8:9], 3, v49
	s_waitcnt vmcnt(0)
	v_cndmask_b32_e32 v14, 0, v58, vcc
	v_pk_mul_f32 v[10:11], v[14:15], v[10:11] op_sel_hi:[0,1]
	v_pk_mul_f32 v[14:15], v[14:15], v[8:9] op_sel_hi:[0,1]
	v_cmp_eq_u32_e32 vcc, 1, v49
	v_cmp_eq_u32_e64 s[10:11], 0, v49
	v_cmp_eq_u32_e64 s[12:13], 1, v50
	v_cndmask_b32_e32 v8, v14, v15, vcc
	v_cndmask_b32_e64 v8, v8, v10, s[6:7]
	v_cndmask_b32_e64 v8, v8, v11, s[8:9]
	ds_bpermute_b32 v13, v56, v8
	v_cmp_eq_u32_e64 s[16:17], 3, v50
	s_waitcnt lgkmcnt(0)
	v_cndmask_b32_e64 v8, v11, v13, s[8:9]
	v_cndmask_b32_e64 v11, v14, v13, s[10:11]
	v_or_b32_e32 v14, 16, v16
	v_cmp_le_i32_e64 s[14:15], s18, v14
	v_cndmask_b32_e64 v9, v10, v13, s[6:7]
	v_cndmask_b32_e32 v10, v15, v13, vcc
	v_cndmask_b32_e64 v14, 0, v58, s[14:15]
	v_pk_mul_f32 v[6:7], v[14:15], v[6:7] op_sel_hi:[0,1]
	v_pk_mul_f32 v[14:15], v[14:15], v[4:5] op_sel_hi:[0,1]
	v_cndmask_b32_e32 v4, v14, v15, vcc
	v_cndmask_b32_e64 v4, v4, v6, s[6:7]
	v_cndmask_b32_e64 v4, v4, v7, s[8:9]
	ds_bpermute_b32 v24, v56, v4
	v_cmp_le_i32_e64 s[18:19], s18, v51
	v_cmp_eq_u32_e64 s[14:15], 2, v50
	v_cndmask_b32_e64 v13, v11, v10, s[12:13]
	s_waitcnt lgkmcnt(0)
	v_cndmask_b32_e64 v5, v7, v24, s[8:9]
	v_cndmask_b32_e64 v6, v6, v24, s[6:7]
	v_cndmask_b32_e32 v15, v15, v24, vcc
	v_cndmask_b32_e64 v24, v14, v24, s[10:11]
	v_cndmask_b32_e64 v14, 0, v58, s[18:19]
	v_pk_mul_f32 v[28:29], v[14:15], v[0:1] op_sel_hi:[0,1]
	v_pk_mul_f32 v[26:27], v[14:15], v[2:3] op_sel_hi:[0,1]
	v_cndmask_b32_e32 v0, v28, v29, vcc
	v_cndmask_b32_e64 v0, v0, v26, s[6:7]
	v_cndmask_b32_e64 v0, v0, v27, s[8:9]
	ds_bpermute_b32 v1, v56, v0
	v_cndmask_b32_e64 v0, v24, v15, s[12:13]
	v_cndmask_b32_e64 v0, v0, v6, s[14:15]
	;; [unrolled: 1-line block ×3, first 2 shown]
	v_cmp_ne_u32_e32 vcc, 0, v49
	ds_bpermute_b32 v7, v56, v0
	s_waitcnt lgkmcnt(1)
	v_cndmask_b32_e64 v2, v27, v1, s[8:9]
	v_cndmask_b32_e64 v3, v26, v1, s[6:7]
	v_cndmask_b32_e32 v0, v29, v1, vcc
	v_cndmask_b32_e64 v1, v28, v1, s[10:11]
	v_cndmask_b32_e64 v4, v13, v9, s[14:15]
	v_cndmask_b32_e64 v13, v1, v0, s[12:13]
	v_cndmask_b32_e64 v13, v13, v3, s[14:15]
	v_cndmask_b32_e64 v4, v4, v8, s[16:17]
	v_cndmask_b32_e64 v13, v13, v2, s[16:17]
	ds_bpermute_b32 v4, v56, v4
	ds_bpermute_b32 v13, v56, v13
	s_max_i32 s6, s64, 0
	v_add_u32_e32 v14, s6, v48
	v_cmp_gt_u32_e32 vcc, 16, v14
	s_and_saveexec_b64 s[12:13], vcc
	s_cbranch_execz .LBB69_29
; %bb.27:                               ;   in Loop: Header=BB69_7 Depth=1
	v_cmp_eq_u32_e64 s[8:9], 1, v50
	v_cmp_eq_u32_e64 s[10:11], 0, v50
	v_cmp_eq_u32_e32 vcc, 3, v50
	s_waitcnt lgkmcnt(1)
	v_cndmask_b32_e64 v10, v10, v4, s[8:9]
	v_cndmask_b32_e64 v15, v15, v7, s[8:9]
	s_waitcnt lgkmcnt(0)
	v_cndmask_b32_e64 v25, v0, v13, s[8:9]
	s_mul_i32 s8, s62, s21
	s_ashr_i32 s9, s8, 31
	s_lshl_b64 s[8:9], s[8:9], 1
	v_cndmask_b32_e64 v11, v11, v4, s[10:11]
	v_cndmask_b32_e64 v24, v24, v7, s[10:11]
	;; [unrolled: 1-line block ×3, first 2 shown]
	s_add_u32 s10, s40, s8
	s_addc_u32 s11, s41, s9
	s_ashr_i32 s35, s34, 31
	v_cvt_f16_f32_e32 v11, v11
	v_cvt_f16_f32_sdwa v10, v10 dst_sel:WORD_1 dst_unused:UNUSED_PAD src0_sel:DWORD
	s_lshl_b64 s[8:9], s[34:35], 1
	v_cvt_f16_f32_e32 v24, v24
	v_cvt_f16_f32_sdwa v15, v15 dst_sel:WORD_1 dst_unused:UNUSED_PAD src0_sel:DWORD
	s_add_u32 s8, s10, s8
	v_cvt_f16_f32_e32 v26, v26
	v_cvt_f16_f32_sdwa v25, v25 dst_sel:WORD_1 dst_unused:UNUSED_PAD src0_sel:DWORD
	s_addc_u32 s9, s11, s9
	v_lshl_add_u64 v[0:1], v[18:19], 1, s[8:9]
	v_or_b32_e32 v10, v10, v11
	v_cmp_eq_u32_e64 s[6:7], 2, v50
	;;#ASMSTART
	global_atomic_pk_add_f16 v[0:1], v10, off
	
	;;#ASMEND
	v_lshl_add_u64 v[10:11], v[0:1], 0, 32
	v_or_b32_e32 v15, v15, v24
	v_cmp_gt_u32_e64 s[8:9], 14, v14
	;;#ASMSTART
	global_atomic_pk_add_f16 v[10:11], v15, off
	
	;;#ASMEND
	v_lshl_add_u64 v[10:11], v[0:1], 0, 64
	v_or_b32_e32 v15, v25, v26
	;;#ASMSTART
	global_atomic_pk_add_f16 v[10:11], v15, off
	
	;;#ASMEND
	s_and_b64 exec, exec, s[8:9]
	s_cbranch_execz .LBB69_29
; %bb.28:                               ;   in Loop: Header=BB69_7 Depth=1
	v_cndmask_b32_e32 v8, v8, v4, vcc
	v_cndmask_b32_e64 v4, v9, v4, s[6:7]
	v_cndmask_b32_e32 v5, v5, v7, vcc
	v_cndmask_b32_e64 v6, v6, v7, s[6:7]
	v_cvt_f16_f32_e32 v4, v4
	v_cvt_f16_f32_sdwa v7, v8 dst_sel:WORD_1 dst_unused:UNUSED_PAD src0_sel:DWORD
	v_cndmask_b32_e32 v8, v2, v13, vcc
	v_cndmask_b32_e64 v9, v3, v13, s[6:7]
	v_cvt_f16_f32_sdwa v5, v5 dst_sel:WORD_1 dst_unused:UNUSED_PAD src0_sel:DWORD
	v_or_b32_e32 v2, v7, v4
	v_cvt_f16_f32_e32 v4, v6
	v_cvt_f16_f32_e32 v6, v9
	v_cvt_f16_f32_sdwa v7, v8 dst_sel:WORD_1 dst_unused:UNUSED_PAD src0_sel:DWORD
	v_lshl_add_u64 v[0:1], s[28:29], 2, v[0:1]
	;;#ASMSTART
	global_atomic_pk_add_f16 v[0:1], v2, off
	
	;;#ASMEND
	v_lshl_add_u64 v[2:3], v[0:1], 0, 32
	v_or_b32_e32 v4, v5, v4
	;;#ASMSTART
	global_atomic_pk_add_f16 v[2:3], v4, off
	
	;;#ASMEND
	v_lshl_add_u64 v[0:1], v[0:1], 0, 64
	v_or_b32_e32 v2, v7, v6
	;;#ASMSTART
	global_atomic_pk_add_f16 v[0:1], v2, off
	
	;;#ASMEND
.LBB69_29:                              ;   in Loop: Header=BB69_7 Depth=1
	s_or_b64 exec, exec, s[12:13]
	v_subrev_u32_e32 v57, s61, v57
.LBB69_30:                              ;   in Loop: Header=BB69_7 Depth=1
	s_or_b64 exec, exec, s[46:47]
.LBB69_31:                              ;   in Loop: Header=BB69_7 Depth=1
	s_andn2_saveexec_b64 s[6:7], s[44:45]
	s_cbranch_execz .LBB69_40
; %bb.32:                               ;   in Loop: Header=BB69_7 Depth=1
	s_mul_i32 s16, s61, 3
	v_cmp_gt_i32_e32 vcc, s16, v57
	s_and_saveexec_b64 s[8:9], vcc
	s_cbranch_execz .LBB69_39
; %bb.33:                               ;   in Loop: Header=BB69_7 Depth=1
	s_mul_i32 s10, s34, s23
	s_ashr_i32 s11, s10, 31
	s_waitcnt lgkmcnt(0)
	s_add_u32 s10, s38, s10
	s_addc_u32 s11, s39, s11
	s_ashr_i32 s12, s63, 31
	s_add_u32 s10, s10, s63
	s_addc_u32 s11, s11, s12
	v_lshl_add_u64 v[0:1], s[10:11], 0, v[22:23]
	v_lshl_add_u64 v[24:25], v[0:1], 0, v[20:21]
	s_mov_b64 s[10:11], 0
	s_branch .LBB69_35
.LBB69_34:                              ;   in Loop: Header=BB69_35 Depth=2
	s_or_b64 exec, exec, s[12:13]
	v_lshl_or_b32 v28, v26, 12, v52
	;;#ASMSTART
	s_waitcnt vmcnt(3)
	;;#ASMEND
	ds_write2_b32 v28, v12, v13 offset1:32
	ds_write2_b32 v28, v14, v15 offset0:64 offset1:96
	v_add_u32_e32 v12, 0x400, v28
	;;#ASMSTART
	s_waitcnt vmcnt(2)
	;;#ASMEND
	ds_write2_b32 v12, v8, v9 offset1:32
	ds_write2_b32 v12, v10, v11 offset0:64 offset1:96
	v_add_u32_e32 v8, 0x800, v28
	;; [unrolled: 6-line block ×3, first 2 shown]
	v_add_u32_e32 v57, s26, v57
	;;#ASMSTART
	s_waitcnt vmcnt(0)
	;;#ASMEND
	ds_write2_b32 v4, v0, v1 offset1:32
	ds_write2_b32 v4, v2, v3 offset0:64 offset1:96
	v_add_u32_e32 v0, 1, v46
	v_add_u32_e32 v12, s26, v26
	v_cmp_le_i32_e32 vcc, s16, v57
	ds_write_b32 v27, v0 offset:4
	v_add_u32_e32 v0, 2, v46
	s_or_b64 s[10:11], vcc, s[10:11]
	v_cmp_lt_i32_e32 vcc, 2, v12
	s_nop 1
	v_cndmask_b32_e32 v46, v46, v0, vcc
	s_andn2_b64 exec, exec, s[10:11]
	s_cbranch_execz .LBB69_38
.LBB69_35:                              ;   Parent Loop BB69_7 Depth=1
                                        ; =>  This Loop Header: Depth=2
                                        ;       Child Loop BB69_37 Depth 3
	v_cmp_gt_i32_e32 vcc, 3, v12
	s_nop 1
	v_cndmask_b32_e64 v0, -3, 0, vcc
	v_add_u32_e32 v26, v0, v12
	v_mul_hi_i32 v0, v57, s60
	v_lshrrev_b32_e32 v1, 31, v0
	v_add_u32_e32 v0, v0, v1
	v_lshl_add_u32 v1, v0, 1, v0
	v_sub_u32_e32 v2, v57, v1
	v_lshlrev_b32_e32 v0, 8, v0
	v_ashrrev_i32_e32 v1, 31, v0
	v_mul_lo_u32 v2, s54, v2
	v_lshl_add_u64 v[0:1], v[24:25], 0, v[0:1]
	v_ashrrev_i32_e32 v3, 31, v2
	v_lshl_add_u64 v[0:1], v[0:1], 0, v[2:3]
	v_lshlrev_b32_e32 v27, 2, v26
	;;#ASMSTART
	global_load_dwordx4 v[12:15], v[0:1], off offset:0    sc0 sc1 nt  
	global_load_dwordx4 v[8:11], v[0:1], off offset:64   sc0 sc1 nt  
	global_load_dwordx4 v[4:7], v[0:1], off offset:128  sc0 sc1 nt  
	global_load_dwordx4 v[0:3], v[0:1], off offset:192  sc0 sc1 nt  
	
	;;#ASMEND
	ds_read_b32 v28, v27 offset:16388
	v_add_u32_e32 v27, 0x4000, v27
	s_waitcnt lgkmcnt(0)
	v_cmp_ne_u32_e32 vcc, v28, v46
	s_and_saveexec_b64 s[12:13], vcc
	s_cbranch_execz .LBB69_34
; %bb.36:                               ;   in Loop: Header=BB69_35 Depth=2
	s_mov_b64 s[14:15], 0
.LBB69_37:                              ;   Parent Loop BB69_7 Depth=1
                                        ;     Parent Loop BB69_35 Depth=2
                                        ; =>    This Inner Loop Header: Depth=3
	;;#ASMSTART
	s_sleep 0
	;;#ASMEND
	ds_read_b32 v28, v27 offset:4
	s_waitcnt lgkmcnt(0)
	v_cmp_eq_u32_e32 vcc, v28, v46
	s_or_b64 s[14:15], vcc, s[14:15]
	s_andn2_b64 exec, exec, s[14:15]
	s_cbranch_execnz .LBB69_37
	s_branch .LBB69_34
.LBB69_38:                              ;   in Loop: Header=BB69_7 Depth=1
	s_or_b64 exec, exec, s[10:11]
.LBB69_39:                              ;   in Loop: Header=BB69_7 Depth=1
	s_or_b64 exec, exec, s[8:9]
	v_subrev_u32_e32 v57, s16, v57
.LBB69_40:                              ;   in Loop: Header=BB69_7 Depth=1
	s_or_b64 exec, exec, s[6:7]
.LBB69_41:                              ;   in Loop: Header=BB69_7 Depth=1
	s_andn2_saveexec_b64 s[6:7], s[30:31]
	s_cbranch_execz .LBB69_6
; %bb.42:                               ;   in Loop: Header=BB69_7 Depth=1
	v_cmp_gt_i32_e32 vcc, s61, v57
	s_and_saveexec_b64 s[8:9], vcc
	s_cbranch_execz .LBB69_5
; %bb.43:                               ;   in Loop: Header=BB69_7 Depth=1
	s_mul_i32 s62, s62, s22
	s_ashr_i32 s10, s62, 31
	s_waitcnt lgkmcnt(0)
	s_add_u32 s11, s36, s62
	s_addc_u32 s12, s37, s10
	s_ashr_i32 s13, s63, 31
	v_cmp_le_i32_e32 vcc, s64, v53
	s_add_u32 s10, s11, s63
	s_addc_u32 s11, s12, s13
	v_cndmask_b32_e32 v0, 0, v54, vcc
	v_ashrrev_i32_e32 v1, 31, v0
	v_lshl_add_u64 v[0:1], s[10:11], 0, v[0:1]
	v_lshl_add_u64 v[24:25], v[0:1], 0, v[20:21]
	s_mov_b64 s[10:11], 0
	s_branch .LBB69_45
.LBB69_44:                              ;   in Loop: Header=BB69_45 Depth=2
	s_or_b64 exec, exec, s[12:13]
	v_lshl_add_u32 v28, v26, 12, v55
	;;#ASMSTART
	s_waitcnt vmcnt(3)
	;;#ASMEND
	ds_write2_b32 v28, v12, v13 offset1:32
	ds_write2_b32 v28, v14, v15 offset0:64 offset1:96
	v_add_u32_e32 v12, 0x400, v28
	;;#ASMSTART
	s_waitcnt vmcnt(2)
	;;#ASMEND
	ds_write2_b32 v12, v8, v9 offset1:32
	ds_write2_b32 v12, v10, v11 offset0:64 offset1:96
	v_add_u32_e32 v8, 0x800, v28
	;; [unrolled: 6-line block ×3, first 2 shown]
	v_add_u32_e32 v57, s25, v57
	;;#ASMSTART
	s_waitcnt vmcnt(0)
	;;#ASMEND
	ds_write2_b32 v4, v0, v1 offset1:32
	ds_write2_b32 v4, v2, v3 offset0:64 offset1:96
	v_add_u32_e32 v0, 1, v46
	v_add_u32_e32 v12, s25, v26
	v_cmp_le_i32_e32 vcc, s61, v57
	ds_write_b32 v27, v0
	v_add_u32_e32 v0, 2, v46
	s_or_b64 s[10:11], vcc, s[10:11]
	v_cmp_lt_i32_e32 vcc, 0, v12
	s_nop 1
	v_cndmask_b32_e32 v46, v46, v0, vcc
	s_andn2_b64 exec, exec, s[10:11]
	s_cbranch_execz .LBB69_4
.LBB69_45:                              ;   Parent Loop BB69_7 Depth=1
                                        ; =>  This Loop Header: Depth=2
                                        ;       Child Loop BB69_47 Depth 3
	v_cmp_lt_i32_e32 vcc, 0, v12
	v_lshlrev_b32_e32 v0, 8, v57
	v_ashrrev_i32_e32 v1, 31, v0
	v_subbrev_co_u32_e32 v26, vcc, 0, v12, vcc
	v_lshl_add_u64 v[0:1], v[24:25], 0, v[0:1]
	v_lshlrev_b32_e32 v27, 2, v26
	;;#ASMSTART
	global_load_dwordx4 v[12:15], v[0:1], off offset:0    
	global_load_dwordx4 v[8:11], v[0:1], off offset:64   
	;; [unrolled: 1-line block ×4, first 2 shown]
	
	;;#ASMEND
	ds_read_b32 v28, v27 offset:16384
	v_add_u32_e32 v27, 0x4000, v27
	s_waitcnt lgkmcnt(0)
	v_cmp_ne_u32_e32 vcc, v28, v46
	s_and_saveexec_b64 s[12:13], vcc
	s_cbranch_execz .LBB69_44
; %bb.46:                               ;   in Loop: Header=BB69_45 Depth=2
	s_mov_b64 s[14:15], 0
.LBB69_47:                              ;   Parent Loop BB69_7 Depth=1
                                        ;     Parent Loop BB69_45 Depth=2
                                        ; =>    This Inner Loop Header: Depth=3
	;;#ASMSTART
	s_sleep 0
	;;#ASMEND
	ds_read_b32 v28, v27
	s_waitcnt lgkmcnt(0)
	v_cmp_eq_u32_e32 vcc, v28, v46
	s_or_b64 s[14:15], vcc, s[14:15]
	s_andn2_b64 exec, exec, s[14:15]
	s_cbranch_execnz .LBB69_47
	s_branch .LBB69_44
.LBB69_48:
	s_endpgm
	.section	.rodata,"a",@progbits
	.p2align	6, 0x0
	.amdhsa_kernel _Z19_skinny_gemm_kernelILi1ELi3ELi1ELi16ELi8EEvPKhS1_P6__halfPKfiiiiiiii
		.amdhsa_group_segment_fixed_size 16400
		.amdhsa_private_segment_fixed_size 0
		.amdhsa_kernarg_size 64
		.amdhsa_user_sgpr_count 2
		.amdhsa_user_sgpr_dispatch_ptr 0
		.amdhsa_user_sgpr_queue_ptr 0
		.amdhsa_user_sgpr_kernarg_segment_ptr 1
		.amdhsa_user_sgpr_dispatch_id 0
		.amdhsa_user_sgpr_kernarg_preload_length 0
		.amdhsa_user_sgpr_kernarg_preload_offset 0
		.amdhsa_user_sgpr_private_segment_size 0
		.amdhsa_uses_dynamic_stack 0
		.amdhsa_enable_private_segment 0
		.amdhsa_system_sgpr_workgroup_id_x 1
		.amdhsa_system_sgpr_workgroup_id_y 0
		.amdhsa_system_sgpr_workgroup_id_z 0
		.amdhsa_system_sgpr_workgroup_info 0
		.amdhsa_system_vgpr_workitem_id 0
		.amdhsa_next_free_vgpr 65
		.amdhsa_next_free_sgpr 65
		.amdhsa_accum_offset 68
		.amdhsa_reserve_vcc 1
		.amdhsa_float_round_mode_32 0
		.amdhsa_float_round_mode_16_64 0
		.amdhsa_float_denorm_mode_32 3
		.amdhsa_float_denorm_mode_16_64 3
		.amdhsa_dx10_clamp 1
		.amdhsa_ieee_mode 1
		.amdhsa_fp16_overflow 0
		.amdhsa_tg_split 0
		.amdhsa_exception_fp_ieee_invalid_op 0
		.amdhsa_exception_fp_denorm_src 0
		.amdhsa_exception_fp_ieee_div_zero 0
		.amdhsa_exception_fp_ieee_overflow 0
		.amdhsa_exception_fp_ieee_underflow 0
		.amdhsa_exception_fp_ieee_inexact 0
		.amdhsa_exception_int_div_zero 0
	.end_amdhsa_kernel
	.section	.text._Z19_skinny_gemm_kernelILi1ELi3ELi1ELi16ELi8EEvPKhS1_P6__halfPKfiiiiiiii,"axG",@progbits,_Z19_skinny_gemm_kernelILi1ELi3ELi1ELi16ELi8EEvPKhS1_P6__halfPKfiiiiiiii,comdat
.Lfunc_end69:
	.size	_Z19_skinny_gemm_kernelILi1ELi3ELi1ELi16ELi8EEvPKhS1_P6__halfPKfiiiiiiii, .Lfunc_end69-_Z19_skinny_gemm_kernelILi1ELi3ELi1ELi16ELi8EEvPKhS1_P6__halfPKfiiiiiiii
                                        ; -- End function
	.set _Z19_skinny_gemm_kernelILi1ELi3ELi1ELi16ELi8EEvPKhS1_P6__halfPKfiiiiiiii.num_vgpr, 65
	.set _Z19_skinny_gemm_kernelILi1ELi3ELi1ELi16ELi8EEvPKhS1_P6__halfPKfiiiiiiii.num_agpr, 0
	.set _Z19_skinny_gemm_kernelILi1ELi3ELi1ELi16ELi8EEvPKhS1_P6__halfPKfiiiiiiii.numbered_sgpr, 65
	.set _Z19_skinny_gemm_kernelILi1ELi3ELi1ELi16ELi8EEvPKhS1_P6__halfPKfiiiiiiii.num_named_barrier, 0
	.set _Z19_skinny_gemm_kernelILi1ELi3ELi1ELi16ELi8EEvPKhS1_P6__halfPKfiiiiiiii.private_seg_size, 0
	.set _Z19_skinny_gemm_kernelILi1ELi3ELi1ELi16ELi8EEvPKhS1_P6__halfPKfiiiiiiii.uses_vcc, 1
	.set _Z19_skinny_gemm_kernelILi1ELi3ELi1ELi16ELi8EEvPKhS1_P6__halfPKfiiiiiiii.uses_flat_scratch, 0
	.set _Z19_skinny_gemm_kernelILi1ELi3ELi1ELi16ELi8EEvPKhS1_P6__halfPKfiiiiiiii.has_dyn_sized_stack, 0
	.set _Z19_skinny_gemm_kernelILi1ELi3ELi1ELi16ELi8EEvPKhS1_P6__halfPKfiiiiiiii.has_recursion, 0
	.set _Z19_skinny_gemm_kernelILi1ELi3ELi1ELi16ELi8EEvPKhS1_P6__halfPKfiiiiiiii.has_indirect_call, 0
	.section	.AMDGPU.csdata,"",@progbits
; Kernel info:
; codeLenInByte = 4144
; TotalNumSgprs: 71
; NumVgprs: 65
; NumAgprs: 0
; TotalNumVgprs: 65
; ScratchSize: 0
; MemoryBound: 0
; FloatMode: 240
; IeeeMode: 1
; LDSByteSize: 16400 bytes/workgroup (compile time only)
; SGPRBlocks: 8
; VGPRBlocks: 8
; NumSGPRsForWavesPerEU: 71
; NumVGPRsForWavesPerEU: 65
; AccumOffset: 68
; Occupancy: 7
; WaveLimiterHint : 0
; COMPUTE_PGM_RSRC2:SCRATCH_EN: 0
; COMPUTE_PGM_RSRC2:USER_SGPR: 2
; COMPUTE_PGM_RSRC2:TRAP_HANDLER: 0
; COMPUTE_PGM_RSRC2:TGID_X_EN: 1
; COMPUTE_PGM_RSRC2:TGID_Y_EN: 0
; COMPUTE_PGM_RSRC2:TGID_Z_EN: 0
; COMPUTE_PGM_RSRC2:TIDIG_COMP_CNT: 0
; COMPUTE_PGM_RSRC3_GFX90A:ACCUM_OFFSET: 16
; COMPUTE_PGM_RSRC3_GFX90A:TG_SPLIT: 0
	.section	.text._Z19_skinny_gemm_kernelILi1ELi3ELi1ELi32ELi4EEvPKhS1_P6__halfPKfiiiiiiii,"axG",@progbits,_Z19_skinny_gemm_kernelILi1ELi3ELi1ELi32ELi4EEvPKhS1_P6__halfPKfiiiiiiii,comdat
	.protected	_Z19_skinny_gemm_kernelILi1ELi3ELi1ELi32ELi4EEvPKhS1_P6__halfPKfiiiiiiii ; -- Begin function _Z19_skinny_gemm_kernelILi1ELi3ELi1ELi32ELi4EEvPKhS1_P6__halfPKfiiiiiiii
	.globl	_Z19_skinny_gemm_kernelILi1ELi3ELi1ELi32ELi4EEvPKhS1_P6__halfPKfiiiiiiii
	.p2align	8
	.type	_Z19_skinny_gemm_kernelILi1ELi3ELi1ELi32ELi4EEvPKhS1_P6__halfPKfiiiiiiii,@function
_Z19_skinny_gemm_kernelILi1ELi3ELi1ELi32ELi4EEvPKhS1_P6__halfPKfiiiiiiii: ; @_Z19_skinny_gemm_kernelILi1ELi3ELi1ELi32ELi4EEvPKhS1_P6__halfPKfiiiiiiii
; %bb.0:
	v_cmp_gt_u32_e32 vcc, 4, v0
	s_and_saveexec_b64 s[4:5], vcc
; %bb.1:
	v_lshlrev_b32_e32 v1, 2, v0
	v_mov_b32_e32 v2, 0
	ds_write_b32 v1, v2 offset:8192
; %bb.2:
	s_or_b64 exec, exec, s[4:5]
	s_load_dwordx8 s[88:95], s[0:1], 0x20
	s_waitcnt lgkmcnt(0)
	s_barrier
	s_add_i32 s3, s88, 31
	s_ashr_i32 s5, s3, 31
	s_add_i32 s4, s89, 0x5f
	s_lshr_b32 s5, s5, 27
	s_mul_hi_i32 s4, s4, 0x2aaaaaab
	s_add_i32 s3, s3, s5
	s_ashr_i32 s14, s3, 5
	s_lshr_b32 s3, s4, 31
	s_ashr_i32 s4, s4, 4
	s_add_i32 s15, s4, s3
	s_mul_i32 s3, s15, s14
	s_mul_i32 s3, s3, s92
	s_add_i32 s4, s3, 0x12f
	s_mul_hi_i32 s4, s4, 0x6bca1af3
	s_lshr_b32 s5, s4, 31
	s_ashr_i32 s4, s4, 7
	s_add_i32 s4, s4, s5
	s_add_i32 s5, s2, 1
	s_mul_i32 s5, s4, s5
	v_cvt_f64_i32_e32 v[2:3], s3
	v_cvt_f64_u32_e32 v[4:5], s5
	v_min_f64 v[2:3], v[2:3], v[4:5]
	v_cvt_i32_f64_e32 v62, v[2:3]
	s_mul_i32 s2, s4, s2
	v_cmp_ge_i32_e32 vcc, s2, v62
	s_cbranch_vccnz .LBB70_51
; %bb.3:
	s_load_dwordx8 s[16:23], s[0:1], 0x0
	v_lshrrev_b32_e32 v1, 6, v0
	s_add_i32 s0, s94, s93
	v_cmp_le_i32_e64 s[24:25], s0, v1
	v_mov_b32_e32 v2, s93
	v_cmp_le_i32_e64 s[26:27], s93, v1
	v_mov_b32_e32 v3, s94
	v_cndmask_b32_e64 v3, 0, v3, s[24:25]
	v_cndmask_b32_e64 v2, 0, v2, s[26:27]
	s_abs_i32 s1, s92
	v_add_u32_e32 v2, v2, v3
	v_cvt_f32_u32_e32 v3, s1
	v_sub_u32_e32 v56, v1, v2
	s_ashr_i32 s3, s90, 31
	s_lshr_b32 s3, s3, 26
	v_rcp_iflag_f32_e32 v2, v3
	s_sub_i32 s6, 0, s1
	s_add_i32 s3, s90, s3
	s_ashr_i32 s3, s3, 6
	v_mul_f32_e32 v2, 0x4f7ffffe, v2
	v_cvt_u32_f32_e32 v2, v2
	s_abs_i32 s5, s3
	s_xor_b32 s4, s3, s92
	s_ashr_i32 s4, s4, 31
	v_readfirstlane_b32 s7, v2
	s_mul_i32 s6, s6, s7
	s_mul_hi_u32 s6, s7, s6
	s_add_i32 s7, s7, s6
	s_mul_hi_u32 s6, s5, s7
	s_mul_i32 s7, s6, s1
	s_sub_i32 s5, s5, s7
	s_add_i32 s7, s6, 1
	s_sub_i32 s8, s5, s1
	s_cmp_ge_u32 s5, s1
	s_cselect_b32 s6, s7, s6
	s_cselect_b32 s5, s8, s5
	s_add_i32 s7, s6, 1
	s_cmp_ge_u32 s5, s1
	v_lshrrev_b32_e32 v2, 3, v0
	v_lshrrev_b32_e32 v7, 1, v0
	s_cselect_b32 s1, s7, s6
	s_add_i32 s0, s0, s95
	v_and_b32_e32 v64, 31, v0
	v_and_b32_e32 v3, 4, v2
	;; [unrolled: 1-line block ×3, first 2 shown]
	v_lshlrev_b32_e32 v7, 4, v0
	s_add_i32 s29, s92, -1
	v_cmp_gt_i32_e64 s[34:35], s0, v1
	v_lshlrev_b32_e32 v1, 2, v64
	v_lshlrev_b32_e32 v2, 6, v3
	v_and_b32_e32 v7, 0x200, v7
	s_abs_i32 s92, s14
                                        ; implicit-def: $vgpr95 : SGPR spill to VGPR lane
	v_or_b32_e32 v4, 0x1800, v1
	v_or_b32_e32 v66, v1, v2
	v_and_b32_e32 v5, 1, v0
	v_or_b32_e32 v77, v1, v7
	v_cvt_f32_u32_e32 v1, s92
	v_writelane_b32 v95, s14, 0
	v_or_b32_e32 v65, v4, v2
	v_lshlrev_b32_e32 v2, 1, v5
	v_writelane_b32 v95, s15, 1
	v_sub_u32_e32 v2, v0, v2
	s_waitcnt lgkmcnt(0)
	v_writelane_b32 v95, s16, 2
	v_add_u32_e32 v2, 1, v2
	v_and_b32_e32 v6, 63, v2
	v_writelane_b32 v95, s17, 3
	v_bitop3_b32 v67, v0, 1, v0 bitop3:0xc
	v_bitop3_b32 v68, v0, 3, 1 bitop3:0x6c
	;; [unrolled: 1-line block ×8, first 2 shown]
	v_and_b32_e32 v2, 30, v0
	v_bitop3_b32 v78, v0, 31, v0 bitop3:0xc
	v_rcp_iflag_f32_e32 v0, v1
	s_abs_i32 s96, s15
	v_writelane_b32 v95, s18, 4
	v_cvt_f32_u32_e32 v1, s96
	v_writelane_b32 v95, s19, 5
	v_writelane_b32 v95, s20, 6
	;; [unrolled: 1-line block ×3, first 2 shown]
	v_mul_f32_e32 v0, 0x4f7ffffe, v0
	v_writelane_b32 v95, s22, 8
	v_cvt_u32_f32_e32 v0, v0
	v_rcp_iflag_f32_e32 v1, v1
	v_writelane_b32 v95, s23, 9
	v_cndmask_b32_e64 v63, 0, 1, s[24:25]
	s_xor_b32 s1, s1, s4
	v_writelane_b32 v95, s24, 10
	s_sub_i32 s28, s1, s4
	s_mul_i32 s1, s28, s29
	v_writelane_b32 v95, s25, 11
	v_writelane_b32 v95, s26, 12
	s_sub_i32 s30, s3, s1
	v_readfirstlane_b32 s1, v0
	v_mul_f32_e32 v0, 0x4f7ffffe, v1
	v_writelane_b32 v95, s27, 13
	v_cvt_u32_f32_e32 v0, v0
	v_writelane_b32 v95, s28, 14
	s_sub_i32 s0, 0, s92
	v_writelane_b32 v95, s29, 15
	s_mul_i32 s0, s0, s1
	v_writelane_b32 v95, s30, 16
	s_mul_hi_u32 s0, s1, s0
	v_writelane_b32 v95, s34, 17
	s_ashr_i32 s31, s14, 31
	s_add_i32 s36, s1, s0
	s_sub_i32 s0, 0, s96
	v_readfirstlane_b32 s1, v0
	v_mbcnt_lo_u32_b32 v0, -1, 0
	v_writelane_b32 v95, s35, 18
	s_mul_i32 s0, s0, s1
	v_mbcnt_hi_u32_b32 v0, -1, v0
	v_writelane_b32 v95, s31, 19
	v_mov_b32_e32 v49, 0
	v_mul_lo_u32 v52, s91, v64
	v_or_b32_e32 v81, v5, v3
	s_ashr_i32 s37, s15, 31
	s_mul_hi_u32 s0, s1, s0
	v_and_or_b32 v0, v0, 64, v6
	v_writelane_b32 v95, s36, 20
	v_or_b32_e32 v75, 32, v64
	v_or_b32_e32 v76, 64, v64
	v_ashrrev_i32_e32 v53, 31, v52
	v_mov_b32_e32 v51, v49
	s_lshl_b32 s33, s91, 5
	v_mul_lo_u32 v79, s90, v64
	v_or_b32_e32 v80, v4, v7
	v_or_b32_e32 v82, 2, v81
	s_add_i32 s38, s1, s0
	v_lshlrev_b32_e32 v48, 1, v2
	v_lshlrev_b32_e32 v83, 2, v0
	v_mov_b32_e32 v84, v56
	v_writelane_b32 v95, s37, 21
	v_writelane_b32 v95, s38, 22
	s_branch .LBB70_7
.LBB70_4:                               ;   in Loop: Header=BB70_7 Depth=1
	s_or_b64 exec, exec, s[6:7]
.LBB70_5:                               ;   in Loop: Header=BB70_7 Depth=1
	s_or_b64 exec, exec, s[4:5]
	v_subrev_u32_e32 v84, s97, v84
.LBB70_6:                               ;   in Loop: Header=BB70_7 Depth=1
	s_or_b64 exec, exec, s[0:1]
	s_add_i32 s2, s2, 1
	v_cmp_ge_i32_e32 vcc, s2, v62
	s_cbranch_vccnz .LBB70_51
.LBB70_7:                               ; =>This Loop Header: Depth=1
                                        ;     Child Loop BB70_13 Depth 2
                                        ;       Child Loop BB70_15 Depth 3
                                        ;       Child Loop BB70_18 Depth 3
                                        ;       Child Loop BB70_21 Depth 3
                                        ;       Child Loop BB70_24 Depth 3
                                        ;     Child Loop BB70_29 Depth 2
                                        ;     Child Loop BB70_38 Depth 2
                                        ;       Child Loop BB70_40 Depth 3
                                        ;     Child Loop BB70_48 Depth 2
                                        ;       Child Loop BB70_50 Depth 3
	s_abs_i32 s1, s2
	s_mul_hi_u32 s3, s1, s36
	s_mul_i32 s4, s3, s92
	s_ashr_i32 s0, s2, 31
	s_sub_i32 s1, s1, s4
	s_xor_b32 s0, s0, s31
	s_add_i32 s4, s3, 1
	s_sub_i32 s5, s1, s92
	s_cmp_ge_u32 s1, s92
	s_cselect_b32 s3, s4, s3
	s_cselect_b32 s1, s5, s1
	s_add_i32 s4, s3, 1
	s_cmp_ge_u32 s1, s92
	s_cselect_b32 s1, s4, s3
	s_xor_b32 s1, s1, s0
	s_sub_i32 s0, s1, s0
	s_abs_i32 s4, s0
	s_mul_i32 s1, s0, s14
	s_mul_hi_u32 s5, s4, s38
	s_sub_i32 s1, s2, s1
	s_mul_i32 s6, s5, s96
	s_lshl_b32 s3, s1, 5
	s_ashr_i32 s1, s0, 31
	s_sub_i32 s4, s4, s6
	s_xor_b32 s1, s1, s37
	s_add_i32 s6, s5, 1
	s_sub_i32 s7, s4, s96
	s_cmp_ge_u32 s4, s96
	s_cselect_b32 s5, s6, s5
	s_cselect_b32 s4, s7, s4
	s_add_i32 s6, s5, 1
	s_cmp_ge_u32 s4, s96
	s_cselect_b32 s4, s6, s5
	s_xor_b32 s4, s4, s1
	s_sub_i32 s1, s4, s1
	s_mul_i32 s4, s1, s28
	s_lshl_b32 s39, s4, 6
	s_cmp_eq_u32 s1, s29
	s_cselect_b32 s97, s30, s28
	s_sub_i32 s4, s3, s88
	s_add_i32 s71, s4, 32
	s_and_saveexec_b64 s[4:5], s[26:27]
	s_xor_b64 s[98:99], exec, s[4:5]
	s_cbranch_execz .LBB70_44
; %bb.8:                                ;   in Loop: Header=BB70_7 Depth=1
	s_mul_i32 s1, s1, s15
	s_sub_i32 s0, s0, s1
	s_mulk_i32 s0, 0x60
	s_sub_i32 s70, s0, s89
	s_addk_i32 s70, 0x60
	s_max_i32 s1, s70, 0
	s_sub_i32 s4, s0, s1
	s_and_saveexec_b64 s[0:1], s[24:25]
	s_xor_b64 s[0:1], exec, s[0:1]
	s_cbranch_execz .LBB70_34
; %bb.9:                                ;   in Loop: Header=BB70_7 Depth=1
	s_and_saveexec_b64 s[8:9], s[34:35]
	s_cbranch_execz .LBB70_33
; %bb.10:                               ;   in Loop: Header=BB70_7 Depth=1
	global_load_dword v85, v49, s[22:23]
	v_mov_b32_e32 v47, 0
	v_writelane_b32 v95, s8, 23
	v_cmp_gt_i32_e32 vcc, s97, v84
	v_mov_b32_e32 v46, v47
	v_mov_b32_e32 v45, v47
	;; [unrolled: 1-line block ×47, first 2 shown]
	v_writelane_b32 v95, s9, 24
	s_and_saveexec_b64 s[6:7], vcc
	s_cbranch_execz .LBB70_26
; %bb.11:                               ;   in Loop: Header=BB70_7 Depth=1
	v_mov_b32_e32 v0, 0
	s_mov_b64 s[8:9], 0
	v_mov_b32_e32 v1, v0
	v_mov_b32_e32 v2, v0
	;; [unrolled: 1-line block ×47, first 2 shown]
	s_branch .LBB70_13
.LBB70_12:                              ;   in Loop: Header=BB70_13 Depth=2
	s_or_b64 exec, exec, s[10:11]
	v_add_u32_e32 v92, 0x1000, v89
	ds_read2_b32 v[90:91], v92 offset1:32
	v_add_u32_e32 v84, s95, v84
	s_waitcnt lgkmcnt(0)
	v_mfma_f32_32x32x16_fp8_fp8 v[0:15], v[60:61], v[90:91], v[0:15]
	ds_read2_b32 v[60:61], v92 offset0:128 offset1:160
	s_waitcnt lgkmcnt(0)
	v_mfma_f32_32x32x16_fp8_fp8 v[0:15], v[58:59], v[60:61], v[0:15]
	v_add_u32_e32 v60, 0x1400, v89
	ds_read2_b32 v[58:59], v60 offset1:32
	ds_read2_b32 v[60:61], v60 offset0:128 offset1:160
	ds_write_b32 v87, v88 offset:8212
	s_waitcnt lgkmcnt(2)
	v_mfma_f32_32x32x16_fp8_fp8 v[0:15], v[56:57], v[58:59], v[0:15]
	v_add_u32_e32 v56, s95, v86
	v_add_u32_e32 v57, 2, v63
	v_cmp_lt_i32_e32 vcc, 0, v56
	s_nop 1
	v_cndmask_b32_e32 v63, v63, v57, vcc
	v_cmp_le_i32_e32 vcc, s97, v84
	s_waitcnt lgkmcnt(1)
	v_mfma_f32_32x32x16_fp8_fp8 v[0:15], v[54:55], v[60:61], v[0:15]
	s_or_b64 s[8:9], vcc, s[8:9]
	s_andn2_b64 exec, exec, s[8:9]
	s_cbranch_execz .LBB70_25
.LBB70_13:                              ;   Parent Loop BB70_7 Depth=1
                                        ; =>  This Loop Header: Depth=2
                                        ;       Child Loop BB70_15 Depth 3
                                        ;       Child Loop BB70_18 Depth 3
                                        ;       Child Loop BB70_21 Depth 3
                                        ;       Child Loop BB70_24 Depth 3
	v_cmp_lt_i32_e32 vcc, 0, v56
	s_nop 1
	v_subbrev_co_u32_e32 v86, vcc, 0, v56, vcc
	v_mul_lo_u32 v87, v86, 24
	ds_read_b32 v54, v87 offset:8192
	s_waitcnt lgkmcnt(0)
	v_cmp_ne_u32_e32 vcc, v54, v63
	s_and_saveexec_b64 s[10:11], vcc
	s_cbranch_execz .LBB70_16
; %bb.14:                               ;   in Loop: Header=BB70_13 Depth=2
	s_mov_b64 s[12:13], 0
.LBB70_15:                              ;   Parent Loop BB70_7 Depth=1
                                        ;     Parent Loop BB70_13 Depth=2
                                        ; =>    This Inner Loop Header: Depth=3
	;;#ASMSTART
	s_sleep 0
	;;#ASMEND
	ds_read_b32 v54, v87 offset:8192
	s_waitcnt lgkmcnt(0)
	v_cmp_eq_u32_e32 vcc, v54, v63
	s_or_b64 s[12:13], vcc, s[12:13]
	s_andn2_b64 exec, exec, s[12:13]
	s_cbranch_execnz .LBB70_15
.LBB70_16:                              ;   in Loop: Header=BB70_13 Depth=2
	s_or_b64 exec, exec, s[10:11]
	v_lshl_add_u32 v54, v86, 11, v65
	ds_read2_b32 v[60:61], v54 offset1:32
	ds_read2_b32 v[58:59], v54 offset0:128 offset1:160
	v_add_u32_e32 v54, 0x400, v54
	ds_read2_b32 v[56:57], v54 offset1:32
	ds_read_b32 v89, v87 offset:8196
	ds_read2_b32 v[54:55], v54 offset0:128 offset1:160
	v_add_u32_e32 v88, 1, v63
	ds_write_b32 v87, v88 offset:8192
	s_waitcnt lgkmcnt(2)
	v_cmp_ne_u32_e32 vcc, v89, v63
	s_and_saveexec_b64 s[10:11], vcc
	s_cbranch_execz .LBB70_19
; %bb.17:                               ;   in Loop: Header=BB70_13 Depth=2
	s_mov_b64 s[12:13], 0
.LBB70_18:                              ;   Parent Loop BB70_7 Depth=1
                                        ;     Parent Loop BB70_13 Depth=2
                                        ; =>    This Inner Loop Header: Depth=3
	;;#ASMSTART
	s_sleep 0
	;;#ASMEND
	ds_read_b32 v89, v87 offset:8196
	s_waitcnt lgkmcnt(0)
	v_cmp_eq_u32_e32 vcc, v89, v63
	s_or_b64 s[12:13], vcc, s[12:13]
	s_andn2_b64 exec, exec, s[12:13]
	s_cbranch_execnz .LBB70_18
.LBB70_19:                              ;   in Loop: Header=BB70_13 Depth=2
	s_or_b64 exec, exec, s[10:11]
	s_movk_i32 s5, 0x1800
	v_mul_lo_u32 v89, v86, s5
	v_or_b32_e32 v92, v66, v89
	ds_read2_b32 v[90:91], v92 offset1:32
	ds_write_b32 v87, v88 offset:8196
	s_waitcnt lgkmcnt(1)
	v_mfma_f32_32x32x16_fp8_fp8 v[32:47], v[60:61], v[90:91], v[32:47]
	ds_read2_b32 v[90:91], v92 offset0:128 offset1:160
	v_add_u32_e32 v92, 0x400, v92
	s_waitcnt lgkmcnt(0)
	v_mfma_f32_32x32x16_fp8_fp8 v[32:47], v[58:59], v[90:91], v[32:47]
	ds_read2_b32 v[90:91], v92 offset1:32
	s_waitcnt lgkmcnt(0)
	v_mfma_f32_32x32x16_fp8_fp8 v[32:47], v[56:57], v[90:91], v[32:47]
	ds_read2_b32 v[90:91], v92 offset0:128 offset1:160
	ds_read_b32 v92, v87 offset:8204
	s_waitcnt lgkmcnt(0)
	v_cmp_ne_u32_e32 vcc, v92, v63
	v_mfma_f32_32x32x16_fp8_fp8 v[32:47], v[54:55], v[90:91], v[32:47]
	s_and_saveexec_b64 s[10:11], vcc
	s_cbranch_execz .LBB70_22
; %bb.20:                               ;   in Loop: Header=BB70_13 Depth=2
	s_mov_b64 s[12:13], 0
.LBB70_21:                              ;   Parent Loop BB70_7 Depth=1
                                        ;     Parent Loop BB70_13 Depth=2
                                        ; =>    This Inner Loop Header: Depth=3
	;;#ASMSTART
	s_sleep 0
	;;#ASMEND
	ds_read_b32 v90, v87 offset:8204
	s_waitcnt lgkmcnt(0)
	v_cmp_eq_u32_e32 vcc, v90, v63
	s_or_b64 s[12:13], vcc, s[12:13]
	s_andn2_b64 exec, exec, s[12:13]
	s_cbranch_execnz .LBB70_21
.LBB70_22:                              ;   in Loop: Header=BB70_13 Depth=2
	s_or_b64 exec, exec, s[10:11]
	v_add_u32_e32 v89, v66, v89
	v_add_u32_e32 v92, 0x800, v89
	ds_read2_b32 v[90:91], v92 offset1:32
	ds_write_b32 v87, v88 offset:8204
	s_waitcnt lgkmcnt(1)
	v_mfma_f32_32x32x16_fp8_fp8 v[16:31], v[60:61], v[90:91], v[16:31]
	ds_read2_b32 v[90:91], v92 offset0:128 offset1:160
	v_add_u32_e32 v92, 0xc00, v89
	s_waitcnt lgkmcnt(0)
	v_mfma_f32_32x32x16_fp8_fp8 v[16:31], v[58:59], v[90:91], v[16:31]
	ds_read2_b32 v[90:91], v92 offset1:32
	s_waitcnt lgkmcnt(0)
	v_mfma_f32_32x32x16_fp8_fp8 v[16:31], v[56:57], v[90:91], v[16:31]
	ds_read2_b32 v[90:91], v92 offset0:128 offset1:160
	ds_read_b32 v92, v87 offset:8212
	s_waitcnt lgkmcnt(0)
	v_cmp_ne_u32_e32 vcc, v92, v63
	v_mfma_f32_32x32x16_fp8_fp8 v[16:31], v[54:55], v[90:91], v[16:31]
	s_and_saveexec_b64 s[10:11], vcc
	s_cbranch_execz .LBB70_12
; %bb.23:                               ;   in Loop: Header=BB70_13 Depth=2
	s_mov_b64 s[12:13], 0
.LBB70_24:                              ;   Parent Loop BB70_7 Depth=1
                                        ;     Parent Loop BB70_13 Depth=2
                                        ; =>    This Inner Loop Header: Depth=3
	;;#ASMSTART
	s_sleep 0
	;;#ASMEND
	ds_read_b32 v90, v87 offset:8212
	s_waitcnt lgkmcnt(0)
	v_cmp_eq_u32_e32 vcc, v90, v63
	s_or_b64 s[12:13], vcc, s[12:13]
	s_andn2_b64 exec, exec, s[12:13]
	s_cbranch_execnz .LBB70_24
	s_branch .LBB70_12
.LBB70_25:                              ;   in Loop: Header=BB70_7 Depth=1
	s_or_b64 exec, exec, s[8:9]
.LBB70_26:                              ;   in Loop: Header=BB70_7 Depth=1
	v_writelane_b32 v95, s71, 25
	v_writelane_b32 v95, s39, 26
	s_or_b64 exec, exec, s[6:7]
	v_cmp_le_i32_e32 vcc, s70, v64
	v_cmp_eq_u32_e64 s[60:61], 1, v67
	v_cmp_eq_u32_e64 s[28:29], 2, v67
	s_waitcnt vmcnt(0)
	v_cndmask_b32_e32 v54, 0, v85, vcc
	v_pk_mul_f32 v[32:33], v[54:55], v[32:33] op_sel_hi:[0,1]
	v_pk_mul_f32 v[46:47], v[54:55], v[46:47] op_sel_hi:[0,1]
	;; [unrolled: 1-line block ×8, first 2 shown]
	v_cndmask_b32_e64 v54, v32, v33, s[60:61]
	v_cndmask_b32_e64 v54, v54, v34, s[28:29]
	v_cmp_eq_u32_e64 s[40:41], 3, v67
	v_cmp_eq_u32_e64 s[42:43], 4, v67
	v_cmp_eq_u32_e64 s[44:45], 5, v67
	v_cndmask_b32_e64 v54, v54, v35, s[40:41]
	v_cndmask_b32_e64 v54, v54, v36, s[42:43]
	v_cndmask_b32_e64 v54, v54, v37, s[44:45]
	v_cmp_eq_u32_e64 s[46:47], 6, v67
	v_cmp_eq_u32_e64 s[48:49], 7, v67
	v_cmp_eq_u32_e64 s[50:51], 8, v67
	v_cndmask_b32_e64 v54, v54, v38, s[46:47]
	;; [unrolled: 6-line block ×4, first 2 shown]
	v_cndmask_b32_e64 v54, v54, v45, s[62:63]
	v_cndmask_b32_e64 v54, v54, v46, s[64:65]
	v_cmp_eq_u32_e64 s[66:67], 15, v67
	s_mul_i32 s6, s3, s89
	s_ashr_i32 s7, s6, 31
	v_cndmask_b32_e64 v54, v54, v47, s[66:67]
	ds_bpermute_b32 v54, v83, v54
	s_lshl_b64 s[6:7], s[6:7], 1
	v_cmp_eq_u32_e64 s[36:37], 0, v67
	s_add_u32 s71, s20, s6
	v_cmp_eq_u32_e32 vcc, 1, v68
	s_waitcnt lgkmcnt(0)
	v_cndmask_b32_e64 v47, v47, v54, s[66:67]
	v_cndmask_b32_e64 v46, v46, v54, s[64:65]
	;; [unrolled: 1-line block ×16, first 2 shown]
	s_addc_u32 s72, s21, s7
	v_cndmask_b32_e32 v32, v54, v33, vcc
	v_cmp_eq_u32_e64 s[6:7], 2, v68
	v_cmp_eq_u32_e64 s[8:9], 3, v68
	v_cmp_eq_u32_e64 s[10:11], 4, v68
	v_cndmask_b32_e64 v32, v32, v87, s[6:7]
	v_cndmask_b32_e64 v32, v32, v86, s[8:9]
	v_cndmask_b32_e64 v32, v32, v61, s[10:11]
	v_cmp_eq_u32_e64 s[12:13], 5, v68
	v_cmp_eq_u32_e64 s[14:15], 6, v68
	v_cmp_eq_u32_e64 s[16:17], 7, v68
	v_cndmask_b32_e64 v32, v32, v60, s[12:13]
	v_cndmask_b32_e64 v32, v32, v59, s[14:15]
	v_cndmask_b32_e64 v32, v32, v58, s[16:17]
	;; [unrolled: 6-line block ×4, first 2 shown]
	v_cmp_eq_u32_e64 s[34:35], 14, v68
	v_cmp_eq_u32_e64 s[38:39], 15, v68
	s_ashr_i32 s5, s4, 31
	v_cndmask_b32_e64 v32, v32, v46, s[34:35]
	v_cndmask_b32_e64 v32, v32, v47, s[38:39]
	s_lshl_b64 s[68:69], s[4:5], 1
	ds_bpermute_b32 v55, v83, v32
	s_add_u32 s68, s71, s68
	s_addc_u32 s69, s72, s69
	v_writelane_b32 v95, s68, 27
	v_cmp_eq_u32_e64 s[72:73], 11, v69
	s_waitcnt lgkmcnt(0)
	v_cndmask_b32_e64 v39, v42, v55, s[22:23]
	v_writelane_b32 v95, s69, 28
	v_cmp_le_i32_e64 s[68:69], s70, v75
	v_cndmask_b32_e64 v42, v58, v55, s[16:17]
	v_cndmask_b32_e32 v33, v33, v55, vcc
	v_cndmask_b32_e64 v32, 0, v85, s[68:69]
	v_cmp_le_i32_e64 s[68:69], s70, v76
	v_pk_mul_f32 v[16:17], v[32:33], v[16:17] op_sel_hi:[0,1]
	v_cndmask_b32_e64 v34, v47, v55, s[38:39]
	v_cndmask_b32_e64 v58, 0, v85, s[68:69]
	v_cmp_eq_u32_e64 s[68:69], 0, v68
	v_pk_mul_f32 v[0:1], v[58:59], v[0:1] op_sel_hi:[0,1]
	v_cndmask_b32_e64 v35, v46, v55, s[34:35]
	v_cndmask_b32_e64 v36, v45, v55, s[30:31]
	;; [unrolled: 1-line block ×12, first 2 shown]
	v_pk_mul_f32 v[30:31], v[32:33], v[30:31] op_sel_hi:[0,1]
	v_pk_mul_f32 v[28:29], v[32:33], v[28:29] op_sel_hi:[0,1]
	;; [unrolled: 1-line block ×7, first 2 shown]
	v_cndmask_b32_e64 v32, v16, v17, s[60:61]
	v_pk_mul_f32 v[54:55], v[58:59], v[4:5] op_sel_hi:[0,1]
	v_pk_mul_f32 v[2:3], v[58:59], v[2:3] op_sel_hi:[0,1]
	v_cndmask_b32_e64 v4, v0, v1, s[60:61]
	v_cndmask_b32_e64 v32, v32, v18, s[28:29]
	;; [unrolled: 1-line block ×8, first 2 shown]
	v_pk_mul_f32 v[6:7], v[58:59], v[6:7] op_sel_hi:[0,1]
	v_cndmask_b32_e64 v4, v4, v55, s[44:45]
	v_cndmask_b32_e64 v32, v32, v22, s[46:47]
	v_cndmask_b32_e64 v4, v4, v6, s[46:47]
	v_cndmask_b32_e64 v32, v32, v23, s[48:49]
	v_pk_mul_f32 v[8:9], v[58:59], v[8:9] op_sel_hi:[0,1]
	v_cndmask_b32_e64 v4, v4, v7, s[48:49]
	v_cndmask_b32_e64 v32, v32, v24, s[50:51]
	v_cndmask_b32_e64 v4, v4, v8, s[50:51]
	v_cndmask_b32_e64 v32, v32, v25, s[52:53]
	;; [unrolled: 5-line block ×5, first 2 shown]
	v_cndmask_b32_e64 v4, v4, v15, s[66:67]
	ds_bpermute_b32 v32, v83, v32
	ds_bpermute_b32 v5, v83, v4
	v_cmp_eq_u32_e64 s[70:71], 10, v69
	v_cmp_eq_u32_e64 s[76:77], 13, v69
	v_cmp_eq_u32_e64 s[78:79], 15, v69
	s_waitcnt lgkmcnt(1)
	v_cndmask_b32_e64 v4, v17, v32, s[60:61]
	v_cmp_eq_u32_e64 s[60:61], 1, v69
	v_cndmask_b32_e64 v18, v18, v32, s[28:29]
	s_waitcnt lgkmcnt(0)
	v_cndmask_b32_e64 v2, v2, v5, s[28:29]
	v_cmp_ne_u32_e64 s[28:29], 0, v67
	v_cndmask_b32_e64 v17, v57, v33, s[60:61]
	v_cndmask_b32_e64 v31, v31, v32, s[66:67]
	;; [unrolled: 1-line block ×3, first 2 shown]
	v_cmp_eq_u32_e64 s[66:67], 2, v69
	v_cndmask_b32_e64 v1, v1, v5, s[28:29]
	v_cndmask_b32_e64 v16, v16, v32, s[36:37]
	;; [unrolled: 1-line block ×6, first 2 shown]
	v_cmp_eq_u32_e64 s[64:65], 3, v69
	v_cndmask_b32_e64 v29, v29, v32, s[62:63]
	v_cndmask_b32_e64 v13, v13, v5, s[62:63]
	;; [unrolled: 1-line block ×22, first 2 shown]
	v_cndmask_b32_e32 v32, v16, v4, vcc
	v_cndmask_b32_e32 v5, v0, v1, vcc
	v_cndmask_b32_e64 v17, v17, v46, s[64:65]
	v_cmp_eq_u32_e64 s[62:63], 4, v69
	v_cndmask_b32_e64 v32, v32, v18, s[6:7]
	v_cndmask_b32_e64 v5, v5, v2, s[6:7]
	v_cndmask_b32_e64 v17, v17, v45, s[62:63]
	v_cmp_eq_u32_e64 s[58:59], 5, v69
	v_cndmask_b32_e64 v32, v32, v19, s[8:9]
	v_cndmask_b32_e64 v5, v5, v3, s[8:9]
	;; [unrolled: 4-line block ×6, first 2 shown]
	v_cndmask_b32_e64 v17, v17, v40, s[50:51]
	v_cndmask_b32_e64 v32, v32, v24, s[18:19]
	;; [unrolled: 1-line block ×7, first 2 shown]
	v_cmp_eq_u32_e64 s[44:45], 12, v69
	v_cndmask_b32_e64 v32, v32, v26, s[22:23]
	v_cndmask_b32_e64 v5, v5, v10, s[22:23]
	;; [unrolled: 1-line block ×6, first 2 shown]
	v_cmp_eq_u32_e64 s[40:41], 14, v69
	v_cndmask_b32_e64 v32, v32, v28, s[26:27]
	v_cndmask_b32_e64 v5, v5, v12, s[26:27]
	v_cndmask_b32_e64 v17, v17, v35, s[40:41]
	v_cndmask_b32_e64 v32, v32, v29, s[30:31]
	v_cndmask_b32_e64 v5, v5, v13, s[30:31]
	v_cndmask_b32_e64 v17, v17, v34, s[78:79]
	v_cndmask_b32_e64 v32, v32, v30, s[34:35]
	v_cndmask_b32_e64 v5, v5, v14, s[34:35]
	ds_bpermute_b32 v17, v83, v17
	v_cndmask_b32_e64 v32, v32, v31, s[38:39]
	v_cndmask_b32_e64 v5, v5, v15, s[38:39]
	ds_bpermute_b32 v32, v83, v32
	ds_bpermute_b32 v5, v83, v5
	v_cmp_eq_u32_e64 s[42:43], 0, v69
	s_waitcnt lgkmcnt(2)
	v_cndmask_b32_e64 v34, v34, v17, s[78:79]
	v_cndmask_b32_e64 v35, v35, v17, s[40:41]
	;; [unrolled: 1-line block ×16, first 2 shown]
	v_cmp_eq_u32_e64 s[28:29], 1, v70
	s_waitcnt lgkmcnt(1)
	v_cndmask_b32_e64 v30, v30, v32, s[34:35]
	s_waitcnt lgkmcnt(0)
	v_cndmask_b32_e64 v14, v14, v5, s[34:35]
	v_cndmask_b32_e64 v57, v17, v33, s[28:29]
	v_cmp_eq_u32_e64 s[34:35], 2, v70
	v_cndmask_b32_e32 v1, v1, v5, vcc
	v_cndmask_b32_e64 v0, v0, v5, s[68:69]
	v_cndmask_b32_e64 v15, v15, v5, s[38:39]
	;; [unrolled: 1-line block ×5, first 2 shown]
	v_cmp_eq_u32_e64 s[30:31], 3, v70
	v_cndmask_b32_e64 v12, v12, v5, s[26:27]
	v_cndmask_b32_e64 v11, v11, v5, s[24:25]
	;; [unrolled: 1-line block ×11, first 2 shown]
	v_cndmask_b32_e32 v4, v4, v32, vcc
	v_cndmask_b32_e64 v16, v16, v32, s[68:69]
	v_cndmask_b32_e64 v5, v0, v1, s[60:61]
	;; [unrolled: 1-line block ×5, first 2 shown]
	v_cmp_eq_u32_e64 s[26:27], 4, v70
	v_cndmask_b32_e64 v27, v27, v32, s[24:25]
	v_cndmask_b32_e64 v26, v26, v32, s[22:23]
	;; [unrolled: 1-line block ×13, first 2 shown]
	v_cmp_eq_u32_e64 s[24:25], 5, v70
	v_cndmask_b32_e64 v32, v32, v18, s[66:67]
	v_cndmask_b32_e64 v5, v5, v3, s[64:65]
	v_cndmask_b32_e64 v57, v57, v44, s[24:25]
	v_cmp_eq_u32_e64 s[22:23], 6, v70
	v_cndmask_b32_e64 v32, v32, v19, s[64:65]
	v_cndmask_b32_e64 v5, v5, v54, s[62:63]
	v_cndmask_b32_e64 v57, v57, v43, s[22:23]
	v_cmp_eq_u32_e64 s[48:49], 7, v70
	v_cndmask_b32_e64 v32, v32, v20, s[62:63]
	v_cndmask_b32_e64 v5, v5, v55, s[58:59]
	v_cndmask_b32_e64 v57, v57, v42, s[48:49]
	v_cmp_eq_u32_e64 s[18:19], 8, v70
	v_cndmask_b32_e64 v32, v32, v21, s[58:59]
	v_cndmask_b32_e64 v5, v5, v6, s[56:57]
	v_cndmask_b32_e64 v57, v57, v41, s[18:19]
	v_cmp_eq_u32_e64 s[16:17], 9, v70
	v_cndmask_b32_e64 v32, v32, v22, s[56:57]
	v_cndmask_b32_e64 v5, v5, v7, s[54:55]
	v_cndmask_b32_e64 v57, v57, v40, s[16:17]
	v_cmp_eq_u32_e64 s[46:47], 10, v70
	v_cndmask_b32_e64 v32, v32, v23, s[54:55]
	v_cndmask_b32_e64 v5, v5, v8, s[52:53]
	v_cndmask_b32_e64 v57, v57, v39, s[46:47]
	v_cmp_eq_u32_e64 s[74:75], 11, v70
	v_cndmask_b32_e64 v32, v32, v24, s[52:53]
	v_cndmask_b32_e64 v5, v5, v9, s[50:51]
	v_cndmask_b32_e64 v57, v57, v38, s[74:75]
	v_cmp_eq_u32_e64 s[38:39], 12, v70
	v_cndmask_b32_e64 v32, v32, v25, s[50:51]
	v_cndmask_b32_e64 v5, v5, v10, s[70:71]
	v_cndmask_b32_e64 v57, v57, v37, s[38:39]
	v_cmp_eq_u32_e64 s[8:9], 13, v70
	v_cndmask_b32_e64 v32, v32, v26, s[70:71]
	v_cndmask_b32_e64 v5, v5, v11, s[72:73]
	v_cndmask_b32_e64 v57, v57, v36, s[8:9]
	v_cmp_eq_u32_e64 s[80:81], 14, v70
	v_cndmask_b32_e64 v32, v32, v27, s[72:73]
	v_cndmask_b32_e64 v5, v5, v12, s[44:45]
	v_cndmask_b32_e64 v57, v57, v35, s[80:81]
	v_cmp_eq_u32_e64 s[84:85], 15, v70
	v_cndmask_b32_e64 v32, v32, v28, s[44:45]
	v_cndmask_b32_e64 v5, v5, v13, s[76:77]
	v_cndmask_b32_e64 v57, v57, v34, s[84:85]
	v_cndmask_b32_e64 v32, v32, v29, s[76:77]
	v_cndmask_b32_e64 v5, v5, v14, s[40:41]
	ds_bpermute_b32 v57, v83, v57
	v_cndmask_b32_e64 v32, v32, v30, s[40:41]
	v_cndmask_b32_e64 v5, v5, v15, s[78:79]
	;; [unrolled: 1-line block ×3, first 2 shown]
	ds_bpermute_b32 v5, v83, v5
	ds_bpermute_b32 v32, v83, v32
	v_cmp_eq_u32_e64 s[14:15], 0, v70
	s_waitcnt lgkmcnt(2)
	v_cndmask_b32_e64 v33, v33, v57, s[28:29]
	v_cmp_eq_u32_e64 s[10:11], 1, v71
	v_cndmask_b32_e64 v17, v17, v57, s[14:15]
	v_cndmask_b32_e64 v34, v34, v57, s[84:85]
	;; [unrolled: 1-line block ×16, first 2 shown]
	v_cmp_eq_u32_e64 s[12:13], 2, v71
	s_waitcnt lgkmcnt(1)
	v_cndmask_b32_e64 v1, v1, v5, s[60:61]
	v_cndmask_b32_e64 v0, v0, v5, s[42:43]
	v_cndmask_b32_e64 v15, v15, v5, s[78:79]
	v_cndmask_b32_e64 v14, v14, v5, s[40:41]
	v_cndmask_b32_e64 v57, v57, v47, s[12:13]
	v_cndmask_b32_e64 v13, v13, v5, s[76:77]
	v_cmp_eq_u32_e64 s[20:21], 3, v71
	v_cndmask_b32_e64 v12, v12, v5, s[44:45]
	v_cndmask_b32_e64 v11, v11, v5, s[72:73]
	;; [unrolled: 1-line block ×11, first 2 shown]
	s_waitcnt lgkmcnt(0)
	v_cndmask_b32_e64 v4, v4, v32, s[60:61]
	v_cndmask_b32_e64 v16, v16, v32, s[42:43]
	v_cndmask_b32_e64 v5, v0, v1, s[28:29]
	v_cndmask_b32_e64 v31, v31, v32, s[78:79]
	v_cndmask_b32_e64 v30, v30, v32, s[40:41]
	v_cndmask_b32_e64 v29, v29, v32, s[76:77]
	v_cndmask_b32_e64 v57, v57, v46, s[20:21]
	v_cndmask_b32_e64 v28, v28, v32, s[44:45]
	v_cmp_eq_u32_e64 s[36:37], 4, v71
	v_cndmask_b32_e64 v27, v27, v32, s[72:73]
	v_cndmask_b32_e64 v26, v26, v32, s[70:71]
	;; [unrolled: 1-line block ×13, first 2 shown]
	v_cmp_eq_u32_e64 s[40:41], 5, v71
	v_cndmask_b32_e64 v32, v32, v18, s[34:35]
	v_cndmask_b32_e64 v5, v5, v3, s[30:31]
	v_cndmask_b32_e64 v57, v57, v44, s[40:41]
	v_cmp_eq_u32_e64 s[44:45], 6, v71
	v_cndmask_b32_e64 v32, v32, v19, s[30:31]
	v_cndmask_b32_e64 v5, v5, v54, s[26:27]
	v_cndmask_b32_e64 v57, v57, v43, s[44:45]
	;; [unrolled: 4-line block ×11, first 2 shown]
	v_cndmask_b32_e64 v32, v32, v29, s[8:9]
	v_cndmask_b32_e64 v5, v5, v14, s[80:81]
	ds_bpermute_b32 v57, v83, v57
	v_cndmask_b32_e64 v32, v32, v30, s[80:81]
	v_cndmask_b32_e64 v5, v5, v15, s[84:85]
	;; [unrolled: 1-line block ×3, first 2 shown]
	ds_bpermute_b32 v5, v83, v5
	ds_bpermute_b32 v32, v83, v32
	v_cmp_eq_u32_e64 s[58:59], 0, v71
	s_waitcnt lgkmcnt(2)
	v_cndmask_b32_e64 v33, v33, v57, s[10:11]
	v_cmp_eq_u32_e32 vcc, 1, v72
	v_cndmask_b32_e64 v17, v17, v57, s[58:59]
	v_cndmask_b32_e64 v34, v34, v57, s[86:87]
	;; [unrolled: 1-line block ×15, first 2 shown]
	v_cndmask_b32_e32 v57, v17, v33, vcc
	v_cmp_eq_u32_e64 s[6:7], 2, v72
	s_waitcnt lgkmcnt(1)
	v_cndmask_b32_e64 v1, v1, v5, s[28:29]
	v_cndmask_b32_e64 v0, v0, v5, s[14:15]
	;; [unrolled: 1-line block ×5, first 2 shown]
	s_waitcnt lgkmcnt(0)
	v_cndmask_b32_e64 v29, v29, v32, s[8:9]
	v_cndmask_b32_e64 v13, v13, v5, s[8:9]
	v_cmp_eq_u32_e64 s[8:9], 3, v72
	v_cndmask_b32_e64 v12, v12, v5, s[38:39]
	v_cndmask_b32_e64 v11, v11, v5, s[74:75]
	;; [unrolled: 1-line block ×14, first 2 shown]
	v_cmp_eq_u32_e64 s[38:39], 4, v72
	v_cndmask_b32_e64 v4, v4, v32, s[28:29]
	v_cndmask_b32_e64 v16, v16, v32, s[14:15]
	;; [unrolled: 1-line block ×7, first 2 shown]
	v_cmp_eq_u32_e64 s[42:43], 5, v72
	v_cndmask_b32_e64 v26, v26, v32, s[46:47]
	v_cndmask_b32_e64 v25, v25, v32, s[16:17]
	;; [unrolled: 1-line block ×12, first 2 shown]
	v_cmp_eq_u32_e64 s[46:47], 6, v72
	v_cndmask_b32_e64 v32, v32, v18, s[12:13]
	v_cndmask_b32_e64 v5, v5, v54, s[36:37]
	v_cndmask_b32_e64 v57, v57, v43, s[46:47]
	v_cmp_eq_u32_e64 s[52:53], 7, v72
	v_cndmask_b32_e64 v32, v32, v19, s[20:21]
	v_cndmask_b32_e64 v5, v5, v55, s[40:41]
	v_cndmask_b32_e64 v57, v57, v42, s[52:53]
	;; [unrolled: 4-line block ×10, first 2 shown]
	v_cndmask_b32_e64 v32, v32, v28, s[78:79]
	v_cndmask_b32_e64 v5, v5, v14, s[82:83]
	ds_bpermute_b32 v57, v83, v57
	v_cndmask_b32_e64 v32, v32, v29, s[64:65]
	v_cndmask_b32_e64 v5, v5, v15, s[86:87]
	;; [unrolled: 1-line block ×3, first 2 shown]
	ds_bpermute_b32 v5, v83, v5
	v_cndmask_b32_e64 v32, v32, v31, s[86:87]
	ds_bpermute_b32 v32, v83, v32
	v_cmp_eq_u32_e64 s[48:49], 0, v72
	s_waitcnt lgkmcnt(2)
	v_cndmask_b32_e32 v33, v33, v57, vcc
	v_cmp_eq_u32_e64 s[14:15], 1, v73
	v_cndmask_b32_e64 v17, v17, v57, s[48:49]
	v_cndmask_b32_e64 v34, v34, v57, s[84:85]
	;; [unrolled: 1-line block ×15, first 2 shown]
	s_waitcnt lgkmcnt(1)
	v_cndmask_b32_e64 v15, v15, v5, s[86:87]
	v_cndmask_b32_e64 v57, v17, v33, s[14:15]
	;; [unrolled: 1-line block ×3, first 2 shown]
	v_cmp_eq_u32_e64 s[16:17], 2, v73
	v_cndmask_b32_e64 v13, v13, v5, s[64:65]
	v_cndmask_b32_e64 v12, v12, v5, s[78:79]
	v_cndmask_b32_e64 v11, v11, v5, s[76:77]
	v_cndmask_b32_e64 v10, v10, v5, s[72:73]
	v_cndmask_b32_e64 v9, v9, v5, s[70:71]
	v_cndmask_b32_e64 v8, v8, v5, s[68:69]
	v_cndmask_b32_e64 v7, v7, v5, s[50:51]
	v_cndmask_b32_e64 v6, v6, v5, s[44:45]
	v_cndmask_b32_e64 v55, v55, v5, s[40:41]
	v_cndmask_b32_e64 v54, v54, v5, s[36:37]
	v_cndmask_b32_e64 v3, v3, v5, s[20:21]
	v_cndmask_b32_e64 v2, v2, v5, s[12:13]
	v_cndmask_b32_e64 v1, v1, v5, s[10:11]
	v_cndmask_b32_e64 v5, v0, v5, s[58:59]
	v_cndmask_b32_e64 v57, v57, v47, s[16:17]
	v_cmp_eq_u32_e64 s[18:19], 3, v73
	v_cndmask_b32_e32 v0, v5, v1, vcc
	s_waitcnt lgkmcnt(0)
	v_cndmask_b32_e64 v31, v31, v32, s[86:87]
	v_cndmask_b32_e64 v30, v30, v32, s[82:83]
	;; [unrolled: 1-line block ×5, first 2 shown]
	v_cmp_eq_u32_e64 s[22:23], 4, v73
	v_cndmask_b32_e64 v27, v27, v32, s[76:77]
	v_cndmask_b32_e64 v26, v26, v32, s[72:73]
	;; [unrolled: 1-line block ×14, first 2 shown]
	v_cmp_eq_u32_e64 s[24:25], 5, v73
	v_cndmask_b32_e32 v16, v32, v4, vcc
	v_cndmask_b32_e64 v0, v0, v3, s[8:9]
	v_cndmask_b32_e64 v57, v57, v44, s[24:25]
	v_cmp_eq_u32_e64 s[26:27], 6, v73
	v_cndmask_b32_e64 v16, v16, v18, s[6:7]
	v_cndmask_b32_e64 v0, v0, v54, s[38:39]
	v_cndmask_b32_e64 v57, v57, v43, s[26:27]
	v_cmp_eq_u32_e64 s[28:29], 7, v73
	v_cndmask_b32_e64 v16, v16, v19, s[8:9]
	;; [unrolled: 4-line block ×10, first 2 shown]
	v_cndmask_b32_e64 v0, v0, v13, s[74:75]
	v_cndmask_b32_e64 v57, v57, v34, s[64:65]
	;; [unrolled: 1-line block ×4, first 2 shown]
	ds_bpermute_b32 v57, v83, v57
	v_cndmask_b32_e64 v16, v16, v29, s[74:75]
	v_cndmask_b32_e64 v0, v0, v15, s[84:85]
	;; [unrolled: 1-line block ×3, first 2 shown]
	ds_bpermute_b32 v59, v83, v0
	v_cndmask_b32_e64 v16, v16, v31, s[84:85]
	ds_bpermute_b32 v58, v83, v16
	v_cmp_eq_u32_e64 s[68:69], 0, v73
	s_waitcnt lgkmcnt(2)
	v_cndmask_b32_e64 v33, v33, v57, s[14:15]
	v_cmp_eq_u32_e64 s[10:11], 1, v74
	v_cndmask_b32_e64 v0, v17, v57, s[68:69]
	v_cndmask_b32_e64 v34, v34, v57, s[64:65]
	;; [unrolled: 1-line block ×15, first 2 shown]
	s_waitcnt lgkmcnt(1)
	v_cndmask_b32_e64 v57, v15, v59, s[84:85]
	v_cndmask_b32_e64 v15, v0, v33, s[10:11]
	v_cmp_eq_u32_e64 s[12:13], 2, v74
	v_cndmask_b32_e64 v16, v14, v59, s[80:81]
	v_cmp_eq_u32_e64 s[58:59], 3, v74
	v_cndmask_b32_e64 v14, v15, v47, s[12:13]
	v_cndmask_b32_e64 v17, v13, v59, s[74:75]
	;; [unrolled: 1-line block ×3, first 2 shown]
	s_waitcnt lgkmcnt(0)
	v_cndmask_b32_e64 v28, v28, v58, s[66:67]
	v_cndmask_b32_e64 v60, v12, v59, s[66:67]
	v_cmp_eq_u32_e64 s[66:67], 4, v74
	v_cndmask_b32_e64 v27, v27, v58, s[62:63]
	v_cndmask_b32_e64 v61, v11, v59, s[62:63]
	v_cndmask_b32_e64 v12, v13, v45, s[66:67]
	v_cmp_eq_u32_e64 s[62:63], 5, v74
	v_cndmask_b32_e64 v26, v26, v58, s[60:61]
	;; [unrolled: 4-line block ×10, first 2 shown]
	v_cndmask_b32_e64 v91, v2, v59, s[6:7]
	v_cndmask_b32_e64 v3, v6, v36, s[8:9]
	v_cmp_eq_u32_e64 s[6:7], 14, v74
	v_cndmask_b32_e32 v92, v4, v58, vcc
	v_cndmask_b32_e32 v93, v1, v59, vcc
	v_cndmask_b32_e64 v2, v3, v35, s[6:7]
	v_cmp_eq_u32_e32 vcc, 15, v74
	v_cndmask_b32_e64 v29, v29, v58, s[74:75]
	v_cndmask_b32_e64 v30, v30, v58, s[80:81]
	v_cndmask_b32_e32 v1, v2, v34, vcc
	ds_bpermute_b32 v94, v83, v1
	v_cndmask_b32_e64 v1, v32, v58, s[48:49]
	v_cndmask_b32_e64 v2, v1, v92, s[14:15]
	;; [unrolled: 1-line block ×18, first 2 shown]
	s_waitcnt lgkmcnt(0)
	v_cndmask_b32_e32 v15, v34, v94, vcc
	ds_bpermute_b32 v34, v83, v2
	v_cndmask_b32_e64 v13, v36, v94, s[8:9]
	v_cndmask_b32_e64 v36, v32, v93, s[14:15]
	;; [unrolled: 1-line block ×6, first 2 shown]
	s_waitcnt lgkmcnt(0)
	v_cndmask_b32_e64 v31, v31, v34, s[64:65]
	v_cndmask_b32_e64 v30, v30, v34, s[50:51]
	;; [unrolled: 1-line block ×38, first 2 shown]
	ds_bpermute_b32 v36, v83, v36
	v_cndmask_b32_e64 v1, v1, v28, s[38:39]
	v_cndmask_b32_e64 v1, v1, v29, s[8:9]
	;; [unrolled: 1-line block ×3, first 2 shown]
	v_cndmask_b32_e32 v1, v1, v31, vcc
	v_cndmask_b32_e64 v12, v37, v94, s[38:39]
	ds_bpermute_b32 v37, v83, v1
	v_cndmask_b32_e64 v1, v33, v94, s[10:11]
	s_waitcnt lgkmcnt(1)
	v_cndmask_b32_e64 v33, v57, v36, s[64:65]
	v_cndmask_b32_e64 v57, v86, v36, s[34:35]
	v_cndmask_b32_e64 v86, v93, v36, s[14:15]
	v_cndmask_b32_e64 v32, v32, v36, s[68:69]
	v_cndmask_b32_e64 v11, v38, v94, s[42:43]
	v_cndmask_b32_e64 v7, v42, v94, s[56:57]
	v_cndmask_b32_e64 v38, v16, v36, s[50:51]
	v_cndmask_b32_e64 v42, v85, v36, s[44:45]
	v_cndmask_b32_e64 v85, v91, v36, s[16:17]
	v_cndmask_b32_e64 v16, v32, v86, s[10:11]
	v_cndmask_b32_e64 v8, v41, v94, s[54:55]
	v_cndmask_b32_e64 v41, v61, v36, s[40:41]
	v_cndmask_b32_e64 v61, v90, v36, s[18:19]
	v_cndmask_b32_e64 v16, v16, v85, s[12:13]
	v_cndmask_b32_e64 v54, v54, v36, s[22:23]
	v_cndmask_b32_e64 v16, v16, v61, s[58:59]
	v_cndmask_b32_e64 v55, v55, v36, s[24:25]
	v_cndmask_b32_e64 v16, v16, v54, s[66:67]
	v_cndmask_b32_e64 v9, v40, v94, s[52:53]
	v_cndmask_b32_e64 v40, v60, v36, s[36:37]
	v_cndmask_b32_e64 v60, v89, v36, s[26:27]
	v_cndmask_b32_e64 v16, v16, v55, s[62:63]
	v_cndmask_b32_e64 v59, v88, v36, s[28:29]
	v_cndmask_b32_e64 v16, v16, v60, s[60:61]
	v_cndmask_b32_e64 v58, v87, v36, s[30:31]
	v_cndmask_b32_e64 v16, v16, v59, s[56:57]
	v_cndmask_b32_e64 v16, v16, v58, s[54:55]
	v_cndmask_b32_e64 v16, v16, v57, s[52:53]
	v_cndmask_b32_e64 v16, v16, v42, s[46:47]
	v_cndmask_b32_e64 v16, v16, v41, s[42:43]
	v_cndmask_b32_e64 v10, v39, v94, s[46:47]
	v_cndmask_b32_e64 v39, v17, v36, s[20:21]
	v_cndmask_b32_e64 v16, v16, v40, s[38:39]
	v_cndmask_b32_e64 v16, v16, v39, s[8:9]
	v_cndmask_b32_e64 v16, v16, v38, s[6:7]
	v_cndmask_b32_e32 v16, v16, v33, vcc
	ds_bpermute_b32 v87, v83, v16
	v_cndmask_b32_e64 v3, v46, v94, s[58:59]
	s_waitcnt lgkmcnt(1)
	v_cndmask_b32_e64 v30, v30, v37, s[6:7]
	v_readlane_b32 s71, v95, 25
	v_cmp_eq_u32_e64 s[48:49], 0, v74
	s_waitcnt lgkmcnt(0)
	v_cndmask_b32_e64 v46, v38, v87, s[6:7]
	v_readlane_b32 s6, v95, 27
	v_readlane_b32 s7, v95, 28
	;; [unrolled: 1-line block ×5, first 2 shown]
	s_mov_b32 s5, 0
	s_max_i32 s70, s71, 0
	v_subrev_u32_e32 v84, s97, v84
	v_cndmask_b32_e64 v6, v43, v94, s[60:61]
	v_cndmask_b32_e64 v5, v44, v94, s[62:63]
	;; [unrolled: 1-line block ×5, first 2 shown]
	v_cndmask_b32_e32 v31, v31, v37, vcc
	v_cndmask_b32_e64 v29, v29, v37, s[8:9]
	v_cndmask_b32_e64 v28, v28, v37, s[38:39]
	;; [unrolled: 1-line block ×14, first 2 shown]
	v_cndmask_b32_e32 v47, v33, v87, vcc
	v_cndmask_b32_e64 v45, v39, v87, s[8:9]
	v_cndmask_b32_e64 v44, v40, v87, s[38:39]
	;; [unrolled: 1-line block ×14, first 2 shown]
	v_lshl_add_u64 v[54:55], s[6:7], 0, v[48:49]
	s_mov_b64 s[6:7], 0
	s_mov_b32 s16, 0
	v_readlane_b32 s25, v95, 11
	v_readlane_b32 s27, v95, 13
	;; [unrolled: 1-line block ×10, first 2 shown]
	s_mov_b64 s[20:21], 0x80
	v_readlane_b32 s39, v95, 26
                                        ; implicit-def: $sgpr8_sgpr9
	s_branch .LBB70_29
.LBB70_27:                              ;   in Loop: Header=BB70_29 Depth=2
	s_or_b64 exec, exec, s[12:13]
	s_andn2_b64 s[8:9], s[8:9], exec
	s_and_b64 s[12:13], s[14:15], exec
	s_or_b64 s[8:9], s[8:9], s[12:13]
.LBB70_28:                              ;   in Loop: Header=BB70_29 Depth=2
	s_or_b64 exec, exec, s[10:11]
	s_and_b64 s[10:11], exec, s[8:9]
	s_or_b64 s[6:7], s[10:11], s[6:7]
	s_andn2_b64 exec, exec, s[6:7]
	s_cbranch_execz .LBB70_32
.LBB70_29:                              ;   Parent Loop BB70_7 Depth=1
                                        ; =>  This Inner Loop Header: Depth=2
	s_and_b32 s12, s5, 24
	v_or_b32_e32 v57, s12, v81
	v_add_u32_e32 v58, s70, v57
	v_cmp_gt_u32_e32 vcc, 32, v58
	s_or_b64 s[8:9], s[8:9], exec
	s_and_saveexec_b64 s[10:11], vcc
	s_cbranch_execz .LBB70_28
; %bb.30:                               ;   in Loop: Header=BB70_29 Depth=2
	s_add_i32 s13, s16, 1
	s_set_gpr_idx_on s16, gpr_idx(SRC0)
	v_mov_b32_e32 v58, v0
	s_set_gpr_idx_off
	v_cvt_f16_f32_e32 v60, v58
	s_set_gpr_idx_on s13, gpr_idx(SRC0)
	v_mov_b32_e32 v58, v0
	s_set_gpr_idx_off
	v_cvt_f16_f32_sdwa v61, v58 dst_sel:WORD_1 dst_unused:UNUSED_PAD src0_sel:DWORD
	v_mul_lo_u32 v58, v57, s89
	v_ashrrev_i32_e32 v59, 31, v58
	v_lshl_add_u64 v[58:59], v[58:59], 1, v[54:55]
	v_or_b32_e32 v57, v61, v60
	;;#ASMSTART
	global_atomic_pk_add_f16 v[58:59], v57, off
	
	;;#ASMEND
	s_set_gpr_idx_on s16, gpr_idx(SRC0)
	v_mov_b32_e32 v57, v16
	s_set_gpr_idx_off
	v_cvt_f16_f32_e32 v57, v57
	s_set_gpr_idx_on s13, gpr_idx(SRC0)
	v_mov_b32_e32 v60, v16
	s_set_gpr_idx_off
	v_cvt_f16_f32_sdwa v85, v60 dst_sel:WORD_1 dst_unused:UNUSED_PAD src0_sel:DWORD
	v_lshl_add_u64 v[60:61], v[58:59], 0, 64
	v_lshl_add_u64 v[58:59], v[58:59], 0, s[20:21]
	s_mov_b64 s[14:15], -1
	v_or_b32_e32 v57, v85, v57
	;;#ASMSTART
	global_atomic_pk_add_f16 v[60:61], v57, off
	
	;;#ASMEND
	s_set_gpr_idx_on s16, gpr_idx(SRC0)
	v_mov_b32_e32 v57, v32
	s_set_gpr_idx_off
	v_cvt_f16_f32_e32 v57, v57
	s_set_gpr_idx_on s13, gpr_idx(SRC0)
	v_mov_b32_e32 v60, v32
	s_set_gpr_idx_off
	v_cvt_f16_f32_sdwa v60, v60 dst_sel:WORD_1 dst_unused:UNUSED_PAD src0_sel:DWORD
	s_nop 0
	v_or_b32_e32 v57, v60, v57
	;;#ASMSTART
	global_atomic_pk_add_f16 v[58:59], v57, off
	
	;;#ASMEND
	v_or_b32_e32 v57, s12, v82
	v_add_u32_e32 v58, s70, v57
	v_cmp_gt_u32_e32 vcc, 32, v58
	s_and_saveexec_b64 s[12:13], vcc
	s_cbranch_execz .LBB70_27
; %bb.31:                               ;   in Loop: Header=BB70_29 Depth=2
	s_add_i32 s14, s16, 2
	s_add_i32 s15, s16, 3
	s_set_gpr_idx_on s14, gpr_idx(SRC0)
	v_mov_b32_e32 v58, v0
	s_set_gpr_idx_off
	v_cvt_f16_f32_e32 v60, v58
	s_set_gpr_idx_on s15, gpr_idx(SRC0)
	v_mov_b32_e32 v58, v0
	s_set_gpr_idx_off
	v_cvt_f16_f32_sdwa v61, v58 dst_sel:WORD_1 dst_unused:UNUSED_PAD src0_sel:DWORD
	v_mul_lo_u32 v58, v57, s89
	v_ashrrev_i32_e32 v59, 31, v58
	v_lshl_add_u64 v[58:59], v[58:59], 1, v[54:55]
	v_or_b32_e32 v57, v61, v60
	;;#ASMSTART
	global_atomic_pk_add_f16 v[58:59], v57, off
	
	;;#ASMEND
	s_set_gpr_idx_on s14, gpr_idx(SRC0)
	v_mov_b32_e32 v57, v16
	s_set_gpr_idx_off
	v_cvt_f16_f32_e32 v57, v57
	s_set_gpr_idx_on s15, gpr_idx(SRC0)
	v_mov_b32_e32 v60, v16
	s_set_gpr_idx_off
	v_cvt_f16_f32_sdwa v85, v60 dst_sel:WORD_1 dst_unused:UNUSED_PAD src0_sel:DWORD
	v_lshl_add_u64 v[60:61], v[58:59], 0, 64
	s_add_i32 s16, s16, 4
	s_add_i32 s5, s5, 8
	v_or_b32_e32 v57, v85, v57
	;;#ASMSTART
	global_atomic_pk_add_f16 v[60:61], v57, off
	
	;;#ASMEND
	s_set_gpr_idx_on s14, gpr_idx(SRC0)
	v_mov_b32_e32 v57, v32
	s_set_gpr_idx_off
	v_cvt_f16_f32_e32 v57, v57
	s_set_gpr_idx_on s15, gpr_idx(SRC0)
	v_mov_b32_e32 v60, v32
	s_set_gpr_idx_off
	v_cvt_f16_f32_sdwa v60, v60 dst_sel:WORD_1 dst_unused:UNUSED_PAD src0_sel:DWORD
	s_cmp_eq_u32 s16, 16
	s_cselect_b64 s[14:15], -1, 0
	s_orn2_b64 s[14:15], s[14:15], exec
	v_lshl_add_u64 v[58:59], v[58:59], 0, s[20:21]
	v_or_b32_e32 v57, v60, v57
	;;#ASMSTART
	global_atomic_pk_add_f16 v[58:59], v57, off
	
	;;#ASMEND
	s_branch .LBB70_27
.LBB70_32:                              ;   in Loop: Header=BB70_7 Depth=1
	s_or_b64 exec, exec, s[6:7]
	v_readlane_b32 s16, v95, 2
	v_readlane_b32 s8, v95, 23
	;; [unrolled: 1-line block ×12, first 2 shown]
.LBB70_33:                              ;   in Loop: Header=BB70_7 Depth=1
	s_or_b64 exec, exec, s[8:9]
.LBB70_34:                              ;   in Loop: Header=BB70_7 Depth=1
	s_andn2_saveexec_b64 s[0:1], s[0:1]
	s_cbranch_execz .LBB70_43
; %bb.35:                               ;   in Loop: Header=BB70_7 Depth=1
	s_mul_i32 s12, s97, 3
	v_cmp_gt_i32_e32 vcc, s12, v84
	s_and_saveexec_b64 s[6:7], vcc
	s_cbranch_execz .LBB70_42
; %bb.36:                               ;   in Loop: Header=BB70_7 Depth=1
	s_mul_i32 s4, s4, s91
	s_ashr_i32 s5, s4, 31
	s_add_u32 s4, s18, s4
	s_addc_u32 s5, s19, s5
	s_ashr_i32 s8, s39, 31
	s_add_u32 s4, s4, s39
	s_addc_u32 s5, s5, s8
	v_lshl_add_u64 v[0:1], s[4:5], 0, v[52:53]
	v_lshl_add_u64 v[8:9], v[0:1], 0, v[50:51]
	s_mov_b64 s[4:5], 0
	s_branch .LBB70_38
.LBB70_37:                              ;   in Loop: Header=BB70_38 Depth=2
	s_or_b64 exec, exec, s[8:9]
	v_lshl_or_b32 v12, v10, 11, v77
	;;#ASMSTART
	s_waitcnt vmcnt(1)
	;;#ASMEND
	ds_write2_b32 v12, v4, v5 offset1:32
	ds_write2_b32 v12, v6, v7 offset0:64 offset1:96
	v_add_u32_e32 v4, 0x400, v12
	v_add_u32_e32 v84, s94, v84
	;;#ASMSTART
	s_waitcnt vmcnt(0)
	;;#ASMEND
	ds_write2_b32 v4, v0, v1 offset1:32
	ds_write2_b32 v4, v2, v3 offset0:64 offset1:96
	v_add_u32_e32 v0, 1, v63
	v_add_u32_e32 v56, s94, v10
	v_cmp_le_i32_e32 vcc, s12, v84
	ds_write_b32 v11, v0 offset:4
	v_add_u32_e32 v0, 2, v63
	s_or_b64 s[4:5], vcc, s[4:5]
	v_cmp_lt_i32_e32 vcc, 2, v56
	s_nop 1
	v_cndmask_b32_e32 v63, v63, v0, vcc
	s_andn2_b64 exec, exec, s[4:5]
	s_cbranch_execz .LBB70_41
.LBB70_38:                              ;   Parent Loop BB70_7 Depth=1
                                        ; =>  This Loop Header: Depth=2
                                        ;       Child Loop BB70_40 Depth 3
	v_cmp_gt_i32_e32 vcc, 3, v56
	s_mov_b32 s8, 0x55555556
	s_nop 0
	v_cndmask_b32_e64 v0, -3, 0, vcc
	v_add_u32_e32 v10, v0, v56
	v_mul_hi_i32 v0, v84, s8
	v_lshrrev_b32_e32 v1, 31, v0
	v_add_u32_e32 v0, v0, v1
	v_lshl_add_u32 v1, v0, 1, v0
	v_sub_u32_e32 v2, v84, v1
	v_lshlrev_b32_e32 v0, 6, v0
	v_ashrrev_i32_e32 v1, 31, v0
	v_mul_lo_u32 v2, s33, v2
	v_lshl_add_u64 v[0:1], v[8:9], 0, v[0:1]
	v_ashrrev_i32_e32 v3, 31, v2
	v_lshl_add_u64 v[0:1], v[0:1], 0, v[2:3]
	v_lshlrev_b32_e32 v11, 2, v10
	;;#ASMSTART
	global_load_dwordx4 v[4:7], v[0:1], off offset:0   sc0 sc1 nt  
	global_load_dwordx4 v[0:3], v[0:1], off offset:32  sc0 sc1 nt  
	
	;;#ASMEND
	ds_read_b32 v12, v11 offset:8196
	v_add_u32_e32 v11, 0x2000, v11
	s_waitcnt lgkmcnt(0)
	v_cmp_ne_u32_e32 vcc, v12, v63
	s_and_saveexec_b64 s[8:9], vcc
	s_cbranch_execz .LBB70_37
; %bb.39:                               ;   in Loop: Header=BB70_38 Depth=2
	s_mov_b64 s[10:11], 0
.LBB70_40:                              ;   Parent Loop BB70_7 Depth=1
                                        ;     Parent Loop BB70_38 Depth=2
                                        ; =>    This Inner Loop Header: Depth=3
	;;#ASMSTART
	s_sleep 0
	;;#ASMEND
	ds_read_b32 v12, v11 offset:4
	s_waitcnt lgkmcnt(0)
	v_cmp_eq_u32_e32 vcc, v12, v63
	s_or_b64 s[10:11], vcc, s[10:11]
	s_andn2_b64 exec, exec, s[10:11]
	s_cbranch_execnz .LBB70_40
	s_branch .LBB70_37
.LBB70_41:                              ;   in Loop: Header=BB70_7 Depth=1
	s_or_b64 exec, exec, s[4:5]
.LBB70_42:                              ;   in Loop: Header=BB70_7 Depth=1
	s_or_b64 exec, exec, s[6:7]
	v_subrev_u32_e32 v84, s12, v84
.LBB70_43:                              ;   in Loop: Header=BB70_7 Depth=1
	s_or_b64 exec, exec, s[0:1]
.LBB70_44:                              ;   in Loop: Header=BB70_7 Depth=1
	s_andn2_saveexec_b64 s[0:1], s[98:99]
	s_cbranch_execz .LBB70_6
; %bb.45:                               ;   in Loop: Header=BB70_7 Depth=1
	v_cmp_gt_i32_e32 vcc, s97, v84
	s_and_saveexec_b64 s[4:5], vcc
	s_cbranch_execz .LBB70_5
; %bb.46:                               ;   in Loop: Header=BB70_7 Depth=1
	s_mul_i32 s3, s3, s90
	s_ashr_i32 s6, s3, 31
	s_add_u32 s3, s16, s3
	s_addc_u32 s7, s17, s6
	s_ashr_i32 s8, s39, 31
	v_cmp_le_i32_e32 vcc, s71, v78
	s_add_u32 s6, s3, s39
	s_addc_u32 s7, s7, s8
	v_cndmask_b32_e32 v0, 0, v79, vcc
	v_ashrrev_i32_e32 v1, 31, v0
	v_lshl_add_u64 v[0:1], s[6:7], 0, v[0:1]
	v_lshl_add_u64 v[8:9], v[0:1], 0, v[50:51]
	s_mov_b64 s[6:7], 0
	s_branch .LBB70_48
.LBB70_47:                              ;   in Loop: Header=BB70_48 Depth=2
	s_or_b64 exec, exec, s[8:9]
	v_lshl_add_u32 v12, v10, 11, v80
	;;#ASMSTART
	s_waitcnt vmcnt(1)
	;;#ASMEND
	ds_write2_b32 v12, v4, v5 offset1:32
	ds_write2_b32 v12, v6, v7 offset0:64 offset1:96
	v_add_u32_e32 v4, 0x400, v12
	v_add_u32_e32 v84, s93, v84
	;;#ASMSTART
	s_waitcnt vmcnt(0)
	;;#ASMEND
	ds_write2_b32 v4, v0, v1 offset1:32
	ds_write2_b32 v4, v2, v3 offset0:64 offset1:96
	v_add_u32_e32 v0, 1, v63
	v_add_u32_e32 v56, s93, v10
	v_cmp_le_i32_e32 vcc, s97, v84
	ds_write_b32 v11, v0
	v_add_u32_e32 v0, 2, v63
	s_or_b64 s[6:7], vcc, s[6:7]
	v_cmp_lt_i32_e32 vcc, 0, v56
	s_nop 1
	v_cndmask_b32_e32 v63, v63, v0, vcc
	s_andn2_b64 exec, exec, s[6:7]
	s_cbranch_execz .LBB70_4
.LBB70_48:                              ;   Parent Loop BB70_7 Depth=1
                                        ; =>  This Loop Header: Depth=2
                                        ;       Child Loop BB70_50 Depth 3
	v_cmp_lt_i32_e32 vcc, 0, v56
	v_lshlrev_b32_e32 v0, 6, v84
	v_ashrrev_i32_e32 v1, 31, v0
	v_subbrev_co_u32_e32 v10, vcc, 0, v56, vcc
	v_lshl_add_u64 v[0:1], v[8:9], 0, v[0:1]
	v_lshlrev_b32_e32 v11, 2, v10
	;;#ASMSTART
	global_load_dwordx4 v[4:7], v[0:1], off offset:0   
	global_load_dwordx4 v[0:3], v[0:1], off offset:32  
	
	;;#ASMEND
	ds_read_b32 v12, v11 offset:8192
	v_add_u32_e32 v11, 0x2000, v11
	s_waitcnt lgkmcnt(0)
	v_cmp_ne_u32_e32 vcc, v12, v63
	s_and_saveexec_b64 s[8:9], vcc
	s_cbranch_execz .LBB70_47
; %bb.49:                               ;   in Loop: Header=BB70_48 Depth=2
	s_mov_b64 s[10:11], 0
.LBB70_50:                              ;   Parent Loop BB70_7 Depth=1
                                        ;     Parent Loop BB70_48 Depth=2
                                        ; =>    This Inner Loop Header: Depth=3
	;;#ASMSTART
	s_sleep 0
	;;#ASMEND
	ds_read_b32 v12, v11
	s_waitcnt lgkmcnt(0)
	v_cmp_eq_u32_e32 vcc, v12, v63
	s_or_b64 s[10:11], vcc, s[10:11]
	s_andn2_b64 exec, exec, s[10:11]
	s_cbranch_execnz .LBB70_50
	s_branch .LBB70_47
.LBB70_51:
	s_endpgm
	.section	.rodata,"a",@progbits
	.p2align	6, 0x0
	.amdhsa_kernel _Z19_skinny_gemm_kernelILi1ELi3ELi1ELi32ELi4EEvPKhS1_P6__halfPKfiiiiiiii
		.amdhsa_group_segment_fixed_size 8208
		.amdhsa_private_segment_fixed_size 0
		.amdhsa_kernarg_size 64
		.amdhsa_user_sgpr_count 2
		.amdhsa_user_sgpr_dispatch_ptr 0
		.amdhsa_user_sgpr_queue_ptr 0
		.amdhsa_user_sgpr_kernarg_segment_ptr 1
		.amdhsa_user_sgpr_dispatch_id 0
		.amdhsa_user_sgpr_kernarg_preload_length 0
		.amdhsa_user_sgpr_kernarg_preload_offset 0
		.amdhsa_user_sgpr_private_segment_size 0
		.amdhsa_uses_dynamic_stack 0
		.amdhsa_enable_private_segment 0
		.amdhsa_system_sgpr_workgroup_id_x 1
		.amdhsa_system_sgpr_workgroup_id_y 0
		.amdhsa_system_sgpr_workgroup_id_z 0
		.amdhsa_system_sgpr_workgroup_info 0
		.amdhsa_system_vgpr_workitem_id 0
		.amdhsa_next_free_vgpr 96
		.amdhsa_next_free_sgpr 100
		.amdhsa_accum_offset 96
		.amdhsa_reserve_vcc 1
		.amdhsa_float_round_mode_32 0
		.amdhsa_float_round_mode_16_64 0
		.amdhsa_float_denorm_mode_32 3
		.amdhsa_float_denorm_mode_16_64 3
		.amdhsa_dx10_clamp 1
		.amdhsa_ieee_mode 1
		.amdhsa_fp16_overflow 0
		.amdhsa_tg_split 0
		.amdhsa_exception_fp_ieee_invalid_op 0
		.amdhsa_exception_fp_denorm_src 0
		.amdhsa_exception_fp_ieee_div_zero 0
		.amdhsa_exception_fp_ieee_overflow 0
		.amdhsa_exception_fp_ieee_underflow 0
		.amdhsa_exception_fp_ieee_inexact 0
		.amdhsa_exception_int_div_zero 0
	.end_amdhsa_kernel
	.section	.text._Z19_skinny_gemm_kernelILi1ELi3ELi1ELi32ELi4EEvPKhS1_P6__halfPKfiiiiiiii,"axG",@progbits,_Z19_skinny_gemm_kernelILi1ELi3ELi1ELi32ELi4EEvPKhS1_P6__halfPKfiiiiiiii,comdat
.Lfunc_end70:
	.size	_Z19_skinny_gemm_kernelILi1ELi3ELi1ELi32ELi4EEvPKhS1_P6__halfPKfiiiiiiii, .Lfunc_end70-_Z19_skinny_gemm_kernelILi1ELi3ELi1ELi32ELi4EEvPKhS1_P6__halfPKfiiiiiiii
                                        ; -- End function
	.set _Z19_skinny_gemm_kernelILi1ELi3ELi1ELi32ELi4EEvPKhS1_P6__halfPKfiiiiiiii.num_vgpr, 96
	.set _Z19_skinny_gemm_kernelILi1ELi3ELi1ELi32ELi4EEvPKhS1_P6__halfPKfiiiiiiii.num_agpr, 0
	.set _Z19_skinny_gemm_kernelILi1ELi3ELi1ELi32ELi4EEvPKhS1_P6__halfPKfiiiiiiii.numbered_sgpr, 100
	.set _Z19_skinny_gemm_kernelILi1ELi3ELi1ELi32ELi4EEvPKhS1_P6__halfPKfiiiiiiii.num_named_barrier, 0
	.set _Z19_skinny_gemm_kernelILi1ELi3ELi1ELi32ELi4EEvPKhS1_P6__halfPKfiiiiiiii.private_seg_size, 0
	.set _Z19_skinny_gemm_kernelILi1ELi3ELi1ELi32ELi4EEvPKhS1_P6__halfPKfiiiiiiii.uses_vcc, 1
	.set _Z19_skinny_gemm_kernelILi1ELi3ELi1ELi32ELi4EEvPKhS1_P6__halfPKfiiiiiiii.uses_flat_scratch, 0
	.set _Z19_skinny_gemm_kernelILi1ELi3ELi1ELi32ELi4EEvPKhS1_P6__halfPKfiiiiiiii.has_dyn_sized_stack, 0
	.set _Z19_skinny_gemm_kernelILi1ELi3ELi1ELi32ELi4EEvPKhS1_P6__halfPKfiiiiiiii.has_recursion, 0
	.set _Z19_skinny_gemm_kernelILi1ELi3ELi1ELi32ELi4EEvPKhS1_P6__halfPKfiiiiiiii.has_indirect_call, 0
	.section	.AMDGPU.csdata,"",@progbits
; Kernel info:
; codeLenInByte = 11468
; TotalNumSgprs: 106
; NumVgprs: 96
; NumAgprs: 0
; TotalNumVgprs: 96
; ScratchSize: 0
; MemoryBound: 0
; FloatMode: 240
; IeeeMode: 1
; LDSByteSize: 8208 bytes/workgroup (compile time only)
; SGPRBlocks: 13
; VGPRBlocks: 11
; NumSGPRsForWavesPerEU: 106
; NumVGPRsForWavesPerEU: 96
; AccumOffset: 96
; Occupancy: 5
; WaveLimiterHint : 0
; COMPUTE_PGM_RSRC2:SCRATCH_EN: 0
; COMPUTE_PGM_RSRC2:USER_SGPR: 2
; COMPUTE_PGM_RSRC2:TRAP_HANDLER: 0
; COMPUTE_PGM_RSRC2:TGID_X_EN: 1
; COMPUTE_PGM_RSRC2:TGID_Y_EN: 0
; COMPUTE_PGM_RSRC2:TGID_Z_EN: 0
; COMPUTE_PGM_RSRC2:TIDIG_COMP_CNT: 0
; COMPUTE_PGM_RSRC3_GFX90A:ACCUM_OFFSET: 23
; COMPUTE_PGM_RSRC3_GFX90A:TG_SPLIT: 0
	.section	.text._Z19_skinny_gemm_kernelILi1ELi3ELi1ELi32ELi8EEvPKhS1_P6__halfPKfiiiiiiii,"axG",@progbits,_Z19_skinny_gemm_kernelILi1ELi3ELi1ELi32ELi8EEvPKhS1_P6__halfPKfiiiiiiii,comdat
	.protected	_Z19_skinny_gemm_kernelILi1ELi3ELi1ELi32ELi8EEvPKhS1_P6__halfPKfiiiiiiii ; -- Begin function _Z19_skinny_gemm_kernelILi1ELi3ELi1ELi32ELi8EEvPKhS1_P6__halfPKfiiiiiiii
	.globl	_Z19_skinny_gemm_kernelILi1ELi3ELi1ELi32ELi8EEvPKhS1_P6__halfPKfiiiiiiii
	.p2align	8
	.type	_Z19_skinny_gemm_kernelILi1ELi3ELi1ELi32ELi8EEvPKhS1_P6__halfPKfiiiiiiii,@function
_Z19_skinny_gemm_kernelILi1ELi3ELi1ELi32ELi8EEvPKhS1_P6__halfPKfiiiiiiii: ; @_Z19_skinny_gemm_kernelILi1ELi3ELi1ELi32ELi8EEvPKhS1_P6__halfPKfiiiiiiii
; %bb.0:
	v_cmp_gt_u32_e32 vcc, 4, v0
	s_and_saveexec_b64 s[4:5], vcc
; %bb.1:
	v_lshlrev_b32_e32 v1, 2, v0
	v_mov_b32_e32 v2, 0
	ds_write_b32 v1, v2 offset:16384
; %bb.2:
	s_or_b64 exec, exec, s[4:5]
	s_load_dwordx8 s[88:95], s[0:1], 0x20
	s_waitcnt lgkmcnt(0)
	s_barrier
	s_add_i32 s3, s88, 31
	s_ashr_i32 s5, s3, 31
	s_add_i32 s4, s89, 0x5f
	s_lshr_b32 s5, s5, 27
	s_mul_hi_i32 s4, s4, 0x2aaaaaab
	s_add_i32 s3, s3, s5
	s_ashr_i32 s14, s3, 5
	s_lshr_b32 s3, s4, 31
	s_ashr_i32 s4, s4, 4
	s_add_i32 s15, s4, s3
	s_mul_i32 s3, s15, s14
	s_mul_i32 s3, s3, s92
	s_add_i32 s4, s3, 0x12f
	s_mul_hi_i32 s4, s4, 0x6bca1af3
	s_lshr_b32 s5, s4, 31
	s_ashr_i32 s4, s4, 7
	s_add_i32 s4, s4, s5
	s_add_i32 s5, s2, 1
	s_mul_i32 s5, s4, s5
	v_cvt_f64_i32_e32 v[2:3], s3
	v_cvt_f64_u32_e32 v[4:5], s5
	v_min_f64 v[2:3], v[2:3], v[4:5]
	v_cvt_i32_f64_e32 v70, v[2:3]
	s_mul_i32 s2, s4, s2
	v_cmp_ge_i32_e32 vcc, s2, v70
	s_cbranch_vccnz .LBB71_51
; %bb.3:
	s_load_dwordx8 s[16:23], s[0:1], 0x0
	v_lshrrev_b32_e32 v1, 6, v0
	s_add_i32 s0, s94, s93
	v_cmp_le_i32_e64 s[24:25], s0, v1
	v_mov_b32_e32 v2, s93
	v_cmp_le_i32_e64 s[26:27], s93, v1
	v_mov_b32_e32 v3, s94
	v_cndmask_b32_e64 v3, 0, v3, s[24:25]
	v_cndmask_b32_e64 v2, 0, v2, s[26:27]
	s_abs_i32 s1, s92
	v_add_u32_e32 v2, v2, v3
	v_cvt_f32_u32_e32 v3, s1
	v_sub_u32_e32 v56, v1, v2
	s_ashr_i32 s3, s90, 31
	s_lshr_b32 s3, s3, 25
	v_rcp_iflag_f32_e32 v2, v3
	s_sub_i32 s6, 0, s1
	s_add_i32 s3, s90, s3
	s_ashr_i32 s3, s3, 7
	v_mul_f32_e32 v2, 0x4f7ffffe, v2
	v_cvt_u32_f32_e32 v2, v2
	s_abs_i32 s5, s3
	s_xor_b32 s4, s3, s92
	s_ashr_i32 s4, s4, 31
	v_readfirstlane_b32 s7, v2
	s_mul_i32 s6, s6, s7
	s_mul_hi_u32 s6, s7, s6
	s_add_i32 s7, s7, s6
	s_mul_hi_u32 s6, s5, s7
	s_mul_i32 s7, s6, s1
	s_sub_i32 s5, s5, s7
	s_add_i32 s7, s6, 1
	s_sub_i32 s8, s5, s1
	s_cmp_ge_u32 s5, s1
	s_cselect_b32 s6, s7, s6
	s_cselect_b32 s5, s8, s5
	s_add_i32 s7, s6, 1
	s_cmp_ge_u32 s5, s1
	v_lshrrev_b32_e32 v2, 3, v0
	v_lshrrev_b32_e32 v7, 1, v0
	s_cselect_b32 s1, s7, s6
	s_add_i32 s0, s0, s95
	v_and_b32_e32 v72, 31, v0
	v_and_b32_e32 v3, 4, v2
	;; [unrolled: 1-line block ×3, first 2 shown]
	v_lshlrev_b32_e32 v7, 4, v0
	s_add_i32 s29, s92, -1
	v_cmp_gt_i32_e64 s[34:35], s0, v1
	v_lshlrev_b32_e32 v1, 2, v72
	v_lshlrev_b32_e32 v2, 6, v3
	v_and_b32_e32 v7, 0x200, v7
	s_abs_i32 s92, s14
                                        ; implicit-def: $vgpr102 : SGPR spill to VGPR lane
	v_or_b32_e32 v4, 0x3000, v1
	v_or_b32_e32 v74, v1, v2
	v_and_b32_e32 v5, 1, v0
	v_or_b32_e32 v85, v1, v7
	v_cvt_f32_u32_e32 v1, s92
	v_writelane_b32 v102, s14, 0
	v_or_b32_e32 v73, v4, v2
	v_lshlrev_b32_e32 v2, 1, v5
	v_writelane_b32 v102, s15, 1
	v_sub_u32_e32 v2, v0, v2
	s_waitcnt lgkmcnt(0)
	v_writelane_b32 v102, s16, 2
	v_add_u32_e32 v2, 1, v2
	v_and_b32_e32 v6, 63, v2
	v_writelane_b32 v102, s17, 3
	v_bitop3_b32 v75, v0, 1, v0 bitop3:0xc
	v_bitop3_b32 v76, v0, 3, 1 bitop3:0x6c
	v_bitop3_b32 v77, v0, 5, 1 bitop3:0x6c
	v_bitop3_b32 v78, v0, 7, 1 bitop3:0x6c
	v_bitop3_b32 v79, v0, 9, 1 bitop3:0x6c
	v_bitop3_b32 v80, v0, 11, 1 bitop3:0x6c
	v_bitop3_b32 v81, v0, 13, 1 bitop3:0x6c
	v_bitop3_b32 v82, v0, 15, 1 bitop3:0x6c
	v_and_b32_e32 v2, 30, v0
	v_bitop3_b32 v86, v0, 31, v0 bitop3:0xc
	v_rcp_iflag_f32_e32 v0, v1
	s_abs_i32 s96, s15
	v_writelane_b32 v102, s18, 4
	v_cvt_f32_u32_e32 v1, s96
	v_writelane_b32 v102, s19, 5
	v_writelane_b32 v102, s20, 6
	;; [unrolled: 1-line block ×3, first 2 shown]
	v_mul_f32_e32 v0, 0x4f7ffffe, v0
	v_writelane_b32 v102, s22, 8
	v_cvt_u32_f32_e32 v0, v0
	v_rcp_iflag_f32_e32 v1, v1
	v_writelane_b32 v102, s23, 9
	v_cndmask_b32_e64 v71, 0, 1, s[24:25]
	s_xor_b32 s1, s1, s4
	v_writelane_b32 v102, s24, 10
	s_sub_i32 s28, s1, s4
	s_mul_i32 s1, s28, s29
	v_writelane_b32 v102, s25, 11
	v_writelane_b32 v102, s26, 12
	s_sub_i32 s30, s3, s1
	v_readfirstlane_b32 s1, v0
	v_mul_f32_e32 v0, 0x4f7ffffe, v1
	v_writelane_b32 v102, s27, 13
	v_cvt_u32_f32_e32 v0, v0
	v_writelane_b32 v102, s28, 14
	s_sub_i32 s0, 0, s92
	v_writelane_b32 v102, s29, 15
	s_mul_i32 s0, s0, s1
	v_writelane_b32 v102, s30, 16
	s_mul_hi_u32 s0, s1, s0
	v_writelane_b32 v102, s34, 17
	s_ashr_i32 s31, s14, 31
	s_add_i32 s36, s1, s0
	s_sub_i32 s0, 0, s96
	v_readfirstlane_b32 s1, v0
	v_mbcnt_lo_u32_b32 v0, -1, 0
	v_writelane_b32 v102, s35, 18
	s_mul_i32 s0, s0, s1
	v_mbcnt_hi_u32_b32 v0, -1, v0
	v_writelane_b32 v102, s31, 19
	v_mov_b32_e32 v49, 0
	v_mul_lo_u32 v52, s91, v72
	v_or_b32_e32 v89, v5, v3
	s_ashr_i32 s37, s15, 31
	s_mul_hi_u32 s0, s1, s0
	v_and_or_b32 v0, v0, 64, v6
	v_writelane_b32 v102, s36, 20
	v_or_b32_e32 v83, 32, v72
	v_or_b32_e32 v84, 64, v72
	v_ashrrev_i32_e32 v53, 31, v52
	v_mov_b32_e32 v51, v49
	s_lshl_b32 s33, s91, 5
	v_mul_lo_u32 v87, s90, v72
	v_or_b32_e32 v88, v4, v7
	v_or_b32_e32 v90, 2, v89
	s_add_i32 s38, s1, s0
	v_lshlrev_b32_e32 v48, 1, v2
	v_lshlrev_b32_e32 v91, 2, v0
	v_mov_b32_e32 v92, v56
	v_writelane_b32 v102, s37, 21
	v_writelane_b32 v102, s38, 22
	s_branch .LBB71_7
.LBB71_4:                               ;   in Loop: Header=BB71_7 Depth=1
	s_or_b64 exec, exec, s[6:7]
.LBB71_5:                               ;   in Loop: Header=BB71_7 Depth=1
	s_or_b64 exec, exec, s[4:5]
	v_subrev_u32_e32 v92, s97, v92
.LBB71_6:                               ;   in Loop: Header=BB71_7 Depth=1
	s_or_b64 exec, exec, s[0:1]
	s_add_i32 s2, s2, 1
	v_cmp_ge_i32_e32 vcc, s2, v70
	s_cbranch_vccnz .LBB71_51
.LBB71_7:                               ; =>This Loop Header: Depth=1
                                        ;     Child Loop BB71_13 Depth 2
                                        ;       Child Loop BB71_15 Depth 3
                                        ;       Child Loop BB71_18 Depth 3
	;; [unrolled: 1-line block ×4, first 2 shown]
                                        ;     Child Loop BB71_29 Depth 2
                                        ;     Child Loop BB71_38 Depth 2
                                        ;       Child Loop BB71_40 Depth 3
                                        ;     Child Loop BB71_48 Depth 2
                                        ;       Child Loop BB71_50 Depth 3
	s_abs_i32 s1, s2
	s_mul_hi_u32 s3, s1, s36
	s_mul_i32 s4, s3, s92
	s_ashr_i32 s0, s2, 31
	s_sub_i32 s1, s1, s4
	s_xor_b32 s0, s0, s31
	s_add_i32 s4, s3, 1
	s_sub_i32 s5, s1, s92
	s_cmp_ge_u32 s1, s92
	s_cselect_b32 s3, s4, s3
	s_cselect_b32 s1, s5, s1
	s_add_i32 s4, s3, 1
	s_cmp_ge_u32 s1, s92
	s_cselect_b32 s1, s4, s3
	s_xor_b32 s1, s1, s0
	s_sub_i32 s0, s1, s0
	s_abs_i32 s4, s0
	s_mul_i32 s1, s0, s14
	s_mul_hi_u32 s5, s4, s38
	s_sub_i32 s1, s2, s1
	s_mul_i32 s6, s5, s96
	s_lshl_b32 s3, s1, 5
	s_ashr_i32 s1, s0, 31
	s_sub_i32 s4, s4, s6
	s_xor_b32 s1, s1, s37
	s_add_i32 s6, s5, 1
	s_sub_i32 s7, s4, s96
	s_cmp_ge_u32 s4, s96
	s_cselect_b32 s5, s6, s5
	s_cselect_b32 s4, s7, s4
	s_add_i32 s6, s5, 1
	s_cmp_ge_u32 s4, s96
	s_cselect_b32 s4, s6, s5
	s_xor_b32 s4, s4, s1
	s_sub_i32 s1, s4, s1
	s_mul_i32 s4, s1, s28
	s_lshl_b32 s39, s4, 7
	s_cmp_eq_u32 s1, s29
	s_cselect_b32 s97, s30, s28
	s_sub_i32 s4, s3, s88
	s_add_i32 s61, s4, 32
	s_and_saveexec_b64 s[4:5], s[26:27]
	s_xor_b64 s[98:99], exec, s[4:5]
	s_cbranch_execz .LBB71_44
; %bb.8:                                ;   in Loop: Header=BB71_7 Depth=1
	s_mul_i32 s1, s1, s15
	s_sub_i32 s0, s0, s1
	s_mulk_i32 s0, 0x60
	s_sub_i32 s70, s0, s89
	s_addk_i32 s70, 0x60
	s_max_i32 s1, s70, 0
	s_sub_i32 s4, s0, s1
	s_and_saveexec_b64 s[0:1], s[24:25]
	s_xor_b64 s[0:1], exec, s[0:1]
	s_cbranch_execz .LBB71_34
; %bb.9:                                ;   in Loop: Header=BB71_7 Depth=1
	s_and_saveexec_b64 s[8:9], s[34:35]
	s_cbranch_execz .LBB71_33
; %bb.10:                               ;   in Loop: Header=BB71_7 Depth=1
	global_load_dword v93, v49, s[22:23]
	v_mov_b32_e32 v47, 0
	v_writelane_b32 v102, s8, 23
	v_cmp_gt_i32_e32 vcc, s97, v92
	v_mov_b32_e32 v46, v47
	v_mov_b32_e32 v45, v47
	;; [unrolled: 1-line block ×47, first 2 shown]
	v_writelane_b32 v102, s9, 24
	s_and_saveexec_b64 s[6:7], vcc
	s_cbranch_execz .LBB71_26
; %bb.11:                               ;   in Loop: Header=BB71_7 Depth=1
	v_mov_b32_e32 v0, 0
	s_mov_b64 s[8:9], 0
	v_mov_b32_e32 v1, v0
	v_mov_b32_e32 v2, v0
	;; [unrolled: 1-line block ×47, first 2 shown]
	s_branch .LBB71_13
.LBB71_12:                              ;   in Loop: Header=BB71_13 Depth=2
	s_or_b64 exec, exec, s[10:11]
	v_add_u32_e32 v100, 0x2000, v97
	ds_read2_b32 v[98:99], v100 offset1:32
	v_add_u32_e32 v92, s95, v92
	s_waitcnt lgkmcnt(0)
	v_mfma_f32_32x32x16_fp8_fp8 v[0:15], v[68:69], v[98:99], v[0:15]
	ds_read2_b32 v[68:69], v100 offset0:128 offset1:160
	s_waitcnt lgkmcnt(0)
	v_mfma_f32_32x32x16_fp8_fp8 v[0:15], v[66:67], v[68:69], v[0:15]
	v_add_u32_e32 v68, 0x2400, v97
	ds_read2_b32 v[66:67], v68 offset1:32
	s_waitcnt lgkmcnt(0)
	v_mfma_f32_32x32x16_fp8_fp8 v[0:15], v[64:65], v[66:67], v[0:15]
	ds_read2_b32 v[64:65], v68 offset0:128 offset1:160
	s_waitcnt lgkmcnt(0)
	v_mfma_f32_32x32x16_fp8_fp8 v[0:15], v[62:63], v[64:65], v[0:15]
	v_add_u32_e32 v64, 0x2800, v97
	ds_read2_b32 v[62:63], v64 offset1:32
	;; [unrolled: 7-line block ×3, first 2 shown]
	ds_read2_b32 v[60:61], v60 offset0:128 offset1:160
	ds_write_b32 v95, v96 offset:16404
	s_waitcnt lgkmcnt(2)
	v_mfma_f32_32x32x16_fp8_fp8 v[0:15], v[56:57], v[58:59], v[0:15]
	v_add_u32_e32 v56, s95, v94
	v_add_u32_e32 v57, 2, v71
	v_cmp_lt_i32_e32 vcc, 0, v56
	s_nop 1
	v_cndmask_b32_e32 v71, v71, v57, vcc
	v_cmp_le_i32_e32 vcc, s97, v92
	s_waitcnt lgkmcnt(1)
	v_mfma_f32_32x32x16_fp8_fp8 v[0:15], v[54:55], v[60:61], v[0:15]
	s_or_b64 s[8:9], vcc, s[8:9]
	s_andn2_b64 exec, exec, s[8:9]
	s_cbranch_execz .LBB71_25
.LBB71_13:                              ;   Parent Loop BB71_7 Depth=1
                                        ; =>  This Loop Header: Depth=2
                                        ;       Child Loop BB71_15 Depth 3
                                        ;       Child Loop BB71_18 Depth 3
	;; [unrolled: 1-line block ×4, first 2 shown]
	v_cmp_lt_i32_e32 vcc, 0, v56
	s_nop 1
	v_subbrev_co_u32_e32 v94, vcc, 0, v56, vcc
	v_mul_lo_u32 v95, v94, 24
	ds_read_b32 v54, v95 offset:16384
	s_waitcnt lgkmcnt(0)
	v_cmp_ne_u32_e32 vcc, v54, v71
	s_and_saveexec_b64 s[10:11], vcc
	s_cbranch_execz .LBB71_16
; %bb.14:                               ;   in Loop: Header=BB71_13 Depth=2
	s_mov_b64 s[12:13], 0
.LBB71_15:                              ;   Parent Loop BB71_7 Depth=1
                                        ;     Parent Loop BB71_13 Depth=2
                                        ; =>    This Inner Loop Header: Depth=3
	;;#ASMSTART
	s_sleep 0
	;;#ASMEND
	ds_read_b32 v54, v95 offset:16384
	s_waitcnt lgkmcnt(0)
	v_cmp_eq_u32_e32 vcc, v54, v71
	s_or_b64 s[12:13], vcc, s[12:13]
	s_andn2_b64 exec, exec, s[12:13]
	s_cbranch_execnz .LBB71_15
.LBB71_16:                              ;   in Loop: Header=BB71_13 Depth=2
	s_or_b64 exec, exec, s[10:11]
	v_lshl_add_u32 v54, v94, 12, v73
	v_add_u32_e32 v55, 0x400, v54
	ds_read2_b32 v[68:69], v54 offset1:32
	ds_read2_b32 v[66:67], v54 offset0:128 offset1:160
	ds_read2_b32 v[64:65], v55 offset1:32
	ds_read2_b32 v[62:63], v55 offset0:128 offset1:160
	v_add_u32_e32 v55, 0x800, v54
	v_add_u32_e32 v54, 0xc00, v54
	ds_read2_b32 v[60:61], v55 offset1:32
	ds_read2_b32 v[58:59], v55 offset0:128 offset1:160
	ds_read2_b32 v[56:57], v54 offset1:32
	ds_read_b32 v97, v95 offset:16388
	ds_read2_b32 v[54:55], v54 offset0:128 offset1:160
	v_add_u32_e32 v96, 1, v71
	ds_write_b32 v95, v96 offset:16384
	s_waitcnt lgkmcnt(2)
	v_cmp_ne_u32_e32 vcc, v97, v71
	s_and_saveexec_b64 s[10:11], vcc
	s_cbranch_execz .LBB71_19
; %bb.17:                               ;   in Loop: Header=BB71_13 Depth=2
	s_mov_b64 s[12:13], 0
.LBB71_18:                              ;   Parent Loop BB71_7 Depth=1
                                        ;     Parent Loop BB71_13 Depth=2
                                        ; =>    This Inner Loop Header: Depth=3
	;;#ASMSTART
	s_sleep 0
	;;#ASMEND
	ds_read_b32 v97, v95 offset:16388
	s_waitcnt lgkmcnt(0)
	v_cmp_eq_u32_e32 vcc, v97, v71
	s_or_b64 s[12:13], vcc, s[12:13]
	s_andn2_b64 exec, exec, s[12:13]
	s_cbranch_execnz .LBB71_18
.LBB71_19:                              ;   in Loop: Header=BB71_13 Depth=2
	s_or_b64 exec, exec, s[10:11]
	s_movk_i32 s5, 0x3000
	v_mul_lo_u32 v97, v94, s5
	v_or_b32_e32 v100, v74, v97
	ds_read2_b32 v[98:99], v100 offset1:32
	v_add_u32_e32 v101, 0x400, v100
	ds_write_b32 v95, v96 offset:16388
	s_waitcnt lgkmcnt(1)
	v_mfma_f32_32x32x16_fp8_fp8 v[32:47], v[68:69], v[98:99], v[32:47]
	ds_read2_b32 v[98:99], v100 offset0:128 offset1:160
	s_waitcnt lgkmcnt(0)
	v_mfma_f32_32x32x16_fp8_fp8 v[32:47], v[66:67], v[98:99], v[32:47]
	ds_read2_b32 v[98:99], v101 offset1:32
	s_waitcnt lgkmcnt(0)
	v_mfma_f32_32x32x16_fp8_fp8 v[32:47], v[64:65], v[98:99], v[32:47]
	ds_read2_b32 v[98:99], v101 offset0:128 offset1:160
	v_add_u32_e32 v101, 0x800, v100
	v_add_u32_e32 v100, 0xc00, v100
	s_waitcnt lgkmcnt(0)
	v_mfma_f32_32x32x16_fp8_fp8 v[32:47], v[62:63], v[98:99], v[32:47]
	ds_read2_b32 v[98:99], v101 offset1:32
	s_waitcnt lgkmcnt(0)
	v_mfma_f32_32x32x16_fp8_fp8 v[32:47], v[60:61], v[98:99], v[32:47]
	ds_read2_b32 v[98:99], v101 offset0:128 offset1:160
	s_waitcnt lgkmcnt(0)
	v_mfma_f32_32x32x16_fp8_fp8 v[32:47], v[58:59], v[98:99], v[32:47]
	ds_read2_b32 v[98:99], v100 offset1:32
	s_waitcnt lgkmcnt(0)
	v_mfma_f32_32x32x16_fp8_fp8 v[32:47], v[56:57], v[98:99], v[32:47]
	ds_read2_b32 v[98:99], v100 offset0:128 offset1:160
	ds_read_b32 v100, v95 offset:16396
	s_waitcnt lgkmcnt(0)
	v_cmp_ne_u32_e32 vcc, v100, v71
	v_mfma_f32_32x32x16_fp8_fp8 v[32:47], v[54:55], v[98:99], v[32:47]
	s_and_saveexec_b64 s[10:11], vcc
	s_cbranch_execz .LBB71_22
; %bb.20:                               ;   in Loop: Header=BB71_13 Depth=2
	s_mov_b64 s[12:13], 0
.LBB71_21:                              ;   Parent Loop BB71_7 Depth=1
                                        ;     Parent Loop BB71_13 Depth=2
                                        ; =>    This Inner Loop Header: Depth=3
	;;#ASMSTART
	s_sleep 0
	;;#ASMEND
	ds_read_b32 v98, v95 offset:16396
	s_waitcnt lgkmcnt(0)
	v_cmp_eq_u32_e32 vcc, v98, v71
	s_or_b64 s[12:13], vcc, s[12:13]
	s_andn2_b64 exec, exec, s[12:13]
	s_cbranch_execnz .LBB71_21
.LBB71_22:                              ;   in Loop: Header=BB71_13 Depth=2
	s_or_b64 exec, exec, s[10:11]
	v_add_u32_e32 v97, v74, v97
	v_add_u32_e32 v100, 0x1000, v97
	ds_read2_b32 v[98:99], v100 offset1:32
	ds_write_b32 v95, v96 offset:16396
	s_waitcnt lgkmcnt(1)
	v_mfma_f32_32x32x16_fp8_fp8 v[16:31], v[68:69], v[98:99], v[16:31]
	ds_read2_b32 v[98:99], v100 offset0:128 offset1:160
	v_add_u32_e32 v100, 0x1400, v97
	s_waitcnt lgkmcnt(0)
	v_mfma_f32_32x32x16_fp8_fp8 v[16:31], v[66:67], v[98:99], v[16:31]
	ds_read2_b32 v[98:99], v100 offset1:32
	s_waitcnt lgkmcnt(0)
	v_mfma_f32_32x32x16_fp8_fp8 v[16:31], v[64:65], v[98:99], v[16:31]
	ds_read2_b32 v[98:99], v100 offset0:128 offset1:160
	v_add_u32_e32 v100, 0x1800, v97
	s_waitcnt lgkmcnt(0)
	v_mfma_f32_32x32x16_fp8_fp8 v[16:31], v[62:63], v[98:99], v[16:31]
	ds_read2_b32 v[98:99], v100 offset1:32
	;; [unrolled: 7-line block ×3, first 2 shown]
	s_waitcnt lgkmcnt(0)
	v_mfma_f32_32x32x16_fp8_fp8 v[16:31], v[56:57], v[98:99], v[16:31]
	ds_read2_b32 v[98:99], v100 offset0:128 offset1:160
	ds_read_b32 v100, v95 offset:16404
	s_waitcnt lgkmcnt(0)
	v_cmp_ne_u32_e32 vcc, v100, v71
	v_mfma_f32_32x32x16_fp8_fp8 v[16:31], v[54:55], v[98:99], v[16:31]
	s_and_saveexec_b64 s[10:11], vcc
	s_cbranch_execz .LBB71_12
; %bb.23:                               ;   in Loop: Header=BB71_13 Depth=2
	s_mov_b64 s[12:13], 0
.LBB71_24:                              ;   Parent Loop BB71_7 Depth=1
                                        ;     Parent Loop BB71_13 Depth=2
                                        ; =>    This Inner Loop Header: Depth=3
	;;#ASMSTART
	s_sleep 0
	;;#ASMEND
	ds_read_b32 v98, v95 offset:16404
	s_waitcnt lgkmcnt(0)
	v_cmp_eq_u32_e32 vcc, v98, v71
	s_or_b64 s[12:13], vcc, s[12:13]
	s_andn2_b64 exec, exec, s[12:13]
	s_cbranch_execnz .LBB71_24
	s_branch .LBB71_12
.LBB71_25:                              ;   in Loop: Header=BB71_7 Depth=1
	s_or_b64 exec, exec, s[8:9]
.LBB71_26:                              ;   in Loop: Header=BB71_7 Depth=1
	v_writelane_b32 v102, s61, 25
	v_writelane_b32 v102, s39, 26
	s_or_b64 exec, exec, s[6:7]
	v_cmp_le_i32_e32 vcc, s70, v72
	v_cmp_eq_u32_e64 s[60:61], 1, v75
	v_cmp_eq_u32_e64 s[38:39], 2, v75
	s_waitcnt vmcnt(0)
	v_cndmask_b32_e32 v54, 0, v93, vcc
	v_pk_mul_f32 v[32:33], v[54:55], v[32:33] op_sel_hi:[0,1]
	v_pk_mul_f32 v[46:47], v[54:55], v[46:47] op_sel_hi:[0,1]
	;; [unrolled: 1-line block ×8, first 2 shown]
	v_cndmask_b32_e64 v54, v32, v33, s[60:61]
	v_cndmask_b32_e64 v54, v54, v34, s[38:39]
	v_cmp_eq_u32_e64 s[40:41], 3, v75
	v_cmp_eq_u32_e64 s[42:43], 4, v75
	v_cmp_eq_u32_e64 s[44:45], 5, v75
	v_cndmask_b32_e64 v54, v54, v35, s[40:41]
	v_cndmask_b32_e64 v54, v54, v36, s[42:43]
	v_cndmask_b32_e64 v54, v54, v37, s[44:45]
	v_cmp_eq_u32_e64 s[46:47], 6, v75
	v_cmp_eq_u32_e64 s[48:49], 7, v75
	v_cmp_eq_u32_e64 s[50:51], 8, v75
	v_cndmask_b32_e64 v54, v54, v38, s[46:47]
	;; [unrolled: 6-line block ×4, first 2 shown]
	v_cndmask_b32_e64 v54, v54, v45, s[62:63]
	v_cndmask_b32_e64 v54, v54, v46, s[64:65]
	v_cmp_eq_u32_e64 s[66:67], 15, v75
	s_mul_i32 s6, s3, s89
	s_ashr_i32 s7, s6, 31
	v_cndmask_b32_e64 v54, v54, v47, s[66:67]
	ds_bpermute_b32 v54, v91, v54
	s_lshl_b64 s[6:7], s[6:7], 1
	v_cmp_eq_u32_e64 s[34:35], 0, v75
	s_add_u32 s68, s20, s6
	v_cmp_eq_u32_e32 vcc, 1, v76
	s_waitcnt lgkmcnt(0)
	v_cndmask_b32_e64 v47, v47, v54, s[66:67]
	v_cndmask_b32_e64 v46, v46, v54, s[64:65]
	;; [unrolled: 1-line block ×16, first 2 shown]
	s_addc_u32 s69, s21, s7
	v_cndmask_b32_e32 v32, v54, v33, vcc
	v_cmp_eq_u32_e64 s[6:7], 2, v76
	v_cmp_eq_u32_e64 s[8:9], 3, v76
	v_cmp_eq_u32_e64 s[10:11], 4, v76
	v_cndmask_b32_e64 v32, v32, v63, s[6:7]
	v_cndmask_b32_e64 v32, v32, v62, s[8:9]
	;; [unrolled: 1-line block ×3, first 2 shown]
	v_cmp_eq_u32_e64 s[12:13], 5, v76
	v_cmp_eq_u32_e64 s[14:15], 6, v76
	v_cmp_eq_u32_e64 s[16:17], 7, v76
	v_cndmask_b32_e64 v32, v32, v60, s[12:13]
	v_cndmask_b32_e64 v32, v32, v59, s[14:15]
	;; [unrolled: 1-line block ×3, first 2 shown]
	v_cmp_eq_u32_e64 s[18:19], 8, v76
	v_cmp_eq_u32_e64 s[20:21], 9, v76
	v_cmp_eq_u32_e64 s[22:23], 10, v76
	v_cndmask_b32_e64 v32, v32, v57, s[18:19]
	v_cndmask_b32_e64 v32, v32, v41, s[20:21]
	s_ashr_i32 s5, s4, 31
	v_cndmask_b32_e64 v32, v32, v42, s[22:23]
	v_cmp_eq_u32_e64 s[24:25], 11, v76
	s_lshl_b64 s[36:37], s[4:5], 1
	v_cmp_eq_u32_e64 s[26:27], 12, v76
	v_cndmask_b32_e64 v32, v32, v43, s[24:25]
	s_add_u32 s36, s68, s36
	v_cndmask_b32_e64 v32, v32, v44, s[26:27]
	v_cmp_eq_u32_e64 s[28:29], 13, v76
	s_addc_u32 s37, s69, s37
	v_cmp_eq_u32_e64 s[30:31], 14, v76
	v_cndmask_b32_e64 v32, v32, v45, s[28:29]
	v_writelane_b32 v102, s36, 27
	v_cndmask_b32_e64 v32, v32, v46, s[30:31]
	v_cmp_le_i32_e64 s[68:69], s70, v83
	v_writelane_b32 v102, s37, 28
	v_cmp_eq_u32_e64 s[36:37], 15, v76
	v_cmp_eq_u32_e64 s[72:73], 11, v77
	;; [unrolled: 1-line block ×3, first 2 shown]
	v_cndmask_b32_e64 v32, v32, v47, s[36:37]
	ds_bpermute_b32 v55, v91, v32
	v_cndmask_b32_e64 v32, 0, v93, s[68:69]
	v_cmp_le_i32_e64 s[68:69], s70, v84
	v_cmp_eq_u32_e64 s[78:79], 14, v77
	v_cmp_eq_u32_e64 s[70:71], 8, v78
	s_waitcnt lgkmcnt(0)
	v_cndmask_b32_e64 v39, v42, v55, s[22:23]
	v_cndmask_b32_e64 v42, v58, v55, s[16:17]
	v_cndmask_b32_e32 v33, v33, v55, vcc
	v_cndmask_b32_e64 v58, 0, v93, s[68:69]
	v_pk_mul_f32 v[16:17], v[32:33], v[16:17] op_sel_hi:[0,1]
	v_pk_mul_f32 v[0:1], v[58:59], v[0:1] op_sel_hi:[0,1]
	v_cndmask_b32_e64 v36, v45, v55, s[28:29]
	v_cndmask_b32_e64 v37, v44, v55, s[26:27]
	;; [unrolled: 1-line block ×4, first 2 shown]
	v_pk_mul_f32 v[30:31], v[32:33], v[30:31] op_sel_hi:[0,1]
	v_pk_mul_f32 v[28:29], v[32:33], v[28:29] op_sel_hi:[0,1]
	;; [unrolled: 1-line block ×7, first 2 shown]
	v_cndmask_b32_e64 v32, v16, v17, s[60:61]
	v_pk_mul_f32 v[60:61], v[58:59], v[2:3] op_sel_hi:[0,1]
	v_cndmask_b32_e64 v2, v0, v1, s[60:61]
	v_cndmask_b32_e64 v32, v32, v18, s[38:39]
	v_cndmask_b32_e64 v2, v2, v60, s[38:39]
	v_cndmask_b32_e64 v32, v32, v19, s[40:41]
	v_pk_mul_f32 v[4:5], v[58:59], v[4:5] op_sel_hi:[0,1]
	v_cndmask_b32_e64 v2, v2, v61, s[40:41]
	v_cndmask_b32_e64 v32, v32, v20, s[42:43]
	v_cndmask_b32_e64 v2, v2, v4, s[42:43]
	;; [unrolled: 5-line block ×7, first 2 shown]
	v_cndmask_b32_e64 v32, v32, v31, s[66:67]
	v_cndmask_b32_e64 v2, v2, v15, s[66:67]
	ds_bpermute_b32 v32, v91, v32
	ds_bpermute_b32 v3, v91, v2
	v_cndmask_b32_e64 v40, v41, v55, s[20:21]
	v_cndmask_b32_e64 v41, v57, v55, s[18:19]
	v_cmp_eq_u32_e64 s[68:69], 0, v76
	s_waitcnt lgkmcnt(1)
	v_cndmask_b32_e64 v18, v18, v32, s[38:39]
	s_waitcnt lgkmcnt(0)
	v_cndmask_b32_e64 v57, v60, v3, s[38:39]
	v_cmp_ne_u32_e64 s[38:39], 0, v75
	v_cndmask_b32_e64 v54, v54, v55, s[68:69]
	v_cndmask_b32_e64 v2, v17, v32, s[60:61]
	v_cmp_eq_u32_e64 s[60:61], 1, v77
	v_cndmask_b32_e64 v1, v1, v3, s[38:39]
	v_cndmask_b32_e64 v16, v16, v32, s[34:35]
	;; [unrolled: 1-line block ×12, first 2 shown]
	v_cmp_eq_u32_e64 s[66:67], 2, v77
	v_cndmask_b32_e64 v30, v30, v32, s[64:65]
	v_cndmask_b32_e64 v14, v14, v3, s[64:65]
	;; [unrolled: 1-line block ×24, first 2 shown]
	v_cndmask_b32_e32 v32, v16, v2, vcc
	v_cndmask_b32_e32 v3, v0, v1, vcc
	v_cndmask_b32_e64 v17, v17, v47, s[66:67]
	v_cmp_eq_u32_e64 s[64:65], 3, v77
	v_cndmask_b32_e64 v32, v32, v18, s[6:7]
	v_cndmask_b32_e64 v3, v3, v57, s[6:7]
	v_cndmask_b32_e64 v17, v17, v46, s[64:65]
	v_cmp_eq_u32_e64 s[62:63], 4, v77
	v_cndmask_b32_e64 v32, v32, v19, s[8:9]
	v_cndmask_b32_e64 v3, v3, v55, s[8:9]
	;; [unrolled: 4-line block ×8, first 2 shown]
	v_cndmask_b32_e64 v17, v17, v39, s[48:49]
	v_cndmask_b32_e64 v32, v32, v26, s[22:23]
	;; [unrolled: 1-line block ×4, first 2 shown]
	v_cmp_eq_u32_e64 s[44:45], 12, v77
	v_cndmask_b32_e64 v32, v32, v27, s[24:25]
	v_cndmask_b32_e64 v3, v3, v11, s[24:25]
	;; [unrolled: 1-line block ×9, first 2 shown]
	v_cmp_eq_u32_e64 s[38:39], 15, v77
	v_cndmask_b32_e64 v32, v32, v30, s[30:31]
	v_cndmask_b32_e64 v3, v3, v14, s[30:31]
	;; [unrolled: 1-line block ×5, first 2 shown]
	ds_bpermute_b32 v17, v91, v17
	ds_bpermute_b32 v32, v91, v32
	;; [unrolled: 1-line block ×3, first 2 shown]
	v_cmp_eq_u32_e64 s[40:41], 0, v77
	v_cmp_eq_u32_e64 s[34:35], 1, v78
	s_waitcnt lgkmcnt(2)
	v_cndmask_b32_e64 v34, v34, v17, s[38:39]
	v_cndmask_b32_e64 v35, v35, v17, s[78:79]
	;; [unrolled: 1-line block ×16, first 2 shown]
	s_waitcnt lgkmcnt(1)
	v_cndmask_b32_e32 v2, v2, v32, vcc
	s_waitcnt lgkmcnt(0)
	v_cndmask_b32_e32 v1, v1, v3, vcc
	v_cndmask_b32_e64 v16, v16, v32, s[68:69]
	v_cndmask_b32_e64 v0, v0, v3, s[68:69]
	;; [unrolled: 1-line block ×7, first 2 shown]
	v_cmp_eq_u32_e64 s[30:31], 2, v78
	v_cndmask_b32_e64 v29, v29, v32, s[28:29]
	v_cndmask_b32_e64 v13, v13, v3, s[28:29]
	;; [unrolled: 1-line block ×27, first 2 shown]
	v_cmp_eq_u32_e64 s[28:29], 3, v78
	v_cndmask_b32_e64 v32, v32, v18, s[66:67]
	v_cndmask_b32_e64 v3, v3, v57, s[66:67]
	v_cndmask_b32_e64 v54, v54, v46, s[28:29]
	v_cmp_eq_u32_e64 s[26:27], 4, v78
	v_cndmask_b32_e64 v32, v32, v19, s[64:65]
	v_cndmask_b32_e64 v3, v3, v55, s[64:65]
	v_cndmask_b32_e64 v54, v54, v45, s[26:27]
	;; [unrolled: 4-line block ×5, first 2 shown]
	v_cndmask_b32_e64 v32, v32, v23, s[54:55]
	v_cndmask_b32_e64 v3, v3, v7, s[54:55]
	v_cndmask_b32_e64 v54, v54, v41, s[70:71]
	v_cmp_eq_u32_e64 s[16:17], 9, v78
	v_cndmask_b32_e64 v32, v32, v24, s[52:53]
	v_cndmask_b32_e64 v3, v3, v8, s[52:53]
	v_cndmask_b32_e64 v54, v54, v40, s[16:17]
	v_cmp_eq_u32_e64 s[46:47], 10, v78
	;; [unrolled: 4-line block ×6, first 2 shown]
	v_cndmask_b32_e64 v32, v32, v29, s[76:77]
	v_cndmask_b32_e64 v3, v3, v13, s[76:77]
	;; [unrolled: 1-line block ×3, first 2 shown]
	v_cmp_eq_u32_e32 vcc, 15, v78
	v_cndmask_b32_e64 v32, v32, v30, s[78:79]
	v_cndmask_b32_e64 v3, v3, v14, s[78:79]
	v_cndmask_b32_e32 v54, v54, v34, vcc
	v_cndmask_b32_e64 v32, v32, v31, s[38:39]
	v_cndmask_b32_e64 v3, v3, v15, s[38:39]
	ds_bpermute_b32 v54, v91, v54
	ds_bpermute_b32 v32, v91, v32
	;; [unrolled: 1-line block ×3, first 2 shown]
	v_cmp_eq_u32_e64 s[14:15], 0, v78
	v_cmp_eq_u32_e64 s[10:11], 1, v79
	s_waitcnt lgkmcnt(2)
	v_cndmask_b32_e64 v33, v33, v54, s[34:35]
	v_cndmask_b32_e64 v17, v17, v54, s[14:15]
	s_waitcnt lgkmcnt(1)
	v_cndmask_b32_e64 v2, v2, v32, s[60:61]
	s_waitcnt lgkmcnt(0)
	v_cndmask_b32_e64 v1, v1, v3, s[60:61]
	v_cndmask_b32_e64 v16, v16, v32, s[40:41]
	;; [unrolled: 1-line block ×3, first 2 shown]
	v_cndmask_b32_e32 v34, v34, v54, vcc
	v_cndmask_b32_e64 v35, v35, v54, s[6:7]
	v_cndmask_b32_e64 v36, v36, v54, s[8:9]
	;; [unrolled: 1-line block ×18, first 2 shown]
	v_cmp_eq_u32_e64 s[12:13], 2, v79
	v_cndmask_b32_e64 v29, v29, v32, s[76:77]
	v_cndmask_b32_e64 v13, v13, v3, s[76:77]
	;; [unrolled: 1-line block ×27, first 2 shown]
	v_cmp_eq_u32_e64 s[18:19], 3, v79
	v_cndmask_b32_e64 v32, v32, v18, s[30:31]
	v_cndmask_b32_e64 v3, v3, v57, s[30:31]
	v_cndmask_b32_e64 v54, v54, v46, s[18:19]
	v_cmp_eq_u32_e64 s[22:23], 4, v79
	v_cndmask_b32_e64 v32, v32, v19, s[28:29]
	v_cndmask_b32_e64 v3, v3, v55, s[28:29]
	v_cndmask_b32_e64 v54, v54, v45, s[22:23]
	;; [unrolled: 4-line block ×13, first 2 shown]
	v_cndmask_b32_e32 v32, v32, v31, vcc
	v_cndmask_b32_e32 v3, v3, v15, vcc
	ds_bpermute_b32 v54, v91, v54
	ds_bpermute_b32 v32, v91, v32
	;; [unrolled: 1-line block ×3, first 2 shown]
	v_cmp_eq_u32_e64 s[58:59], 0, v79
	v_cmp_eq_u32_e64 s[40:41], 5, v80
	s_waitcnt lgkmcnt(2)
	v_cndmask_b32_e64 v33, v33, v54, s[10:11]
	v_cndmask_b32_e64 v17, v17, v54, s[58:59]
	s_waitcnt lgkmcnt(1)
	v_cndmask_b32_e32 v31, v31, v32, vcc
	s_waitcnt lgkmcnt(0)
	v_cndmask_b32_e32 v15, v15, v3, vcc
	v_cmp_eq_u32_e32 vcc, 1, v80
	v_cndmask_b32_e64 v34, v34, v54, s[84:85]
	v_cndmask_b32_e64 v35, v35, v54, s[82:83]
	;; [unrolled: 1-line block ×14, first 2 shown]
	v_cndmask_b32_e32 v54, v17, v33, vcc
	v_cndmask_b32_e64 v30, v30, v32, s[6:7]
	v_cndmask_b32_e64 v14, v14, v3, s[6:7]
	v_cmp_eq_u32_e64 s[6:7], 2, v80
	v_cndmask_b32_e64 v29, v29, v32, s[8:9]
	v_cndmask_b32_e64 v13, v13, v3, s[8:9]
	v_cndmask_b32_e64 v54, v54, v47, s[6:7]
	v_cmp_eq_u32_e64 s[8:9], 3, v80
	v_cndmask_b32_e64 v28, v28, v32, s[36:37]
	;; [unrolled: 4-line block ×3, first 2 shown]
	v_cndmask_b32_e64 v10, v10, v3, s[46:47]
	v_cndmask_b32_e64 v54, v54, v45, s[36:37]
	;; [unrolled: 1-line block ×3, first 2 shown]
	v_cmp_eq_u32_e64 s[46:47], 6, v80
	v_cmp_eq_u32_e64 s[50:51], 7, v80
	;; [unrolled: 1-line block ×3, first 2 shown]
	v_cndmask_b32_e64 v54, v54, v43, s[46:47]
	v_cndmask_b32_e64 v54, v54, v42, s[50:51]
	;; [unrolled: 1-line block ×3, first 2 shown]
	v_cmp_eq_u32_e64 s[56:57], 9, v80
	v_cmp_eq_u32_e64 s[62:63], 10, v80
	v_cndmask_b32_e64 v2, v2, v32, s[34:35]
	v_cndmask_b32_e64 v54, v54, v40, s[56:57]
	;; [unrolled: 1-line block ×18, first 2 shown]
	v_cmp_eq_u32_e64 s[64:65], 11, v80
	v_cndmask_b32_e64 v20, v20, v32, s[26:27]
	v_cndmask_b32_e64 v4, v4, v3, s[26:27]
	;; [unrolled: 1-line block ×9, first 2 shown]
	v_cmp_eq_u32_e64 s[66:67], 12, v80
	v_cndmask_b32_e64 v32, v32, v18, s[12:13]
	v_cndmask_b32_e64 v3, v3, v57, s[12:13]
	v_cndmask_b32_e64 v54, v54, v37, s[66:67]
	v_cmp_eq_u32_e64 s[70:71], 13, v80
	v_cndmask_b32_e64 v32, v32, v19, s[18:19]
	v_cndmask_b32_e64 v3, v3, v55, s[18:19]
	v_cndmask_b32_e64 v54, v54, v36, s[70:71]
	;; [unrolled: 4-line block ×4, first 2 shown]
	v_cndmask_b32_e64 v32, v32, v22, s[44:45]
	v_cndmask_b32_e64 v3, v3, v6, s[44:45]
	ds_bpermute_b32 v1, v91, v1
	v_cndmask_b32_e64 v32, v32, v23, s[48:49]
	v_cndmask_b32_e64 v3, v3, v7, s[48:49]
	;; [unrolled: 1-line block ×10, first 2 shown]
	v_cmp_eq_u32_e64 s[60:61], 0, v80
	v_cndmask_b32_e64 v32, v32, v28, s[78:79]
	v_cndmask_b32_e64 v3, v3, v12, s[78:79]
	s_waitcnt lgkmcnt(0)
	v_cndmask_b32_e32 v33, v33, v1, vcc
	v_cndmask_b32_e64 v17, v17, v1, s[60:61]
	v_cmp_eq_u32_e64 s[14:15], 1, v81
	v_cndmask_b32_e64 v34, v34, v1, s[86:87]
	v_cndmask_b32_e64 v35, v35, v1, s[74:75]
	;; [unrolled: 1-line block ×17, first 2 shown]
	v_cmp_eq_u32_e64 s[16:17], 2, v81
	v_cndmask_b32_e64 v32, v32, v30, s[82:83]
	v_cndmask_b32_e64 v3, v3, v14, s[82:83]
	;; [unrolled: 1-line block ×3, first 2 shown]
	v_cmp_eq_u32_e64 s[20:21], 3, v81
	v_cndmask_b32_e64 v32, v32, v31, s[84:85]
	v_cndmask_b32_e64 v3, v3, v15, s[84:85]
	;; [unrolled: 1-line block ×3, first 2 shown]
	v_cmp_eq_u32_e64 s[24:25], 4, v81
	ds_bpermute_b32 v32, v91, v32
	ds_bpermute_b32 v3, v91, v3
	v_cndmask_b32_e64 v1, v1, v45, s[24:25]
	v_cmp_eq_u32_e64 s[26:27], 5, v81
	v_cmp_eq_u32_e64 s[28:29], 6, v81
	;; [unrolled: 1-line block ×3, first 2 shown]
	v_cndmask_b32_e64 v1, v1, v44, s[26:27]
	v_cndmask_b32_e64 v1, v1, v43, s[28:29]
	v_cndmask_b32_e64 v1, v1, v42, s[30:31]
	v_cmp_eq_u32_e64 s[34:35], 8, v81
	v_cmp_eq_u32_e64 s[42:43], 9, v81
	s_waitcnt lgkmcnt(1)
	v_cndmask_b32_e64 v22, v22, v32, s[44:45]
	v_cndmask_b32_e64 v1, v1, v41, s[34:35]
	;; [unrolled: 1-line block ×3, first 2 shown]
	s_waitcnt lgkmcnt(0)
	v_cndmask_b32_e64 v6, v6, v3, s[44:45]
	v_cmp_eq_u32_e64 s[44:45], 10, v81
	v_cndmask_b32_e64 v21, v21, v32, s[38:39]
	v_cndmask_b32_e64 v5, v5, v3, s[38:39]
	v_cndmask_b32_e64 v1, v1, v39, s[44:45]
	v_cmp_eq_u32_e64 s[38:39], 11, v81
	v_cndmask_b32_e64 v20, v20, v32, s[22:23]
	v_cndmask_b32_e64 v4, v4, v3, s[22:23]
	;; [unrolled: 4-line block ×4, first 2 shown]
	v_cndmask_b32_e64 v13, v13, v3, s[80:81]
	v_cndmask_b32_e64 v12, v12, v3, s[78:79]
	;; [unrolled: 1-line block ×11, first 2 shown]
	v_cndmask_b32_e32 v0, v3, v57, vcc
	v_cndmask_b32_e64 v31, v31, v32, s[84:85]
	v_cndmask_b32_e64 v30, v30, v32, s[82:83]
	;; [unrolled: 1-line block ×13, first 2 shown]
	v_cndmask_b32_e32 v16, v32, v2, vcc
	v_cndmask_b32_e64 v0, v0, v54, s[8:9]
	v_cndmask_b32_e64 v16, v16, v18, s[6:7]
	;; [unrolled: 1-line block ×17, first 2 shown]
	v_cmp_eq_u32_e64 s[12:13], 14, v81
	v_cndmask_b32_e64 v16, v16, v26, s[62:63]
	v_cndmask_b32_e64 v0, v0, v12, s[66:67]
	v_cndmask_b32_e64 v55, v55, v35, s[12:13]
	v_cmp_eq_u32_e64 s[10:11], 15, v81
	v_cndmask_b32_e64 v16, v16, v27, s[64:65]
	v_cndmask_b32_e64 v0, v0, v13, s[70:71]
	;; [unrolled: 1-line block ×5, first 2 shown]
	ds_bpermute_b32 v55, v91, v55
	v_cndmask_b32_e64 v16, v16, v29, s[70:71]
	v_cndmask_b32_e64 v0, v0, v15, s[86:87]
	;; [unrolled: 1-line block ×3, first 2 shown]
	ds_bpermute_b32 v59, v91, v0
	v_cndmask_b32_e64 v16, v16, v31, s[86:87]
	ds_bpermute_b32 v58, v91, v16
	v_cmp_eq_u32_e64 s[68:69], 0, v81
	s_waitcnt lgkmcnt(2)
	v_cndmask_b32_e64 v33, v33, v55, s[14:15]
	v_cmp_eq_u32_e64 s[48:49], 1, v82
	v_cndmask_b32_e64 v0, v17, v55, s[68:69]
	v_cndmask_b32_e64 v34, v34, v55, s[10:11]
	;; [unrolled: 1-line block ×15, first 2 shown]
	s_waitcnt lgkmcnt(1)
	v_cndmask_b32_e64 v55, v15, v59, s[86:87]
	v_cndmask_b32_e64 v15, v0, v33, s[48:49]
	v_cmp_eq_u32_e64 s[52:53], 2, v82
	v_cndmask_b32_e64 v16, v14, v59, s[74:75]
	v_cmp_eq_u32_e64 s[58:59], 3, v82
	v_cndmask_b32_e64 v14, v15, v47, s[52:53]
	v_cndmask_b32_e64 v17, v13, v59, s[70:71]
	;; [unrolled: 1-line block ×3, first 2 shown]
	s_waitcnt lgkmcnt(0)
	v_cndmask_b32_e64 v28, v28, v58, s[66:67]
	v_cndmask_b32_e64 v60, v12, v59, s[66:67]
	v_cmp_eq_u32_e64 s[66:67], 4, v82
	v_cndmask_b32_e64 v27, v27, v58, s[64:65]
	v_cndmask_b32_e64 v61, v11, v59, s[64:65]
	v_cndmask_b32_e64 v12, v13, v45, s[66:67]
	v_cmp_eq_u32_e64 s[64:65], 5, v82
	v_cndmask_b32_e64 v26, v26, v58, s[62:63]
	v_cndmask_b32_e64 v62, v10, v59, s[62:63]
	v_cndmask_b32_e64 v11, v12, v44, s[64:65]
	v_cmp_eq_u32_e64 s[62:63], 6, v82
	v_cndmask_b32_e64 v25, v25, v58, s[56:57]
	v_cndmask_b32_e64 v63, v9, v59, s[56:57]
	v_cndmask_b32_e64 v10, v11, v43, s[62:63]
	v_cmp_eq_u32_e64 s[56:57], 7, v82
	v_cndmask_b32_e64 v24, v24, v58, s[54:55]
	v_cndmask_b32_e64 v64, v8, v59, s[54:55]
	v_cndmask_b32_e64 v9, v10, v42, s[56:57]
	v_cmp_eq_u32_e64 s[54:55], 8, v82
	v_cndmask_b32_e64 v23, v23, v58, s[50:51]
	v_cndmask_b32_e64 v65, v7, v59, s[50:51]
	v_cndmask_b32_e64 v8, v9, v41, s[54:55]
	v_cmp_eq_u32_e64 s[50:51], 9, v82
	v_cndmask_b32_e64 v22, v22, v58, s[46:47]
	v_cndmask_b32_e64 v66, v6, v59, s[46:47]
	v_cndmask_b32_e64 v7, v8, v40, s[50:51]
	v_cmp_eq_u32_e64 s[46:47], 10, v82
	v_cndmask_b32_e64 v21, v21, v58, s[40:41]
	v_cndmask_b32_e64 v67, v5, v59, s[40:41]
	v_cndmask_b32_e64 v6, v7, v39, s[46:47]
	v_cmp_eq_u32_e64 s[40:41], 11, v82
	v_cndmask_b32_e64 v20, v20, v58, s[36:37]
	v_cndmask_b32_e64 v68, v4, v59, s[36:37]
	v_cndmask_b32_e64 v5, v6, v38, s[40:41]
	v_cmp_eq_u32_e64 s[36:37], 12, v82
	v_cndmask_b32_e64 v19, v19, v58, s[8:9]
	v_cndmask_b32_e64 v54, v54, v59, s[8:9]
	v_cndmask_b32_e64 v4, v5, v37, s[36:37]
	v_cmp_eq_u32_e64 s[8:9], 13, v82
	v_cndmask_b32_e64 v18, v18, v58, s[6:7]
	v_cndmask_b32_e64 v69, v1, v59, s[6:7]
	v_cndmask_b32_e64 v4, v4, v36, s[8:9]
	v_cmp_eq_u32_e64 s[6:7], 14, v82
	v_cndmask_b32_e32 v93, v2, v58, vcc
	v_cndmask_b32_e32 v57, v57, v59, vcc
	v_cndmask_b32_e64 v1, v4, v35, s[6:7]
	v_cmp_eq_u32_e32 vcc, 15, v82
	v_cndmask_b32_e64 v29, v29, v58, s[70:71]
	v_cndmask_b32_e64 v30, v30, v58, s[74:75]
	v_cndmask_b32_e32 v1, v1, v34, vcc
	ds_bpermute_b32 v94, v91, v1
	v_cndmask_b32_e64 v1, v32, v58, s[60:61]
	v_cndmask_b32_e64 v2, v1, v93, s[14:15]
	;; [unrolled: 1-line block ×18, first 2 shown]
	s_waitcnt lgkmcnt(0)
	v_cndmask_b32_e32 v15, v34, v94, vcc
	v_cndmask_b32_e64 v13, v36, v94, s[8:9]
	ds_bpermute_b32 v34, v91, v2
	v_cndmask_b32_e64 v36, v32, v57, s[14:15]
	v_cndmask_b32_e64 v36, v36, v69, s[16:17]
	;; [unrolled: 1-line block ×6, first 2 shown]
	s_waitcnt lgkmcnt(0)
	v_cndmask_b32_e64 v31, v31, v34, s[10:11]
	v_cndmask_b32_e64 v30, v30, v34, s[12:13]
	;; [unrolled: 1-line block ×36, first 2 shown]
	ds_bpermute_b32 v36, v91, v36
	v_cndmask_b32_e64 v1, v1, v27, s[40:41]
	v_cndmask_b32_e64 v1, v1, v28, s[36:37]
	;; [unrolled: 1-line block ×4, first 2 shown]
	v_cndmask_b32_e32 v1, v1, v31, vcc
	s_waitcnt lgkmcnt(0)
	v_cndmask_b32_e64 v57, v57, v36, s[14:15]
	v_cndmask_b32_e64 v32, v32, v36, s[68:69]
	;; [unrolled: 1-line block ×4, first 2 shown]
	ds_bpermute_b32 v37, v91, v1
	v_cndmask_b32_e64 v1, v33, v94, s[48:49]
	v_cndmask_b32_e64 v33, v55, v36, s[10:11]
	;; [unrolled: 1-line block ×33, first 2 shown]
	v_cndmask_b32_e32 v16, v16, v33, vcc
	ds_bpermute_b32 v64, v91, v16
	v_cndmask_b32_e64 v3, v46, v94, s[58:59]
	s_waitcnt lgkmcnt(1)
	v_cndmask_b32_e64 v30, v30, v37, s[6:7]
	v_readlane_b32 s61, v102, 25
	v_cmp_eq_u32_e64 s[10:11], 0, v82
	s_waitcnt lgkmcnt(0)
	v_cndmask_b32_e64 v46, v38, v64, s[6:7]
	v_readlane_b32 s6, v102, 27
	v_readlane_b32 s7, v102, 28
	;; [unrolled: 1-line block ×5, first 2 shown]
	s_mov_b32 s5, 0
	s_max_i32 s60, s61, 0
	v_subrev_u32_e32 v92, s97, v92
	v_cndmask_b32_e64 v6, v43, v94, s[62:63]
	v_cndmask_b32_e64 v5, v44, v94, s[64:65]
	v_cndmask_b32_e64 v4, v45, v94, s[66:67]
	v_cndmask_b32_e64 v2, v47, v94, s[52:53]
	v_cndmask_b32_e64 v0, v0, v94, s[10:11]
	v_cndmask_b32_e32 v31, v31, v37, vcc
	v_cndmask_b32_e64 v29, v29, v37, s[8:9]
	v_cndmask_b32_e64 v28, v28, v37, s[36:37]
	v_cndmask_b32_e64 v27, v27, v37, s[40:41]
	v_cndmask_b32_e64 v26, v26, v37, s[46:47]
	v_cndmask_b32_e64 v25, v25, v37, s[50:51]
	v_cndmask_b32_e64 v24, v24, v37, s[54:55]
	v_cndmask_b32_e64 v23, v23, v37, s[56:57]
	v_cndmask_b32_e64 v22, v22, v37, s[62:63]
	v_cndmask_b32_e64 v21, v21, v37, s[64:65]
	v_cndmask_b32_e64 v20, v20, v37, s[66:67]
	v_cndmask_b32_e64 v19, v19, v37, s[58:59]
	v_cndmask_b32_e64 v18, v18, v37, s[52:53]
	v_cndmask_b32_e64 v17, v35, v37, s[48:49]
	v_cndmask_b32_e64 v16, v34, v37, s[10:11]
	v_cndmask_b32_e32 v47, v33, v64, vcc
	v_cndmask_b32_e64 v45, v39, v64, s[8:9]
	v_cndmask_b32_e64 v44, v40, v64, s[36:37]
	;; [unrolled: 1-line block ×14, first 2 shown]
	v_lshl_add_u64 v[54:55], s[6:7], 0, v[48:49]
	s_mov_b64 s[6:7], 0
	s_mov_b32 s16, 0
	v_readlane_b32 s25, v102, 11
	v_readlane_b32 s27, v102, 13
	v_readlane_b32 s28, v102, 14
	v_readlane_b32 s29, v102, 15
	v_readlane_b32 s30, v102, 16
	v_readlane_b32 s35, v102, 18
	v_readlane_b32 s31, v102, 19
	v_readlane_b32 s36, v102, 20
	v_readlane_b32 s37, v102, 21
	v_readlane_b32 s38, v102, 22
	s_mov_b64 s[20:21], 0x80
	v_readlane_b32 s39, v102, 26
                                        ; implicit-def: $sgpr8_sgpr9
	s_branch .LBB71_29
.LBB71_27:                              ;   in Loop: Header=BB71_29 Depth=2
	s_or_b64 exec, exec, s[12:13]
	s_andn2_b64 s[8:9], s[8:9], exec
	s_and_b64 s[12:13], s[14:15], exec
	s_or_b64 s[8:9], s[8:9], s[12:13]
.LBB71_28:                              ;   in Loop: Header=BB71_29 Depth=2
	s_or_b64 exec, exec, s[10:11]
	s_and_b64 s[10:11], exec, s[8:9]
	s_or_b64 s[6:7], s[10:11], s[6:7]
	s_andn2_b64 exec, exec, s[6:7]
	s_cbranch_execz .LBB71_32
.LBB71_29:                              ;   Parent Loop BB71_7 Depth=1
                                        ; =>  This Inner Loop Header: Depth=2
	s_and_b32 s12, s5, 24
	v_or_b32_e32 v57, s12, v89
	v_add_u32_e32 v58, s60, v57
	v_cmp_gt_u32_e32 vcc, 32, v58
	s_or_b64 s[8:9], s[8:9], exec
	s_and_saveexec_b64 s[10:11], vcc
	s_cbranch_execz .LBB71_28
; %bb.30:                               ;   in Loop: Header=BB71_29 Depth=2
	s_add_i32 s13, s16, 1
	s_set_gpr_idx_on s16, gpr_idx(SRC0)
	v_mov_b32_e32 v58, v0
	s_set_gpr_idx_off
	v_cvt_f16_f32_e32 v60, v58
	s_set_gpr_idx_on s13, gpr_idx(SRC0)
	v_mov_b32_e32 v58, v0
	s_set_gpr_idx_off
	v_cvt_f16_f32_sdwa v61, v58 dst_sel:WORD_1 dst_unused:UNUSED_PAD src0_sel:DWORD
	v_mul_lo_u32 v58, v57, s89
	v_ashrrev_i32_e32 v59, 31, v58
	v_lshl_add_u64 v[58:59], v[58:59], 1, v[54:55]
	v_or_b32_e32 v57, v61, v60
	;;#ASMSTART
	global_atomic_pk_add_f16 v[58:59], v57, off
	
	;;#ASMEND
	s_set_gpr_idx_on s16, gpr_idx(SRC0)
	v_mov_b32_e32 v57, v16
	s_set_gpr_idx_off
	v_cvt_f16_f32_e32 v57, v57
	s_set_gpr_idx_on s13, gpr_idx(SRC0)
	v_mov_b32_e32 v60, v16
	s_set_gpr_idx_off
	v_cvt_f16_f32_sdwa v62, v60 dst_sel:WORD_1 dst_unused:UNUSED_PAD src0_sel:DWORD
	v_lshl_add_u64 v[60:61], v[58:59], 0, 64
	v_lshl_add_u64 v[58:59], v[58:59], 0, s[20:21]
	s_mov_b64 s[14:15], -1
	v_or_b32_e32 v57, v62, v57
	;;#ASMSTART
	global_atomic_pk_add_f16 v[60:61], v57, off
	
	;;#ASMEND
	s_set_gpr_idx_on s16, gpr_idx(SRC0)
	v_mov_b32_e32 v57, v32
	s_set_gpr_idx_off
	v_cvt_f16_f32_e32 v57, v57
	s_set_gpr_idx_on s13, gpr_idx(SRC0)
	v_mov_b32_e32 v60, v32
	s_set_gpr_idx_off
	v_cvt_f16_f32_sdwa v60, v60 dst_sel:WORD_1 dst_unused:UNUSED_PAD src0_sel:DWORD
	s_nop 0
	v_or_b32_e32 v57, v60, v57
	;;#ASMSTART
	global_atomic_pk_add_f16 v[58:59], v57, off
	
	;;#ASMEND
	v_or_b32_e32 v57, s12, v90
	v_add_u32_e32 v58, s60, v57
	v_cmp_gt_u32_e32 vcc, 32, v58
	s_and_saveexec_b64 s[12:13], vcc
	s_cbranch_execz .LBB71_27
; %bb.31:                               ;   in Loop: Header=BB71_29 Depth=2
	s_add_i32 s14, s16, 2
	s_add_i32 s15, s16, 3
	s_set_gpr_idx_on s14, gpr_idx(SRC0)
	v_mov_b32_e32 v58, v0
	s_set_gpr_idx_off
	v_cvt_f16_f32_e32 v60, v58
	s_set_gpr_idx_on s15, gpr_idx(SRC0)
	v_mov_b32_e32 v58, v0
	s_set_gpr_idx_off
	v_cvt_f16_f32_sdwa v61, v58 dst_sel:WORD_1 dst_unused:UNUSED_PAD src0_sel:DWORD
	v_mul_lo_u32 v58, v57, s89
	v_ashrrev_i32_e32 v59, 31, v58
	v_lshl_add_u64 v[58:59], v[58:59], 1, v[54:55]
	v_or_b32_e32 v57, v61, v60
	;;#ASMSTART
	global_atomic_pk_add_f16 v[58:59], v57, off
	
	;;#ASMEND
	s_set_gpr_idx_on s14, gpr_idx(SRC0)
	v_mov_b32_e32 v57, v16
	s_set_gpr_idx_off
	v_cvt_f16_f32_e32 v57, v57
	s_set_gpr_idx_on s15, gpr_idx(SRC0)
	v_mov_b32_e32 v60, v16
	s_set_gpr_idx_off
	v_cvt_f16_f32_sdwa v62, v60 dst_sel:WORD_1 dst_unused:UNUSED_PAD src0_sel:DWORD
	v_lshl_add_u64 v[60:61], v[58:59], 0, 64
	s_add_i32 s16, s16, 4
	s_add_i32 s5, s5, 8
	v_or_b32_e32 v57, v62, v57
	;;#ASMSTART
	global_atomic_pk_add_f16 v[60:61], v57, off
	
	;;#ASMEND
	s_set_gpr_idx_on s14, gpr_idx(SRC0)
	v_mov_b32_e32 v57, v32
	s_set_gpr_idx_off
	v_cvt_f16_f32_e32 v57, v57
	s_set_gpr_idx_on s15, gpr_idx(SRC0)
	v_mov_b32_e32 v60, v32
	s_set_gpr_idx_off
	v_cvt_f16_f32_sdwa v60, v60 dst_sel:WORD_1 dst_unused:UNUSED_PAD src0_sel:DWORD
	s_cmp_eq_u32 s16, 16
	s_cselect_b64 s[14:15], -1, 0
	s_orn2_b64 s[14:15], s[14:15], exec
	v_lshl_add_u64 v[58:59], v[58:59], 0, s[20:21]
	v_or_b32_e32 v57, v60, v57
	;;#ASMSTART
	global_atomic_pk_add_f16 v[58:59], v57, off
	
	;;#ASMEND
	s_branch .LBB71_27
.LBB71_32:                              ;   in Loop: Header=BB71_7 Depth=1
	s_or_b64 exec, exec, s[6:7]
	v_readlane_b32 s16, v102, 2
	v_readlane_b32 s8, v102, 23
	;; [unrolled: 1-line block ×12, first 2 shown]
.LBB71_33:                              ;   in Loop: Header=BB71_7 Depth=1
	s_or_b64 exec, exec, s[8:9]
.LBB71_34:                              ;   in Loop: Header=BB71_7 Depth=1
	s_andn2_saveexec_b64 s[0:1], s[0:1]
	s_cbranch_execz .LBB71_43
; %bb.35:                               ;   in Loop: Header=BB71_7 Depth=1
	s_mul_i32 s12, s97, 3
	v_cmp_gt_i32_e32 vcc, s12, v92
	s_and_saveexec_b64 s[6:7], vcc
	s_cbranch_execz .LBB71_42
; %bb.36:                               ;   in Loop: Header=BB71_7 Depth=1
	s_mul_i32 s4, s4, s91
	s_ashr_i32 s5, s4, 31
	s_add_u32 s4, s18, s4
	s_addc_u32 s5, s19, s5
	s_ashr_i32 s8, s39, 31
	s_add_u32 s4, s4, s39
	s_addc_u32 s5, s5, s8
	v_lshl_add_u64 v[0:1], s[4:5], 0, v[52:53]
	v_lshl_add_u64 v[16:17], v[0:1], 0, v[50:51]
	s_mov_b64 s[4:5], 0
	s_branch .LBB71_38
.LBB71_37:                              ;   in Loop: Header=BB71_38 Depth=2
	s_or_b64 exec, exec, s[8:9]
	v_lshl_or_b32 v20, v18, 12, v85
	;;#ASMSTART
	s_waitcnt vmcnt(3)
	;;#ASMEND
	ds_write2_b32 v20, v12, v13 offset1:32
	ds_write2_b32 v20, v14, v15 offset0:64 offset1:96
	v_add_u32_e32 v12, 0x400, v20
	;;#ASMSTART
	s_waitcnt vmcnt(2)
	;;#ASMEND
	ds_write2_b32 v12, v8, v9 offset1:32
	ds_write2_b32 v12, v10, v11 offset0:64 offset1:96
	v_add_u32_e32 v8, 0x800, v20
	;; [unrolled: 6-line block ×3, first 2 shown]
	v_add_u32_e32 v92, s94, v92
	;;#ASMSTART
	s_waitcnt vmcnt(0)
	;;#ASMEND
	ds_write2_b32 v4, v0, v1 offset1:32
	ds_write2_b32 v4, v2, v3 offset0:64 offset1:96
	v_add_u32_e32 v0, 1, v71
	v_add_u32_e32 v56, s94, v18
	v_cmp_le_i32_e32 vcc, s12, v92
	ds_write_b32 v19, v0 offset:4
	v_add_u32_e32 v0, 2, v71
	s_or_b64 s[4:5], vcc, s[4:5]
	v_cmp_lt_i32_e32 vcc, 2, v56
	s_nop 1
	v_cndmask_b32_e32 v71, v71, v0, vcc
	s_andn2_b64 exec, exec, s[4:5]
	s_cbranch_execz .LBB71_41
.LBB71_38:                              ;   Parent Loop BB71_7 Depth=1
                                        ; =>  This Loop Header: Depth=2
                                        ;       Child Loop BB71_40 Depth 3
	v_cmp_gt_i32_e32 vcc, 3, v56
	s_mov_b32 s8, 0x55555556
	s_nop 0
	v_cndmask_b32_e64 v0, -3, 0, vcc
	v_add_u32_e32 v18, v0, v56
	v_mul_hi_i32 v0, v92, s8
	v_lshrrev_b32_e32 v1, 31, v0
	v_add_u32_e32 v0, v0, v1
	v_lshl_add_u32 v1, v0, 1, v0
	v_sub_u32_e32 v2, v92, v1
	v_lshlrev_b32_e32 v0, 7, v0
	v_ashrrev_i32_e32 v1, 31, v0
	v_mul_lo_u32 v2, s33, v2
	v_lshl_add_u64 v[0:1], v[16:17], 0, v[0:1]
	v_ashrrev_i32_e32 v3, 31, v2
	v_lshl_add_u64 v[0:1], v[0:1], 0, v[2:3]
	v_lshlrev_b32_e32 v19, 2, v18
	;;#ASMSTART
	global_load_dwordx4 v[12:15], v[0:1], off offset:0   sc0 sc1 nt  
	global_load_dwordx4 v[8:11], v[0:1], off offset:32  sc0 sc1 nt  
	global_load_dwordx4 v[4:7], v[0:1], off offset:64  sc0 sc1 nt  
	;; [unrolled: 1-line block ×3, first 2 shown]
	
	;;#ASMEND
	ds_read_b32 v20, v19 offset:16388
	v_add_u32_e32 v19, 0x4000, v19
	s_waitcnt lgkmcnt(0)
	v_cmp_ne_u32_e32 vcc, v20, v71
	s_and_saveexec_b64 s[8:9], vcc
	s_cbranch_execz .LBB71_37
; %bb.39:                               ;   in Loop: Header=BB71_38 Depth=2
	s_mov_b64 s[10:11], 0
.LBB71_40:                              ;   Parent Loop BB71_7 Depth=1
                                        ;     Parent Loop BB71_38 Depth=2
                                        ; =>    This Inner Loop Header: Depth=3
	;;#ASMSTART
	s_sleep 0
	;;#ASMEND
	ds_read_b32 v20, v19 offset:4
	s_waitcnt lgkmcnt(0)
	v_cmp_eq_u32_e32 vcc, v20, v71
	s_or_b64 s[10:11], vcc, s[10:11]
	s_andn2_b64 exec, exec, s[10:11]
	s_cbranch_execnz .LBB71_40
	s_branch .LBB71_37
.LBB71_41:                              ;   in Loop: Header=BB71_7 Depth=1
	s_or_b64 exec, exec, s[4:5]
.LBB71_42:                              ;   in Loop: Header=BB71_7 Depth=1
	s_or_b64 exec, exec, s[6:7]
	v_subrev_u32_e32 v92, s12, v92
.LBB71_43:                              ;   in Loop: Header=BB71_7 Depth=1
	s_or_b64 exec, exec, s[0:1]
.LBB71_44:                              ;   in Loop: Header=BB71_7 Depth=1
	s_andn2_saveexec_b64 s[0:1], s[98:99]
	s_cbranch_execz .LBB71_6
; %bb.45:                               ;   in Loop: Header=BB71_7 Depth=1
	v_cmp_gt_i32_e32 vcc, s97, v92
	s_and_saveexec_b64 s[4:5], vcc
	s_cbranch_execz .LBB71_5
; %bb.46:                               ;   in Loop: Header=BB71_7 Depth=1
	s_mul_i32 s3, s3, s90
	s_ashr_i32 s6, s3, 31
	s_add_u32 s3, s16, s3
	s_addc_u32 s7, s17, s6
	s_ashr_i32 s8, s39, 31
	v_cmp_le_i32_e32 vcc, s61, v86
	s_add_u32 s6, s3, s39
	s_addc_u32 s7, s7, s8
	v_cndmask_b32_e32 v0, 0, v87, vcc
	v_ashrrev_i32_e32 v1, 31, v0
	v_lshl_add_u64 v[0:1], s[6:7], 0, v[0:1]
	v_lshl_add_u64 v[16:17], v[0:1], 0, v[50:51]
	s_mov_b64 s[6:7], 0
	s_branch .LBB71_48
.LBB71_47:                              ;   in Loop: Header=BB71_48 Depth=2
	s_or_b64 exec, exec, s[8:9]
	v_lshl_add_u32 v20, v18, 12, v88
	;;#ASMSTART
	s_waitcnt vmcnt(3)
	;;#ASMEND
	ds_write2_b32 v20, v12, v13 offset1:32
	ds_write2_b32 v20, v14, v15 offset0:64 offset1:96
	v_add_u32_e32 v12, 0x400, v20
	;;#ASMSTART
	s_waitcnt vmcnt(2)
	;;#ASMEND
	ds_write2_b32 v12, v8, v9 offset1:32
	ds_write2_b32 v12, v10, v11 offset0:64 offset1:96
	v_add_u32_e32 v8, 0x800, v20
	;; [unrolled: 6-line block ×3, first 2 shown]
	v_add_u32_e32 v92, s93, v92
	;;#ASMSTART
	s_waitcnt vmcnt(0)
	;;#ASMEND
	ds_write2_b32 v4, v0, v1 offset1:32
	ds_write2_b32 v4, v2, v3 offset0:64 offset1:96
	v_add_u32_e32 v0, 1, v71
	v_add_u32_e32 v56, s93, v18
	v_cmp_le_i32_e32 vcc, s97, v92
	ds_write_b32 v19, v0
	v_add_u32_e32 v0, 2, v71
	s_or_b64 s[6:7], vcc, s[6:7]
	v_cmp_lt_i32_e32 vcc, 0, v56
	s_nop 1
	v_cndmask_b32_e32 v71, v71, v0, vcc
	s_andn2_b64 exec, exec, s[6:7]
	s_cbranch_execz .LBB71_4
.LBB71_48:                              ;   Parent Loop BB71_7 Depth=1
                                        ; =>  This Loop Header: Depth=2
                                        ;       Child Loop BB71_50 Depth 3
	v_cmp_lt_i32_e32 vcc, 0, v56
	v_lshlrev_b32_e32 v0, 7, v92
	v_ashrrev_i32_e32 v1, 31, v0
	v_subbrev_co_u32_e32 v18, vcc, 0, v56, vcc
	v_lshl_add_u64 v[0:1], v[16:17], 0, v[0:1]
	v_lshlrev_b32_e32 v19, 2, v18
	;;#ASMSTART
	global_load_dwordx4 v[12:15], v[0:1], off offset:0   
	global_load_dwordx4 v[8:11], v[0:1], off offset:32  
	;; [unrolled: 1-line block ×4, first 2 shown]
	
	;;#ASMEND
	ds_read_b32 v20, v19 offset:16384
	v_add_u32_e32 v19, 0x4000, v19
	s_waitcnt lgkmcnt(0)
	v_cmp_ne_u32_e32 vcc, v20, v71
	s_and_saveexec_b64 s[8:9], vcc
	s_cbranch_execz .LBB71_47
; %bb.49:                               ;   in Loop: Header=BB71_48 Depth=2
	s_mov_b64 s[10:11], 0
.LBB71_50:                              ;   Parent Loop BB71_7 Depth=1
                                        ;     Parent Loop BB71_48 Depth=2
                                        ; =>    This Inner Loop Header: Depth=3
	;;#ASMSTART
	s_sleep 0
	;;#ASMEND
	ds_read_b32 v20, v19
	s_waitcnt lgkmcnt(0)
	v_cmp_eq_u32_e32 vcc, v20, v71
	s_or_b64 s[10:11], vcc, s[10:11]
	s_andn2_b64 exec, exec, s[10:11]
	s_cbranch_execnz .LBB71_50
	s_branch .LBB71_47
.LBB71_51:
	s_endpgm
	.section	.rodata,"a",@progbits
	.p2align	6, 0x0
	.amdhsa_kernel _Z19_skinny_gemm_kernelILi1ELi3ELi1ELi32ELi8EEvPKhS1_P6__halfPKfiiiiiiii
		.amdhsa_group_segment_fixed_size 16400
		.amdhsa_private_segment_fixed_size 0
		.amdhsa_kernarg_size 64
		.amdhsa_user_sgpr_count 2
		.amdhsa_user_sgpr_dispatch_ptr 0
		.amdhsa_user_sgpr_queue_ptr 0
		.amdhsa_user_sgpr_kernarg_segment_ptr 1
		.amdhsa_user_sgpr_dispatch_id 0
		.amdhsa_user_sgpr_kernarg_preload_length 0
		.amdhsa_user_sgpr_kernarg_preload_offset 0
		.amdhsa_user_sgpr_private_segment_size 0
		.amdhsa_uses_dynamic_stack 0
		.amdhsa_enable_private_segment 0
		.amdhsa_system_sgpr_workgroup_id_x 1
		.amdhsa_system_sgpr_workgroup_id_y 0
		.amdhsa_system_sgpr_workgroup_id_z 0
		.amdhsa_system_sgpr_workgroup_info 0
		.amdhsa_system_vgpr_workitem_id 0
		.amdhsa_next_free_vgpr 103
		.amdhsa_next_free_sgpr 100
		.amdhsa_accum_offset 104
		.amdhsa_reserve_vcc 1
		.amdhsa_float_round_mode_32 0
		.amdhsa_float_round_mode_16_64 0
		.amdhsa_float_denorm_mode_32 3
		.amdhsa_float_denorm_mode_16_64 3
		.amdhsa_dx10_clamp 1
		.amdhsa_ieee_mode 1
		.amdhsa_fp16_overflow 0
		.amdhsa_tg_split 0
		.amdhsa_exception_fp_ieee_invalid_op 0
		.amdhsa_exception_fp_denorm_src 0
		.amdhsa_exception_fp_ieee_div_zero 0
		.amdhsa_exception_fp_ieee_overflow 0
		.amdhsa_exception_fp_ieee_underflow 0
		.amdhsa_exception_fp_ieee_inexact 0
		.amdhsa_exception_int_div_zero 0
	.end_amdhsa_kernel
	.section	.text._Z19_skinny_gemm_kernelILi1ELi3ELi1ELi32ELi8EEvPKhS1_P6__halfPKfiiiiiiii,"axG",@progbits,_Z19_skinny_gemm_kernelILi1ELi3ELi1ELi32ELi8EEvPKhS1_P6__halfPKfiiiiiiii,comdat
.Lfunc_end71:
	.size	_Z19_skinny_gemm_kernelILi1ELi3ELi1ELi32ELi8EEvPKhS1_P6__halfPKfiiiiiiii, .Lfunc_end71-_Z19_skinny_gemm_kernelILi1ELi3ELi1ELi32ELi8EEvPKhS1_P6__halfPKfiiiiiiii
                                        ; -- End function
	.set _Z19_skinny_gemm_kernelILi1ELi3ELi1ELi32ELi8EEvPKhS1_P6__halfPKfiiiiiiii.num_vgpr, 103
	.set _Z19_skinny_gemm_kernelILi1ELi3ELi1ELi32ELi8EEvPKhS1_P6__halfPKfiiiiiiii.num_agpr, 0
	.set _Z19_skinny_gemm_kernelILi1ELi3ELi1ELi32ELi8EEvPKhS1_P6__halfPKfiiiiiiii.numbered_sgpr, 100
	.set _Z19_skinny_gemm_kernelILi1ELi3ELi1ELi32ELi8EEvPKhS1_P6__halfPKfiiiiiiii.num_named_barrier, 0
	.set _Z19_skinny_gemm_kernelILi1ELi3ELi1ELi32ELi8EEvPKhS1_P6__halfPKfiiiiiiii.private_seg_size, 0
	.set _Z19_skinny_gemm_kernelILi1ELi3ELi1ELi32ELi8EEvPKhS1_P6__halfPKfiiiiiiii.uses_vcc, 1
	.set _Z19_skinny_gemm_kernelILi1ELi3ELi1ELi32ELi8EEvPKhS1_P6__halfPKfiiiiiiii.uses_flat_scratch, 0
	.set _Z19_skinny_gemm_kernelILi1ELi3ELi1ELi32ELi8EEvPKhS1_P6__halfPKfiiiiiiii.has_dyn_sized_stack, 0
	.set _Z19_skinny_gemm_kernelILi1ELi3ELi1ELi32ELi8EEvPKhS1_P6__halfPKfiiiiiiii.has_recursion, 0
	.set _Z19_skinny_gemm_kernelILi1ELi3ELi1ELi32ELi8EEvPKhS1_P6__halfPKfiiiiiiii.has_indirect_call, 0
	.section	.AMDGPU.csdata,"",@progbits
; Kernel info:
; codeLenInByte = 12000
; TotalNumSgprs: 106
; NumVgprs: 103
; NumAgprs: 0
; TotalNumVgprs: 103
; ScratchSize: 0
; MemoryBound: 0
; FloatMode: 240
; IeeeMode: 1
; LDSByteSize: 16400 bytes/workgroup (compile time only)
; SGPRBlocks: 13
; VGPRBlocks: 12
; NumSGPRsForWavesPerEU: 106
; NumVGPRsForWavesPerEU: 103
; AccumOffset: 104
; Occupancy: 4
; WaveLimiterHint : 0
; COMPUTE_PGM_RSRC2:SCRATCH_EN: 0
; COMPUTE_PGM_RSRC2:USER_SGPR: 2
; COMPUTE_PGM_RSRC2:TRAP_HANDLER: 0
; COMPUTE_PGM_RSRC2:TGID_X_EN: 1
; COMPUTE_PGM_RSRC2:TGID_Y_EN: 0
; COMPUTE_PGM_RSRC2:TGID_Z_EN: 0
; COMPUTE_PGM_RSRC2:TIDIG_COMP_CNT: 0
; COMPUTE_PGM_RSRC3_GFX90A:ACCUM_OFFSET: 25
; COMPUTE_PGM_RSRC3_GFX90A:TG_SPLIT: 0
	.section	.text._Z19_skinny_gemm_kernelILi1ELi3ELi2ELi8ELi4EEvPKhS1_P6__halfPKfiiiiiiii,"axG",@progbits,_Z19_skinny_gemm_kernelILi1ELi3ELi2ELi8ELi4EEvPKhS1_P6__halfPKfiiiiiiii,comdat
	.protected	_Z19_skinny_gemm_kernelILi1ELi3ELi2ELi8ELi4EEvPKhS1_P6__halfPKfiiiiiiii ; -- Begin function _Z19_skinny_gemm_kernelILi1ELi3ELi2ELi8ELi4EEvPKhS1_P6__halfPKfiiiiiiii
	.globl	_Z19_skinny_gemm_kernelILi1ELi3ELi2ELi8ELi4EEvPKhS1_P6__halfPKfiiiiiiii
	.p2align	8
	.type	_Z19_skinny_gemm_kernelILi1ELi3ELi2ELi8ELi4EEvPKhS1_P6__halfPKfiiiiiiii,@function
_Z19_skinny_gemm_kernelILi1ELi3ELi2ELi8ELi4EEvPKhS1_P6__halfPKfiiiiiiii: ; @_Z19_skinny_gemm_kernelILi1ELi3ELi2ELi8ELi4EEvPKhS1_P6__halfPKfiiiiiiii
; %bb.0:
	v_cmp_gt_u32_e32 vcc, 8, v0
	v_lshlrev_b32_e32 v1, 2, v0
	s_and_saveexec_b64 s[4:5], vcc
; %bb.1:
	v_mov_b32_e32 v2, 0
	ds_write_b32 v1, v2 offset:28672
; %bb.2:
	s_or_b64 exec, exec, s[4:5]
	s_load_dwordx8 s[12:19], s[0:1], 0x20
	s_waitcnt lgkmcnt(0)
	s_barrier
	s_add_i32 s3, s12, 7
	s_ashr_i32 s5, s3, 31
	s_add_i32 s4, s13, 47
	s_lshr_b32 s5, s5, 29
	s_mul_hi_i32 s4, s4, 0x2aaaaaab
	s_add_i32 s3, s3, s5
	s_ashr_i32 s33, s3, 3
	s_lshr_b32 s3, s4, 31
	s_ashr_i32 s42, s4, 3
	s_add_i32 s42, s42, s3
	s_mul_i32 s3, s42, s33
	s_mul_i32 s3, s3, s16
	s_add_i32 s4, s3, 0x12f
	s_mul_hi_i32 s4, s4, 0x6bca1af3
	s_lshr_b32 s5, s4, 31
	s_ashr_i32 s4, s4, 7
	s_add_i32 s4, s4, s5
	s_add_i32 s5, s2, 1
	s_mul_i32 s5, s4, s5
	v_cvt_f64_i32_e32 v[2:3], s3
	v_cvt_f64_u32_e32 v[4:5], s5
	v_min_f64 v[2:3], v[2:3], v[4:5]
	v_cvt_i32_f64_e32 v17, v[2:3]
	s_mul_i32 s43, s4, s2
	v_cmp_ge_i32_e32 vcc, s43, v17
	s_cbranch_vccnz .LBB72_47
; %bb.3:
	v_lshrrev_b32_e32 v2, 6, v0
	s_add_i32 s4, s18, s17
	s_load_dwordx8 s[20:27], s[0:1], 0x0
	v_cmp_le_i32_e64 s[0:1], s4, v2
	v_mov_b32_e32 v3, s17
	v_cmp_le_i32_e64 s[2:3], s17, v2
	v_mov_b32_e32 v4, s18
	v_cndmask_b32_e64 v4, 0, v4, s[0:1]
	v_cndmask_b32_e64 v3, 0, v3, s[2:3]
	s_abs_i32 s5, s16
	v_add_u32_e32 v3, v3, v4
	v_cvt_f32_u32_e32 v4, s5
	v_sub_u32_e32 v14, v2, v3
	s_ashr_i32 s6, s14, 31
	s_lshr_b32 s6, s6, 24
	v_rcp_iflag_f32_e32 v3, v4
	s_sub_i32 s9, 0, s5
	s_add_i32 s6, s14, s6
	s_ashr_i32 s6, s6, 8
	v_mul_f32_e32 v3, 0x4f7ffffe, v3
	v_cvt_u32_f32_e32 v3, v3
	s_abs_i32 s8, s6
	s_xor_b32 s7, s6, s16
	s_ashr_i32 s7, s7, 31
	v_readfirstlane_b32 s10, v3
	s_mul_i32 s9, s9, s10
	s_mul_hi_u32 s9, s10, s9
	s_add_i32 s10, s10, s9
	s_mul_hi_u32 s9, s8, s10
	s_mul_i32 s10, s9, s5
	s_sub_i32 s8, s8, s10
	s_add_i32 s10, s9, 1
	s_sub_i32 s11, s8, s5
	s_cmp_ge_u32 s8, s5
	s_cselect_b32 s9, s10, s9
	s_cselect_b32 s8, s11, s8
	s_add_i32 s10, s9, 1
	s_cmp_ge_u32 s8, s5
	s_cselect_b32 s5, s10, s9
	s_xor_b32 s5, s5, s7
	s_sub_i32 s44, s5, s7
	s_add_i32 s16, s16, -1
	s_mul_i32 s5, s44, s16
	s_add_i32 s4, s4, s19
	s_sub_i32 s45, s6, s5
	v_cmp_gt_i32_e64 s[4:5], s4, v2
	v_and_b32_e32 v2, 1, v0
	v_lshlrev_b32_e32 v3, 1, v0
	v_and_b32_e32 v3, 0x7c, v3
	v_lshlrev_b32_e32 v4, 8, v2
	v_lshlrev_b32_e32 v5, 4, v0
	s_movk_i32 s7, 0x6000
	s_movk_i32 s6, 0x7c
	v_and_b32_e32 v6, 0x200, v5
	v_or3_b32 v34, v3, v4, s7
	v_lshrrev_b32_e32 v3, 3, v0
	v_cmp_eq_u32_e32 vcc, 0, v2
	v_and_or_b32 v35, v1, s6, v6
	v_lshlrev_b32_e32 v1, 1, v2
	v_and_or_b32 v2, v3, 6, v2
	v_sub_u32_e32 v39, 8, v2
	v_mul_lo_u32 v18, s13, v2
	v_bfe_u32 v2, v0, 2, 4
	v_lshlrev_b32_e32 v4, 8, v0
	v_lshlrev_b32_e32 v6, 6, v0
	v_mul_lo_u32 v24, s15, v2
	v_and_b32_e32 v2, 60, v0
	v_and_b32_e32 v4, 0x200, v4
	;; [unrolled: 1-line block ×3, first 2 shown]
	s_abs_i32 s47, s33
	v_or3_b32 v40, v2, v4, v6
	v_cvt_f32_u32_e32 v6, s47
	v_lshlrev_b32_e32 v4, 7, v0
	v_and_b32_e32 v16, 14, v0
	v_bitop3_b32 v36, v0, 1, v0 bitop3:0xc
	v_sub_u32_e32 v1, v0, v1
	v_bfe_u32 v2, v0, 3, 3
	v_and_b32_e32 v4, 0x200, v4
	v_lshlrev_b32_e32 v0, 5, v0
	v_lshl_or_b32 v4, v2, 2, v4
	v_and_b32_e32 v0, 0x60, v0
	v_or3_b32 v41, v4, v0, s7
	v_rcp_iflag_f32_e32 v0, v6
	s_abs_i32 s48, s42
	v_mul_lo_u32 v43, s14, v2
	v_cvt_f32_u32_e32 v2, s48
	v_mul_f32_e32 v0, 0x4f7ffffe, v0
	v_cvt_u32_f32_e32 v0, v0
	s_sub_i32 s6, 0, s47
	v_rcp_iflag_f32_e32 v2, v2
	v_add_u32_e32 v1, 1, v1
	v_readfirstlane_b32 s7, v0
	s_mul_i32 s6, s6, s7
	v_mul_f32_e32 v0, 0x4f7ffffe, v2
	v_cvt_u32_f32_e32 v0, v0
	s_mul_hi_u32 s6, s7, s6
	s_add_i32 s50, s7, s6
	s_sub_i32 s6, 0, s48
	v_readfirstlane_b32 s7, v0
	v_mbcnt_lo_u32_b32 v0, -1, 0
	v_and_b32_e32 v1, 63, v1
	s_mul_i32 s6, s6, s7
	v_mbcnt_hi_u32_b32 v0, -1, v0
	v_mov_b32_e32 v7, 0xeeee
	v_mov_b32_e32 v8, 0x4444
	;; [unrolled: 1-line block ×3, first 2 shown]
	s_mul_hi_u32 s6, s7, s6
	v_and_or_b32 v0, v0, 64, v1
	v_cndmask_b32_e64 v32, 0, 1, s[0:1]
	s_mov_b32 s29, 0
	v_cndmask_b32_e32 v33, v7, v8, vcc
	v_or_b32_e32 v37, 16, v16
	v_or_b32_e32 v38, 32, v16
	v_ashrrev_i32_e32 v19, 31, v18
	v_and_b32_e32 v22, 48, v5
	v_ashrrev_i32_e32 v25, 31, v24
	v_mov_b32_e32 v23, v21
	s_lshl_b32 s46, s15, 4
	v_bitop3_b32 v42, v3, 7, v3 bitop3:0xc
	v_and_b32_e32 v26, 0x70, v5
	v_mov_b32_e32 v27, v21
	s_lshl_b32 s28, s17, 8
	s_ashr_i32 s49, s33, 31
	s_ashr_i32 s51, s42, 31
	s_add_i32 s52, s7, s6
	s_movk_i32 s53, 0x3000
	s_mov_b32 s54, 0x55555556
	v_lshlrev_b32_e32 v44, 2, v0
	v_mov_b32_e32 v45, v14
	s_branch .LBB72_7
.LBB72_4:                               ;   in Loop: Header=BB72_7 Depth=1
	s_or_b64 exec, exec, s[10:11]
.LBB72_5:                               ;   in Loop: Header=BB72_7 Depth=1
	s_or_b64 exec, exec, s[8:9]
	v_subrev_u32_e32 v45, s55, v45
.LBB72_6:                               ;   in Loop: Header=BB72_7 Depth=1
	s_or_b64 exec, exec, s[6:7]
	s_add_i32 s43, s43, 1
	v_cmp_ge_i32_e32 vcc, s43, v17
	s_cbranch_vccnz .LBB72_47
.LBB72_7:                               ; =>This Loop Header: Depth=1
                                        ;     Child Loop BB72_13 Depth 2
                                        ;       Child Loop BB72_15 Depth 3
                                        ;       Child Loop BB72_18 Depth 3
	;; [unrolled: 1-line block ×4, first 2 shown]
                                        ;     Child Loop BB72_34 Depth 2
                                        ;       Child Loop BB72_36 Depth 3
                                        ;     Child Loop BB72_44 Depth 2
                                        ;       Child Loop BB72_46 Depth 3
	s_abs_i32 s7, s43
	s_mul_hi_u32 s8, s7, s50
	s_mul_i32 s9, s8, s47
	s_ashr_i32 s6, s43, 31
	s_sub_i32 s7, s7, s9
	s_xor_b32 s6, s6, s49
	s_add_i32 s9, s8, 1
	s_sub_i32 s10, s7, s47
	s_cmp_ge_u32 s7, s47
	s_cselect_b32 s8, s9, s8
	s_cselect_b32 s7, s10, s7
	s_add_i32 s9, s8, 1
	s_cmp_ge_u32 s7, s47
	s_cselect_b32 s7, s9, s8
	s_xor_b32 s7, s7, s6
	s_sub_i32 s6, s7, s6
	s_abs_i32 s8, s6
	s_mul_i32 s7, s6, s33
	s_mul_hi_u32 s9, s8, s52
	s_sub_i32 s7, s43, s7
	s_mul_i32 s10, s9, s48
	s_lshl_b32 s56, s7, 3
	s_ashr_i32 s7, s6, 31
	s_sub_i32 s8, s8, s10
	s_xor_b32 s7, s7, s51
	s_add_i32 s10, s9, 1
	s_sub_i32 s11, s8, s48
	s_cmp_ge_u32 s8, s48
	s_cselect_b32 s9, s10, s9
	s_cselect_b32 s8, s11, s8
	s_add_i32 s10, s9, 1
	s_cmp_ge_u32 s8, s48
	s_cselect_b32 s8, s10, s9
	s_xor_b32 s8, s8, s7
	s_sub_i32 s7, s8, s7
	s_mul_i32 s8, s7, s44
	s_lshl_b32 s57, s8, 8
	s_cmp_eq_u32 s7, s16
	s_cselect_b32 s55, s45, s44
	s_sub_i32 s58, s56, s12
	s_add_i32 s58, s58, 8
	s_and_saveexec_b64 s[8:9], s[2:3]
	s_xor_b64 s[30:31], exec, s[8:9]
	s_cbranch_execz .LBB72_40
; %bb.8:                                ;   in Loop: Header=BB72_7 Depth=1
	s_mul_i32 s7, s7, s42
	s_sub_i32 s6, s6, s7
	s_mul_i32 s6, s6, 48
	s_sub_i32 s35, s6, s13
	s_add_i32 s35, s35, 48
	s_max_i32 s7, s35, 0
	s_sub_i32 s34, s6, s7
	s_and_saveexec_b64 s[6:7], s[0:1]
	s_xor_b64 s[36:37], exec, s[6:7]
	s_cbranch_execz .LBB72_30
; %bb.9:                                ;   in Loop: Header=BB72_7 Depth=1
	s_and_saveexec_b64 s[38:39], s[4:5]
	s_cbranch_execz .LBB72_29
; %bb.10:                               ;   in Loop: Header=BB72_7 Depth=1
	s_waitcnt lgkmcnt(0)
	global_load_dword v20, v21, s[26:27]
	v_mov_b32_e32 v11, 0
	v_cmp_gt_i32_e32 vcc, s55, v45
	v_mov_b32_e32 v10, v11
	v_mov_b32_e32 v9, v11
	v_mov_b32_e32 v8, v11
	v_mov_b32_e32 v7, v11
	v_mov_b32_e32 v6, v11
	v_mov_b32_e32 v5, v11
	v_mov_b32_e32 v4, v11
	v_mov_b32_e32 v3, v11
	v_mov_b32_e32 v2, v11
	v_mov_b32_e32 v1, v11
	v_mov_b32_e32 v0, v11
	s_and_saveexec_b64 s[6:7], vcc
	s_cbranch_execz .LBB72_26
; %bb.11:                               ;   in Loop: Header=BB72_7 Depth=1
	v_mov_b32_e32 v0, 0
	s_mov_b64 s[8:9], 0
	v_mov_b32_e32 v1, v0
	v_mov_b32_e32 v2, v0
	;; [unrolled: 1-line block ×11, first 2 shown]
	s_branch .LBB72_13
.LBB72_12:                              ;   in Loop: Header=BB72_13 Depth=2
	s_or_b64 exec, exec, s[10:11]
	v_add_u32_e32 v52, 0x2000, v49
	ds_read2_b32 v[50:51], v52 offset1:32
	ds_read2_b32 v[52:53], v52 offset0:64 offset1:96
	v_add_u32_e32 v56, 0x2400, v49
	ds_read2_b32 v[54:55], v56 offset1:32
	ds_read2_b32 v[56:57], v56 offset0:64 offset1:96
	v_add_u32_e32 v45, s19, v45
	v_cmp_le_i32_e32 vcc, s55, v45
	s_waitcnt lgkmcnt(2)
	v_smfmac_f32_16x16x64_fp8_fp8 v[0:3], v[30:31], v[50:53], v33 cbsz:7 abid:1
	v_add_u32_e32 v30, 0x2800, v49
	ds_read2_b32 v[50:51], v30 offset1:32
	ds_read2_b32 v[52:53], v30 offset0:64 offset1:96
	v_add_u32_e32 v30, 0x2c00, v49
	s_waitcnt lgkmcnt(2)
	v_smfmac_f32_16x16x64_fp8_fp8 v[0:3], v[28:29], v[54:57], v33 cbsz:7 abid:1
	ds_read2_b32 v[28:29], v30 offset1:32
	ds_read2_b32 v[30:31], v30 offset0:64 offset1:96
	s_or_b64 s[8:9], vcc, s[8:9]
	ds_write_b32 v48, v47 offset:28688
	s_waitcnt lgkmcnt(3)
	v_smfmac_f32_16x16x64_fp8_fp8 v[0:3], v[14:15], v[50:53], v33 cbsz:7 abid:1
	v_add_u32_e32 v14, s19, v46
	v_add_u32_e32 v15, 2, v32
	v_cmp_lt_i32_e32 vcc, 1, v14
	s_waitcnt lgkmcnt(1)
	v_smfmac_f32_16x16x64_fp8_fp8 v[0:3], v[12:13], v[28:31], v33 cbsz:7 abid:1
	v_cndmask_b32_e32 v32, v32, v15, vcc
	s_andn2_b64 exec, exec, s[8:9]
	s_cbranch_execz .LBB72_25
.LBB72_13:                              ;   Parent Loop BB72_7 Depth=1
                                        ; =>  This Loop Header: Depth=2
                                        ;       Child Loop BB72_15 Depth 3
                                        ;       Child Loop BB72_18 Depth 3
	;; [unrolled: 1-line block ×4, first 2 shown]
	v_cmp_gt_i32_e32 vcc, 2, v14
	s_nop 1
	v_cndmask_b32_e64 v12, -2, 0, vcc
	v_add_u32_e32 v46, v12, v14
	v_lshlrev_b32_e32 v12, 2, v46
	ds_read_b32 v13, v12 offset:28672
	v_add_u32_e32 v48, 0x7000, v12
	s_waitcnt lgkmcnt(0)
	v_cmp_ne_u32_e32 vcc, v13, v32
	s_and_saveexec_b64 s[10:11], vcc
	s_cbranch_execz .LBB72_16
; %bb.14:                               ;   in Loop: Header=BB72_13 Depth=2
	s_mov_b64 s[40:41], 0
.LBB72_15:                              ;   Parent Loop BB72_7 Depth=1
                                        ;     Parent Loop BB72_13 Depth=2
                                        ; =>    This Inner Loop Header: Depth=3
	;;#ASMSTART
	s_sleep 0
	;;#ASMEND
	ds_read_b32 v12, v48
	s_waitcnt lgkmcnt(0)
	v_cmp_eq_u32_e32 vcc, v12, v32
	s_or_b64 s[40:41], vcc, s[40:41]
	s_andn2_b64 exec, exec, s[40:41]
	s_cbranch_execnz .LBB72_15
.LBB72_16:                              ;   in Loop: Header=BB72_13 Depth=2
	s_or_b64 exec, exec, s[10:11]
	v_lshl_add_u32 v12, v46, 11, v34
	ds_read2_b32 v[30:31], v12 offset1:32
	ds_read2_b32 v[28:29], v12 offset0:128 offset1:160
	v_add_u32_e32 v12, 0x400, v12
	v_add_u32_e32 v47, 1, v32
	ds_read2_b32 v[14:15], v12 offset1:32
	ds_read2_b32 v[12:13], v12 offset0:128 offset1:160
	;;#ASMSTART
	s_waitcnt lgkmcnt(0)
	;;#ASMEND
	ds_write_b32 v48, v47
	v_mul_lo_u32 v48, v46, 12
	ds_read_b32 v49, v48 offset:28680
	s_waitcnt lgkmcnt(0)
	v_cmp_ne_u32_e32 vcc, v49, v32
	s_and_saveexec_b64 s[10:11], vcc
	s_cbranch_execz .LBB72_19
; %bb.17:                               ;   in Loop: Header=BB72_13 Depth=2
	s_mov_b64 s[40:41], 0
.LBB72_18:                              ;   Parent Loop BB72_7 Depth=1
                                        ;     Parent Loop BB72_13 Depth=2
                                        ; =>    This Inner Loop Header: Depth=3
	;;#ASMSTART
	s_sleep 0
	;;#ASMEND
	ds_read_b32 v49, v48 offset:28680
	s_waitcnt lgkmcnt(0)
	v_cmp_eq_u32_e32 vcc, v49, v32
	s_or_b64 s[40:41], vcc, s[40:41]
	s_andn2_b64 exec, exec, s[40:41]
	s_cbranch_execnz .LBB72_18
.LBB72_19:                              ;   in Loop: Header=BB72_13 Depth=2
	s_or_b64 exec, exec, s[10:11]
	v_mul_lo_u32 v49, v46, s53
	v_or_b32_e32 v58, v35, v49
	ds_read2_b32 v[50:51], v58 offset1:32
	ds_read2_b32 v[52:53], v58 offset0:64 offset1:96
	v_add_u32_e32 v56, 0x400, v58
	ds_read2_b32 v[54:55], v56 offset1:32
	ds_read2_b32 v[56:57], v56 offset0:64 offset1:96
	s_waitcnt lgkmcnt(2)
	v_smfmac_f32_16x16x64_fp8_fp8 v[8:11], v[30:31], v[50:53], v33 cbsz:7 abid:1
	v_add_u32_e32 v52, 0x800, v58
	ds_read2_b32 v[50:51], v52 offset1:32
	ds_read2_b32 v[52:53], v52 offset0:64 offset1:96
	s_waitcnt lgkmcnt(2)
	v_smfmac_f32_16x16x64_fp8_fp8 v[8:11], v[28:29], v[54:57], v33 cbsz:7 abid:1
	v_add_u32_e32 v56, 0xc00, v58
	ds_read2_b32 v[54:55], v56 offset1:32
	s_waitcnt lgkmcnt(1)
	v_smfmac_f32_16x16x64_fp8_fp8 v[8:11], v[14:15], v[50:53], v33 cbsz:7 abid:1
	ds_read2_b32 v[56:57], v56 offset0:64 offset1:96
	ds_read_b32 v50, v48 offset:28684
	ds_write_b32 v48, v47 offset:28680
	s_waitcnt lgkmcnt(1)
	v_cmp_ne_u32_e32 vcc, v50, v32
	v_smfmac_f32_16x16x64_fp8_fp8 v[8:11], v[12:13], v[54:57], v33 cbsz:7 abid:1
	s_and_saveexec_b64 s[10:11], vcc
	s_cbranch_execz .LBB72_22
; %bb.20:                               ;   in Loop: Header=BB72_13 Depth=2
	s_mov_b64 s[40:41], 0
.LBB72_21:                              ;   Parent Loop BB72_7 Depth=1
                                        ;     Parent Loop BB72_13 Depth=2
                                        ; =>    This Inner Loop Header: Depth=3
	;;#ASMSTART
	s_sleep 0
	;;#ASMEND
	ds_read_b32 v50, v48 offset:28684
	s_waitcnt lgkmcnt(0)
	v_cmp_eq_u32_e32 vcc, v50, v32
	s_or_b64 s[40:41], vcc, s[40:41]
	s_andn2_b64 exec, exec, s[40:41]
	s_cbranch_execnz .LBB72_21
.LBB72_22:                              ;   in Loop: Header=BB72_13 Depth=2
	s_or_b64 exec, exec, s[10:11]
	v_add_u32_e32 v49, v35, v49
	v_add_u32_e32 v52, 0x1000, v49
	ds_read2_b32 v[50:51], v52 offset1:32
	ds_read2_b32 v[52:53], v52 offset0:64 offset1:96
	v_add_u32_e32 v56, 0x1400, v49
	ds_read2_b32 v[54:55], v56 offset1:32
	ds_read2_b32 v[56:57], v56 offset0:64 offset1:96
	s_waitcnt lgkmcnt(2)
	v_smfmac_f32_16x16x64_fp8_fp8 v[4:7], v[30:31], v[50:53], v33 cbsz:7 abid:1
	v_add_u32_e32 v52, 0x1800, v49
	ds_read2_b32 v[50:51], v52 offset1:32
	ds_read2_b32 v[52:53], v52 offset0:64 offset1:96
	s_waitcnt lgkmcnt(2)
	v_smfmac_f32_16x16x64_fp8_fp8 v[4:7], v[28:29], v[54:57], v33 cbsz:7 abid:1
	v_add_u32_e32 v56, 0x1c00, v49
	ds_read2_b32 v[54:55], v56 offset1:32
	s_waitcnt lgkmcnt(1)
	v_smfmac_f32_16x16x64_fp8_fp8 v[4:7], v[14:15], v[50:53], v33 cbsz:7 abid:1
	ds_read2_b32 v[56:57], v56 offset0:64 offset1:96
	ds_read_b32 v50, v48 offset:28688
	ds_write_b32 v48, v47 offset:28684
	s_waitcnt lgkmcnt(1)
	v_cmp_ne_u32_e32 vcc, v50, v32
	v_smfmac_f32_16x16x64_fp8_fp8 v[4:7], v[12:13], v[54:57], v33 cbsz:7 abid:1
	s_and_saveexec_b64 s[10:11], vcc
	s_cbranch_execz .LBB72_12
; %bb.23:                               ;   in Loop: Header=BB72_13 Depth=2
	s_mov_b64 s[40:41], 0
.LBB72_24:                              ;   Parent Loop BB72_7 Depth=1
                                        ;     Parent Loop BB72_13 Depth=2
                                        ; =>    This Inner Loop Header: Depth=3
	;;#ASMSTART
	s_sleep 0
	;;#ASMEND
	ds_read_b32 v50, v48 offset:28688
	s_waitcnt lgkmcnt(0)
	v_cmp_eq_u32_e32 vcc, v50, v32
	s_or_b64 s[40:41], vcc, s[40:41]
	s_andn2_b64 exec, exec, s[40:41]
	s_cbranch_execnz .LBB72_24
	s_branch .LBB72_12
.LBB72_25:                              ;   in Loop: Header=BB72_7 Depth=1
	s_or_b64 exec, exec, s[8:9]
.LBB72_26:                              ;   in Loop: Header=BB72_7 Depth=1
	s_or_b64 exec, exec, s[6:7]
	v_cmp_le_i32_e32 vcc, s35, v16
	v_mov_b32_e32 v28, v9
	v_mov_b32_e32 v29, v10
	;; [unrolled: 1-line block ×3, first 2 shown]
	s_waitcnt vmcnt(0)
	v_cndmask_b32_e32 v12, 0, v20, vcc
	v_pk_add_f32 v[8:9], v[28:29], v[8:9]
	v_cmp_eq_u32_e32 vcc, 1, v36
	v_pk_mul_f32 v[8:9], v[12:13], v[8:9] op_sel_hi:[0,1]
	v_cmp_eq_u32_e64 s[6:7], 2, v36
	v_cndmask_b32_e32 v12, v8, v9, vcc
	v_cmp_le_i32_e64 s[10:11], s35, v37
	v_mov_b32_e32 v28, v5
	v_mov_b32_e32 v29, v6
	;; [unrolled: 1-line block ×3, first 2 shown]
	v_cndmask_b32_e64 v10, v12, v10, s[6:7]
	v_cndmask_b32_e64 v12, 0, v20, s[10:11]
	v_pk_add_f32 v[4:5], v[28:29], v[4:5]
	v_cmp_eq_u32_e64 s[8:9], 3, v36
	v_pk_mul_f32 v[4:5], v[12:13], v[4:5] op_sel_hi:[0,1]
	v_mov_b32_e32 v28, v1
	v_cndmask_b32_e64 v10, v10, v11, s[8:9]
	v_cndmask_b32_e32 v11, v4, v5, vcc
	v_cmp_le_i32_e32 vcc, s35, v38
	v_mov_b32_e32 v29, v2
	v_mov_b32_e32 v1, v3
	v_cndmask_b32_e32 v12, 0, v20, vcc
	v_pk_add_f32 v[0:1], v[28:29], v[0:1]
	v_cndmask_b32_e64 v6, v11, v6, s[6:7]
	v_pk_mul_f32 v[0:1], v[12:13], v[0:1] op_sel_hi:[0,1]
	v_cmp_ne_u32_e32 vcc, 0, v36
	v_cndmask_b32_e64 v6, v6, v7, s[8:9]
	ds_bpermute_b32 v10, v44, v10
	v_cndmask_b32_e32 v7, v0, v1, vcc
	v_cndmask_b32_e64 v2, v7, v2, s[6:7]
	v_cndmask_b32_e64 v2, v2, v3, s[8:9]
	ds_bpermute_b32 v6, v44, v6
	ds_bpermute_b32 v2, v44, v2
	v_cmp_lt_i32_e32 vcc, s58, v39
	s_and_saveexec_b64 s[8:9], vcc
	s_cbranch_execz .LBB72_28
; %bb.27:                               ;   in Loop: Header=BB72_7 Depth=1
	s_mul_i32 s6, s56, s13
	s_ashr_i32 s7, s6, 31
	s_lshl_b64 s[6:7], s[6:7], 1
	s_add_u32 s10, s24, s6
	s_addc_u32 s11, s25, s7
	s_ashr_i32 s35, s34, 31
	s_lshl_b64 s[6:7], s[34:35], 1
	s_add_u32 s10, s10, s6
	s_addc_u32 s11, s11, s7
	v_cmp_ne_u32_e32 vcc, 0, v36
	v_cmp_eq_u32_e64 s[6:7], 0, v36
	v_lshlrev_b32_e32 v20, 1, v16
	s_waitcnt lgkmcnt(0)
	v_cndmask_b32_e32 v7, v1, v2, vcc
	v_cndmask_b32_e64 v11, v0, v2, s[6:7]
	v_cndmask_b32_e32 v0, v9, v10, vcc
	v_cndmask_b32_e64 v1, v8, v10, s[6:7]
	;; [unrolled: 2-line block ×3, first 2 shown]
	v_cvt_f16_f32_e32 v4, v1
	v_cvt_f16_f32_sdwa v5, v0 dst_sel:WORD_1 dst_unused:UNUSED_PAD src0_sel:DWORD
	v_lshl_add_u64 v[0:1], v[18:19], 1, s[10:11]
	v_lshl_add_u64 v[0:1], v[0:1], 0, v[20:21]
	v_cvt_f16_f32_e32 v6, v11
	v_or_b32_e32 v4, v5, v4
	;;#ASMSTART
	global_atomic_pk_add_f16 v[0:1], v4, off
	
	;;#ASMEND
	v_cvt_f16_f32_e32 v4, v3
	v_cvt_f16_f32_sdwa v5, v2 dst_sel:WORD_1 dst_unused:UNUSED_PAD src0_sel:DWORD
	v_cvt_f16_f32_sdwa v7, v7 dst_sel:WORD_1 dst_unused:UNUSED_PAD src0_sel:DWORD
	v_lshl_add_u64 v[2:3], v[0:1], 0, 32
	v_lshl_add_u64 v[0:1], v[0:1], 0, 64
	v_or_b32_e32 v4, v5, v4
	;;#ASMSTART
	global_atomic_pk_add_f16 v[2:3], v4, off
	
	;;#ASMEND
	v_or_b32_e32 v2, v7, v6
	;;#ASMSTART
	global_atomic_pk_add_f16 v[0:1], v2, off
	
	;;#ASMEND
.LBB72_28:                              ;   in Loop: Header=BB72_7 Depth=1
	s_or_b64 exec, exec, s[8:9]
	v_subrev_u32_e32 v45, s55, v45
.LBB72_29:                              ;   in Loop: Header=BB72_7 Depth=1
	s_or_b64 exec, exec, s[38:39]
.LBB72_30:                              ;   in Loop: Header=BB72_7 Depth=1
	s_andn2_saveexec_b64 s[6:7], s[36:37]
	s_cbranch_execz .LBB72_39
; %bb.31:                               ;   in Loop: Header=BB72_7 Depth=1
	s_mul_i32 s38, s55, 3
	v_cmp_gt_i32_e32 vcc, s38, v45
	s_and_saveexec_b64 s[8:9], vcc
	s_cbranch_execz .LBB72_38
; %bb.32:                               ;   in Loop: Header=BB72_7 Depth=1
	s_mul_i32 s10, s34, s15
	s_ashr_i32 s11, s10, 31
	s_waitcnt lgkmcnt(0)
	s_add_u32 s10, s22, s10
	s_addc_u32 s11, s23, s11
	s_ashr_i32 s34, s57, 31
	s_add_u32 s10, s10, s57
	s_addc_u32 s11, s11, s34
	v_lshl_add_u64 v[0:1], s[10:11], 0, v[24:25]
	v_lshl_add_u64 v[28:29], v[0:1], 0, v[22:23]
	s_mov_b64 s[10:11], 0
	s_branch .LBB72_34
.LBB72_33:                              ;   in Loop: Header=BB72_34 Depth=2
	s_or_b64 exec, exec, s[34:35]
	v_lshl_or_b32 v31, v20, 12, v40
	;;#ASMSTART
	s_waitcnt vmcnt(3)
	;;#ASMEND
	ds_write2_b32 v31, v12, v13 offset1:32
	ds_write2_b32 v31, v14, v15 offset0:64 offset1:96
	v_add_u32_e32 v12, 0x400, v31
	;;#ASMSTART
	s_waitcnt vmcnt(2)
	;;#ASMEND
	ds_write2_b32 v12, v8, v9 offset1:32
	ds_write2_b32 v12, v10, v11 offset0:64 offset1:96
	v_add_u32_e32 v8, 0x800, v31
	;; [unrolled: 6-line block ×3, first 2 shown]
	v_add_u32_e32 v45, s18, v45
	;;#ASMSTART
	s_waitcnt vmcnt(0)
	;;#ASMEND
	ds_write2_b32 v4, v0, v1 offset1:32
	ds_write2_b32 v4, v2, v3 offset0:64 offset1:96
	v_add_u32_e32 v0, 1, v32
	v_add_u32_e32 v14, s18, v20
	v_cmp_le_i32_e32 vcc, s38, v45
	ds_write_b32 v30, v0 offset:8
	v_add_u32_e32 v0, 2, v32
	s_or_b64 s[10:11], vcc, s[10:11]
	v_cmp_lt_i32_e32 vcc, 5, v14
	s_nop 1
	v_cndmask_b32_e32 v32, v32, v0, vcc
	s_andn2_b64 exec, exec, s[10:11]
	s_cbranch_execz .LBB72_37
.LBB72_34:                              ;   Parent Loop BB72_7 Depth=1
                                        ; =>  This Loop Header: Depth=2
                                        ;       Child Loop BB72_36 Depth 3
	v_cmp_gt_i32_e32 vcc, 6, v14
	s_nop 1
	v_cndmask_b32_e64 v0, -6, 0, vcc
	v_add_u32_e32 v20, v0, v14
	v_mul_hi_i32 v0, v45, s54
	v_lshrrev_b32_e32 v1, 31, v0
	v_add_u32_e32 v0, v0, v1
	v_lshl_add_u32 v1, v0, 1, v0
	v_sub_u32_e32 v2, v45, v1
	v_lshlrev_b32_e32 v0, 8, v0
	v_ashrrev_i32_e32 v1, 31, v0
	v_mul_lo_u32 v2, s46, v2
	v_lshl_add_u64 v[0:1], v[28:29], 0, v[0:1]
	v_ashrrev_i32_e32 v3, 31, v2
	v_lshl_add_u64 v[0:1], v[0:1], 0, v[2:3]
	v_lshlrev_b32_e32 v30, 2, v20
	;;#ASMSTART
	global_load_dwordx4 v[12:15], v[0:1], off offset:0    sc0 sc1 nt  
	global_load_dwordx4 v[8:11], v[0:1], off offset:64   sc0 sc1 nt  
	global_load_dwordx4 v[4:7], v[0:1], off offset:128  sc0 sc1 nt  
	global_load_dwordx4 v[0:3], v[0:1], off offset:192  sc0 sc1 nt  
	
	;;#ASMEND
	ds_read_b32 v31, v30 offset:28680
	v_add_u32_e32 v30, 0x7000, v30
	s_waitcnt lgkmcnt(0)
	v_cmp_ne_u32_e32 vcc, v31, v32
	s_and_saveexec_b64 s[34:35], vcc
	s_cbranch_execz .LBB72_33
; %bb.35:                               ;   in Loop: Header=BB72_34 Depth=2
	s_mov_b64 s[36:37], 0
.LBB72_36:                              ;   Parent Loop BB72_7 Depth=1
                                        ;     Parent Loop BB72_34 Depth=2
                                        ; =>    This Inner Loop Header: Depth=3
	;;#ASMSTART
	s_sleep 0
	;;#ASMEND
	ds_read_b32 v31, v30 offset:8
	s_waitcnt lgkmcnt(0)
	v_cmp_eq_u32_e32 vcc, v31, v32
	s_or_b64 s[36:37], vcc, s[36:37]
	s_andn2_b64 exec, exec, s[36:37]
	s_cbranch_execnz .LBB72_36
	s_branch .LBB72_33
.LBB72_37:                              ;   in Loop: Header=BB72_7 Depth=1
	s_or_b64 exec, exec, s[10:11]
.LBB72_38:                              ;   in Loop: Header=BB72_7 Depth=1
	s_or_b64 exec, exec, s[8:9]
	v_subrev_u32_e32 v45, s38, v45
.LBB72_39:                              ;   in Loop: Header=BB72_7 Depth=1
	s_or_b64 exec, exec, s[6:7]
.LBB72_40:                              ;   in Loop: Header=BB72_7 Depth=1
	s_andn2_saveexec_b64 s[6:7], s[30:31]
	s_cbranch_execz .LBB72_6
; %bb.41:                               ;   in Loop: Header=BB72_7 Depth=1
	v_cmp_gt_i32_e32 vcc, s55, v45
	s_and_saveexec_b64 s[8:9], vcc
	s_cbranch_execz .LBB72_5
; %bb.42:                               ;   in Loop: Header=BB72_7 Depth=1
	s_mul_i32 s56, s56, s14
	s_ashr_i32 s10, s56, 31
	s_waitcnt lgkmcnt(0)
	s_add_u32 s11, s20, s56
	s_addc_u32 s30, s21, s10
	s_ashr_i32 s31, s57, 31
	v_cmp_le_i32_e32 vcc, s58, v42
	s_add_u32 s10, s11, s57
	s_addc_u32 s11, s30, s31
	v_cndmask_b32_e32 v0, 0, v43, vcc
	v_ashrrev_i32_e32 v1, 31, v0
	v_lshl_add_u64 v[0:1], s[10:11], 0, v[0:1]
	v_lshlrev_b32_e32 v2, 8, v45
	v_lshl_add_u64 v[0:1], v[0:1], 0, v[26:27]
	v_ashrrev_i32_e32 v3, 31, v2
	v_lshl_add_u64 v[8:9], v[0:1], 0, v[2:3]
	s_mov_b64 s[10:11], 0
	s_branch .LBB72_44
.LBB72_43:                              ;   in Loop: Header=BB72_44 Depth=2
	s_or_b64 exec, exec, s[30:31]
	;;#ASMSTART
	s_waitcnt vmcnt(1)
	v_pack_b32_f16 v12, v4, v5, op_sel:[0,0]
	v_pack_b32_f16 v13, v4, v5, op_sel:[1,1]
	;; [unrolled: 1-line block ×4, first 2 shown]
	v_swap_b32 v12, v4
	v_swap_b32 v13, v6
	;; [unrolled: 1-line block ×4, first 2 shown]
	;;#ASMEND
	v_add_u32_e32 v45, s17, v45
	v_lshl_add_u32 v12, v10, 11, v41
	ds_write2_b32 v12, v4, v5 offset1:32
	ds_write2_b32 v12, v6, v7 offset0:64 offset1:96
	;;#ASMSTART
	s_waitcnt vmcnt(0)
	v_pack_b32_f16 v4, v0, v1, op_sel:[0,0]
	v_pack_b32_f16 v5, v0, v1, op_sel:[1,1]
	;; [unrolled: 1-line block ×4, first 2 shown]
	v_swap_b32 v4, v0
	v_swap_b32 v5, v2
	;; [unrolled: 1-line block ×4, first 2 shown]
	;;#ASMEND
	v_add_u32_e32 v14, s17, v10
	v_add_u32_e32 v4, 0x400, v12
	ds_write2_b32 v4, v0, v1 offset1:32
	ds_write2_b32 v4, v2, v3 offset0:64 offset1:96
	v_add_u32_e32 v0, 1, v32
	v_cmp_le_i32_e32 vcc, s55, v45
	ds_write_b32 v11, v0
	v_add_u32_e32 v0, 2, v32
	s_or_b64 s[10:11], vcc, s[10:11]
	v_cmp_lt_i32_e32 vcc, 1, v14
	v_lshl_add_u64 v[8:9], v[8:9], 0, s[28:29]
	s_nop 0
	v_cndmask_b32_e32 v32, v32, v0, vcc
	s_andn2_b64 exec, exec, s[10:11]
	s_cbranch_execz .LBB72_4
.LBB72_44:                              ;   Parent Loop BB72_7 Depth=1
                                        ; =>  This Loop Header: Depth=2
                                        ;       Child Loop BB72_46 Depth 3
	v_cmp_gt_i32_e32 vcc, 2, v14
	s_nop 1
	v_cndmask_b32_e64 v0, -2, 0, vcc
	v_add_u32_e32 v10, v0, v14
	v_lshlrev_b32_e32 v11, 2, v10
	;;#ASMSTART
	global_load_dwordx4 v[4:7], v[8:9], off offset:0  
	global_load_dwordx4 v[0:3], v[8:9], off offset:128
	
	;;#ASMEND
	ds_read_b32 v12, v11 offset:28672
	v_add_u32_e32 v11, 0x7000, v11
	s_waitcnt lgkmcnt(0)
	v_cmp_ne_u32_e32 vcc, v12, v32
	s_and_saveexec_b64 s[30:31], vcc
	s_cbranch_execz .LBB72_43
; %bb.45:                               ;   in Loop: Header=BB72_44 Depth=2
	s_mov_b64 s[34:35], 0
.LBB72_46:                              ;   Parent Loop BB72_7 Depth=1
                                        ;     Parent Loop BB72_44 Depth=2
                                        ; =>    This Inner Loop Header: Depth=3
	;;#ASMSTART
	s_sleep 0
	;;#ASMEND
	ds_read_b32 v12, v11
	s_waitcnt lgkmcnt(0)
	v_cmp_eq_u32_e32 vcc, v12, v32
	s_or_b64 s[34:35], vcc, s[34:35]
	s_andn2_b64 exec, exec, s[34:35]
	s_cbranch_execnz .LBB72_46
	s_branch .LBB72_43
.LBB72_47:
	s_endpgm
	.section	.rodata,"a",@progbits
	.p2align	6, 0x0
	.amdhsa_kernel _Z19_skinny_gemm_kernelILi1ELi3ELi2ELi8ELi4EEvPKhS1_P6__halfPKfiiiiiiii
		.amdhsa_group_segment_fixed_size 28704
		.amdhsa_private_segment_fixed_size 0
		.amdhsa_kernarg_size 64
		.amdhsa_user_sgpr_count 2
		.amdhsa_user_sgpr_dispatch_ptr 0
		.amdhsa_user_sgpr_queue_ptr 0
		.amdhsa_user_sgpr_kernarg_segment_ptr 1
		.amdhsa_user_sgpr_dispatch_id 0
		.amdhsa_user_sgpr_kernarg_preload_length 0
		.amdhsa_user_sgpr_kernarg_preload_offset 0
		.amdhsa_user_sgpr_private_segment_size 0
		.amdhsa_uses_dynamic_stack 0
		.amdhsa_enable_private_segment 0
		.amdhsa_system_sgpr_workgroup_id_x 1
		.amdhsa_system_sgpr_workgroup_id_y 0
		.amdhsa_system_sgpr_workgroup_id_z 0
		.amdhsa_system_sgpr_workgroup_info 0
		.amdhsa_system_vgpr_workitem_id 0
		.amdhsa_next_free_vgpr 59
		.amdhsa_next_free_sgpr 59
		.amdhsa_accum_offset 60
		.amdhsa_reserve_vcc 1
		.amdhsa_float_round_mode_32 0
		.amdhsa_float_round_mode_16_64 0
		.amdhsa_float_denorm_mode_32 3
		.amdhsa_float_denorm_mode_16_64 3
		.amdhsa_dx10_clamp 1
		.amdhsa_ieee_mode 1
		.amdhsa_fp16_overflow 0
		.amdhsa_tg_split 0
		.amdhsa_exception_fp_ieee_invalid_op 0
		.amdhsa_exception_fp_denorm_src 0
		.amdhsa_exception_fp_ieee_div_zero 0
		.amdhsa_exception_fp_ieee_overflow 0
		.amdhsa_exception_fp_ieee_underflow 0
		.amdhsa_exception_fp_ieee_inexact 0
		.amdhsa_exception_int_div_zero 0
	.end_amdhsa_kernel
	.section	.text._Z19_skinny_gemm_kernelILi1ELi3ELi2ELi8ELi4EEvPKhS1_P6__halfPKfiiiiiiii,"axG",@progbits,_Z19_skinny_gemm_kernelILi1ELi3ELi2ELi8ELi4EEvPKhS1_P6__halfPKfiiiiiiii,comdat
.Lfunc_end72:
	.size	_Z19_skinny_gemm_kernelILi1ELi3ELi2ELi8ELi4EEvPKhS1_P6__halfPKfiiiiiiii, .Lfunc_end72-_Z19_skinny_gemm_kernelILi1ELi3ELi2ELi8ELi4EEvPKhS1_P6__halfPKfiiiiiiii
                                        ; -- End function
	.set _Z19_skinny_gemm_kernelILi1ELi3ELi2ELi8ELi4EEvPKhS1_P6__halfPKfiiiiiiii.num_vgpr, 59
	.set _Z19_skinny_gemm_kernelILi1ELi3ELi2ELi8ELi4EEvPKhS1_P6__halfPKfiiiiiiii.num_agpr, 0
	.set _Z19_skinny_gemm_kernelILi1ELi3ELi2ELi8ELi4EEvPKhS1_P6__halfPKfiiiiiiii.numbered_sgpr, 59
	.set _Z19_skinny_gemm_kernelILi1ELi3ELi2ELi8ELi4EEvPKhS1_P6__halfPKfiiiiiiii.num_named_barrier, 0
	.set _Z19_skinny_gemm_kernelILi1ELi3ELi2ELi8ELi4EEvPKhS1_P6__halfPKfiiiiiiii.private_seg_size, 0
	.set _Z19_skinny_gemm_kernelILi1ELi3ELi2ELi8ELi4EEvPKhS1_P6__halfPKfiiiiiiii.uses_vcc, 1
	.set _Z19_skinny_gemm_kernelILi1ELi3ELi2ELi8ELi4EEvPKhS1_P6__halfPKfiiiiiiii.uses_flat_scratch, 0
	.set _Z19_skinny_gemm_kernelILi1ELi3ELi2ELi8ELi4EEvPKhS1_P6__halfPKfiiiiiiii.has_dyn_sized_stack, 0
	.set _Z19_skinny_gemm_kernelILi1ELi3ELi2ELi8ELi4EEvPKhS1_P6__halfPKfiiiiiiii.has_recursion, 0
	.set _Z19_skinny_gemm_kernelILi1ELi3ELi2ELi8ELi4EEvPKhS1_P6__halfPKfiiiiiiii.has_indirect_call, 0
	.section	.AMDGPU.csdata,"",@progbits
; Kernel info:
; codeLenInByte = 3796
; TotalNumSgprs: 65
; NumVgprs: 59
; NumAgprs: 0
; TotalNumVgprs: 59
; ScratchSize: 0
; MemoryBound: 0
; FloatMode: 240
; IeeeMode: 1
; LDSByteSize: 28704 bytes/workgroup (compile time only)
; SGPRBlocks: 8
; VGPRBlocks: 7
; NumSGPRsForWavesPerEU: 65
; NumVGPRsForWavesPerEU: 59
; AccumOffset: 60
; Occupancy: 8
; WaveLimiterHint : 0
; COMPUTE_PGM_RSRC2:SCRATCH_EN: 0
; COMPUTE_PGM_RSRC2:USER_SGPR: 2
; COMPUTE_PGM_RSRC2:TRAP_HANDLER: 0
; COMPUTE_PGM_RSRC2:TGID_X_EN: 1
; COMPUTE_PGM_RSRC2:TGID_Y_EN: 0
; COMPUTE_PGM_RSRC2:TGID_Z_EN: 0
; COMPUTE_PGM_RSRC2:TIDIG_COMP_CNT: 0
; COMPUTE_PGM_RSRC3_GFX90A:ACCUM_OFFSET: 14
; COMPUTE_PGM_RSRC3_GFX90A:TG_SPLIT: 0
	.section	.text._Z19_skinny_gemm_kernelILi1ELi3ELi2ELi8ELi8EEvPKhS1_P6__halfPKfiiiiiiii,"axG",@progbits,_Z19_skinny_gemm_kernelILi1ELi3ELi2ELi8ELi8EEvPKhS1_P6__halfPKfiiiiiiii,comdat
	.protected	_Z19_skinny_gemm_kernelILi1ELi3ELi2ELi8ELi8EEvPKhS1_P6__halfPKfiiiiiiii ; -- Begin function _Z19_skinny_gemm_kernelILi1ELi3ELi2ELi8ELi8EEvPKhS1_P6__halfPKfiiiiiiii
	.globl	_Z19_skinny_gemm_kernelILi1ELi3ELi2ELi8ELi8EEvPKhS1_P6__halfPKfiiiiiiii
	.p2align	8
	.type	_Z19_skinny_gemm_kernelILi1ELi3ELi2ELi8ELi8EEvPKhS1_P6__halfPKfiiiiiiii,@function
_Z19_skinny_gemm_kernelILi1ELi3ELi2ELi8ELi8EEvPKhS1_P6__halfPKfiiiiiiii: ; @_Z19_skinny_gemm_kernelILi1ELi3ELi2ELi8ELi8EEvPKhS1_P6__halfPKfiiiiiiii
; %bb.0:
	v_cmp_gt_u32_e32 vcc, 8, v0
	v_lshlrev_b32_e32 v1, 2, v0
	s_and_saveexec_b64 s[4:5], vcc
; %bb.1:
	v_mov_b32_e32 v2, 0
	ds_write_b32 v1, v2 offset:57344
; %bb.2:
	s_or_b64 exec, exec, s[4:5]
	s_load_dwordx8 s[12:19], s[0:1], 0x20
	s_waitcnt lgkmcnt(0)
	s_barrier
	s_add_i32 s3, s12, 7
	s_ashr_i32 s5, s3, 31
	s_add_i32 s4, s13, 47
	s_lshr_b32 s5, s5, 29
	s_mul_hi_i32 s4, s4, 0x2aaaaaab
	s_add_i32 s3, s3, s5
	s_ashr_i32 s15, s3, 3
	s_lshr_b32 s3, s4, 31
	s_ashr_i32 s33, s4, 3
	s_add_i32 s33, s33, s3
	s_mul_i32 s3, s33, s15
	s_mul_i32 s3, s3, s16
	s_add_i32 s4, s3, 0x12f
	s_mul_hi_i32 s4, s4, 0x6bca1af3
	s_lshr_b32 s5, s4, 31
	s_ashr_i32 s4, s4, 7
	s_add_i32 s4, s4, s5
	s_add_i32 s5, s2, 1
	s_mul_i32 s5, s4, s5
	v_cvt_f64_i32_e32 v[2:3], s3
	v_cvt_f64_u32_e32 v[4:5], s5
	v_min_f64 v[2:3], v[2:3], v[4:5]
	v_cvt_i32_f64_e32 v13, v[2:3]
	s_mul_i32 s38, s4, s2
	v_cmp_ge_i32_e32 vcc, s38, v13
	s_cbranch_vccnz .LBB73_47
; %bb.3:
	v_lshrrev_b32_e32 v2, 6, v0
	s_add_i32 s4, s18, s17
	s_load_dwordx2 s[24:25], s[0:1], 0x0
	s_load_dwordx4 s[20:23], s[0:1], 0x10
	v_cmp_le_i32_e64 s[0:1], s4, v2
	v_mov_b32_e32 v3, s17
	v_cmp_le_i32_e64 s[2:3], s17, v2
	v_mov_b32_e32 v4, s18
	v_cndmask_b32_e64 v4, 0, v4, s[0:1]
	v_cndmask_b32_e64 v3, 0, v3, s[2:3]
	s_abs_i32 s5, s16
	v_add_u32_e32 v3, v3, v4
	v_cvt_f32_u32_e32 v4, s5
	v_sub_u32_e32 v22, v2, v3
	s_ashr_i32 s6, s14, 31
	s_lshr_b32 s6, s6, 23
	v_rcp_iflag_f32_e32 v3, v4
	s_sub_i32 s9, 0, s5
	s_add_i32 s6, s14, s6
	s_ashr_i32 s6, s6, 9
	v_mul_f32_e32 v3, 0x4f7ffffe, v3
	v_cvt_u32_f32_e32 v3, v3
	s_abs_i32 s8, s6
	s_xor_b32 s7, s6, s16
	s_ashr_i32 s7, s7, 31
	v_readfirstlane_b32 s10, v3
	s_mul_i32 s9, s9, s10
	s_mul_hi_u32 s9, s10, s9
	s_add_i32 s10, s10, s9
	s_mul_hi_u32 s9, s8, s10
	s_mul_i32 s10, s9, s5
	s_sub_i32 s8, s8, s10
	s_add_i32 s10, s9, 1
	s_sub_i32 s11, s8, s5
	s_cmp_ge_u32 s8, s5
	s_cselect_b32 s9, s10, s9
	s_cselect_b32 s8, s11, s8
	s_add_i32 s10, s9, 1
	s_cmp_ge_u32 s8, s5
	s_cselect_b32 s5, s10, s9
	s_xor_b32 s5, s5, s7
	s_sub_i32 s39, s5, s7
	s_add_i32 s16, s16, -1
	s_mul_i32 s5, s39, s16
	s_add_i32 s4, s4, s19
	s_sub_i32 s40, s6, s5
	v_cmp_gt_i32_e64 s[4:5], s4, v2
	v_and_b32_e32 v2, 1, v0
	v_lshlrev_b32_e32 v3, 1, v0
	v_and_b32_e32 v3, 0x7c, v3
	v_lshlrev_b32_e32 v4, 8, v2
	v_lshlrev_b32_e32 v5, 4, v0
	s_mov_b32 s7, 0xc000
	s_movk_i32 s6, 0x7c
	v_and_b32_e32 v6, 0x200, v5
	v_or3_b32 v38, v3, v4, s7
	v_lshrrev_b32_e32 v3, 3, v0
	v_cmp_eq_u32_e32 vcc, 0, v2
	v_and_or_b32 v39, v1, s6, v6
	v_lshlrev_b32_e32 v1, 1, v2
	v_and_or_b32 v2, v3, 6, v2
	v_lshlrev_b32_e32 v4, 7, v0
	v_and_b32_e32 v12, 14, v0
	v_bitop3_b32 v40, v0, 1, v0 bitop3:0xc
	v_sub_u32_e32 v1, v0, v1
	v_sub_u32_e32 v43, 8, v2
	v_mul_lo_u32 v14, s13, v2
	v_bfe_u32 v2, v0, 3, 3
	v_and_b32_e32 v4, 0x200, v4
	v_lshlrev_b32_e32 v0, 5, v0
	v_lshl_or_b32 v4, v2, 2, v4
	v_and_b32_e32 v0, 0x60, v0
	s_abs_i32 s41, s15
	v_or3_b32 v44, v4, v0, s7
	v_cvt_f32_u32_e32 v0, s41
	s_abs_i32 s43, s33
	v_mul_lo_u32 v46, s14, v2
	v_cvt_f32_u32_e32 v2, s43
	v_rcp_iflag_f32_e32 v0, v0
	s_sub_i32 s6, 0, s41
	v_add_u32_e32 v1, 1, v1
	v_rcp_iflag_f32_e32 v2, v2
	v_mul_f32_e32 v0, 0x4f7ffffe, v0
	v_cvt_u32_f32_e32 v0, v0
	v_and_b32_e32 v1, 63, v1
	v_mov_b32_e32 v7, 0xeeee
	v_mov_b32_e32 v8, 0x4444
	v_readfirstlane_b32 s7, v0
	v_mul_f32_e32 v0, 0x4f7ffffe, v2
	v_cvt_u32_f32_e32 v0, v0
	s_mul_i32 s6, s6, s7
	s_mul_hi_u32 s6, s7, s6
	s_add_i32 s45, s7, s6
	s_sub_i32 s6, 0, s43
	v_readfirstlane_b32 s7, v0
	v_mbcnt_lo_u32_b32 v0, -1, 0
	s_mul_i32 s6, s6, s7
	v_mbcnt_hi_u32_b32 v0, -1, v0
	v_mov_b32_e32 v17, 0
	s_mul_hi_u32 s6, s7, s6
	v_and_or_b32 v0, v0, 64, v1
	v_cndmask_b32_e64 v36, 0, 1, s[0:1]
	s_mov_b32 s27, 0
	v_cndmask_b32_e32 v37, v7, v8, vcc
	v_or_b32_e32 v41, 16, v12
	v_or_b32_e32 v42, 32, v12
	v_ashrrev_i32_e32 v15, 31, v14
	s_lshl_b32 s42, s39, 9
	v_bitop3_b32 v45, v3, 7, v3 bitop3:0xc
	v_and_b32_e32 v18, 0x70, v5
	v_mov_b32_e32 v19, v17
	s_lshl_b32 s26, s17, 9
	s_ashr_i32 s44, s15, 31
	s_ashr_i32 s46, s33, 31
	s_add_i32 s47, s7, s6
	s_movk_i32 s48, 0x6000
	v_lshlrev_b32_e32 v47, 2, v0
	v_mov_b32_e32 v48, v22
	s_branch .LBB73_7
.LBB73_4:                               ;   in Loop: Header=BB73_7 Depth=1
	s_or_b64 exec, exec, s[10:11]
.LBB73_5:                               ;   in Loop: Header=BB73_7 Depth=1
	s_or_b64 exec, exec, s[8:9]
	v_subrev_u32_e32 v48, s49, v48
.LBB73_6:                               ;   in Loop: Header=BB73_7 Depth=1
	s_or_b64 exec, exec, s[6:7]
	s_add_i32 s38, s38, 1
	v_cmp_ge_i32_e32 vcc, s38, v13
	s_cbranch_vccnz .LBB73_47
.LBB73_7:                               ; =>This Loop Header: Depth=1
                                        ;     Child Loop BB73_13 Depth 2
                                        ;       Child Loop BB73_15 Depth 3
                                        ;       Child Loop BB73_18 Depth 3
	;; [unrolled: 1-line block ×4, first 2 shown]
                                        ;     Child Loop BB73_34 Depth 2
                                        ;       Child Loop BB73_36 Depth 3
                                        ;     Child Loop BB73_44 Depth 2
                                        ;       Child Loop BB73_46 Depth 3
	s_abs_i32 s7, s38
	s_mul_hi_u32 s8, s7, s45
	s_mul_i32 s9, s8, s41
	s_ashr_i32 s6, s38, 31
	s_sub_i32 s7, s7, s9
	s_xor_b32 s6, s6, s44
	s_add_i32 s9, s8, 1
	s_sub_i32 s10, s7, s41
	s_cmp_ge_u32 s7, s41
	s_cselect_b32 s8, s9, s8
	s_cselect_b32 s7, s10, s7
	s_add_i32 s9, s8, 1
	s_cmp_ge_u32 s7, s41
	s_cselect_b32 s7, s9, s8
	s_xor_b32 s7, s7, s6
	s_sub_i32 s53, s7, s6
	s_abs_i32 s7, s53
	s_mul_i32 s6, s53, s15
	s_mul_hi_u32 s8, s7, s47
	s_sub_i32 s6, s38, s6
	s_mul_i32 s9, s8, s43
	s_lshl_b32 s50, s6, 3
	s_ashr_i32 s6, s53, 31
	s_sub_i32 s7, s7, s9
	s_xor_b32 s6, s6, s46
	s_add_i32 s9, s8, 1
	s_sub_i32 s10, s7, s43
	s_cmp_ge_u32 s7, s43
	s_cselect_b32 s8, s9, s8
	s_cselect_b32 s7, s10, s7
	s_add_i32 s9, s8, 1
	s_cmp_ge_u32 s7, s43
	s_cselect_b32 s7, s9, s8
	s_xor_b32 s7, s7, s6
	s_sub_i32 s52, s7, s6
	s_cmp_eq_u32 s52, s16
	s_cselect_b32 s49, s40, s39
	s_sub_i32 s51, s50, s12
	s_add_i32 s51, s51, 8
	s_and_saveexec_b64 s[6:7], s[2:3]
	s_xor_b64 s[28:29], exec, s[6:7]
	s_cbranch_execz .LBB73_40
; %bb.8:                                ;   in Loop: Header=BB73_7 Depth=1
	s_and_saveexec_b64 s[6:7], s[0:1]
	s_xor_b64 s[30:31], exec, s[6:7]
	s_cbranch_execz .LBB73_30
; %bb.9:                                ;   in Loop: Header=BB73_7 Depth=1
	s_and_saveexec_b64 s[34:35], s[4:5]
	s_cbranch_execz .LBB73_29
; %bb.10:                               ;   in Loop: Header=BB73_7 Depth=1
	s_waitcnt lgkmcnt(0)
	global_load_dword v16, v17, s[22:23]
	v_mov_b32_e32 v11, 0
	v_cmp_gt_i32_e32 vcc, s49, v48
	v_mov_b32_e32 v10, v11
	v_mov_b32_e32 v9, v11
	;; [unrolled: 1-line block ×11, first 2 shown]
	s_and_saveexec_b64 s[6:7], vcc
	s_cbranch_execz .LBB73_26
; %bb.11:                               ;   in Loop: Header=BB73_7 Depth=1
	v_mov_b32_e32 v0, 0
	s_mov_b64 s[8:9], 0
	v_mov_b32_e32 v1, v0
	v_mov_b32_e32 v2, v0
	;; [unrolled: 1-line block ×11, first 2 shown]
	s_branch .LBB73_13
.LBB73_12:                              ;   in Loop: Header=BB73_13 Depth=2
	s_or_b64 exec, exec, s[10:11]
	v_add_u32_e32 v53, 0x4000, v52
	ds_read2_b32 v[54:55], v53 offset1:32
	ds_read2_b32 v[56:57], v53 offset0:64 offset1:96
	v_add_u32_e32 v53, 0x4400, v52
	ds_read2_b32 v[58:59], v53 offset1:32
	ds_read2_b32 v[60:61], v53 offset0:64 offset1:96
	v_add_u32_e32 v48, s19, v48
	v_cmp_le_i32_e32 vcc, s49, v48
	s_waitcnt lgkmcnt(2)
	v_smfmac_f32_16x16x64_fp8_fp8 v[0:3], v[34:35], v[54:57], v37 cbsz:7 abid:1
	v_add_u32_e32 v34, 0x4800, v52
	ds_read2_b32 v[54:55], v34 offset1:32
	ds_read2_b32 v[56:57], v34 offset0:64 offset1:96
	v_add_u32_e32 v34, 0x4c00, v52
	s_waitcnt lgkmcnt(2)
	v_smfmac_f32_16x16x64_fp8_fp8 v[0:3], v[32:33], v[58:61], v37 cbsz:7 abid:1
	ds_read2_b32 v[32:33], v34 offset1:32
	ds_read2_b32 v[34:35], v34 offset0:64 offset1:96
	s_or_b64 s[8:9], vcc, s[8:9]
	s_waitcnt lgkmcnt(2)
	v_smfmac_f32_16x16x64_fp8_fp8 v[0:3], v[30:31], v[54:57], v37 cbsz:7 abid:1
	v_add_u32_e32 v30, 0x5000, v52
	ds_read2_b32 v[54:55], v30 offset1:32
	ds_read2_b32 v[56:57], v30 offset0:64 offset1:96
	v_add_u32_e32 v30, 0x5400, v52
	s_waitcnt lgkmcnt(2)
	v_smfmac_f32_16x16x64_fp8_fp8 v[0:3], v[28:29], v[32:35], v37 cbsz:7 abid:1
	ds_read2_b32 v[28:29], v30 offset1:32
	ds_read2_b32 v[30:31], v30 offset0:64 offset1:96
	s_waitcnt lgkmcnt(2)
	v_smfmac_f32_16x16x64_fp8_fp8 v[0:3], v[26:27], v[54:57], v37 cbsz:7 abid:1
	v_add_u32_e32 v26, 0x5800, v52
	ds_read2_b32 v[32:33], v26 offset1:32
	ds_read2_b32 v[34:35], v26 offset0:64 offset1:96
	v_add_u32_e32 v26, 0x5c00, v52
	s_waitcnt lgkmcnt(2)
	v_smfmac_f32_16x16x64_fp8_fp8 v[0:3], v[24:25], v[28:31], v37 cbsz:7 abid:1
	ds_read2_b32 v[24:25], v26 offset1:32
	ds_read2_b32 v[26:27], v26 offset0:64 offset1:96
	ds_write_b32 v51, v50 offset:57360
	s_waitcnt lgkmcnt(3)
	v_smfmac_f32_16x16x64_fp8_fp8 v[0:3], v[22:23], v[32:35], v37 cbsz:7 abid:1
	v_add_u32_e32 v22, s19, v49
	v_add_u32_e32 v23, 2, v36
	v_cmp_lt_i32_e32 vcc, 1, v22
	s_waitcnt lgkmcnt(1)
	v_smfmac_f32_16x16x64_fp8_fp8 v[0:3], v[20:21], v[24:27], v37 cbsz:7 abid:1
	v_cndmask_b32_e32 v36, v36, v23, vcc
	s_andn2_b64 exec, exec, s[8:9]
	s_cbranch_execz .LBB73_25
.LBB73_13:                              ;   Parent Loop BB73_7 Depth=1
                                        ; =>  This Loop Header: Depth=2
                                        ;       Child Loop BB73_15 Depth 3
                                        ;       Child Loop BB73_18 Depth 3
                                        ;       Child Loop BB73_21 Depth 3
                                        ;       Child Loop BB73_24 Depth 3
	v_cmp_gt_i32_e32 vcc, 2, v22
	s_nop 1
	v_cndmask_b32_e64 v20, -2, 0, vcc
	v_add_u32_e32 v49, v20, v22
	v_lshlrev_b32_e32 v20, 2, v49
	ds_read_b32 v21, v20 offset:57344
	v_add_u32_e32 v51, 0xe000, v20
	s_waitcnt lgkmcnt(0)
	v_cmp_ne_u32_e32 vcc, v21, v36
	s_and_saveexec_b64 s[10:11], vcc
	s_cbranch_execz .LBB73_16
; %bb.14:                               ;   in Loop: Header=BB73_13 Depth=2
	s_mov_b64 s[36:37], 0
.LBB73_15:                              ;   Parent Loop BB73_7 Depth=1
                                        ;     Parent Loop BB73_13 Depth=2
                                        ; =>    This Inner Loop Header: Depth=3
	;;#ASMSTART
	s_sleep 0
	;;#ASMEND
	ds_read_b32 v20, v51
	s_waitcnt lgkmcnt(0)
	v_cmp_eq_u32_e32 vcc, v20, v36
	s_or_b64 s[36:37], vcc, s[36:37]
	s_andn2_b64 exec, exec, s[36:37]
	s_cbranch_execnz .LBB73_15
.LBB73_16:                              ;   in Loop: Header=BB73_13 Depth=2
	s_or_b64 exec, exec, s[10:11]
	v_lshl_add_u32 v20, v49, 12, v38
	v_add_u32_e32 v21, 0x400, v20
	ds_read2_b32 v[34:35], v20 offset1:32
	ds_read2_b32 v[32:33], v20 offset0:128 offset1:160
	ds_read2_b32 v[30:31], v21 offset1:32
	ds_read2_b32 v[28:29], v21 offset0:128 offset1:160
	v_add_u32_e32 v21, 0x800, v20
	v_add_u32_e32 v20, 0xc00, v20
	;; [unrolled: 1-line block ×3, first 2 shown]
	ds_read2_b32 v[26:27], v21 offset1:32
	ds_read2_b32 v[24:25], v21 offset0:128 offset1:160
	ds_read2_b32 v[22:23], v20 offset1:32
	ds_read2_b32 v[20:21], v20 offset0:128 offset1:160
	;;#ASMSTART
	s_waitcnt lgkmcnt(0)
	;;#ASMEND
	ds_write_b32 v51, v50
	v_mul_lo_u32 v51, v49, 12
	ds_read_b32 v52, v51 offset:57352
	s_waitcnt lgkmcnt(0)
	v_cmp_ne_u32_e32 vcc, v52, v36
	s_and_saveexec_b64 s[10:11], vcc
	s_cbranch_execz .LBB73_19
; %bb.17:                               ;   in Loop: Header=BB73_13 Depth=2
	s_mov_b64 s[36:37], 0
.LBB73_18:                              ;   Parent Loop BB73_7 Depth=1
                                        ;     Parent Loop BB73_13 Depth=2
                                        ; =>    This Inner Loop Header: Depth=3
	;;#ASMSTART
	s_sleep 0
	;;#ASMEND
	ds_read_b32 v52, v51 offset:57352
	s_waitcnt lgkmcnt(0)
	v_cmp_eq_u32_e32 vcc, v52, v36
	s_or_b64 s[36:37], vcc, s[36:37]
	s_andn2_b64 exec, exec, s[36:37]
	s_cbranch_execnz .LBB73_18
.LBB73_19:                              ;   in Loop: Header=BB73_13 Depth=2
	s_or_b64 exec, exec, s[10:11]
	v_mul_lo_u32 v52, v49, s48
	v_or_b32_e32 v52, v39, v52
	ds_read2_b32 v[54:55], v52 offset1:32
	ds_read2_b32 v[56:57], v52 offset0:64 offset1:96
	v_add_u32_e32 v53, 0x400, v52
	ds_read2_b32 v[58:59], v53 offset1:32
	ds_read2_b32 v[60:61], v53 offset0:64 offset1:96
	v_add_u32_e32 v53, 0x800, v52
	s_waitcnt lgkmcnt(2)
	v_smfmac_f32_16x16x64_fp8_fp8 v[8:11], v[34:35], v[54:57], v37 cbsz:7 abid:1
	ds_read2_b32 v[54:55], v53 offset1:32
	ds_read2_b32 v[56:57], v53 offset0:64 offset1:96
	v_add_u32_e32 v53, 0xc00, v52
	s_waitcnt lgkmcnt(2)
	v_smfmac_f32_16x16x64_fp8_fp8 v[8:11], v[32:33], v[58:61], v37 cbsz:7 abid:1
	;; [unrolled: 5-line block ×6, first 2 shown]
	ds_read2_b32 v[58:59], v53 offset1:32
	ds_read2_b32 v[60:61], v53 offset0:64 offset1:96
	ds_read_b32 v53, v51 offset:57356
	ds_write_b32 v51, v50 offset:57352
	s_waitcnt lgkmcnt(4)
	v_smfmac_f32_16x16x64_fp8_fp8 v[8:11], v[22:23], v[54:57], v37 cbsz:7 abid:1
	s_waitcnt lgkmcnt(1)
	v_cmp_ne_u32_e32 vcc, v53, v36
	v_smfmac_f32_16x16x64_fp8_fp8 v[8:11], v[20:21], v[58:61], v37 cbsz:7 abid:1
	s_and_saveexec_b64 s[10:11], vcc
	s_cbranch_execz .LBB73_22
; %bb.20:                               ;   in Loop: Header=BB73_13 Depth=2
	s_mov_b64 s[36:37], 0
.LBB73_21:                              ;   Parent Loop BB73_7 Depth=1
                                        ;     Parent Loop BB73_13 Depth=2
                                        ; =>    This Inner Loop Header: Depth=3
	;;#ASMSTART
	s_sleep 0
	;;#ASMEND
	ds_read_b32 v53, v51 offset:57356
	s_waitcnt lgkmcnt(0)
	v_cmp_eq_u32_e32 vcc, v53, v36
	s_or_b64 s[36:37], vcc, s[36:37]
	s_andn2_b64 exec, exec, s[36:37]
	s_cbranch_execnz .LBB73_21
.LBB73_22:                              ;   in Loop: Header=BB73_13 Depth=2
	s_or_b64 exec, exec, s[10:11]
	v_add_u32_e32 v53, 0x2000, v52
	ds_read2_b32 v[54:55], v53 offset1:32
	ds_read2_b32 v[56:57], v53 offset0:64 offset1:96
	v_add_u32_e32 v53, 0x2400, v52
	ds_read2_b32 v[58:59], v53 offset1:32
	ds_read2_b32 v[60:61], v53 offset0:64 offset1:96
	v_add_u32_e32 v53, 0x2800, v52
	s_waitcnt lgkmcnt(2)
	v_smfmac_f32_16x16x64_fp8_fp8 v[4:7], v[34:35], v[54:57], v37 cbsz:7 abid:1
	ds_read2_b32 v[54:55], v53 offset1:32
	ds_read2_b32 v[56:57], v53 offset0:64 offset1:96
	v_add_u32_e32 v53, 0x2c00, v52
	s_waitcnt lgkmcnt(2)
	v_smfmac_f32_16x16x64_fp8_fp8 v[4:7], v[32:33], v[58:61], v37 cbsz:7 abid:1
	;; [unrolled: 5-line block ×6, first 2 shown]
	ds_read2_b32 v[58:59], v53 offset1:32
	ds_read2_b32 v[60:61], v53 offset0:64 offset1:96
	ds_read_b32 v53, v51 offset:57360
	ds_write_b32 v51, v50 offset:57356
	s_waitcnt lgkmcnt(4)
	v_smfmac_f32_16x16x64_fp8_fp8 v[4:7], v[22:23], v[54:57], v37 cbsz:7 abid:1
	s_waitcnt lgkmcnt(1)
	v_cmp_ne_u32_e32 vcc, v53, v36
	v_smfmac_f32_16x16x64_fp8_fp8 v[4:7], v[20:21], v[58:61], v37 cbsz:7 abid:1
	s_and_saveexec_b64 s[10:11], vcc
	s_cbranch_execz .LBB73_12
; %bb.23:                               ;   in Loop: Header=BB73_13 Depth=2
	s_mov_b64 s[36:37], 0
.LBB73_24:                              ;   Parent Loop BB73_7 Depth=1
                                        ;     Parent Loop BB73_13 Depth=2
                                        ; =>    This Inner Loop Header: Depth=3
	;;#ASMSTART
	s_sleep 0
	;;#ASMEND
	ds_read_b32 v53, v51 offset:57360
	s_waitcnt lgkmcnt(0)
	v_cmp_eq_u32_e32 vcc, v53, v36
	s_or_b64 s[36:37], vcc, s[36:37]
	s_andn2_b64 exec, exec, s[36:37]
	s_cbranch_execnz .LBB73_24
	s_branch .LBB73_12
.LBB73_25:                              ;   in Loop: Header=BB73_7 Depth=1
	s_or_b64 exec, exec, s[8:9]
.LBB73_26:                              ;   in Loop: Header=BB73_7 Depth=1
	s_or_b64 exec, exec, s[6:7]
	s_mul_i32 s6, s52, s33
	s_sub_i32 s36, s53, s6
	s_mul_i32 s36, s36, 48
	s_sub_i32 s37, s36, s13
	s_add_i32 s37, s37, 48
	v_cmp_le_i32_e32 vcc, s37, v12
	v_mov_b32_e32 v24, v9
	v_mov_b32_e32 v25, v10
	;; [unrolled: 1-line block ×3, first 2 shown]
	s_waitcnt vmcnt(0)
	v_cndmask_b32_e32 v20, 0, v16, vcc
	v_pk_add_f32 v[8:9], v[24:25], v[8:9]
	v_cmp_eq_u32_e32 vcc, 1, v40
	v_pk_mul_f32 v[8:9], v[20:21], v[8:9] op_sel_hi:[0,1]
	v_cmp_eq_u32_e64 s[6:7], 2, v40
	v_cndmask_b32_e32 v20, v8, v9, vcc
	v_cmp_le_i32_e64 s[10:11], s37, v41
	v_mov_b32_e32 v24, v5
	v_mov_b32_e32 v25, v6
	;; [unrolled: 1-line block ×3, first 2 shown]
	v_cndmask_b32_e64 v10, v20, v10, s[6:7]
	v_cndmask_b32_e64 v20, 0, v16, s[10:11]
	v_pk_add_f32 v[4:5], v[24:25], v[4:5]
	v_cmp_eq_u32_e64 s[8:9], 3, v40
	v_pk_mul_f32 v[4:5], v[20:21], v[4:5] op_sel_hi:[0,1]
	v_mov_b32_e32 v20, v1
	v_cndmask_b32_e64 v10, v10, v11, s[8:9]
	v_cndmask_b32_e32 v11, v4, v5, vcc
	v_cmp_le_i32_e32 vcc, s37, v42
	v_mov_b32_e32 v21, v2
	v_mov_b32_e32 v1, v3
	v_cndmask_b32_e32 v16, 0, v16, vcc
	v_pk_add_f32 v[0:1], v[20:21], v[0:1]
	v_cndmask_b32_e64 v6, v11, v6, s[6:7]
	v_pk_mul_f32 v[0:1], v[16:17], v[0:1] op_sel_hi:[0,1]
	v_cmp_ne_u32_e32 vcc, 0, v40
	v_cndmask_b32_e64 v6, v6, v7, s[8:9]
	ds_bpermute_b32 v10, v47, v10
	v_cndmask_b32_e32 v7, v0, v1, vcc
	v_cndmask_b32_e64 v2, v7, v2, s[6:7]
	v_cndmask_b32_e64 v2, v2, v3, s[8:9]
	ds_bpermute_b32 v6, v47, v6
	ds_bpermute_b32 v2, v47, v2
	v_cmp_lt_i32_e32 vcc, s51, v43
	s_and_saveexec_b64 s[8:9], vcc
	s_cbranch_execz .LBB73_28
; %bb.27:                               ;   in Loop: Header=BB73_7 Depth=1
	s_mul_i32 s10, s50, s13
	s_max_i32 s6, s37, 0
	s_ashr_i32 s11, s10, 31
	s_sub_i32 s6, s36, s6
	s_lshl_b64 s[10:11], s[10:11], 1
	s_add_u32 s10, s20, s10
	s_addc_u32 s11, s21, s11
	s_ashr_i32 s7, s6, 31
	s_lshl_b64 s[6:7], s[6:7], 1
	s_add_u32 s10, s10, s6
	s_addc_u32 s11, s11, s7
	v_cmp_ne_u32_e32 vcc, 0, v40
	v_cmp_eq_u32_e64 s[6:7], 0, v40
	v_lshlrev_b32_e32 v16, 1, v12
	s_waitcnt lgkmcnt(0)
	v_cndmask_b32_e32 v7, v1, v2, vcc
	v_cndmask_b32_e64 v11, v0, v2, s[6:7]
	v_cndmask_b32_e32 v0, v9, v10, vcc
	v_cndmask_b32_e64 v1, v8, v10, s[6:7]
	;; [unrolled: 2-line block ×3, first 2 shown]
	v_cvt_f16_f32_e32 v4, v1
	v_cvt_f16_f32_sdwa v5, v0 dst_sel:WORD_1 dst_unused:UNUSED_PAD src0_sel:DWORD
	v_lshl_add_u64 v[0:1], v[14:15], 1, s[10:11]
	v_lshl_add_u64 v[0:1], v[0:1], 0, v[16:17]
	v_cvt_f16_f32_e32 v6, v11
	v_or_b32_e32 v4, v5, v4
	;;#ASMSTART
	global_atomic_pk_add_f16 v[0:1], v4, off
	
	;;#ASMEND
	v_cvt_f16_f32_e32 v4, v3
	v_cvt_f16_f32_sdwa v5, v2 dst_sel:WORD_1 dst_unused:UNUSED_PAD src0_sel:DWORD
	v_cvt_f16_f32_sdwa v7, v7 dst_sel:WORD_1 dst_unused:UNUSED_PAD src0_sel:DWORD
	v_lshl_add_u64 v[2:3], v[0:1], 0, 32
	v_lshl_add_u64 v[0:1], v[0:1], 0, 64
	v_or_b32_e32 v4, v5, v4
	;;#ASMSTART
	global_atomic_pk_add_f16 v[2:3], v4, off
	
	;;#ASMEND
	v_or_b32_e32 v2, v7, v6
	;;#ASMSTART
	global_atomic_pk_add_f16 v[0:1], v2, off
	
	;;#ASMEND
.LBB73_28:                              ;   in Loop: Header=BB73_7 Depth=1
	s_or_b64 exec, exec, s[8:9]
	v_subrev_u32_e32 v48, s49, v48
.LBB73_29:                              ;   in Loop: Header=BB73_7 Depth=1
	s_or_b64 exec, exec, s[34:35]
.LBB73_30:                              ;   in Loop: Header=BB73_7 Depth=1
	s_andn2_saveexec_b64 s[6:7], s[30:31]
	s_cbranch_execz .LBB73_39
; %bb.31:                               ;   in Loop: Header=BB73_7 Depth=1
	s_mul_i32 s36, s49, 3
	v_cmp_gt_i32_e32 vcc, s36, v48
	s_and_saveexec_b64 s[8:9], vcc
	s_cbranch_execz .LBB73_38
; %bb.32:                               ;   in Loop: Header=BB73_7 Depth=1
	s_mov_b64 s[10:11], 0
	s_branch .LBB73_34
.LBB73_33:                              ;   in Loop: Header=BB73_34 Depth=2
	s_or_b64 exec, exec, s[30:31]
	v_add_u32_e32 v48, s18, v48
	v_add_u32_e32 v22, s18, v0
	v_cmp_le_i32_e32 vcc, s36, v48
	v_add_u32_e32 v0, 2, v36
	s_or_b64 s[10:11], vcc, s[10:11]
	v_cmp_lt_i32_e32 vcc, 5, v22
	v_add_u32_e32 v2, 1, v36
	;;#ASMSTART
	s_waitcnt vmcnt(3)
	;;#ASMEND
	;;#ASMSTART
	s_waitcnt vmcnt(2)
	;;#ASMEND
	;; [unrolled: 3-line block ×4, first 2 shown]
	s_nop 0
	v_cndmask_b32_e32 v36, v36, v0, vcc
	ds_write_b32 v1, v2 offset:8
	s_andn2_b64 exec, exec, s[10:11]
	s_cbranch_execz .LBB73_37
.LBB73_34:                              ;   Parent Loop BB73_7 Depth=1
                                        ; =>  This Loop Header: Depth=2
                                        ;       Child Loop BB73_36 Depth 3
	v_cmp_gt_i32_e32 vcc, 6, v22
	s_nop 1
	v_cndmask_b32_e64 v0, -6, 0, vcc
	v_add_u32_e32 v0, v0, v22
	v_lshlrev_b32_e32 v1, 2, v0
	s_waitcnt lgkmcnt(0)
	ds_read_b32 v2, v1 offset:57352
	v_add_u32_e32 v1, 0xe000, v1
	s_waitcnt lgkmcnt(0)
	v_cmp_ne_u32_e32 vcc, v2, v36
	s_and_saveexec_b64 s[30:31], vcc
	s_cbranch_execz .LBB73_33
; %bb.35:                               ;   in Loop: Header=BB73_34 Depth=2
	s_mov_b64 s[34:35], 0
.LBB73_36:                              ;   Parent Loop BB73_7 Depth=1
                                        ;     Parent Loop BB73_34 Depth=2
                                        ; =>    This Inner Loop Header: Depth=3
	;;#ASMSTART
	s_sleep 0
	;;#ASMEND
	ds_read_b32 v2, v1 offset:8
	s_waitcnt lgkmcnt(0)
	v_cmp_eq_u32_e32 vcc, v2, v36
	s_or_b64 s[34:35], vcc, s[34:35]
	s_andn2_b64 exec, exec, s[34:35]
	s_cbranch_execnz .LBB73_36
	s_branch .LBB73_33
.LBB73_37:                              ;   in Loop: Header=BB73_7 Depth=1
	s_or_b64 exec, exec, s[10:11]
.LBB73_38:                              ;   in Loop: Header=BB73_7 Depth=1
	s_or_b64 exec, exec, s[8:9]
	v_subrev_u32_e32 v48, s36, v48
.LBB73_39:                              ;   in Loop: Header=BB73_7 Depth=1
	s_or_b64 exec, exec, s[6:7]
.LBB73_40:                              ;   in Loop: Header=BB73_7 Depth=1
	s_andn2_saveexec_b64 s[6:7], s[28:29]
	s_cbranch_execz .LBB73_6
; %bb.41:                               ;   in Loop: Header=BB73_7 Depth=1
	v_cmp_gt_i32_e32 vcc, s49, v48
	s_and_saveexec_b64 s[8:9], vcc
	s_cbranch_execz .LBB73_5
; %bb.42:                               ;   in Loop: Header=BB73_7 Depth=1
	s_mul_i32 s50, s50, s14
	s_ashr_i32 s10, s50, 31
	s_waitcnt lgkmcnt(0)
	s_add_u32 s11, s24, s50
	s_mul_i32 s52, s52, s42
	s_addc_u32 s28, s25, s10
	s_ashr_i32 s29, s52, 31
	v_cmp_le_i32_e32 vcc, s51, v45
	s_add_u32 s10, s11, s52
	s_addc_u32 s11, s28, s29
	v_cndmask_b32_e32 v0, 0, v46, vcc
	v_ashrrev_i32_e32 v1, 31, v0
	v_lshl_add_u64 v[0:1], s[10:11], 0, v[0:1]
	v_lshlrev_b32_e32 v2, 9, v48
	v_lshl_add_u64 v[0:1], v[0:1], 0, v[18:19]
	v_ashrrev_i32_e32 v3, 31, v2
	v_lshl_add_u64 v[8:9], v[0:1], 0, v[2:3]
	s_mov_b64 s[10:11], 0
	s_branch .LBB73_44
.LBB73_43:                              ;   in Loop: Header=BB73_44 Depth=2
	s_or_b64 exec, exec, s[28:29]
	;;#ASMSTART
	s_waitcnt vmcnt(1)
	v_pack_b32_f16 v16, v4, v5, op_sel:[0,0]
	v_pack_b32_f16 v20, v4, v5, op_sel:[1,1]
	v_pack_b32_f16 v21, v6, v7, op_sel:[0,0]
	v_pack_b32_f16 v22, v6, v7, op_sel:[1,1]
	v_swap_b32 v16, v4
	v_swap_b32 v20, v6
	;; [unrolled: 1-line block ×4, first 2 shown]
	;;#ASMEND
	v_add_u32_e32 v48, s17, v48
	v_lshl_add_u32 v16, v10, 12, v44
	ds_write2_b32 v16, v4, v5 offset1:32
	ds_write2_b32 v16, v6, v7 offset0:64 offset1:96
	;;#ASMSTART
	s_waitcnt vmcnt(0)
	v_pack_b32_f16 v4, v0, v1, op_sel:[0,0]
	v_pack_b32_f16 v5, v0, v1, op_sel:[1,1]
	v_pack_b32_f16 v6, v2, v3, op_sel:[0,0]
	v_pack_b32_f16 v7, v2, v3, op_sel:[1,1]
	v_swap_b32 v4, v0
	v_swap_b32 v5, v2
	;; [unrolled: 1-line block ×4, first 2 shown]
	;;#ASMEND
	v_add_u32_e32 v22, s17, v10
	v_add_u32_e32 v4, 0x400, v16
	ds_write2_b32 v4, v0, v1 offset1:32
	ds_write2_b32 v4, v2, v3 offset0:64 offset1:96
	v_add_u32_e32 v0, 1, v36
	v_cmp_le_i32_e32 vcc, s49, v48
	ds_write_b32 v11, v0
	v_add_u32_e32 v0, 2, v36
	s_or_b64 s[10:11], vcc, s[10:11]
	v_cmp_lt_i32_e32 vcc, 1, v22
	v_lshl_add_u64 v[8:9], v[8:9], 0, s[26:27]
	s_nop 0
	v_cndmask_b32_e32 v36, v36, v0, vcc
	s_andn2_b64 exec, exec, s[10:11]
	s_cbranch_execz .LBB73_4
.LBB73_44:                              ;   Parent Loop BB73_7 Depth=1
                                        ; =>  This Loop Header: Depth=2
                                        ;       Child Loop BB73_46 Depth 3
	v_cmp_gt_i32_e32 vcc, 2, v22
	s_nop 1
	v_cndmask_b32_e64 v0, -2, 0, vcc
	v_add_u32_e32 v10, v0, v22
	v_lshlrev_b32_e32 v11, 2, v10
	;;#ASMSTART
	global_load_dwordx4 v[4:7], v[8:9], off offset:0  
	global_load_dwordx4 v[0:3], v[8:9], off offset:128
	
	;;#ASMEND
	ds_read_b32 v16, v11 offset:57344
	v_add_u32_e32 v11, 0xe000, v11
	s_waitcnt lgkmcnt(0)
	v_cmp_ne_u32_e32 vcc, v16, v36
	s_and_saveexec_b64 s[28:29], vcc
	s_cbranch_execz .LBB73_43
; %bb.45:                               ;   in Loop: Header=BB73_44 Depth=2
	s_mov_b64 s[30:31], 0
.LBB73_46:                              ;   Parent Loop BB73_7 Depth=1
                                        ;     Parent Loop BB73_44 Depth=2
                                        ; =>    This Inner Loop Header: Depth=3
	;;#ASMSTART
	s_sleep 0
	;;#ASMEND
	ds_read_b32 v16, v11
	s_waitcnt lgkmcnt(0)
	v_cmp_eq_u32_e32 vcc, v16, v36
	s_or_b64 s[30:31], vcc, s[30:31]
	s_andn2_b64 exec, exec, s[30:31]
	s_cbranch_execnz .LBB73_46
	s_branch .LBB73_43
.LBB73_47:
	s_endpgm
	.section	.rodata,"a",@progbits
	.p2align	6, 0x0
	.amdhsa_kernel _Z19_skinny_gemm_kernelILi1ELi3ELi2ELi8ELi8EEvPKhS1_P6__halfPKfiiiiiiii
		.amdhsa_group_segment_fixed_size 57376
		.amdhsa_private_segment_fixed_size 0
		.amdhsa_kernarg_size 64
		.amdhsa_user_sgpr_count 2
		.amdhsa_user_sgpr_dispatch_ptr 0
		.amdhsa_user_sgpr_queue_ptr 0
		.amdhsa_user_sgpr_kernarg_segment_ptr 1
		.amdhsa_user_sgpr_dispatch_id 0
		.amdhsa_user_sgpr_kernarg_preload_length 0
		.amdhsa_user_sgpr_kernarg_preload_offset 0
		.amdhsa_user_sgpr_private_segment_size 0
		.amdhsa_uses_dynamic_stack 0
		.amdhsa_enable_private_segment 0
		.amdhsa_system_sgpr_workgroup_id_x 1
		.amdhsa_system_sgpr_workgroup_id_y 0
		.amdhsa_system_sgpr_workgroup_id_z 0
		.amdhsa_system_sgpr_workgroup_info 0
		.amdhsa_system_vgpr_workitem_id 0
		.amdhsa_next_free_vgpr 62
		.amdhsa_next_free_sgpr 54
		.amdhsa_accum_offset 64
		.amdhsa_reserve_vcc 1
		.amdhsa_float_round_mode_32 0
		.amdhsa_float_round_mode_16_64 0
		.amdhsa_float_denorm_mode_32 3
		.amdhsa_float_denorm_mode_16_64 3
		.amdhsa_dx10_clamp 1
		.amdhsa_ieee_mode 1
		.amdhsa_fp16_overflow 0
		.amdhsa_tg_split 0
		.amdhsa_exception_fp_ieee_invalid_op 0
		.amdhsa_exception_fp_denorm_src 0
		.amdhsa_exception_fp_ieee_div_zero 0
		.amdhsa_exception_fp_ieee_overflow 0
		.amdhsa_exception_fp_ieee_underflow 0
		.amdhsa_exception_fp_ieee_inexact 0
		.amdhsa_exception_int_div_zero 0
	.end_amdhsa_kernel
	.section	.text._Z19_skinny_gemm_kernelILi1ELi3ELi2ELi8ELi8EEvPKhS1_P6__halfPKfiiiiiiii,"axG",@progbits,_Z19_skinny_gemm_kernelILi1ELi3ELi2ELi8ELi8EEvPKhS1_P6__halfPKfiiiiiiii,comdat
.Lfunc_end73:
	.size	_Z19_skinny_gemm_kernelILi1ELi3ELi2ELi8ELi8EEvPKhS1_P6__halfPKfiiiiiiii, .Lfunc_end73-_Z19_skinny_gemm_kernelILi1ELi3ELi2ELi8ELi8EEvPKhS1_P6__halfPKfiiiiiiii
                                        ; -- End function
	.set _Z19_skinny_gemm_kernelILi1ELi3ELi2ELi8ELi8EEvPKhS1_P6__halfPKfiiiiiiii.num_vgpr, 62
	.set _Z19_skinny_gemm_kernelILi1ELi3ELi2ELi8ELi8EEvPKhS1_P6__halfPKfiiiiiiii.num_agpr, 0
	.set _Z19_skinny_gemm_kernelILi1ELi3ELi2ELi8ELi8EEvPKhS1_P6__halfPKfiiiiiiii.numbered_sgpr, 54
	.set _Z19_skinny_gemm_kernelILi1ELi3ELi2ELi8ELi8EEvPKhS1_P6__halfPKfiiiiiiii.num_named_barrier, 0
	.set _Z19_skinny_gemm_kernelILi1ELi3ELi2ELi8ELi8EEvPKhS1_P6__halfPKfiiiiiiii.private_seg_size, 0
	.set _Z19_skinny_gemm_kernelILi1ELi3ELi2ELi8ELi8EEvPKhS1_P6__halfPKfiiiiiiii.uses_vcc, 1
	.set _Z19_skinny_gemm_kernelILi1ELi3ELi2ELi8ELi8EEvPKhS1_P6__halfPKfiiiiiiii.uses_flat_scratch, 0
	.set _Z19_skinny_gemm_kernelILi1ELi3ELi2ELi8ELi8EEvPKhS1_P6__halfPKfiiiiiiii.has_dyn_sized_stack, 0
	.set _Z19_skinny_gemm_kernelILi1ELi3ELi2ELi8ELi8EEvPKhS1_P6__halfPKfiiiiiiii.has_recursion, 0
	.set _Z19_skinny_gemm_kernelILi1ELi3ELi2ELi8ELi8EEvPKhS1_P6__halfPKfiiiiiiii.has_indirect_call, 0
	.section	.AMDGPU.csdata,"",@progbits
; Kernel info:
; codeLenInByte = 3944
; TotalNumSgprs: 60
; NumVgprs: 62
; NumAgprs: 0
; TotalNumVgprs: 62
; ScratchSize: 0
; MemoryBound: 0
; FloatMode: 240
; IeeeMode: 1
; LDSByteSize: 57376 bytes/workgroup (compile time only)
; SGPRBlocks: 7
; VGPRBlocks: 7
; NumSGPRsForWavesPerEU: 60
; NumVGPRsForWavesPerEU: 62
; AccumOffset: 64
; Occupancy: 8
; WaveLimiterHint : 0
; COMPUTE_PGM_RSRC2:SCRATCH_EN: 0
; COMPUTE_PGM_RSRC2:USER_SGPR: 2
; COMPUTE_PGM_RSRC2:TRAP_HANDLER: 0
; COMPUTE_PGM_RSRC2:TGID_X_EN: 1
; COMPUTE_PGM_RSRC2:TGID_Y_EN: 0
; COMPUTE_PGM_RSRC2:TGID_Z_EN: 0
; COMPUTE_PGM_RSRC2:TIDIG_COMP_CNT: 0
; COMPUTE_PGM_RSRC3_GFX90A:ACCUM_OFFSET: 15
; COMPUTE_PGM_RSRC3_GFX90A:TG_SPLIT: 0
	.section	.text._Z19_skinny_gemm_kernelILi1ELi3ELi2ELi16ELi4EEvPKhS1_P6__halfPKfiiiiiiii,"axG",@progbits,_Z19_skinny_gemm_kernelILi1ELi3ELi2ELi16ELi4EEvPKhS1_P6__halfPKfiiiiiiii,comdat
	.protected	_Z19_skinny_gemm_kernelILi1ELi3ELi2ELi16ELi4EEvPKhS1_P6__halfPKfiiiiiiii ; -- Begin function _Z19_skinny_gemm_kernelILi1ELi3ELi2ELi16ELi4EEvPKhS1_P6__halfPKfiiiiiiii
	.globl	_Z19_skinny_gemm_kernelILi1ELi3ELi2ELi16ELi4EEvPKhS1_P6__halfPKfiiiiiiii
	.p2align	8
	.type	_Z19_skinny_gemm_kernelILi1ELi3ELi2ELi16ELi4EEvPKhS1_P6__halfPKfiiiiiiii,@function
_Z19_skinny_gemm_kernelILi1ELi3ELi2ELi16ELi4EEvPKhS1_P6__halfPKfiiiiiiii: ; @_Z19_skinny_gemm_kernelILi1ELi3ELi2ELi16ELi4EEvPKhS1_P6__halfPKfiiiiiiii
; %bb.0:
	v_cmp_gt_u32_e32 vcc, 8, v0
	v_lshlrev_b32_e32 v1, 2, v0
	s_and_saveexec_b64 s[4:5], vcc
; %bb.1:
	v_mov_b32_e32 v2, 0
	ds_write_b32 v1, v2 offset:16384
; %bb.2:
	s_or_b64 exec, exec, s[4:5]
	s_load_dwordx8 s[20:27], s[0:1], 0x20
	s_waitcnt lgkmcnt(0)
	s_barrier
	s_add_i32 s3, s20, 15
	s_ashr_i32 s5, s3, 31
	s_add_i32 s4, s21, 47
	s_lshr_b32 s5, s5, 28
	s_mul_hi_i32 s4, s4, 0x2aaaaaab
	s_add_i32 s3, s3, s5
	s_ashr_i32 s33, s3, 4
	s_lshr_b32 s3, s4, 31
	s_ashr_i32 s48, s4, 3
	s_add_i32 s48, s48, s3
	s_mul_i32 s3, s48, s33
	s_mul_i32 s3, s3, s24
	s_add_i32 s4, s3, 0x12f
	s_mul_hi_i32 s4, s4, 0x6bca1af3
	s_lshr_b32 s5, s4, 31
	s_ashr_i32 s4, s4, 7
	s_add_i32 s4, s4, s5
	s_add_i32 s5, s2, 1
	s_mul_i32 s5, s4, s5
	v_cvt_f64_i32_e32 v[2:3], s3
	v_cvt_f64_u32_e32 v[4:5], s5
	v_min_f64 v[2:3], v[2:3], v[4:5]
	v_cvt_i32_f64_e32 v13, v[2:3]
	s_mul_i32 s49, s4, s2
	v_cmp_ge_i32_e32 vcc, s49, v13
	s_cbranch_vccnz .LBB74_48
; %bb.3:
	v_lshrrev_b32_e32 v2, 6, v0
	s_add_i32 s4, s26, s25
	s_load_dwordx8 s[36:43], s[0:1], 0x0
	v_cmp_le_i32_e64 s[0:1], s4, v2
	v_mov_b32_e32 v3, s25
	v_cmp_le_i32_e64 s[2:3], s25, v2
	v_mov_b32_e32 v4, s26
	v_cndmask_b32_e64 v4, 0, v4, s[0:1]
	v_cndmask_b32_e64 v3, 0, v3, s[2:3]
	s_abs_i32 s5, s24
	v_add_u32_e32 v3, v3, v4
	v_cvt_f32_u32_e32 v4, s5
	v_sub_u32_e32 v20, v2, v3
	s_ashr_i32 s6, s22, 31
	s_lshr_b32 s6, s6, 25
	v_rcp_iflag_f32_e32 v3, v4
	s_sub_i32 s9, 0, s5
	s_add_i32 s6, s22, s6
	s_ashr_i32 s6, s6, 7
	v_mul_f32_e32 v3, 0x4f7ffffe, v3
	v_cvt_u32_f32_e32 v3, v3
	s_abs_i32 s8, s6
	s_xor_b32 s7, s6, s24
	s_ashr_i32 s7, s7, 31
	v_readfirstlane_b32 s10, v3
	s_mul_i32 s9, s9, s10
	s_mul_hi_u32 s9, s10, s9
	s_add_i32 s10, s10, s9
	s_mul_hi_u32 s9, s8, s10
	s_mul_i32 s10, s9, s5
	s_sub_i32 s8, s8, s10
	s_add_i32 s10, s9, 1
	s_sub_i32 s11, s8, s5
	s_cmp_ge_u32 s8, s5
	s_cselect_b32 s9, s10, s9
	s_cselect_b32 s8, s11, s8
	s_add_i32 s10, s9, 1
	s_cmp_ge_u32 s8, s5
	s_cselect_b32 s5, s10, s9
	s_xor_b32 s5, s5, s7
	s_sub_i32 s50, s5, s7
	s_add_i32 s24, s24, -1
	s_mul_i32 s5, s50, s24
	s_add_i32 s4, s4, s27
	s_sub_i32 s51, s6, s5
	v_cmp_gt_i32_e64 s[4:5], s4, v2
	v_lshlrev_b32_e32 v2, 1, v0
	v_lshlrev_b32_e32 v3, 4, v0
	v_and_b32_e32 v1, 60, v1
	v_and_b32_e32 v2, 64, v2
	;; [unrolled: 1-line block ×3, first 2 shown]
	s_abs_i32 s52, s33
	v_or3_b32 v33, v1, v2, v4
	v_and_b32_e32 v1, 1, v0
	v_cvt_f32_u32_e32 v6, s52
	v_lshlrev_b32_e32 v2, 1, v1
	v_lshrrev_b32_e32 v4, 2, v0
	v_and_b32_e32 v12, 14, v0
	v_sub_u32_e32 v2, v0, v2
	v_and_or_b32 v35, v4, 12, v1
	v_bitop3_b32 v36, v0, 1, v0 bitop3:0xc
	v_bitop3_b32 v37, v0, 3, 1 bitop3:0x6c
	v_and_b32_e32 v16, 48, v3
	v_bfe_u32 v1, v0, 2, 4
	v_and_b32_e32 v3, 60, v0
	v_lshlrev_b32_e32 v5, 8, v0
	v_lshlrev_b32_e32 v0, 6, v0
	v_and_b32_e32 v5, 0x200, v5
	v_and_b32_e32 v0, 64, v0
	v_or3_b32 v40, v3, v5, v0
	v_rcp_iflag_f32_e32 v0, v6
	s_abs_i32 s54, s48
	v_mul_lo_u32 v18, s23, v1
	v_mul_lo_u32 v42, s22, v1
	v_cvt_f32_u32_e32 v1, s54
	v_mul_f32_e32 v0, 0x4f7ffffe, v0
	v_cvt_u32_f32_e32 v0, v0
	v_mad_u64_u32 v[14:15], s[6:7], s21, v35, v[12:13]
	v_rcp_iflag_f32_e32 v1, v1
	v_readfirstlane_b32 s7, v0
	s_sub_i32 s6, 0, s52
	s_mul_i32 s6, s6, s7
	v_mul_f32_e32 v0, 0x4f7ffffe, v1
	v_cvt_u32_f32_e32 v0, v0
	s_mul_hi_u32 s6, s7, s6
	v_add_u32_e32 v2, 1, v2
	s_add_i32 s56, s7, s6
	s_sub_i32 s6, 0, s54
	v_readfirstlane_b32 s7, v0
	v_mbcnt_lo_u32_b32 v0, -1, 0
	v_and_b32_e32 v2, 63, v2
	s_mul_i32 s6, s6, s7
	v_mbcnt_hi_u32_b32 v0, -1, v0
	s_mul_hi_u32 s6, s7, s6
	v_and_or_b32 v0, v0, 64, v2
	v_cndmask_b32_e64 v32, 0, 1, s[0:1]
	v_or_b32_e32 v34, 0x3000, v33
	v_or_b32_e32 v38, 16, v12
	;; [unrolled: 1-line block ×3, first 2 shown]
	v_ashrrev_i32_e32 v15, 31, v14
	s_ashr_i32 s29, s21, 31
	s_mov_b32 s28, s21
	v_ashrrev_i32_e32 v19, 31, v18
	v_mov_b32_e32 v17, 0
	s_lshl_b32 s53, s23, 4
	v_bitop3_b32 v41, v4, 15, v4 bitop3:0xc
	v_or_b32_e32 v43, 0x3000, v40
	s_ashr_i32 s55, s33, 31
	s_ashr_i32 s57, s48, 31
	s_add_i32 s58, s7, s6
	s_movk_i32 s59, 0x1800
	s_mov_b32 s60, 0x55555556
	v_lshlrev_b32_e32 v44, 2, v0
	v_mov_b32_e32 v45, v20
	s_branch .LBB74_7
.LBB74_4:                               ;   in Loop: Header=BB74_7 Depth=1
	s_or_b64 exec, exec, s[10:11]
.LBB74_5:                               ;   in Loop: Header=BB74_7 Depth=1
	s_or_b64 exec, exec, s[8:9]
	v_subrev_u32_e32 v45, s61, v45
.LBB74_6:                               ;   in Loop: Header=BB74_7 Depth=1
	s_or_b64 exec, exec, s[6:7]
	s_add_i32 s49, s49, 1
	v_cmp_ge_i32_e32 vcc, s49, v13
	s_cbranch_vccnz .LBB74_48
.LBB74_7:                               ; =>This Loop Header: Depth=1
                                        ;     Child Loop BB74_13 Depth 2
                                        ;       Child Loop BB74_15 Depth 3
                                        ;       Child Loop BB74_18 Depth 3
	;; [unrolled: 1-line block ×4, first 2 shown]
                                        ;     Child Loop BB74_35 Depth 2
                                        ;       Child Loop BB74_37 Depth 3
                                        ;     Child Loop BB74_45 Depth 2
                                        ;       Child Loop BB74_47 Depth 3
	s_abs_i32 s7, s49
	s_mul_hi_u32 s8, s7, s56
	s_mul_i32 s9, s8, s52
	s_ashr_i32 s6, s49, 31
	s_sub_i32 s7, s7, s9
	s_xor_b32 s6, s6, s55
	s_add_i32 s9, s8, 1
	s_sub_i32 s10, s7, s52
	s_cmp_ge_u32 s7, s52
	s_cselect_b32 s8, s9, s8
	s_cselect_b32 s7, s10, s7
	s_add_i32 s9, s8, 1
	s_cmp_ge_u32 s7, s52
	s_cselect_b32 s7, s9, s8
	s_xor_b32 s7, s7, s6
	s_sub_i32 s6, s7, s6
	s_abs_i32 s8, s6
	s_mul_i32 s7, s6, s33
	s_mul_hi_u32 s9, s8, s58
	s_sub_i32 s7, s49, s7
	s_mul_i32 s10, s9, s54
	s_lshl_b32 s62, s7, 4
	s_ashr_i32 s7, s6, 31
	s_sub_i32 s8, s8, s10
	s_xor_b32 s7, s7, s57
	s_add_i32 s10, s9, 1
	s_sub_i32 s11, s8, s54
	s_cmp_ge_u32 s8, s54
	s_cselect_b32 s9, s10, s9
	s_cselect_b32 s8, s11, s8
	s_add_i32 s10, s9, 1
	s_cmp_ge_u32 s8, s54
	s_cselect_b32 s8, s10, s9
	s_xor_b32 s8, s8, s7
	s_sub_i32 s7, s8, s7
	s_mul_i32 s8, s7, s50
	s_lshl_b32 s63, s8, 7
	s_cmp_eq_u32 s7, s24
	s_cselect_b32 s61, s51, s50
	s_sub_i32 s64, s62, s20
	s_add_i32 s64, s64, 16
	s_and_saveexec_b64 s[8:9], s[2:3]
	s_xor_b64 s[30:31], exec, s[8:9]
	s_cbranch_execz .LBB74_41
; %bb.8:                                ;   in Loop: Header=BB74_7 Depth=1
	s_mul_i32 s7, s7, s48
	s_sub_i32 s6, s6, s7
	s_mul_i32 s6, s6, 48
	s_sub_i32 s18, s6, s21
	s_add_i32 s18, s18, 48
	s_max_i32 s7, s18, 0
	s_sub_i32 s34, s6, s7
	s_and_saveexec_b64 s[6:7], s[0:1]
	s_xor_b64 s[44:45], exec, s[6:7]
	s_cbranch_execz .LBB74_31
; %bb.9:                                ;   in Loop: Header=BB74_7 Depth=1
	s_and_saveexec_b64 s[46:47], s[4:5]
	s_cbranch_execz .LBB74_30
; %bb.10:                               ;   in Loop: Header=BB74_7 Depth=1
	s_waitcnt lgkmcnt(0)
	global_load_dword v46, v17, s[42:43]
	v_mov_b32_e32 v11, 0
	v_cmp_gt_i32_e32 vcc, s61, v45
	v_mov_b32_e32 v10, v11
	v_mov_b32_e32 v9, v11
	;; [unrolled: 1-line block ×11, first 2 shown]
	s_and_saveexec_b64 s[6:7], vcc
	s_cbranch_execz .LBB74_26
; %bb.11:                               ;   in Loop: Header=BB74_7 Depth=1
	v_mov_b32_e32 v0, 0
	s_mov_b64 s[8:9], 0
	v_mov_b32_e32 v1, v0
	v_mov_b32_e32 v2, v0
	;; [unrolled: 1-line block ×11, first 2 shown]
	s_branch .LBB74_13
.LBB74_12:                              ;   in Loop: Header=BB74_13 Depth=2
	s_or_b64 exec, exec, s[10:11]
	v_add_u32_e32 v29, 0x1000, v28
	ds_read2_b32 v[30:31], v29 offset1:32
	v_add_u32_e32 v45, s27, v45
	v_cmp_le_i32_e32 vcc, s61, v45
	s_or_b64 s[8:9], vcc, s[8:9]
	s_waitcnt lgkmcnt(0)
	v_mfma_f32_16x16x32_fp8_fp8 v[0:3], v[20:21], v[30:31], v[0:3]
	ds_read2_b32 v[20:21], v29 offset0:128 offset1:160
	v_add_u32_e32 v30, 0x1400, v28
	ds_read2_b32 v[28:29], v30 offset1:32
	s_waitcnt lgkmcnt(1)
	v_mfma_f32_16x16x32_fp8_fp8 v[0:3], v[26:27], v[20:21], v[0:3]
	ds_read2_b32 v[26:27], v30 offset0:128 offset1:160
	v_add_u32_e32 v20, s27, v48
	v_add_u32_e32 v21, 2, v32
	s_waitcnt lgkmcnt(1)
	v_mfma_f32_16x16x32_fp8_fp8 v[0:3], v[24:25], v[28:29], v[0:3]
	v_cmp_lt_i32_e32 vcc, 1, v20
	;;#ASMSTART
	s_waitcnt lgkmcnt(0)
	;;#ASMEND
	ds_write_b32 v47, v49 offset:16400
	s_waitcnt lgkmcnt(1)
	v_mfma_f32_16x16x32_fp8_fp8 v[0:3], v[22:23], v[26:27], v[0:3]
	v_cndmask_b32_e32 v32, v32, v21, vcc
	s_andn2_b64 exec, exec, s[8:9]
	s_cbranch_execz .LBB74_25
.LBB74_13:                              ;   Parent Loop BB74_7 Depth=1
                                        ; =>  This Loop Header: Depth=2
                                        ;       Child Loop BB74_15 Depth 3
                                        ;       Child Loop BB74_18 Depth 3
	;; [unrolled: 1-line block ×4, first 2 shown]
	v_cmp_gt_i32_e32 vcc, 2, v20
	s_nop 1
	v_cndmask_b32_e64 v21, -2, 0, vcc
	v_add_u32_e32 v48, v21, v20
	v_mul_lo_u32 v47, v48, 12
	ds_read_b32 v20, v47 offset:16392
	s_waitcnt lgkmcnt(0)
	v_cmp_ne_u32_e32 vcc, v20, v32
	s_and_saveexec_b64 s[10:11], vcc
	s_cbranch_execz .LBB74_16
; %bb.14:                               ;   in Loop: Header=BB74_13 Depth=2
	s_mov_b64 s[12:13], 0
.LBB74_15:                              ;   Parent Loop BB74_7 Depth=1
                                        ;     Parent Loop BB74_13 Depth=2
                                        ; =>    This Inner Loop Header: Depth=3
	;;#ASMSTART
	s_sleep 0
	;;#ASMEND
	ds_read_b32 v20, v47 offset:16392
	s_waitcnt lgkmcnt(0)
	v_cmp_eq_u32_e32 vcc, v20, v32
	s_or_b64 s[12:13], vcc, s[12:13]
	s_andn2_b64 exec, exec, s[12:13]
	s_cbranch_execnz .LBB74_15
.LBB74_16:                              ;   in Loop: Header=BB74_13 Depth=2
	s_or_b64 exec, exec, s[10:11]
	v_mul_lo_u32 v50, v48, s59
	v_or_b32_e32 v20, v33, v50
	ds_read2_b32 v[24:25], v20 offset1:32
	ds_read2_b32 v[22:23], v20 offset0:128 offset1:160
	v_add_u32_e32 v20, 0x400, v20
	v_add_u32_e32 v49, 1, v32
	ds_read2_b32 v[30:31], v20 offset1:32
	ds_read2_b32 v[28:29], v20 offset0:128 offset1:160
	;;#ASMSTART
	s_waitcnt lgkmcnt(0)
	;;#ASMEND
	ds_write_b32 v47, v49 offset:16392
	v_lshlrev_b32_e32 v20, 2, v48
	ds_read_b32 v21, v20 offset:16384
	v_add_u32_e32 v51, 0x4000, v20
	s_waitcnt lgkmcnt(0)
	v_cmp_ne_u32_e32 vcc, v21, v32
	s_and_saveexec_b64 s[10:11], vcc
	s_cbranch_execz .LBB74_19
; %bb.17:                               ;   in Loop: Header=BB74_13 Depth=2
	s_mov_b64 s[12:13], 0
.LBB74_18:                              ;   Parent Loop BB74_7 Depth=1
                                        ;     Parent Loop BB74_13 Depth=2
                                        ; =>    This Inner Loop Header: Depth=3
	;;#ASMSTART
	s_sleep 0
	;;#ASMEND
	ds_read_b32 v20, v51
	s_waitcnt lgkmcnt(0)
	v_cmp_eq_u32_e32 vcc, v20, v32
	s_or_b64 s[12:13], vcc, s[12:13]
	s_andn2_b64 exec, exec, s[12:13]
	s_cbranch_execnz .LBB74_18
.LBB74_19:                              ;   in Loop: Header=BB74_13 Depth=2
	s_or_b64 exec, exec, s[10:11]
	v_lshl_add_u32 v52, v48, 11, v34
	ds_read2_b32 v[20:21], v52 offset1:32
	ds_read2_b32 v[26:27], v52 offset0:128 offset1:160
	v_add_u32_e32 v52, 0x400, v52
	s_waitcnt lgkmcnt(1)
	v_mfma_f32_16x16x32_fp8_fp8 v[8:11], v[20:21], v[24:25], v[8:11]
	ds_read2_b32 v[24:25], v52 offset1:32
	s_waitcnt lgkmcnt(1)
	v_mfma_f32_16x16x32_fp8_fp8 v[8:11], v[26:27], v[22:23], v[8:11]
	s_waitcnt lgkmcnt(0)
	v_mfma_f32_16x16x32_fp8_fp8 v[8:11], v[24:25], v[30:31], v[8:11]
	ds_read2_b32 v[22:23], v52 offset0:128 offset1:160
	ds_read_b32 v30, v47 offset:16396
	ds_write_b32 v51, v49
	s_waitcnt lgkmcnt(1)
	v_cmp_ne_u32_e32 vcc, v30, v32
	v_mfma_f32_16x16x32_fp8_fp8 v[8:11], v[22:23], v[28:29], v[8:11]
	s_and_saveexec_b64 s[10:11], vcc
	s_cbranch_execz .LBB74_22
; %bb.20:                               ;   in Loop: Header=BB74_13 Depth=2
	s_mov_b64 s[12:13], 0
.LBB74_21:                              ;   Parent Loop BB74_7 Depth=1
                                        ;     Parent Loop BB74_13 Depth=2
                                        ; =>    This Inner Loop Header: Depth=3
	;;#ASMSTART
	s_sleep 0
	;;#ASMEND
	ds_read_b32 v28, v47 offset:16396
	s_waitcnt lgkmcnt(0)
	v_cmp_eq_u32_e32 vcc, v28, v32
	s_or_b64 s[12:13], vcc, s[12:13]
	s_andn2_b64 exec, exec, s[12:13]
	s_cbranch_execnz .LBB74_21
.LBB74_22:                              ;   in Loop: Header=BB74_13 Depth=2
	s_or_b64 exec, exec, s[10:11]
	v_add_u32_e32 v28, v33, v50
	v_add_u32_e32 v29, 0x800, v28
	ds_read2_b32 v[30:31], v29 offset1:32
	s_waitcnt lgkmcnt(0)
	v_mfma_f32_16x16x32_fp8_fp8 v[4:7], v[20:21], v[30:31], v[4:7]
	ds_read2_b32 v[30:31], v29 offset0:128 offset1:160
	v_add_u32_e32 v29, 0xc00, v28
	s_waitcnt lgkmcnt(0)
	v_mfma_f32_16x16x32_fp8_fp8 v[4:7], v[26:27], v[30:31], v[4:7]
	ds_read2_b32 v[30:31], v29 offset1:32
	ds_read2_b32 v[50:51], v29 offset0:128 offset1:160
	;;#ASMSTART
	s_waitcnt lgkmcnt(0)
	;;#ASMEND
	ds_read_b32 v29, v47 offset:16400
	s_waitcnt lgkmcnt(2)
	v_mfma_f32_16x16x32_fp8_fp8 v[4:7], v[24:25], v[30:31], v[4:7]
	ds_write_b32 v47, v49 offset:16396
	s_waitcnt lgkmcnt(1)
	v_cmp_ne_u32_e32 vcc, v29, v32
	v_mfma_f32_16x16x32_fp8_fp8 v[4:7], v[22:23], v[50:51], v[4:7]
	s_and_saveexec_b64 s[10:11], vcc
	s_cbranch_execz .LBB74_12
; %bb.23:                               ;   in Loop: Header=BB74_13 Depth=2
	s_mov_b64 s[12:13], 0
.LBB74_24:                              ;   Parent Loop BB74_7 Depth=1
                                        ;     Parent Loop BB74_13 Depth=2
                                        ; =>    This Inner Loop Header: Depth=3
	;;#ASMSTART
	s_sleep 0
	;;#ASMEND
	ds_read_b32 v29, v47 offset:16400
	s_waitcnt lgkmcnt(0)
	v_cmp_eq_u32_e32 vcc, v29, v32
	s_or_b64 s[12:13], vcc, s[12:13]
	s_andn2_b64 exec, exec, s[12:13]
	s_cbranch_execnz .LBB74_24
	s_branch .LBB74_12
.LBB74_25:                              ;   in Loop: Header=BB74_7 Depth=1
	s_or_b64 exec, exec, s[8:9]
.LBB74_26:                              ;   in Loop: Header=BB74_7 Depth=1
	s_or_b64 exec, exec, s[6:7]
	v_cmp_le_i32_e32 vcc, s18, v12
	v_cmp_eq_u32_e64 s[6:7], 2, v36
	v_cmp_eq_u32_e64 s[8:9], 3, v36
	s_waitcnt vmcnt(0)
	v_cndmask_b32_e32 v22, 0, v46, vcc
	v_pk_mul_f32 v[10:11], v[22:23], v[10:11] op_sel_hi:[0,1]
	v_pk_mul_f32 v[22:23], v[22:23], v[8:9] op_sel_hi:[0,1]
	v_cmp_eq_u32_e32 vcc, 1, v36
	v_cmp_eq_u32_e64 s[10:11], 0, v36
	v_cmp_le_i32_e64 s[14:15], s18, v38
	v_cndmask_b32_e32 v8, v22, v23, vcc
	v_cndmask_b32_e64 v8, v8, v10, s[6:7]
	v_cndmask_b32_e64 v8, v8, v11, s[8:9]
	ds_bpermute_b32 v21, v44, v8
	v_cmp_le_i32_e64 s[18:19], s18, v39
	v_cmp_eq_u32_e64 s[12:13], 1, v37
	v_cmp_eq_u32_e64 s[16:17], 3, v37
	s_waitcnt lgkmcnt(0)
	v_cndmask_b32_e64 v8, v11, v21, s[8:9]
	v_cndmask_b32_e64 v11, v22, v21, s[10:11]
	v_cndmask_b32_e64 v22, 0, v46, s[14:15]
	v_cndmask_b32_e64 v9, v10, v21, s[6:7]
	v_cndmask_b32_e32 v10, v23, v21, vcc
	v_pk_mul_f32 v[6:7], v[22:23], v[6:7] op_sel_hi:[0,1]
	v_pk_mul_f32 v[22:23], v[22:23], v[4:5] op_sel_hi:[0,1]
	v_cndmask_b32_e32 v4, v22, v23, vcc
	v_cndmask_b32_e64 v4, v4, v6, s[6:7]
	v_cndmask_b32_e64 v4, v4, v7, s[8:9]
	ds_bpermute_b32 v24, v44, v4
	v_cmp_eq_u32_e64 s[14:15], 2, v37
	v_cndmask_b32_e64 v21, v11, v10, s[12:13]
	s_waitcnt lgkmcnt(0)
	v_cndmask_b32_e64 v5, v7, v24, s[8:9]
	v_cndmask_b32_e64 v6, v6, v24, s[6:7]
	v_cndmask_b32_e32 v23, v23, v24, vcc
	v_cndmask_b32_e64 v24, v22, v24, s[10:11]
	v_cndmask_b32_e64 v22, 0, v46, s[18:19]
	v_pk_mul_f32 v[28:29], v[22:23], v[0:1] op_sel_hi:[0,1]
	v_pk_mul_f32 v[26:27], v[22:23], v[2:3] op_sel_hi:[0,1]
	v_cndmask_b32_e32 v0, v28, v29, vcc
	v_cndmask_b32_e64 v0, v0, v26, s[6:7]
	v_cndmask_b32_e64 v0, v0, v27, s[8:9]
	ds_bpermute_b32 v1, v44, v0
	v_cndmask_b32_e64 v0, v24, v23, s[12:13]
	v_cndmask_b32_e64 v0, v0, v6, s[14:15]
	;; [unrolled: 1-line block ×3, first 2 shown]
	v_cmp_ne_u32_e32 vcc, 0, v36
	ds_bpermute_b32 v7, v44, v0
	s_waitcnt lgkmcnt(1)
	v_cndmask_b32_e64 v2, v27, v1, s[8:9]
	v_cndmask_b32_e64 v3, v26, v1, s[6:7]
	v_cndmask_b32_e32 v0, v29, v1, vcc
	v_cndmask_b32_e64 v1, v28, v1, s[10:11]
	v_cndmask_b32_e64 v4, v21, v9, s[14:15]
	;; [unrolled: 1-line block ×6, first 2 shown]
	ds_bpermute_b32 v4, v44, v4
	ds_bpermute_b32 v21, v44, v21
	s_max_i32 s6, s64, 0
	v_add_u32_e32 v22, s6, v35
	v_cmp_gt_u32_e32 vcc, 16, v22
	s_and_saveexec_b64 s[12:13], vcc
	s_cbranch_execz .LBB74_29
; %bb.27:                               ;   in Loop: Header=BB74_7 Depth=1
	v_cmp_eq_u32_e64 s[8:9], 1, v37
	v_cmp_eq_u32_e64 s[10:11], 0, v37
	v_cmp_eq_u32_e32 vcc, 3, v37
	s_waitcnt lgkmcnt(1)
	v_cndmask_b32_e64 v10, v10, v4, s[8:9]
	v_cndmask_b32_e64 v23, v23, v7, s[8:9]
	s_waitcnt lgkmcnt(0)
	v_cndmask_b32_e64 v25, v0, v21, s[8:9]
	s_mul_i32 s8, s62, s21
	s_ashr_i32 s9, s8, 31
	s_lshl_b64 s[8:9], s[8:9], 1
	v_cndmask_b32_e64 v11, v11, v4, s[10:11]
	v_cndmask_b32_e64 v24, v24, v7, s[10:11]
	;; [unrolled: 1-line block ×3, first 2 shown]
	s_add_u32 s10, s40, s8
	s_addc_u32 s11, s41, s9
	s_ashr_i32 s35, s34, 31
	v_cvt_f16_f32_e32 v11, v11
	v_cvt_f16_f32_sdwa v10, v10 dst_sel:WORD_1 dst_unused:UNUSED_PAD src0_sel:DWORD
	s_lshl_b64 s[8:9], s[34:35], 1
	v_cvt_f16_f32_e32 v24, v24
	v_cvt_f16_f32_sdwa v23, v23 dst_sel:WORD_1 dst_unused:UNUSED_PAD src0_sel:DWORD
	s_add_u32 s8, s10, s8
	v_cvt_f16_f32_e32 v26, v26
	v_cvt_f16_f32_sdwa v25, v25 dst_sel:WORD_1 dst_unused:UNUSED_PAD src0_sel:DWORD
	s_addc_u32 s9, s11, s9
	v_lshl_add_u64 v[0:1], v[14:15], 1, s[8:9]
	v_or_b32_e32 v10, v10, v11
	v_cmp_eq_u32_e64 s[6:7], 2, v37
	;;#ASMSTART
	global_atomic_pk_add_f16 v[0:1], v10, off
	
	;;#ASMEND
	v_lshl_add_u64 v[10:11], v[0:1], 0, 32
	v_or_b32_e32 v23, v23, v24
	v_cmp_gt_u32_e64 s[8:9], 14, v22
	;;#ASMSTART
	global_atomic_pk_add_f16 v[10:11], v23, off
	
	;;#ASMEND
	v_lshl_add_u64 v[10:11], v[0:1], 0, 64
	v_or_b32_e32 v23, v25, v26
	;;#ASMSTART
	global_atomic_pk_add_f16 v[10:11], v23, off
	
	;;#ASMEND
	s_and_b64 exec, exec, s[8:9]
	s_cbranch_execz .LBB74_29
; %bb.28:                               ;   in Loop: Header=BB74_7 Depth=1
	v_cndmask_b32_e32 v8, v8, v4, vcc
	v_cndmask_b32_e64 v4, v9, v4, s[6:7]
	v_cndmask_b32_e32 v5, v5, v7, vcc
	v_cndmask_b32_e64 v6, v6, v7, s[6:7]
	v_cvt_f16_f32_e32 v4, v4
	v_cvt_f16_f32_sdwa v7, v8 dst_sel:WORD_1 dst_unused:UNUSED_PAD src0_sel:DWORD
	v_cndmask_b32_e32 v8, v2, v21, vcc
	v_cndmask_b32_e64 v9, v3, v21, s[6:7]
	v_cvt_f16_f32_sdwa v5, v5 dst_sel:WORD_1 dst_unused:UNUSED_PAD src0_sel:DWORD
	v_or_b32_e32 v2, v7, v4
	v_cvt_f16_f32_e32 v4, v6
	v_cvt_f16_f32_e32 v6, v9
	v_cvt_f16_f32_sdwa v7, v8 dst_sel:WORD_1 dst_unused:UNUSED_PAD src0_sel:DWORD
	v_lshl_add_u64 v[0:1], s[28:29], 2, v[0:1]
	;;#ASMSTART
	global_atomic_pk_add_f16 v[0:1], v2, off
	
	;;#ASMEND
	v_lshl_add_u64 v[2:3], v[0:1], 0, 32
	v_or_b32_e32 v4, v5, v4
	;;#ASMSTART
	global_atomic_pk_add_f16 v[2:3], v4, off
	
	;;#ASMEND
	v_lshl_add_u64 v[0:1], v[0:1], 0, 64
	v_or_b32_e32 v2, v7, v6
	;;#ASMSTART
	global_atomic_pk_add_f16 v[0:1], v2, off
	
	;;#ASMEND
.LBB74_29:                              ;   in Loop: Header=BB74_7 Depth=1
	s_or_b64 exec, exec, s[12:13]
	v_subrev_u32_e32 v45, s61, v45
.LBB74_30:                              ;   in Loop: Header=BB74_7 Depth=1
	s_or_b64 exec, exec, s[46:47]
.LBB74_31:                              ;   in Loop: Header=BB74_7 Depth=1
	s_andn2_saveexec_b64 s[6:7], s[44:45]
	s_cbranch_execz .LBB74_40
; %bb.32:                               ;   in Loop: Header=BB74_7 Depth=1
	s_mul_i32 s16, s61, 3
	v_cmp_gt_i32_e32 vcc, s16, v45
	s_and_saveexec_b64 s[8:9], vcc
	s_cbranch_execz .LBB74_39
; %bb.33:                               ;   in Loop: Header=BB74_7 Depth=1
	s_mul_i32 s10, s34, s23
	s_ashr_i32 s11, s10, 31
	s_waitcnt lgkmcnt(0)
	s_add_u32 s10, s38, s10
	s_addc_u32 s11, s39, s11
	s_ashr_i32 s12, s63, 31
	s_add_u32 s10, s10, s63
	s_addc_u32 s11, s11, s12
	v_lshl_add_u64 v[0:1], s[10:11], 0, v[18:19]
	v_lshl_add_u64 v[8:9], v[0:1], 0, v[16:17]
	s_mov_b64 s[10:11], 0
	s_branch .LBB74_35
.LBB74_34:                              ;   in Loop: Header=BB74_35 Depth=2
	s_or_b64 exec, exec, s[12:13]
	v_lshl_or_b32 v20, v10, 11, v40
	;;#ASMSTART
	s_waitcnt vmcnt(1)
	;;#ASMEND
	ds_write2_b32 v20, v4, v5 offset1:32
	ds_write2_b32 v20, v6, v7 offset0:64 offset1:96
	v_add_u32_e32 v4, 0x400, v20
	v_add_u32_e32 v45, s26, v45
	;;#ASMSTART
	s_waitcnt vmcnt(0)
	;;#ASMEND
	ds_write2_b32 v4, v0, v1 offset1:32
	ds_write2_b32 v4, v2, v3 offset0:64 offset1:96
	v_add_u32_e32 v0, 1, v32
	v_add_u32_e32 v20, s26, v10
	v_cmp_le_i32_e32 vcc, s16, v45
	ds_write_b32 v11, v0 offset:8
	v_add_u32_e32 v0, 2, v32
	s_or_b64 s[10:11], vcc, s[10:11]
	v_cmp_lt_i32_e32 vcc, 5, v20
	s_nop 1
	v_cndmask_b32_e32 v32, v32, v0, vcc
	s_andn2_b64 exec, exec, s[10:11]
	s_cbranch_execz .LBB74_38
.LBB74_35:                              ;   Parent Loop BB74_7 Depth=1
                                        ; =>  This Loop Header: Depth=2
                                        ;       Child Loop BB74_37 Depth 3
	v_cmp_gt_i32_e32 vcc, 6, v20
	s_nop 1
	v_cndmask_b32_e64 v0, -6, 0, vcc
	v_add_u32_e32 v10, v0, v20
	v_mul_hi_i32 v0, v45, s60
	v_lshrrev_b32_e32 v1, 31, v0
	v_add_u32_e32 v0, v0, v1
	v_lshl_add_u32 v1, v0, 1, v0
	v_sub_u32_e32 v2, v45, v1
	v_lshlrev_b32_e32 v0, 7, v0
	v_ashrrev_i32_e32 v1, 31, v0
	v_mul_lo_u32 v2, s53, v2
	v_lshl_add_u64 v[0:1], v[8:9], 0, v[0:1]
	v_ashrrev_i32_e32 v3, 31, v2
	v_lshl_add_u64 v[0:1], v[0:1], 0, v[2:3]
	v_lshlrev_b32_e32 v11, 2, v10
	;;#ASMSTART
	global_load_dwordx4 v[4:7], v[0:1], off offset:0   sc0 sc1 nt  
	global_load_dwordx4 v[0:3], v[0:1], off offset:64  sc0 sc1 nt  
	
	;;#ASMEND
	ds_read_b32 v20, v11 offset:16392
	v_add_u32_e32 v11, 0x4000, v11
	s_waitcnt lgkmcnt(0)
	v_cmp_ne_u32_e32 vcc, v20, v32
	s_and_saveexec_b64 s[12:13], vcc
	s_cbranch_execz .LBB74_34
; %bb.36:                               ;   in Loop: Header=BB74_35 Depth=2
	s_mov_b64 s[14:15], 0
.LBB74_37:                              ;   Parent Loop BB74_7 Depth=1
                                        ;     Parent Loop BB74_35 Depth=2
                                        ; =>    This Inner Loop Header: Depth=3
	;;#ASMSTART
	s_sleep 0
	;;#ASMEND
	ds_read_b32 v20, v11 offset:8
	s_waitcnt lgkmcnt(0)
	v_cmp_eq_u32_e32 vcc, v20, v32
	s_or_b64 s[14:15], vcc, s[14:15]
	s_andn2_b64 exec, exec, s[14:15]
	s_cbranch_execnz .LBB74_37
	s_branch .LBB74_34
.LBB74_38:                              ;   in Loop: Header=BB74_7 Depth=1
	s_or_b64 exec, exec, s[10:11]
.LBB74_39:                              ;   in Loop: Header=BB74_7 Depth=1
	s_or_b64 exec, exec, s[8:9]
	v_subrev_u32_e32 v45, s16, v45
.LBB74_40:                              ;   in Loop: Header=BB74_7 Depth=1
	s_or_b64 exec, exec, s[6:7]
.LBB74_41:                              ;   in Loop: Header=BB74_7 Depth=1
	s_andn2_saveexec_b64 s[6:7], s[30:31]
	s_cbranch_execz .LBB74_6
; %bb.42:                               ;   in Loop: Header=BB74_7 Depth=1
	v_cmp_gt_i32_e32 vcc, s61, v45
	s_and_saveexec_b64 s[8:9], vcc
	s_cbranch_execz .LBB74_5
; %bb.43:                               ;   in Loop: Header=BB74_7 Depth=1
	s_mul_i32 s62, s62, s22
	s_ashr_i32 s10, s62, 31
	s_waitcnt lgkmcnt(0)
	s_add_u32 s11, s36, s62
	s_addc_u32 s12, s37, s10
	s_ashr_i32 s13, s63, 31
	v_cmp_le_i32_e32 vcc, s64, v41
	s_add_u32 s10, s11, s63
	s_addc_u32 s11, s12, s13
	v_cndmask_b32_e32 v0, 0, v42, vcc
	v_ashrrev_i32_e32 v1, 31, v0
	v_lshl_add_u64 v[0:1], s[10:11], 0, v[0:1]
	v_lshl_add_u64 v[8:9], v[0:1], 0, v[16:17]
	s_mov_b64 s[10:11], 0
	s_branch .LBB74_45
.LBB74_44:                              ;   in Loop: Header=BB74_45 Depth=2
	s_or_b64 exec, exec, s[12:13]
	v_lshl_add_u32 v20, v10, 11, v43
	;;#ASMSTART
	s_waitcnt vmcnt(1)
	;;#ASMEND
	ds_write2_b32 v20, v4, v5 offset1:32
	ds_write2_b32 v20, v6, v7 offset0:64 offset1:96
	v_add_u32_e32 v4, 0x400, v20
	v_add_u32_e32 v45, s25, v45
	;;#ASMSTART
	s_waitcnt vmcnt(0)
	;;#ASMEND
	ds_write2_b32 v4, v0, v1 offset1:32
	ds_write2_b32 v4, v2, v3 offset0:64 offset1:96
	v_add_u32_e32 v0, 1, v32
	v_add_u32_e32 v20, s25, v10
	v_cmp_le_i32_e32 vcc, s61, v45
	ds_write_b32 v11, v0
	v_add_u32_e32 v0, 2, v32
	s_or_b64 s[10:11], vcc, s[10:11]
	v_cmp_lt_i32_e32 vcc, 1, v20
	s_nop 1
	v_cndmask_b32_e32 v32, v32, v0, vcc
	s_andn2_b64 exec, exec, s[10:11]
	s_cbranch_execz .LBB74_4
.LBB74_45:                              ;   Parent Loop BB74_7 Depth=1
                                        ; =>  This Loop Header: Depth=2
                                        ;       Child Loop BB74_47 Depth 3
	v_cmp_gt_i32_e32 vcc, 2, v20
	s_nop 1
	v_cndmask_b32_e64 v0, -2, 0, vcc
	v_add_u32_e32 v10, v0, v20
	v_lshlrev_b32_e32 v0, 7, v45
	v_ashrrev_i32_e32 v1, 31, v0
	v_lshl_add_u64 v[0:1], v[8:9], 0, v[0:1]
	v_lshlrev_b32_e32 v11, 2, v10
	;;#ASMSTART
	global_load_dwordx4 v[4:7], v[0:1], off offset:0   
	global_load_dwordx4 v[0:3], v[0:1], off offset:64  
	
	;;#ASMEND
	ds_read_b32 v20, v11 offset:16384
	v_add_u32_e32 v11, 0x4000, v11
	s_waitcnt lgkmcnt(0)
	v_cmp_ne_u32_e32 vcc, v20, v32
	s_and_saveexec_b64 s[12:13], vcc
	s_cbranch_execz .LBB74_44
; %bb.46:                               ;   in Loop: Header=BB74_45 Depth=2
	s_mov_b64 s[14:15], 0
.LBB74_47:                              ;   Parent Loop BB74_7 Depth=1
                                        ;     Parent Loop BB74_45 Depth=2
                                        ; =>    This Inner Loop Header: Depth=3
	;;#ASMSTART
	s_sleep 0
	;;#ASMEND
	ds_read_b32 v20, v11
	s_waitcnt lgkmcnt(0)
	v_cmp_eq_u32_e32 vcc, v20, v32
	s_or_b64 s[14:15], vcc, s[14:15]
	s_andn2_b64 exec, exec, s[14:15]
	s_cbranch_execnz .LBB74_47
	s_branch .LBB74_44
.LBB74_48:
	s_endpgm
	.section	.rodata,"a",@progbits
	.p2align	6, 0x0
	.amdhsa_kernel _Z19_skinny_gemm_kernelILi1ELi3ELi2ELi16ELi4EEvPKhS1_P6__halfPKfiiiiiiii
		.amdhsa_group_segment_fixed_size 16416
		.amdhsa_private_segment_fixed_size 0
		.amdhsa_kernarg_size 64
		.amdhsa_user_sgpr_count 2
		.amdhsa_user_sgpr_dispatch_ptr 0
		.amdhsa_user_sgpr_queue_ptr 0
		.amdhsa_user_sgpr_kernarg_segment_ptr 1
		.amdhsa_user_sgpr_dispatch_id 0
		.amdhsa_user_sgpr_kernarg_preload_length 0
		.amdhsa_user_sgpr_kernarg_preload_offset 0
		.amdhsa_user_sgpr_private_segment_size 0
		.amdhsa_uses_dynamic_stack 0
		.amdhsa_enable_private_segment 0
		.amdhsa_system_sgpr_workgroup_id_x 1
		.amdhsa_system_sgpr_workgroup_id_y 0
		.amdhsa_system_sgpr_workgroup_id_z 0
		.amdhsa_system_sgpr_workgroup_info 0
		.amdhsa_system_vgpr_workitem_id 0
		.amdhsa_next_free_vgpr 53
		.amdhsa_next_free_sgpr 65
		.amdhsa_accum_offset 56
		.amdhsa_reserve_vcc 1
		.amdhsa_float_round_mode_32 0
		.amdhsa_float_round_mode_16_64 0
		.amdhsa_float_denorm_mode_32 3
		.amdhsa_float_denorm_mode_16_64 3
		.amdhsa_dx10_clamp 1
		.amdhsa_ieee_mode 1
		.amdhsa_fp16_overflow 0
		.amdhsa_tg_split 0
		.amdhsa_exception_fp_ieee_invalid_op 0
		.amdhsa_exception_fp_denorm_src 0
		.amdhsa_exception_fp_ieee_div_zero 0
		.amdhsa_exception_fp_ieee_overflow 0
		.amdhsa_exception_fp_ieee_underflow 0
		.amdhsa_exception_fp_ieee_inexact 0
		.amdhsa_exception_int_div_zero 0
	.end_amdhsa_kernel
	.section	.text._Z19_skinny_gemm_kernelILi1ELi3ELi2ELi16ELi4EEvPKhS1_P6__halfPKfiiiiiiii,"axG",@progbits,_Z19_skinny_gemm_kernelILi1ELi3ELi2ELi16ELi4EEvPKhS1_P6__halfPKfiiiiiiii,comdat
.Lfunc_end74:
	.size	_Z19_skinny_gemm_kernelILi1ELi3ELi2ELi16ELi4EEvPKhS1_P6__halfPKfiiiiiiii, .Lfunc_end74-_Z19_skinny_gemm_kernelILi1ELi3ELi2ELi16ELi4EEvPKhS1_P6__halfPKfiiiiiiii
                                        ; -- End function
	.set _Z19_skinny_gemm_kernelILi1ELi3ELi2ELi16ELi4EEvPKhS1_P6__halfPKfiiiiiiii.num_vgpr, 53
	.set _Z19_skinny_gemm_kernelILi1ELi3ELi2ELi16ELi4EEvPKhS1_P6__halfPKfiiiiiiii.num_agpr, 0
	.set _Z19_skinny_gemm_kernelILi1ELi3ELi2ELi16ELi4EEvPKhS1_P6__halfPKfiiiiiiii.numbered_sgpr, 65
	.set _Z19_skinny_gemm_kernelILi1ELi3ELi2ELi16ELi4EEvPKhS1_P6__halfPKfiiiiiiii.num_named_barrier, 0
	.set _Z19_skinny_gemm_kernelILi1ELi3ELi2ELi16ELi4EEvPKhS1_P6__halfPKfiiiiiiii.private_seg_size, 0
	.set _Z19_skinny_gemm_kernelILi1ELi3ELi2ELi16ELi4EEvPKhS1_P6__halfPKfiiiiiiii.uses_vcc, 1
	.set _Z19_skinny_gemm_kernelILi1ELi3ELi2ELi16ELi4EEvPKhS1_P6__halfPKfiiiiiiii.uses_flat_scratch, 0
	.set _Z19_skinny_gemm_kernelILi1ELi3ELi2ELi16ELi4EEvPKhS1_P6__halfPKfiiiiiiii.has_dyn_sized_stack, 0
	.set _Z19_skinny_gemm_kernelILi1ELi3ELi2ELi16ELi4EEvPKhS1_P6__halfPKfiiiiiiii.has_recursion, 0
	.set _Z19_skinny_gemm_kernelILi1ELi3ELi2ELi16ELi4EEvPKhS1_P6__halfPKfiiiiiiii.has_indirect_call, 0
	.section	.AMDGPU.csdata,"",@progbits
; Kernel info:
; codeLenInByte = 3616
; TotalNumSgprs: 71
; NumVgprs: 53
; NumAgprs: 0
; TotalNumVgprs: 53
; ScratchSize: 0
; MemoryBound: 0
; FloatMode: 240
; IeeeMode: 1
; LDSByteSize: 16416 bytes/workgroup (compile time only)
; SGPRBlocks: 8
; VGPRBlocks: 6
; NumSGPRsForWavesPerEU: 71
; NumVGPRsForWavesPerEU: 53
; AccumOffset: 56
; Occupancy: 8
; WaveLimiterHint : 0
; COMPUTE_PGM_RSRC2:SCRATCH_EN: 0
; COMPUTE_PGM_RSRC2:USER_SGPR: 2
; COMPUTE_PGM_RSRC2:TRAP_HANDLER: 0
; COMPUTE_PGM_RSRC2:TGID_X_EN: 1
; COMPUTE_PGM_RSRC2:TGID_Y_EN: 0
; COMPUTE_PGM_RSRC2:TGID_Z_EN: 0
; COMPUTE_PGM_RSRC2:TIDIG_COMP_CNT: 0
; COMPUTE_PGM_RSRC3_GFX90A:ACCUM_OFFSET: 13
; COMPUTE_PGM_RSRC3_GFX90A:TG_SPLIT: 0
	.section	.text._Z19_skinny_gemm_kernelILi1ELi3ELi2ELi16ELi8EEvPKhS1_P6__halfPKfiiiiiiii,"axG",@progbits,_Z19_skinny_gemm_kernelILi1ELi3ELi2ELi16ELi8EEvPKhS1_P6__halfPKfiiiiiiii,comdat
	.protected	_Z19_skinny_gemm_kernelILi1ELi3ELi2ELi16ELi8EEvPKhS1_P6__halfPKfiiiiiiii ; -- Begin function _Z19_skinny_gemm_kernelILi1ELi3ELi2ELi16ELi8EEvPKhS1_P6__halfPKfiiiiiiii
	.globl	_Z19_skinny_gemm_kernelILi1ELi3ELi2ELi16ELi8EEvPKhS1_P6__halfPKfiiiiiiii
	.p2align	8
	.type	_Z19_skinny_gemm_kernelILi1ELi3ELi2ELi16ELi8EEvPKhS1_P6__halfPKfiiiiiiii,@function
_Z19_skinny_gemm_kernelILi1ELi3ELi2ELi16ELi8EEvPKhS1_P6__halfPKfiiiiiiii: ; @_Z19_skinny_gemm_kernelILi1ELi3ELi2ELi16ELi8EEvPKhS1_P6__halfPKfiiiiiiii
; %bb.0:
	v_cmp_gt_u32_e32 vcc, 8, v0
	v_lshlrev_b32_e32 v1, 2, v0
	s_and_saveexec_b64 s[4:5], vcc
; %bb.1:
	v_mov_b32_e32 v2, 0
	ds_write_b32 v1, v2 offset:32768
; %bb.2:
	s_or_b64 exec, exec, s[4:5]
	s_load_dwordx8 s[20:27], s[0:1], 0x20
	s_waitcnt lgkmcnt(0)
	s_barrier
	s_add_i32 s3, s20, 15
	s_ashr_i32 s5, s3, 31
	s_add_i32 s4, s21, 47
	s_lshr_b32 s5, s5, 28
	s_mul_hi_i32 s4, s4, 0x2aaaaaab
	s_add_i32 s3, s3, s5
	s_ashr_i32 s33, s3, 4
	s_lshr_b32 s3, s4, 31
	s_ashr_i32 s48, s4, 3
	s_add_i32 s48, s48, s3
	s_mul_i32 s3, s48, s33
	s_mul_i32 s3, s3, s24
	s_add_i32 s4, s3, 0x12f
	s_mul_hi_i32 s4, s4, 0x6bca1af3
	s_lshr_b32 s5, s4, 31
	s_ashr_i32 s4, s4, 7
	s_add_i32 s4, s4, s5
	s_add_i32 s5, s2, 1
	s_mul_i32 s5, s4, s5
	v_cvt_f64_i32_e32 v[2:3], s3
	v_cvt_f64_u32_e32 v[4:5], s5
	v_min_f64 v[2:3], v[2:3], v[4:5]
	v_cvt_i32_f64_e32 v17, v[2:3]
	s_mul_i32 s49, s4, s2
	v_cmp_ge_i32_e32 vcc, s49, v17
	s_cbranch_vccnz .LBB75_48
; %bb.3:
	v_lshrrev_b32_e32 v2, 6, v0
	s_add_i32 s4, s26, s25
	s_load_dwordx8 s[36:43], s[0:1], 0x0
	v_cmp_le_i32_e64 s[0:1], s4, v2
	v_mov_b32_e32 v3, s25
	v_cmp_le_i32_e64 s[2:3], s25, v2
	v_mov_b32_e32 v4, s26
	v_cndmask_b32_e64 v4, 0, v4, s[0:1]
	v_cndmask_b32_e64 v3, 0, v3, s[2:3]
	s_abs_i32 s5, s24
	v_add_u32_e32 v3, v3, v4
	v_cvt_f32_u32_e32 v4, s5
	v_sub_u32_e32 v12, v2, v3
	s_ashr_i32 s6, s22, 31
	s_lshr_b32 s6, s6, 24
	v_rcp_iflag_f32_e32 v3, v4
	s_sub_i32 s9, 0, s5
	s_add_i32 s6, s22, s6
	s_ashr_i32 s6, s6, 8
	v_mul_f32_e32 v3, 0x4f7ffffe, v3
	v_cvt_u32_f32_e32 v3, v3
	s_abs_i32 s8, s6
	s_xor_b32 s7, s6, s24
	s_ashr_i32 s7, s7, 31
	v_readfirstlane_b32 s10, v3
	s_mul_i32 s9, s9, s10
	s_mul_hi_u32 s9, s10, s9
	s_add_i32 s10, s10, s9
	s_mul_hi_u32 s9, s8, s10
	s_mul_i32 s10, s9, s5
	s_sub_i32 s8, s8, s10
	s_add_i32 s10, s9, 1
	s_sub_i32 s11, s8, s5
	s_cmp_ge_u32 s8, s5
	s_cselect_b32 s9, s10, s9
	s_cselect_b32 s8, s11, s8
	s_add_i32 s10, s9, 1
	s_cmp_ge_u32 s8, s5
	s_cselect_b32 s5, s10, s9
	s_xor_b32 s5, s5, s7
	s_sub_i32 s50, s5, s7
	s_add_i32 s24, s24, -1
	s_mul_i32 s5, s50, s24
	s_add_i32 s4, s4, s27
	s_sub_i32 s51, s6, s5
	v_cmp_gt_i32_e64 s[4:5], s4, v2
	v_lshlrev_b32_e32 v2, 1, v0
	v_lshlrev_b32_e32 v3, 4, v0
	v_and_b32_e32 v1, 60, v1
	v_and_b32_e32 v2, 64, v2
	;; [unrolled: 1-line block ×3, first 2 shown]
	s_abs_i32 s52, s33
	v_or3_b32 v45, v1, v2, v4
	v_and_b32_e32 v1, 1, v0
	v_cvt_f32_u32_e32 v6, s52
	v_lshlrev_b32_e32 v2, 1, v1
	v_lshrrev_b32_e32 v4, 2, v0
	v_and_b32_e32 v16, 14, v0
	v_sub_u32_e32 v2, v0, v2
	v_and_or_b32 v47, v4, 12, v1
	v_bitop3_b32 v48, v0, 1, v0 bitop3:0xc
	v_bitop3_b32 v49, v0, 3, 1 bitop3:0x6c
	v_and_b32_e32 v20, 48, v3
	v_bfe_u32 v1, v0, 2, 4
	v_and_b32_e32 v3, 60, v0
	v_lshlrev_b32_e32 v5, 8, v0
	v_lshlrev_b32_e32 v0, 6, v0
	v_and_b32_e32 v5, 0x200, v5
	v_and_b32_e32 v0, 64, v0
	v_or3_b32 v52, v3, v5, v0
	v_rcp_iflag_f32_e32 v0, v6
	s_abs_i32 s54, s48
	v_mul_lo_u32 v22, s23, v1
	v_mul_lo_u32 v54, s22, v1
	v_cvt_f32_u32_e32 v1, s54
	v_mul_f32_e32 v0, 0x4f7ffffe, v0
	v_cvt_u32_f32_e32 v0, v0
	v_mad_u64_u32 v[18:19], s[6:7], s21, v47, v[16:17]
	v_rcp_iflag_f32_e32 v1, v1
	v_readfirstlane_b32 s7, v0
	s_sub_i32 s6, 0, s52
	s_mul_i32 s6, s6, s7
	v_mul_f32_e32 v0, 0x4f7ffffe, v1
	v_cvt_u32_f32_e32 v0, v0
	s_mul_hi_u32 s6, s7, s6
	v_add_u32_e32 v2, 1, v2
	s_add_i32 s56, s7, s6
	s_sub_i32 s6, 0, s54
	v_readfirstlane_b32 s7, v0
	v_mbcnt_lo_u32_b32 v0, -1, 0
	v_and_b32_e32 v2, 63, v2
	s_mul_i32 s6, s6, s7
	v_mbcnt_hi_u32_b32 v0, -1, v0
	s_mul_hi_u32 s6, s7, s6
	v_and_or_b32 v0, v0, 64, v2
	v_cndmask_b32_e64 v44, 0, 1, s[0:1]
	v_or_b32_e32 v46, 0x6000, v45
	v_or_b32_e32 v50, 16, v16
	;; [unrolled: 1-line block ×3, first 2 shown]
	v_ashrrev_i32_e32 v19, 31, v18
	s_ashr_i32 s29, s21, 31
	s_mov_b32 s28, s21
	v_ashrrev_i32_e32 v23, 31, v22
	v_mov_b32_e32 v21, 0
	s_lshl_b32 s53, s23, 4
	v_bitop3_b32 v53, v4, 15, v4 bitop3:0xc
	v_or_b32_e32 v55, 0x6000, v52
	s_ashr_i32 s55, s33, 31
	s_ashr_i32 s57, s48, 31
	s_add_i32 s58, s7, s6
	s_movk_i32 s59, 0x3000
	s_mov_b32 s60, 0x55555556
	v_lshlrev_b32_e32 v56, 2, v0
	v_mov_b32_e32 v57, v12
	s_branch .LBB75_7
.LBB75_4:                               ;   in Loop: Header=BB75_7 Depth=1
	s_or_b64 exec, exec, s[10:11]
.LBB75_5:                               ;   in Loop: Header=BB75_7 Depth=1
	s_or_b64 exec, exec, s[8:9]
	v_subrev_u32_e32 v57, s61, v57
.LBB75_6:                               ;   in Loop: Header=BB75_7 Depth=1
	s_or_b64 exec, exec, s[6:7]
	s_add_i32 s49, s49, 1
	v_cmp_ge_i32_e32 vcc, s49, v17
	s_cbranch_vccnz .LBB75_48
.LBB75_7:                               ; =>This Loop Header: Depth=1
                                        ;     Child Loop BB75_13 Depth 2
                                        ;       Child Loop BB75_15 Depth 3
                                        ;       Child Loop BB75_18 Depth 3
	;; [unrolled: 1-line block ×4, first 2 shown]
                                        ;     Child Loop BB75_35 Depth 2
                                        ;       Child Loop BB75_37 Depth 3
                                        ;     Child Loop BB75_45 Depth 2
                                        ;       Child Loop BB75_47 Depth 3
	s_abs_i32 s7, s49
	s_mul_hi_u32 s8, s7, s56
	s_mul_i32 s9, s8, s52
	s_ashr_i32 s6, s49, 31
	s_sub_i32 s7, s7, s9
	s_xor_b32 s6, s6, s55
	s_add_i32 s9, s8, 1
	s_sub_i32 s10, s7, s52
	s_cmp_ge_u32 s7, s52
	s_cselect_b32 s8, s9, s8
	s_cselect_b32 s7, s10, s7
	s_add_i32 s9, s8, 1
	s_cmp_ge_u32 s7, s52
	s_cselect_b32 s7, s9, s8
	s_xor_b32 s7, s7, s6
	s_sub_i32 s6, s7, s6
	s_abs_i32 s8, s6
	s_mul_i32 s7, s6, s33
	s_mul_hi_u32 s9, s8, s58
	s_sub_i32 s7, s49, s7
	s_mul_i32 s10, s9, s54
	s_lshl_b32 s62, s7, 4
	s_ashr_i32 s7, s6, 31
	s_sub_i32 s8, s8, s10
	s_xor_b32 s7, s7, s57
	s_add_i32 s10, s9, 1
	s_sub_i32 s11, s8, s54
	s_cmp_ge_u32 s8, s54
	s_cselect_b32 s9, s10, s9
	s_cselect_b32 s8, s11, s8
	s_add_i32 s10, s9, 1
	s_cmp_ge_u32 s8, s54
	s_cselect_b32 s8, s10, s9
	s_xor_b32 s8, s8, s7
	s_sub_i32 s7, s8, s7
	s_mul_i32 s8, s7, s50
	s_lshl_b32 s63, s8, 8
	s_cmp_eq_u32 s7, s24
	s_cselect_b32 s61, s51, s50
	s_sub_i32 s64, s62, s20
	s_add_i32 s64, s64, 16
	s_and_saveexec_b64 s[8:9], s[2:3]
	s_xor_b64 s[30:31], exec, s[8:9]
	s_cbranch_execz .LBB75_41
; %bb.8:                                ;   in Loop: Header=BB75_7 Depth=1
	s_mul_i32 s7, s7, s48
	s_sub_i32 s6, s6, s7
	s_mul_i32 s6, s6, 48
	s_sub_i32 s18, s6, s21
	s_add_i32 s18, s18, 48
	s_max_i32 s7, s18, 0
	s_sub_i32 s34, s6, s7
	s_and_saveexec_b64 s[6:7], s[0:1]
	s_xor_b64 s[44:45], exec, s[6:7]
	s_cbranch_execz .LBB75_31
; %bb.9:                                ;   in Loop: Header=BB75_7 Depth=1
	s_and_saveexec_b64 s[46:47], s[4:5]
	s_cbranch_execz .LBB75_30
; %bb.10:                               ;   in Loop: Header=BB75_7 Depth=1
	s_waitcnt lgkmcnt(0)
	global_load_dword v58, v21, s[42:43]
	v_mov_b32_e32 v11, 0
	v_cmp_gt_i32_e32 vcc, s61, v57
	v_mov_b32_e32 v10, v11
	v_mov_b32_e32 v9, v11
	;; [unrolled: 1-line block ×11, first 2 shown]
	s_and_saveexec_b64 s[6:7], vcc
	s_cbranch_execz .LBB75_26
; %bb.11:                               ;   in Loop: Header=BB75_7 Depth=1
	v_mov_b32_e32 v0, 0
	s_mov_b64 s[8:9], 0
	v_mov_b32_e32 v1, v0
	v_mov_b32_e32 v2, v0
	;; [unrolled: 1-line block ×11, first 2 shown]
	s_branch .LBB75_13
.LBB75_12:                              ;   in Loop: Header=BB75_13 Depth=2
	s_or_b64 exec, exec, s[10:11]
	v_add_u32_e32 v37, 0x2000, v36
	ds_read2_b32 v[38:39], v37 offset1:32
	v_add_u32_e32 v57, s27, v57
	v_cmp_le_i32_e32 vcc, s61, v57
	s_or_b64 s[8:9], vcc, s[8:9]
	s_waitcnt lgkmcnt(0)
	v_mfma_f32_16x16x32_fp8_fp8 v[0:3], v[12:13], v[38:39], v[0:3]
	ds_read2_b32 v[12:13], v37 offset0:128 offset1:160
	v_add_u32_e32 v37, 0x2400, v36
	s_waitcnt lgkmcnt(0)
	v_mfma_f32_16x16x32_fp8_fp8 v[0:3], v[28:29], v[12:13], v[0:3]
	ds_read2_b32 v[12:13], v37 offset1:32
	v_add_u32_e32 v28, 0x2800, v36
	s_waitcnt lgkmcnt(0)
	v_mfma_f32_16x16x32_fp8_fp8 v[0:3], v[32:33], v[12:13], v[0:3]
	ds_read2_b32 v[12:13], v37 offset0:128 offset1:160
	s_waitcnt lgkmcnt(0)
	v_mfma_f32_16x16x32_fp8_fp8 v[0:3], v[30:31], v[12:13], v[0:3]
	ds_read2_b32 v[12:13], v28 offset1:32
	v_add_u32_e32 v30, 0x2c00, v36
	s_waitcnt lgkmcnt(0)
	v_mfma_f32_16x16x32_fp8_fp8 v[0:3], v[34:35], v[12:13], v[0:3]
	ds_read2_b32 v[12:13], v28 offset0:128 offset1:160
	ds_read2_b32 v[28:29], v30 offset1:32
	s_waitcnt lgkmcnt(1)
	v_mfma_f32_16x16x32_fp8_fp8 v[0:3], v[26:27], v[12:13], v[0:3]
	ds_read2_b32 v[26:27], v30 offset0:128 offset1:160
	v_add_u32_e32 v12, s27, v60
	v_add_u32_e32 v13, 2, v44
	s_waitcnt lgkmcnt(1)
	v_mfma_f32_16x16x32_fp8_fp8 v[0:3], v[24:25], v[28:29], v[0:3]
	v_cmp_lt_i32_e32 vcc, 1, v12
	;;#ASMSTART
	s_waitcnt lgkmcnt(0)
	;;#ASMEND
	ds_write_b32 v59, v61 offset:32784
	s_waitcnt lgkmcnt(1)
	v_mfma_f32_16x16x32_fp8_fp8 v[0:3], v[14:15], v[26:27], v[0:3]
	v_cndmask_b32_e32 v44, v44, v13, vcc
	s_andn2_b64 exec, exec, s[8:9]
	s_cbranch_execz .LBB75_25
.LBB75_13:                              ;   Parent Loop BB75_7 Depth=1
                                        ; =>  This Loop Header: Depth=2
                                        ;       Child Loop BB75_15 Depth 3
                                        ;       Child Loop BB75_18 Depth 3
	;; [unrolled: 1-line block ×4, first 2 shown]
	v_cmp_gt_i32_e32 vcc, 2, v12
	s_nop 1
	v_cndmask_b32_e64 v13, -2, 0, vcc
	v_add_u32_e32 v60, v13, v12
	v_mul_lo_u32 v59, v60, 12
	ds_read_b32 v12, v59 offset:32776
	s_waitcnt lgkmcnt(0)
	v_cmp_ne_u32_e32 vcc, v12, v44
	s_and_saveexec_b64 s[10:11], vcc
	s_cbranch_execz .LBB75_16
; %bb.14:                               ;   in Loop: Header=BB75_13 Depth=2
	s_mov_b64 s[12:13], 0
.LBB75_15:                              ;   Parent Loop BB75_7 Depth=1
                                        ;     Parent Loop BB75_13 Depth=2
                                        ; =>    This Inner Loop Header: Depth=3
	;;#ASMSTART
	s_sleep 0
	;;#ASMEND
	ds_read_b32 v12, v59 offset:32776
	s_waitcnt lgkmcnt(0)
	v_cmp_eq_u32_e32 vcc, v12, v44
	s_or_b64 s[12:13], vcc, s[12:13]
	s_andn2_b64 exec, exec, s[12:13]
	s_cbranch_execnz .LBB75_15
.LBB75_16:                              ;   in Loop: Header=BB75_13 Depth=2
	s_or_b64 exec, exec, s[10:11]
	v_mul_lo_u32 v62, v60, s59
	v_or_b32_e32 v12, v45, v62
	v_add_u32_e32 v13, 0x400, v12
	ds_read2_b32 v[24:25], v12 offset1:32
	ds_read2_b32 v[14:15], v12 offset0:128 offset1:160
	ds_read2_b32 v[30:31], v13 offset1:32
	ds_read2_b32 v[26:27], v13 offset0:128 offset1:160
	v_add_u32_e32 v13, 0x800, v12
	v_add_u32_e32 v12, 0xc00, v12
	;; [unrolled: 1-line block ×3, first 2 shown]
	ds_read2_b32 v[40:41], v13 offset1:32
	ds_read2_b32 v[38:39], v13 offset0:128 offset1:160
	ds_read2_b32 v[42:43], v12 offset1:32
	ds_read2_b32 v[36:37], v12 offset0:128 offset1:160
	;;#ASMSTART
	s_waitcnt lgkmcnt(0)
	;;#ASMEND
	ds_write_b32 v59, v61 offset:32776
	v_lshlrev_b32_e32 v12, 2, v60
	ds_read_b32 v13, v12 offset:32768
	v_add_u32_e32 v63, 0x8000, v12
	s_waitcnt lgkmcnt(0)
	v_cmp_ne_u32_e32 vcc, v13, v44
	s_and_saveexec_b64 s[10:11], vcc
	s_cbranch_execz .LBB75_19
; %bb.17:                               ;   in Loop: Header=BB75_13 Depth=2
	s_mov_b64 s[12:13], 0
.LBB75_18:                              ;   Parent Loop BB75_7 Depth=1
                                        ;     Parent Loop BB75_13 Depth=2
                                        ; =>    This Inner Loop Header: Depth=3
	;;#ASMSTART
	s_sleep 0
	;;#ASMEND
	ds_read_b32 v12, v63
	s_waitcnt lgkmcnt(0)
	v_cmp_eq_u32_e32 vcc, v12, v44
	s_or_b64 s[12:13], vcc, s[12:13]
	s_andn2_b64 exec, exec, s[12:13]
	s_cbranch_execnz .LBB75_18
.LBB75_19:                              ;   in Loop: Header=BB75_13 Depth=2
	s_or_b64 exec, exec, s[10:11]
	v_lshl_add_u32 v64, v60, 12, v46
	ds_read2_b32 v[12:13], v64 offset1:32
	ds_read2_b32 v[28:29], v64 offset0:128 offset1:160
	s_waitcnt lgkmcnt(1)
	v_mfma_f32_16x16x32_fp8_fp8 v[8:11], v[12:13], v[24:25], v[8:11]
	v_add_u32_e32 v24, 0x400, v64
	ds_read2_b32 v[32:33], v24 offset1:32
	s_waitcnt lgkmcnt(1)
	v_mfma_f32_16x16x32_fp8_fp8 v[8:11], v[28:29], v[14:15], v[8:11]
	v_add_u32_e32 v14, 0x800, v64
	ds_read2_b32 v[34:35], v14 offset1:32
	s_waitcnt lgkmcnt(1)
	v_mfma_f32_16x16x32_fp8_fp8 v[8:11], v[32:33], v[30:31], v[8:11]
	ds_read2_b32 v[30:31], v24 offset0:128 offset1:160
	s_waitcnt lgkmcnt(0)
	v_mfma_f32_16x16x32_fp8_fp8 v[8:11], v[30:31], v[26:27], v[8:11]
	ds_read2_b32 v[26:27], v14 offset0:128 offset1:160
	v_add_u32_e32 v14, 0xc00, v64
	ds_read2_b32 v[24:25], v14 offset1:32
	v_mfma_f32_16x16x32_fp8_fp8 v[8:11], v[34:35], v[40:41], v[8:11]
	s_waitcnt lgkmcnt(1)
	v_mfma_f32_16x16x32_fp8_fp8 v[8:11], v[26:27], v[38:39], v[8:11]
	ds_read2_b32 v[14:15], v14 offset0:128 offset1:160
	ds_read_b32 v38, v59 offset:32780
	ds_write_b32 v63, v61
	s_waitcnt lgkmcnt(1)
	v_cmp_ne_u32_e32 vcc, v38, v44
	v_mfma_f32_16x16x32_fp8_fp8 v[8:11], v[24:25], v[42:43], v[8:11]
	v_mfma_f32_16x16x32_fp8_fp8 v[8:11], v[14:15], v[36:37], v[8:11]
	s_and_saveexec_b64 s[10:11], vcc
	s_cbranch_execz .LBB75_22
; %bb.20:                               ;   in Loop: Header=BB75_13 Depth=2
	s_mov_b64 s[12:13], 0
.LBB75_21:                              ;   Parent Loop BB75_7 Depth=1
                                        ;     Parent Loop BB75_13 Depth=2
                                        ; =>    This Inner Loop Header: Depth=3
	;;#ASMSTART
	s_sleep 0
	;;#ASMEND
	ds_read_b32 v36, v59 offset:32780
	s_waitcnt lgkmcnt(0)
	v_cmp_eq_u32_e32 vcc, v36, v44
	s_or_b64 s[12:13], vcc, s[12:13]
	s_andn2_b64 exec, exec, s[12:13]
	s_cbranch_execnz .LBB75_21
.LBB75_22:                              ;   in Loop: Header=BB75_13 Depth=2
	s_or_b64 exec, exec, s[10:11]
	v_add_u32_e32 v36, v45, v62
	v_add_u32_e32 v37, 0x1000, v36
	ds_read2_b32 v[38:39], v37 offset1:32
	s_waitcnt lgkmcnt(0)
	v_mfma_f32_16x16x32_fp8_fp8 v[4:7], v[12:13], v[38:39], v[4:7]
	ds_read2_b32 v[38:39], v37 offset0:128 offset1:160
	v_add_u32_e32 v37, 0x1400, v36
	s_waitcnt lgkmcnt(0)
	v_mfma_f32_16x16x32_fp8_fp8 v[4:7], v[28:29], v[38:39], v[4:7]
	ds_read2_b32 v[38:39], v37 offset1:32
	s_waitcnt lgkmcnt(0)
	v_mfma_f32_16x16x32_fp8_fp8 v[4:7], v[32:33], v[38:39], v[4:7]
	ds_read2_b32 v[38:39], v37 offset0:128 offset1:160
	v_add_u32_e32 v37, 0x1800, v36
	s_waitcnt lgkmcnt(0)
	v_mfma_f32_16x16x32_fp8_fp8 v[4:7], v[30:31], v[38:39], v[4:7]
	ds_read2_b32 v[38:39], v37 offset1:32
	s_waitcnt lgkmcnt(0)
	v_mfma_f32_16x16x32_fp8_fp8 v[4:7], v[34:35], v[38:39], v[4:7]
	ds_read2_b32 v[38:39], v37 offset0:128 offset1:160
	v_add_u32_e32 v37, 0x1c00, v36
	s_waitcnt lgkmcnt(0)
	v_mfma_f32_16x16x32_fp8_fp8 v[4:7], v[26:27], v[38:39], v[4:7]
	ds_read2_b32 v[38:39], v37 offset1:32
	ds_read2_b32 v[40:41], v37 offset0:128 offset1:160
	;;#ASMSTART
	s_waitcnt lgkmcnt(0)
	;;#ASMEND
	ds_read_b32 v37, v59 offset:32784
	s_waitcnt lgkmcnt(2)
	v_mfma_f32_16x16x32_fp8_fp8 v[4:7], v[24:25], v[38:39], v[4:7]
	ds_write_b32 v59, v61 offset:32780
	s_waitcnt lgkmcnt(1)
	v_cmp_ne_u32_e32 vcc, v37, v44
	v_mfma_f32_16x16x32_fp8_fp8 v[4:7], v[14:15], v[40:41], v[4:7]
	s_and_saveexec_b64 s[10:11], vcc
	s_cbranch_execz .LBB75_12
; %bb.23:                               ;   in Loop: Header=BB75_13 Depth=2
	s_mov_b64 s[12:13], 0
.LBB75_24:                              ;   Parent Loop BB75_7 Depth=1
                                        ;     Parent Loop BB75_13 Depth=2
                                        ; =>    This Inner Loop Header: Depth=3
	;;#ASMSTART
	s_sleep 0
	;;#ASMEND
	ds_read_b32 v37, v59 offset:32784
	s_waitcnt lgkmcnt(0)
	v_cmp_eq_u32_e32 vcc, v37, v44
	s_or_b64 s[12:13], vcc, s[12:13]
	s_andn2_b64 exec, exec, s[12:13]
	s_cbranch_execnz .LBB75_24
	s_branch .LBB75_12
.LBB75_25:                              ;   in Loop: Header=BB75_7 Depth=1
	s_or_b64 exec, exec, s[8:9]
.LBB75_26:                              ;   in Loop: Header=BB75_7 Depth=1
	s_or_b64 exec, exec, s[6:7]
	v_cmp_le_i32_e32 vcc, s18, v16
	v_cmp_eq_u32_e64 s[6:7], 2, v48
	v_cmp_eq_u32_e64 s[8:9], 3, v48
	s_waitcnt vmcnt(0)
	v_cndmask_b32_e32 v14, 0, v58, vcc
	v_pk_mul_f32 v[10:11], v[14:15], v[10:11] op_sel_hi:[0,1]
	v_pk_mul_f32 v[14:15], v[14:15], v[8:9] op_sel_hi:[0,1]
	v_cmp_eq_u32_e32 vcc, 1, v48
	v_cmp_eq_u32_e64 s[10:11], 0, v48
	v_cmp_le_i32_e64 s[14:15], s18, v50
	v_cndmask_b32_e32 v8, v14, v15, vcc
	v_cndmask_b32_e64 v8, v8, v10, s[6:7]
	v_cndmask_b32_e64 v8, v8, v11, s[8:9]
	ds_bpermute_b32 v13, v56, v8
	v_cmp_le_i32_e64 s[18:19], s18, v51
	v_cmp_eq_u32_e64 s[12:13], 1, v49
	v_cmp_eq_u32_e64 s[16:17], 3, v49
	s_waitcnt lgkmcnt(0)
	v_cndmask_b32_e64 v8, v11, v13, s[8:9]
	v_cndmask_b32_e64 v11, v14, v13, s[10:11]
	v_cndmask_b32_e64 v14, 0, v58, s[14:15]
	v_cndmask_b32_e64 v9, v10, v13, s[6:7]
	v_cndmask_b32_e32 v10, v15, v13, vcc
	v_pk_mul_f32 v[6:7], v[14:15], v[6:7] op_sel_hi:[0,1]
	v_pk_mul_f32 v[14:15], v[14:15], v[4:5] op_sel_hi:[0,1]
	v_cndmask_b32_e32 v4, v14, v15, vcc
	v_cndmask_b32_e64 v4, v4, v6, s[6:7]
	v_cndmask_b32_e64 v4, v4, v7, s[8:9]
	ds_bpermute_b32 v24, v56, v4
	v_cmp_eq_u32_e64 s[14:15], 2, v49
	v_cndmask_b32_e64 v13, v11, v10, s[12:13]
	s_waitcnt lgkmcnt(0)
	v_cndmask_b32_e64 v5, v7, v24, s[8:9]
	v_cndmask_b32_e64 v6, v6, v24, s[6:7]
	v_cndmask_b32_e32 v15, v15, v24, vcc
	v_cndmask_b32_e64 v24, v14, v24, s[10:11]
	v_cndmask_b32_e64 v14, 0, v58, s[18:19]
	v_pk_mul_f32 v[28:29], v[14:15], v[0:1] op_sel_hi:[0,1]
	v_pk_mul_f32 v[26:27], v[14:15], v[2:3] op_sel_hi:[0,1]
	v_cndmask_b32_e32 v0, v28, v29, vcc
	v_cndmask_b32_e64 v0, v0, v26, s[6:7]
	v_cndmask_b32_e64 v0, v0, v27, s[8:9]
	ds_bpermute_b32 v1, v56, v0
	v_cndmask_b32_e64 v0, v24, v15, s[12:13]
	v_cndmask_b32_e64 v0, v0, v6, s[14:15]
	;; [unrolled: 1-line block ×3, first 2 shown]
	v_cmp_ne_u32_e32 vcc, 0, v48
	ds_bpermute_b32 v7, v56, v0
	s_waitcnt lgkmcnt(1)
	v_cndmask_b32_e64 v2, v27, v1, s[8:9]
	v_cndmask_b32_e64 v3, v26, v1, s[6:7]
	v_cndmask_b32_e32 v0, v29, v1, vcc
	v_cndmask_b32_e64 v1, v28, v1, s[10:11]
	v_cndmask_b32_e64 v4, v13, v9, s[14:15]
	;; [unrolled: 1-line block ×6, first 2 shown]
	ds_bpermute_b32 v4, v56, v4
	ds_bpermute_b32 v13, v56, v13
	s_max_i32 s6, s64, 0
	v_add_u32_e32 v14, s6, v47
	v_cmp_gt_u32_e32 vcc, 16, v14
	s_and_saveexec_b64 s[12:13], vcc
	s_cbranch_execz .LBB75_29
; %bb.27:                               ;   in Loop: Header=BB75_7 Depth=1
	v_cmp_eq_u32_e64 s[8:9], 1, v49
	v_cmp_eq_u32_e64 s[10:11], 0, v49
	v_cmp_eq_u32_e32 vcc, 3, v49
	s_waitcnt lgkmcnt(1)
	v_cndmask_b32_e64 v10, v10, v4, s[8:9]
	v_cndmask_b32_e64 v15, v15, v7, s[8:9]
	s_waitcnt lgkmcnt(0)
	v_cndmask_b32_e64 v25, v0, v13, s[8:9]
	s_mul_i32 s8, s62, s21
	s_ashr_i32 s9, s8, 31
	s_lshl_b64 s[8:9], s[8:9], 1
	v_cndmask_b32_e64 v11, v11, v4, s[10:11]
	v_cndmask_b32_e64 v24, v24, v7, s[10:11]
	;; [unrolled: 1-line block ×3, first 2 shown]
	s_add_u32 s10, s40, s8
	s_addc_u32 s11, s41, s9
	s_ashr_i32 s35, s34, 31
	v_cvt_f16_f32_e32 v11, v11
	v_cvt_f16_f32_sdwa v10, v10 dst_sel:WORD_1 dst_unused:UNUSED_PAD src0_sel:DWORD
	s_lshl_b64 s[8:9], s[34:35], 1
	v_cvt_f16_f32_e32 v24, v24
	v_cvt_f16_f32_sdwa v15, v15 dst_sel:WORD_1 dst_unused:UNUSED_PAD src0_sel:DWORD
	s_add_u32 s8, s10, s8
	v_cvt_f16_f32_e32 v26, v26
	v_cvt_f16_f32_sdwa v25, v25 dst_sel:WORD_1 dst_unused:UNUSED_PAD src0_sel:DWORD
	s_addc_u32 s9, s11, s9
	v_lshl_add_u64 v[0:1], v[18:19], 1, s[8:9]
	v_or_b32_e32 v10, v10, v11
	v_cmp_eq_u32_e64 s[6:7], 2, v49
	;;#ASMSTART
	global_atomic_pk_add_f16 v[0:1], v10, off
	
	;;#ASMEND
	v_lshl_add_u64 v[10:11], v[0:1], 0, 32
	v_or_b32_e32 v15, v15, v24
	v_cmp_gt_u32_e64 s[8:9], 14, v14
	;;#ASMSTART
	global_atomic_pk_add_f16 v[10:11], v15, off
	
	;;#ASMEND
	v_lshl_add_u64 v[10:11], v[0:1], 0, 64
	v_or_b32_e32 v15, v25, v26
	;;#ASMSTART
	global_atomic_pk_add_f16 v[10:11], v15, off
	
	;;#ASMEND
	s_and_b64 exec, exec, s[8:9]
	s_cbranch_execz .LBB75_29
; %bb.28:                               ;   in Loop: Header=BB75_7 Depth=1
	v_cndmask_b32_e32 v8, v8, v4, vcc
	v_cndmask_b32_e64 v4, v9, v4, s[6:7]
	v_cndmask_b32_e32 v5, v5, v7, vcc
	v_cndmask_b32_e64 v6, v6, v7, s[6:7]
	v_cvt_f16_f32_e32 v4, v4
	v_cvt_f16_f32_sdwa v7, v8 dst_sel:WORD_1 dst_unused:UNUSED_PAD src0_sel:DWORD
	v_cndmask_b32_e32 v8, v2, v13, vcc
	v_cndmask_b32_e64 v9, v3, v13, s[6:7]
	v_cvt_f16_f32_sdwa v5, v5 dst_sel:WORD_1 dst_unused:UNUSED_PAD src0_sel:DWORD
	v_or_b32_e32 v2, v7, v4
	v_cvt_f16_f32_e32 v4, v6
	v_cvt_f16_f32_e32 v6, v9
	v_cvt_f16_f32_sdwa v7, v8 dst_sel:WORD_1 dst_unused:UNUSED_PAD src0_sel:DWORD
	v_lshl_add_u64 v[0:1], s[28:29], 2, v[0:1]
	;;#ASMSTART
	global_atomic_pk_add_f16 v[0:1], v2, off
	
	;;#ASMEND
	v_lshl_add_u64 v[2:3], v[0:1], 0, 32
	v_or_b32_e32 v4, v5, v4
	;;#ASMSTART
	global_atomic_pk_add_f16 v[2:3], v4, off
	
	;;#ASMEND
	v_lshl_add_u64 v[0:1], v[0:1], 0, 64
	v_or_b32_e32 v2, v7, v6
	;;#ASMSTART
	global_atomic_pk_add_f16 v[0:1], v2, off
	
	;;#ASMEND
.LBB75_29:                              ;   in Loop: Header=BB75_7 Depth=1
	s_or_b64 exec, exec, s[12:13]
	v_subrev_u32_e32 v57, s61, v57
.LBB75_30:                              ;   in Loop: Header=BB75_7 Depth=1
	s_or_b64 exec, exec, s[46:47]
.LBB75_31:                              ;   in Loop: Header=BB75_7 Depth=1
	s_andn2_saveexec_b64 s[6:7], s[44:45]
	s_cbranch_execz .LBB75_40
; %bb.32:                               ;   in Loop: Header=BB75_7 Depth=1
	s_mul_i32 s16, s61, 3
	v_cmp_gt_i32_e32 vcc, s16, v57
	s_and_saveexec_b64 s[8:9], vcc
	s_cbranch_execz .LBB75_39
; %bb.33:                               ;   in Loop: Header=BB75_7 Depth=1
	s_mul_i32 s10, s34, s23
	s_ashr_i32 s11, s10, 31
	s_waitcnt lgkmcnt(0)
	s_add_u32 s10, s38, s10
	s_addc_u32 s11, s39, s11
	s_ashr_i32 s12, s63, 31
	s_add_u32 s10, s10, s63
	s_addc_u32 s11, s11, s12
	v_lshl_add_u64 v[0:1], s[10:11], 0, v[22:23]
	v_lshl_add_u64 v[24:25], v[0:1], 0, v[20:21]
	s_mov_b64 s[10:11], 0
	s_branch .LBB75_35
.LBB75_34:                              ;   in Loop: Header=BB75_35 Depth=2
	s_or_b64 exec, exec, s[12:13]
	v_lshl_or_b32 v28, v26, 12, v52
	;;#ASMSTART
	s_waitcnt vmcnt(3)
	;;#ASMEND
	ds_write2_b32 v28, v12, v13 offset1:32
	ds_write2_b32 v28, v14, v15 offset0:64 offset1:96
	v_add_u32_e32 v12, 0x400, v28
	;;#ASMSTART
	s_waitcnt vmcnt(2)
	;;#ASMEND
	ds_write2_b32 v12, v8, v9 offset1:32
	ds_write2_b32 v12, v10, v11 offset0:64 offset1:96
	v_add_u32_e32 v8, 0x800, v28
	;;#ASMSTART
	s_waitcnt vmcnt(1)
	;;#ASMEND
	ds_write2_b32 v8, v4, v5 offset1:32
	ds_write2_b32 v8, v6, v7 offset0:64 offset1:96
	v_add_u32_e32 v4, 0xc00, v28
	v_add_u32_e32 v57, s26, v57
	;;#ASMSTART
	s_waitcnt vmcnt(0)
	;;#ASMEND
	ds_write2_b32 v4, v0, v1 offset1:32
	ds_write2_b32 v4, v2, v3 offset0:64 offset1:96
	v_add_u32_e32 v0, 1, v44
	v_add_u32_e32 v12, s26, v26
	v_cmp_le_i32_e32 vcc, s16, v57
	ds_write_b32 v27, v0 offset:8
	v_add_u32_e32 v0, 2, v44
	s_or_b64 s[10:11], vcc, s[10:11]
	v_cmp_lt_i32_e32 vcc, 5, v12
	s_nop 1
	v_cndmask_b32_e32 v44, v44, v0, vcc
	s_andn2_b64 exec, exec, s[10:11]
	s_cbranch_execz .LBB75_38
.LBB75_35:                              ;   Parent Loop BB75_7 Depth=1
                                        ; =>  This Loop Header: Depth=2
                                        ;       Child Loop BB75_37 Depth 3
	v_cmp_gt_i32_e32 vcc, 6, v12
	s_nop 1
	v_cndmask_b32_e64 v0, -6, 0, vcc
	v_add_u32_e32 v26, v0, v12
	v_mul_hi_i32 v0, v57, s60
	v_lshrrev_b32_e32 v1, 31, v0
	v_add_u32_e32 v0, v0, v1
	v_lshl_add_u32 v1, v0, 1, v0
	v_sub_u32_e32 v2, v57, v1
	v_lshlrev_b32_e32 v0, 8, v0
	v_ashrrev_i32_e32 v1, 31, v0
	v_mul_lo_u32 v2, s53, v2
	v_lshl_add_u64 v[0:1], v[24:25], 0, v[0:1]
	v_ashrrev_i32_e32 v3, 31, v2
	v_lshl_add_u64 v[0:1], v[0:1], 0, v[2:3]
	v_lshlrev_b32_e32 v27, 2, v26
	;;#ASMSTART
	global_load_dwordx4 v[12:15], v[0:1], off offset:0    sc0 sc1 nt  
	global_load_dwordx4 v[8:11], v[0:1], off offset:64   sc0 sc1 nt  
	global_load_dwordx4 v[4:7], v[0:1], off offset:128  sc0 sc1 nt  
	global_load_dwordx4 v[0:3], v[0:1], off offset:192  sc0 sc1 nt  
	
	;;#ASMEND
	ds_read_b32 v28, v27 offset:32776
	v_add_u32_e32 v27, 0x8000, v27
	s_waitcnt lgkmcnt(0)
	v_cmp_ne_u32_e32 vcc, v28, v44
	s_and_saveexec_b64 s[12:13], vcc
	s_cbranch_execz .LBB75_34
; %bb.36:                               ;   in Loop: Header=BB75_35 Depth=2
	s_mov_b64 s[14:15], 0
.LBB75_37:                              ;   Parent Loop BB75_7 Depth=1
                                        ;     Parent Loop BB75_35 Depth=2
                                        ; =>    This Inner Loop Header: Depth=3
	;;#ASMSTART
	s_sleep 0
	;;#ASMEND
	ds_read_b32 v28, v27 offset:8
	s_waitcnt lgkmcnt(0)
	v_cmp_eq_u32_e32 vcc, v28, v44
	s_or_b64 s[14:15], vcc, s[14:15]
	s_andn2_b64 exec, exec, s[14:15]
	s_cbranch_execnz .LBB75_37
	s_branch .LBB75_34
.LBB75_38:                              ;   in Loop: Header=BB75_7 Depth=1
	s_or_b64 exec, exec, s[10:11]
.LBB75_39:                              ;   in Loop: Header=BB75_7 Depth=1
	s_or_b64 exec, exec, s[8:9]
	v_subrev_u32_e32 v57, s16, v57
.LBB75_40:                              ;   in Loop: Header=BB75_7 Depth=1
	s_or_b64 exec, exec, s[6:7]
.LBB75_41:                              ;   in Loop: Header=BB75_7 Depth=1
	s_andn2_saveexec_b64 s[6:7], s[30:31]
	s_cbranch_execz .LBB75_6
; %bb.42:                               ;   in Loop: Header=BB75_7 Depth=1
	v_cmp_gt_i32_e32 vcc, s61, v57
	s_and_saveexec_b64 s[8:9], vcc
	s_cbranch_execz .LBB75_5
; %bb.43:                               ;   in Loop: Header=BB75_7 Depth=1
	s_mul_i32 s62, s62, s22
	s_ashr_i32 s10, s62, 31
	s_waitcnt lgkmcnt(0)
	s_add_u32 s11, s36, s62
	s_addc_u32 s12, s37, s10
	s_ashr_i32 s13, s63, 31
	v_cmp_le_i32_e32 vcc, s64, v53
	s_add_u32 s10, s11, s63
	s_addc_u32 s11, s12, s13
	v_cndmask_b32_e32 v0, 0, v54, vcc
	v_ashrrev_i32_e32 v1, 31, v0
	v_lshl_add_u64 v[0:1], s[10:11], 0, v[0:1]
	v_lshl_add_u64 v[24:25], v[0:1], 0, v[20:21]
	s_mov_b64 s[10:11], 0
	s_branch .LBB75_45
.LBB75_44:                              ;   in Loop: Header=BB75_45 Depth=2
	s_or_b64 exec, exec, s[12:13]
	v_lshl_add_u32 v28, v26, 12, v55
	;;#ASMSTART
	s_waitcnt vmcnt(3)
	;;#ASMEND
	ds_write2_b32 v28, v12, v13 offset1:32
	ds_write2_b32 v28, v14, v15 offset0:64 offset1:96
	v_add_u32_e32 v12, 0x400, v28
	;;#ASMSTART
	s_waitcnt vmcnt(2)
	;;#ASMEND
	ds_write2_b32 v12, v8, v9 offset1:32
	ds_write2_b32 v12, v10, v11 offset0:64 offset1:96
	v_add_u32_e32 v8, 0x800, v28
	;; [unrolled: 6-line block ×3, first 2 shown]
	v_add_u32_e32 v57, s25, v57
	;;#ASMSTART
	s_waitcnt vmcnt(0)
	;;#ASMEND
	ds_write2_b32 v4, v0, v1 offset1:32
	ds_write2_b32 v4, v2, v3 offset0:64 offset1:96
	v_add_u32_e32 v0, 1, v44
	v_add_u32_e32 v12, s25, v26
	v_cmp_le_i32_e32 vcc, s61, v57
	ds_write_b32 v27, v0
	v_add_u32_e32 v0, 2, v44
	s_or_b64 s[10:11], vcc, s[10:11]
	v_cmp_lt_i32_e32 vcc, 1, v12
	s_nop 1
	v_cndmask_b32_e32 v44, v44, v0, vcc
	s_andn2_b64 exec, exec, s[10:11]
	s_cbranch_execz .LBB75_4
.LBB75_45:                              ;   Parent Loop BB75_7 Depth=1
                                        ; =>  This Loop Header: Depth=2
                                        ;       Child Loop BB75_47 Depth 3
	v_cmp_gt_i32_e32 vcc, 2, v12
	s_nop 1
	v_cndmask_b32_e64 v0, -2, 0, vcc
	v_add_u32_e32 v26, v0, v12
	v_lshlrev_b32_e32 v0, 8, v57
	v_ashrrev_i32_e32 v1, 31, v0
	v_lshl_add_u64 v[0:1], v[24:25], 0, v[0:1]
	v_lshlrev_b32_e32 v27, 2, v26
	;;#ASMSTART
	global_load_dwordx4 v[12:15], v[0:1], off offset:0    
	global_load_dwordx4 v[8:11], v[0:1], off offset:64   
	global_load_dwordx4 v[4:7], v[0:1], off offset:128  
	global_load_dwordx4 v[0:3], v[0:1], off offset:192  
	
	;;#ASMEND
	ds_read_b32 v28, v27 offset:32768
	v_add_u32_e32 v27, 0x8000, v27
	s_waitcnt lgkmcnt(0)
	v_cmp_ne_u32_e32 vcc, v28, v44
	s_and_saveexec_b64 s[12:13], vcc
	s_cbranch_execz .LBB75_44
; %bb.46:                               ;   in Loop: Header=BB75_45 Depth=2
	s_mov_b64 s[14:15], 0
.LBB75_47:                              ;   Parent Loop BB75_7 Depth=1
                                        ;     Parent Loop BB75_45 Depth=2
                                        ; =>    This Inner Loop Header: Depth=3
	;;#ASMSTART
	s_sleep 0
	;;#ASMEND
	ds_read_b32 v28, v27
	s_waitcnt lgkmcnt(0)
	v_cmp_eq_u32_e32 vcc, v28, v44
	s_or_b64 s[14:15], vcc, s[14:15]
	s_andn2_b64 exec, exec, s[14:15]
	s_cbranch_execnz .LBB75_47
	s_branch .LBB75_44
.LBB75_48:
	s_endpgm
	.section	.rodata,"a",@progbits
	.p2align	6, 0x0
	.amdhsa_kernel _Z19_skinny_gemm_kernelILi1ELi3ELi2ELi16ELi8EEvPKhS1_P6__halfPKfiiiiiiii
		.amdhsa_group_segment_fixed_size 32800
		.amdhsa_private_segment_fixed_size 0
		.amdhsa_kernarg_size 64
		.amdhsa_user_sgpr_count 2
		.amdhsa_user_sgpr_dispatch_ptr 0
		.amdhsa_user_sgpr_queue_ptr 0
		.amdhsa_user_sgpr_kernarg_segment_ptr 1
		.amdhsa_user_sgpr_dispatch_id 0
		.amdhsa_user_sgpr_kernarg_preload_length 0
		.amdhsa_user_sgpr_kernarg_preload_offset 0
		.amdhsa_user_sgpr_private_segment_size 0
		.amdhsa_uses_dynamic_stack 0
		.amdhsa_enable_private_segment 0
		.amdhsa_system_sgpr_workgroup_id_x 1
		.amdhsa_system_sgpr_workgroup_id_y 0
		.amdhsa_system_sgpr_workgroup_id_z 0
		.amdhsa_system_sgpr_workgroup_info 0
		.amdhsa_system_vgpr_workitem_id 0
		.amdhsa_next_free_vgpr 65
		.amdhsa_next_free_sgpr 65
		.amdhsa_accum_offset 68
		.amdhsa_reserve_vcc 1
		.amdhsa_float_round_mode_32 0
		.amdhsa_float_round_mode_16_64 0
		.amdhsa_float_denorm_mode_32 3
		.amdhsa_float_denorm_mode_16_64 3
		.amdhsa_dx10_clamp 1
		.amdhsa_ieee_mode 1
		.amdhsa_fp16_overflow 0
		.amdhsa_tg_split 0
		.amdhsa_exception_fp_ieee_invalid_op 0
		.amdhsa_exception_fp_denorm_src 0
		.amdhsa_exception_fp_ieee_div_zero 0
		.amdhsa_exception_fp_ieee_overflow 0
		.amdhsa_exception_fp_ieee_underflow 0
		.amdhsa_exception_fp_ieee_inexact 0
		.amdhsa_exception_int_div_zero 0
	.end_amdhsa_kernel
	.section	.text._Z19_skinny_gemm_kernelILi1ELi3ELi2ELi16ELi8EEvPKhS1_P6__halfPKfiiiiiiii,"axG",@progbits,_Z19_skinny_gemm_kernelILi1ELi3ELi2ELi16ELi8EEvPKhS1_P6__halfPKfiiiiiiii,comdat
.Lfunc_end75:
	.size	_Z19_skinny_gemm_kernelILi1ELi3ELi2ELi16ELi8EEvPKhS1_P6__halfPKfiiiiiiii, .Lfunc_end75-_Z19_skinny_gemm_kernelILi1ELi3ELi2ELi16ELi8EEvPKhS1_P6__halfPKfiiiiiiii
                                        ; -- End function
	.set _Z19_skinny_gemm_kernelILi1ELi3ELi2ELi16ELi8EEvPKhS1_P6__halfPKfiiiiiiii.num_vgpr, 65
	.set _Z19_skinny_gemm_kernelILi1ELi3ELi2ELi16ELi8EEvPKhS1_P6__halfPKfiiiiiiii.num_agpr, 0
	.set _Z19_skinny_gemm_kernelILi1ELi3ELi2ELi16ELi8EEvPKhS1_P6__halfPKfiiiiiiii.numbered_sgpr, 65
	.set _Z19_skinny_gemm_kernelILi1ELi3ELi2ELi16ELi8EEvPKhS1_P6__halfPKfiiiiiiii.num_named_barrier, 0
	.set _Z19_skinny_gemm_kernelILi1ELi3ELi2ELi16ELi8EEvPKhS1_P6__halfPKfiiiiiiii.private_seg_size, 0
	.set _Z19_skinny_gemm_kernelILi1ELi3ELi2ELi16ELi8EEvPKhS1_P6__halfPKfiiiiiiii.uses_vcc, 1
	.set _Z19_skinny_gemm_kernelILi1ELi3ELi2ELi16ELi8EEvPKhS1_P6__halfPKfiiiiiiii.uses_flat_scratch, 0
	.set _Z19_skinny_gemm_kernelILi1ELi3ELi2ELi16ELi8EEvPKhS1_P6__halfPKfiiiiiiii.has_dyn_sized_stack, 0
	.set _Z19_skinny_gemm_kernelILi1ELi3ELi2ELi16ELi8EEvPKhS1_P6__halfPKfiiiiiiii.has_recursion, 0
	.set _Z19_skinny_gemm_kernelILi1ELi3ELi2ELi16ELi8EEvPKhS1_P6__halfPKfiiiiiiii.has_indirect_call, 0
	.section	.AMDGPU.csdata,"",@progbits
; Kernel info:
; codeLenInByte = 4168
; TotalNumSgprs: 71
; NumVgprs: 65
; NumAgprs: 0
; TotalNumVgprs: 65
; ScratchSize: 0
; MemoryBound: 0
; FloatMode: 240
; IeeeMode: 1
; LDSByteSize: 32800 bytes/workgroup (compile time only)
; SGPRBlocks: 8
; VGPRBlocks: 8
; NumSGPRsForWavesPerEU: 71
; NumVGPRsForWavesPerEU: 65
; AccumOffset: 68
; Occupancy: 7
; WaveLimiterHint : 0
; COMPUTE_PGM_RSRC2:SCRATCH_EN: 0
; COMPUTE_PGM_RSRC2:USER_SGPR: 2
; COMPUTE_PGM_RSRC2:TRAP_HANDLER: 0
; COMPUTE_PGM_RSRC2:TGID_X_EN: 1
; COMPUTE_PGM_RSRC2:TGID_Y_EN: 0
; COMPUTE_PGM_RSRC2:TGID_Z_EN: 0
; COMPUTE_PGM_RSRC2:TIDIG_COMP_CNT: 0
; COMPUTE_PGM_RSRC3_GFX90A:ACCUM_OFFSET: 16
; COMPUTE_PGM_RSRC3_GFX90A:TG_SPLIT: 0
	.section	.text._Z19_skinny_gemm_kernelILi1ELi3ELi2ELi32ELi4EEvPKhS1_P6__halfPKfiiiiiiii,"axG",@progbits,_Z19_skinny_gemm_kernelILi1ELi3ELi2ELi32ELi4EEvPKhS1_P6__halfPKfiiiiiiii,comdat
	.protected	_Z19_skinny_gemm_kernelILi1ELi3ELi2ELi32ELi4EEvPKhS1_P6__halfPKfiiiiiiii ; -- Begin function _Z19_skinny_gemm_kernelILi1ELi3ELi2ELi32ELi4EEvPKhS1_P6__halfPKfiiiiiiii
	.globl	_Z19_skinny_gemm_kernelILi1ELi3ELi2ELi32ELi4EEvPKhS1_P6__halfPKfiiiiiiii
	.p2align	8
	.type	_Z19_skinny_gemm_kernelILi1ELi3ELi2ELi32ELi4EEvPKhS1_P6__halfPKfiiiiiiii,@function
_Z19_skinny_gemm_kernelILi1ELi3ELi2ELi32ELi4EEvPKhS1_P6__halfPKfiiiiiiii: ; @_Z19_skinny_gemm_kernelILi1ELi3ELi2ELi32ELi4EEvPKhS1_P6__halfPKfiiiiiiii
; %bb.0:
	v_cmp_gt_u32_e32 vcc, 8, v0
	s_and_saveexec_b64 s[4:5], vcc
; %bb.1:
	v_lshlrev_b32_e32 v1, 2, v0
	v_mov_b32_e32 v2, 0
	ds_write_b32 v1, v2 offset:16384
; %bb.2:
	s_or_b64 exec, exec, s[4:5]
	s_load_dwordx8 s[88:95], s[0:1], 0x20
	s_waitcnt lgkmcnt(0)
	s_barrier
	s_add_i32 s3, s88, 31
	s_ashr_i32 s5, s3, 31
	s_add_i32 s4, s89, 0x5f
	s_lshr_b32 s5, s5, 27
	s_mul_hi_i32 s4, s4, 0x2aaaaaab
	s_add_i32 s3, s3, s5
	s_ashr_i32 s14, s3, 5
	s_lshr_b32 s3, s4, 31
	s_ashr_i32 s4, s4, 4
	s_add_i32 s15, s4, s3
	s_mul_i32 s3, s15, s14
	s_mul_i32 s3, s3, s92
	s_add_i32 s4, s3, 0x12f
	s_mul_hi_i32 s4, s4, 0x6bca1af3
	s_lshr_b32 s5, s4, 31
	s_ashr_i32 s4, s4, 7
	s_add_i32 s4, s4, s5
	s_add_i32 s5, s2, 1
	s_mul_i32 s5, s4, s5
	v_cvt_f64_i32_e32 v[2:3], s3
	v_cvt_f64_u32_e32 v[4:5], s5
	v_min_f64 v[2:3], v[2:3], v[4:5]
	v_cvt_i32_f64_e32 v62, v[2:3]
	s_mul_i32 s2, s4, s2
	v_cmp_ge_i32_e32 vcc, s2, v62
	s_cbranch_vccnz .LBB76_51
; %bb.3:
	s_load_dwordx8 s[16:23], s[0:1], 0x0
	v_lshrrev_b32_e32 v1, 6, v0
	s_add_i32 s0, s94, s93
	v_cmp_le_i32_e64 s[24:25], s0, v1
	v_mov_b32_e32 v2, s93
	v_cmp_le_i32_e64 s[26:27], s93, v1
	v_mov_b32_e32 v3, s94
	v_cndmask_b32_e64 v3, 0, v3, s[24:25]
	v_cndmask_b32_e64 v2, 0, v2, s[26:27]
	s_abs_i32 s1, s92
	v_add_u32_e32 v2, v2, v3
	v_cvt_f32_u32_e32 v3, s1
	v_sub_u32_e32 v56, v1, v2
	s_ashr_i32 s3, s90, 31
	s_lshr_b32 s3, s3, 26
	v_rcp_iflag_f32_e32 v2, v3
	s_sub_i32 s6, 0, s1
	s_add_i32 s3, s90, s3
	s_ashr_i32 s3, s3, 6
	v_mul_f32_e32 v2, 0x4f7ffffe, v2
	v_cvt_u32_f32_e32 v2, v2
	s_abs_i32 s5, s3
	s_xor_b32 s4, s3, s92
	s_ashr_i32 s4, s4, 31
	v_readfirstlane_b32 s7, v2
	s_mul_i32 s6, s6, s7
	s_mul_hi_u32 s6, s7, s6
	s_add_i32 s7, s7, s6
	s_mul_hi_u32 s6, s5, s7
	s_mul_i32 s7, s6, s1
	s_sub_i32 s5, s5, s7
	s_add_i32 s7, s6, 1
	s_sub_i32 s8, s5, s1
	s_cmp_ge_u32 s5, s1
	s_cselect_b32 s6, s7, s6
	s_cselect_b32 s5, s8, s5
	s_add_i32 s7, s6, 1
	s_cmp_ge_u32 s5, s1
	v_lshrrev_b32_e32 v2, 3, v0
	v_lshrrev_b32_e32 v7, 1, v0
	s_cselect_b32 s1, s7, s6
	s_add_i32 s0, s0, s95
	v_and_b32_e32 v64, 31, v0
	v_and_b32_e32 v3, 4, v2
	;; [unrolled: 1-line block ×3, first 2 shown]
	v_lshlrev_b32_e32 v7, 4, v0
	s_add_i32 s29, s92, -1
	v_cmp_gt_i32_e64 s[34:35], s0, v1
	v_lshlrev_b32_e32 v1, 2, v64
	v_lshlrev_b32_e32 v2, 6, v3
	v_and_b32_e32 v7, 0x200, v7
	s_abs_i32 s92, s14
                                        ; implicit-def: $vgpr95 : SGPR spill to VGPR lane
	v_or_b32_e32 v4, 0x3000, v1
	v_or_b32_e32 v66, v1, v2
	v_and_b32_e32 v5, 1, v0
	v_or_b32_e32 v77, v1, v7
	v_cvt_f32_u32_e32 v1, s92
	v_writelane_b32 v95, s14, 0
	v_or_b32_e32 v65, v4, v2
	v_lshlrev_b32_e32 v2, 1, v5
	v_writelane_b32 v95, s15, 1
	v_sub_u32_e32 v2, v0, v2
	s_waitcnt lgkmcnt(0)
	v_writelane_b32 v95, s16, 2
	v_add_u32_e32 v2, 1, v2
	v_and_b32_e32 v6, 63, v2
	v_writelane_b32 v95, s17, 3
	v_bitop3_b32 v67, v0, 1, v0 bitop3:0xc
	v_bitop3_b32 v68, v0, 3, 1 bitop3:0x6c
	;; [unrolled: 1-line block ×8, first 2 shown]
	v_and_b32_e32 v2, 30, v0
	v_bitop3_b32 v78, v0, 31, v0 bitop3:0xc
	v_rcp_iflag_f32_e32 v0, v1
	s_abs_i32 s96, s15
	v_writelane_b32 v95, s18, 4
	v_cvt_f32_u32_e32 v1, s96
	v_writelane_b32 v95, s19, 5
	v_writelane_b32 v95, s20, 6
	;; [unrolled: 1-line block ×3, first 2 shown]
	v_mul_f32_e32 v0, 0x4f7ffffe, v0
	v_writelane_b32 v95, s22, 8
	v_cvt_u32_f32_e32 v0, v0
	v_rcp_iflag_f32_e32 v1, v1
	v_writelane_b32 v95, s23, 9
	v_cndmask_b32_e64 v63, 0, 1, s[24:25]
	s_xor_b32 s1, s1, s4
	v_writelane_b32 v95, s24, 10
	s_sub_i32 s28, s1, s4
	s_mul_i32 s1, s28, s29
	v_writelane_b32 v95, s25, 11
	v_writelane_b32 v95, s26, 12
	s_sub_i32 s30, s3, s1
	v_readfirstlane_b32 s1, v0
	v_mul_f32_e32 v0, 0x4f7ffffe, v1
	v_writelane_b32 v95, s27, 13
	v_cvt_u32_f32_e32 v0, v0
	v_writelane_b32 v95, s28, 14
	s_sub_i32 s0, 0, s92
	v_writelane_b32 v95, s29, 15
	s_mul_i32 s0, s0, s1
	v_writelane_b32 v95, s30, 16
	s_mul_hi_u32 s0, s1, s0
	v_writelane_b32 v95, s34, 17
	s_ashr_i32 s31, s14, 31
	s_add_i32 s36, s1, s0
	s_sub_i32 s0, 0, s96
	v_readfirstlane_b32 s1, v0
	v_mbcnt_lo_u32_b32 v0, -1, 0
	v_writelane_b32 v95, s35, 18
	s_mul_i32 s0, s0, s1
	v_mbcnt_hi_u32_b32 v0, -1, v0
	v_writelane_b32 v95, s31, 19
	v_mov_b32_e32 v49, 0
	v_mul_lo_u32 v52, s91, v64
	v_or_b32_e32 v81, v5, v3
	s_ashr_i32 s37, s15, 31
	s_mul_hi_u32 s0, s1, s0
	v_and_or_b32 v0, v0, 64, v6
	v_writelane_b32 v95, s36, 20
	v_or_b32_e32 v75, 32, v64
	v_or_b32_e32 v76, 64, v64
	v_ashrrev_i32_e32 v53, 31, v52
	v_mov_b32_e32 v51, v49
	s_lshl_b32 s33, s91, 5
	v_mul_lo_u32 v79, s90, v64
	v_or_b32_e32 v80, v4, v7
	v_or_b32_e32 v82, 2, v81
	s_add_i32 s38, s1, s0
	v_lshlrev_b32_e32 v48, 1, v2
	v_lshlrev_b32_e32 v83, 2, v0
	v_mov_b32_e32 v84, v56
	v_writelane_b32 v95, s37, 21
	v_writelane_b32 v95, s38, 22
	s_branch .LBB76_7
.LBB76_4:                               ;   in Loop: Header=BB76_7 Depth=1
	s_or_b64 exec, exec, s[6:7]
.LBB76_5:                               ;   in Loop: Header=BB76_7 Depth=1
	s_or_b64 exec, exec, s[4:5]
	v_subrev_u32_e32 v84, s97, v84
.LBB76_6:                               ;   in Loop: Header=BB76_7 Depth=1
	s_or_b64 exec, exec, s[0:1]
	s_add_i32 s2, s2, 1
	v_cmp_ge_i32_e32 vcc, s2, v62
	s_cbranch_vccnz .LBB76_51
.LBB76_7:                               ; =>This Loop Header: Depth=1
                                        ;     Child Loop BB76_13 Depth 2
                                        ;       Child Loop BB76_15 Depth 3
                                        ;       Child Loop BB76_18 Depth 3
	;; [unrolled: 1-line block ×4, first 2 shown]
                                        ;     Child Loop BB76_29 Depth 2
                                        ;     Child Loop BB76_38 Depth 2
                                        ;       Child Loop BB76_40 Depth 3
                                        ;     Child Loop BB76_48 Depth 2
                                        ;       Child Loop BB76_50 Depth 3
	s_abs_i32 s1, s2
	s_mul_hi_u32 s3, s1, s36
	s_mul_i32 s4, s3, s92
	s_ashr_i32 s0, s2, 31
	s_sub_i32 s1, s1, s4
	s_xor_b32 s0, s0, s31
	s_add_i32 s4, s3, 1
	s_sub_i32 s5, s1, s92
	s_cmp_ge_u32 s1, s92
	s_cselect_b32 s3, s4, s3
	s_cselect_b32 s1, s5, s1
	s_add_i32 s4, s3, 1
	s_cmp_ge_u32 s1, s92
	s_cselect_b32 s1, s4, s3
	s_xor_b32 s1, s1, s0
	s_sub_i32 s0, s1, s0
	s_abs_i32 s4, s0
	s_mul_i32 s1, s0, s14
	s_mul_hi_u32 s5, s4, s38
	s_sub_i32 s1, s2, s1
	s_mul_i32 s6, s5, s96
	s_lshl_b32 s3, s1, 5
	s_ashr_i32 s1, s0, 31
	s_sub_i32 s4, s4, s6
	s_xor_b32 s1, s1, s37
	s_add_i32 s6, s5, 1
	s_sub_i32 s7, s4, s96
	s_cmp_ge_u32 s4, s96
	s_cselect_b32 s5, s6, s5
	s_cselect_b32 s4, s7, s4
	s_add_i32 s6, s5, 1
	s_cmp_ge_u32 s4, s96
	s_cselect_b32 s4, s6, s5
	s_xor_b32 s4, s4, s1
	s_sub_i32 s1, s4, s1
	s_mul_i32 s4, s1, s28
	s_lshl_b32 s39, s4, 6
	s_cmp_eq_u32 s1, s29
	s_cselect_b32 s97, s30, s28
	s_sub_i32 s4, s3, s88
	s_add_i32 s71, s4, 32
	s_and_saveexec_b64 s[4:5], s[26:27]
	s_xor_b64 s[98:99], exec, s[4:5]
	s_cbranch_execz .LBB76_44
; %bb.8:                                ;   in Loop: Header=BB76_7 Depth=1
	s_mul_i32 s1, s1, s15
	s_sub_i32 s0, s0, s1
	s_mulk_i32 s0, 0x60
	s_sub_i32 s70, s0, s89
	s_addk_i32 s70, 0x60
	s_max_i32 s1, s70, 0
	s_sub_i32 s4, s0, s1
	s_and_saveexec_b64 s[0:1], s[24:25]
	s_xor_b64 s[0:1], exec, s[0:1]
	s_cbranch_execz .LBB76_34
; %bb.9:                                ;   in Loop: Header=BB76_7 Depth=1
	s_and_saveexec_b64 s[8:9], s[34:35]
	s_cbranch_execz .LBB76_33
; %bb.10:                               ;   in Loop: Header=BB76_7 Depth=1
	global_load_dword v85, v49, s[22:23]
	v_mov_b32_e32 v47, 0
	v_writelane_b32 v95, s8, 23
	v_cmp_gt_i32_e32 vcc, s97, v84
	v_mov_b32_e32 v46, v47
	v_mov_b32_e32 v45, v47
	;; [unrolled: 1-line block ×47, first 2 shown]
	v_writelane_b32 v95, s9, 24
	s_and_saveexec_b64 s[6:7], vcc
	s_cbranch_execz .LBB76_26
; %bb.11:                               ;   in Loop: Header=BB76_7 Depth=1
	v_mov_b32_e32 v0, 0
	s_mov_b64 s[8:9], 0
	v_mov_b32_e32 v1, v0
	v_mov_b32_e32 v2, v0
	;; [unrolled: 1-line block ×47, first 2 shown]
	s_branch .LBB76_13
.LBB76_12:                              ;   in Loop: Header=BB76_13 Depth=2
	s_or_b64 exec, exec, s[10:11]
	v_add_u32_e32 v92, 0x1000, v89
	ds_read2_b32 v[90:91], v92 offset1:32
	v_add_u32_e32 v84, s95, v84
	s_waitcnt lgkmcnt(0)
	v_mfma_f32_32x32x16_fp8_fp8 v[0:15], v[60:61], v[90:91], v[0:15]
	ds_read2_b32 v[60:61], v92 offset0:128 offset1:160
	s_waitcnt lgkmcnt(0)
	v_mfma_f32_32x32x16_fp8_fp8 v[0:15], v[58:59], v[60:61], v[0:15]
	v_add_u32_e32 v60, 0x1400, v89
	ds_read2_b32 v[58:59], v60 offset1:32
	ds_read2_b32 v[60:61], v60 offset0:128 offset1:160
	ds_write_b32 v87, v88 offset:16404
	s_waitcnt lgkmcnt(2)
	v_mfma_f32_32x32x16_fp8_fp8 v[0:15], v[56:57], v[58:59], v[0:15]
	v_add_u32_e32 v56, s95, v86
	v_add_u32_e32 v57, 2, v63
	v_cmp_lt_i32_e32 vcc, 1, v56
	s_nop 1
	v_cndmask_b32_e32 v63, v63, v57, vcc
	v_cmp_le_i32_e32 vcc, s97, v84
	s_waitcnt lgkmcnt(1)
	v_mfma_f32_32x32x16_fp8_fp8 v[0:15], v[54:55], v[60:61], v[0:15]
	s_or_b64 s[8:9], vcc, s[8:9]
	s_andn2_b64 exec, exec, s[8:9]
	s_cbranch_execz .LBB76_25
.LBB76_13:                              ;   Parent Loop BB76_7 Depth=1
                                        ; =>  This Loop Header: Depth=2
                                        ;       Child Loop BB76_15 Depth 3
                                        ;       Child Loop BB76_18 Depth 3
	;; [unrolled: 1-line block ×4, first 2 shown]
	v_cmp_gt_i32_e32 vcc, 2, v56
	s_nop 1
	v_cndmask_b32_e64 v54, -2, 0, vcc
	v_add_u32_e32 v86, v54, v56
	v_mul_lo_u32 v87, v86, 24
	ds_read_b32 v54, v87 offset:16384
	s_waitcnt lgkmcnt(0)
	v_cmp_ne_u32_e32 vcc, v54, v63
	s_and_saveexec_b64 s[10:11], vcc
	s_cbranch_execz .LBB76_16
; %bb.14:                               ;   in Loop: Header=BB76_13 Depth=2
	s_mov_b64 s[12:13], 0
.LBB76_15:                              ;   Parent Loop BB76_7 Depth=1
                                        ;     Parent Loop BB76_13 Depth=2
                                        ; =>    This Inner Loop Header: Depth=3
	;;#ASMSTART
	s_sleep 0
	;;#ASMEND
	ds_read_b32 v54, v87 offset:16384
	s_waitcnt lgkmcnt(0)
	v_cmp_eq_u32_e32 vcc, v54, v63
	s_or_b64 s[12:13], vcc, s[12:13]
	s_andn2_b64 exec, exec, s[12:13]
	s_cbranch_execnz .LBB76_15
.LBB76_16:                              ;   in Loop: Header=BB76_13 Depth=2
	s_or_b64 exec, exec, s[10:11]
	v_lshl_add_u32 v54, v86, 11, v65
	ds_read2_b32 v[60:61], v54 offset1:32
	ds_read2_b32 v[58:59], v54 offset0:128 offset1:160
	v_add_u32_e32 v54, 0x400, v54
	ds_read2_b32 v[56:57], v54 offset1:32
	ds_read_b32 v89, v87 offset:16388
	ds_read2_b32 v[54:55], v54 offset0:128 offset1:160
	v_add_u32_e32 v88, 1, v63
	ds_write_b32 v87, v88 offset:16384
	s_waitcnt lgkmcnt(2)
	v_cmp_ne_u32_e32 vcc, v89, v63
	s_and_saveexec_b64 s[10:11], vcc
	s_cbranch_execz .LBB76_19
; %bb.17:                               ;   in Loop: Header=BB76_13 Depth=2
	s_mov_b64 s[12:13], 0
.LBB76_18:                              ;   Parent Loop BB76_7 Depth=1
                                        ;     Parent Loop BB76_13 Depth=2
                                        ; =>    This Inner Loop Header: Depth=3
	;;#ASMSTART
	s_sleep 0
	;;#ASMEND
	ds_read_b32 v89, v87 offset:16388
	s_waitcnt lgkmcnt(0)
	v_cmp_eq_u32_e32 vcc, v89, v63
	s_or_b64 s[12:13], vcc, s[12:13]
	s_andn2_b64 exec, exec, s[12:13]
	s_cbranch_execnz .LBB76_18
.LBB76_19:                              ;   in Loop: Header=BB76_13 Depth=2
	s_or_b64 exec, exec, s[10:11]
	s_movk_i32 s5, 0x1800
	v_mul_lo_u32 v89, v86, s5
	v_or_b32_e32 v92, v66, v89
	ds_read2_b32 v[90:91], v92 offset1:32
	ds_write_b32 v87, v88 offset:16388
	s_waitcnt lgkmcnt(1)
	v_mfma_f32_32x32x16_fp8_fp8 v[32:47], v[60:61], v[90:91], v[32:47]
	ds_read2_b32 v[90:91], v92 offset0:128 offset1:160
	v_add_u32_e32 v92, 0x400, v92
	s_waitcnt lgkmcnt(0)
	v_mfma_f32_32x32x16_fp8_fp8 v[32:47], v[58:59], v[90:91], v[32:47]
	ds_read2_b32 v[90:91], v92 offset1:32
	s_waitcnt lgkmcnt(0)
	v_mfma_f32_32x32x16_fp8_fp8 v[32:47], v[56:57], v[90:91], v[32:47]
	ds_read2_b32 v[90:91], v92 offset0:128 offset1:160
	ds_read_b32 v92, v87 offset:16396
	s_waitcnt lgkmcnt(0)
	v_cmp_ne_u32_e32 vcc, v92, v63
	v_mfma_f32_32x32x16_fp8_fp8 v[32:47], v[54:55], v[90:91], v[32:47]
	s_and_saveexec_b64 s[10:11], vcc
	s_cbranch_execz .LBB76_22
; %bb.20:                               ;   in Loop: Header=BB76_13 Depth=2
	s_mov_b64 s[12:13], 0
.LBB76_21:                              ;   Parent Loop BB76_7 Depth=1
                                        ;     Parent Loop BB76_13 Depth=2
                                        ; =>    This Inner Loop Header: Depth=3
	;;#ASMSTART
	s_sleep 0
	;;#ASMEND
	ds_read_b32 v90, v87 offset:16396
	s_waitcnt lgkmcnt(0)
	v_cmp_eq_u32_e32 vcc, v90, v63
	s_or_b64 s[12:13], vcc, s[12:13]
	s_andn2_b64 exec, exec, s[12:13]
	s_cbranch_execnz .LBB76_21
.LBB76_22:                              ;   in Loop: Header=BB76_13 Depth=2
	s_or_b64 exec, exec, s[10:11]
	v_add_u32_e32 v89, v66, v89
	v_add_u32_e32 v92, 0x800, v89
	ds_read2_b32 v[90:91], v92 offset1:32
	ds_write_b32 v87, v88 offset:16396
	s_waitcnt lgkmcnt(1)
	v_mfma_f32_32x32x16_fp8_fp8 v[16:31], v[60:61], v[90:91], v[16:31]
	ds_read2_b32 v[90:91], v92 offset0:128 offset1:160
	v_add_u32_e32 v92, 0xc00, v89
	s_waitcnt lgkmcnt(0)
	v_mfma_f32_32x32x16_fp8_fp8 v[16:31], v[58:59], v[90:91], v[16:31]
	ds_read2_b32 v[90:91], v92 offset1:32
	s_waitcnt lgkmcnt(0)
	v_mfma_f32_32x32x16_fp8_fp8 v[16:31], v[56:57], v[90:91], v[16:31]
	ds_read2_b32 v[90:91], v92 offset0:128 offset1:160
	ds_read_b32 v92, v87 offset:16404
	s_waitcnt lgkmcnt(0)
	v_cmp_ne_u32_e32 vcc, v92, v63
	v_mfma_f32_32x32x16_fp8_fp8 v[16:31], v[54:55], v[90:91], v[16:31]
	s_and_saveexec_b64 s[10:11], vcc
	s_cbranch_execz .LBB76_12
; %bb.23:                               ;   in Loop: Header=BB76_13 Depth=2
	s_mov_b64 s[12:13], 0
.LBB76_24:                              ;   Parent Loop BB76_7 Depth=1
                                        ;     Parent Loop BB76_13 Depth=2
                                        ; =>    This Inner Loop Header: Depth=3
	;;#ASMSTART
	s_sleep 0
	;;#ASMEND
	ds_read_b32 v90, v87 offset:16404
	s_waitcnt lgkmcnt(0)
	v_cmp_eq_u32_e32 vcc, v90, v63
	s_or_b64 s[12:13], vcc, s[12:13]
	s_andn2_b64 exec, exec, s[12:13]
	s_cbranch_execnz .LBB76_24
	s_branch .LBB76_12
.LBB76_25:                              ;   in Loop: Header=BB76_7 Depth=1
	s_or_b64 exec, exec, s[8:9]
.LBB76_26:                              ;   in Loop: Header=BB76_7 Depth=1
	v_writelane_b32 v95, s71, 25
	v_writelane_b32 v95, s39, 26
	s_or_b64 exec, exec, s[6:7]
	v_cmp_le_i32_e32 vcc, s70, v64
	v_cmp_eq_u32_e64 s[60:61], 1, v67
	v_cmp_eq_u32_e64 s[28:29], 2, v67
	s_waitcnt vmcnt(0)
	v_cndmask_b32_e32 v54, 0, v85, vcc
	v_pk_mul_f32 v[32:33], v[54:55], v[32:33] op_sel_hi:[0,1]
	v_pk_mul_f32 v[46:47], v[54:55], v[46:47] op_sel_hi:[0,1]
	;; [unrolled: 1-line block ×8, first 2 shown]
	v_cndmask_b32_e64 v54, v32, v33, s[60:61]
	v_cndmask_b32_e64 v54, v54, v34, s[28:29]
	v_cmp_eq_u32_e64 s[40:41], 3, v67
	v_cmp_eq_u32_e64 s[42:43], 4, v67
	v_cmp_eq_u32_e64 s[44:45], 5, v67
	v_cndmask_b32_e64 v54, v54, v35, s[40:41]
	v_cndmask_b32_e64 v54, v54, v36, s[42:43]
	v_cndmask_b32_e64 v54, v54, v37, s[44:45]
	v_cmp_eq_u32_e64 s[46:47], 6, v67
	v_cmp_eq_u32_e64 s[48:49], 7, v67
	v_cmp_eq_u32_e64 s[50:51], 8, v67
	v_cndmask_b32_e64 v54, v54, v38, s[46:47]
	;; [unrolled: 6-line block ×4, first 2 shown]
	v_cndmask_b32_e64 v54, v54, v45, s[62:63]
	v_cndmask_b32_e64 v54, v54, v46, s[64:65]
	v_cmp_eq_u32_e64 s[66:67], 15, v67
	s_mul_i32 s6, s3, s89
	s_ashr_i32 s7, s6, 31
	v_cndmask_b32_e64 v54, v54, v47, s[66:67]
	ds_bpermute_b32 v54, v83, v54
	s_lshl_b64 s[6:7], s[6:7], 1
	v_cmp_eq_u32_e64 s[36:37], 0, v67
	s_add_u32 s71, s20, s6
	v_cmp_eq_u32_e32 vcc, 1, v68
	s_waitcnt lgkmcnt(0)
	v_cndmask_b32_e64 v47, v47, v54, s[66:67]
	v_cndmask_b32_e64 v46, v46, v54, s[64:65]
	;; [unrolled: 1-line block ×16, first 2 shown]
	s_addc_u32 s72, s21, s7
	v_cndmask_b32_e32 v32, v54, v33, vcc
	v_cmp_eq_u32_e64 s[6:7], 2, v68
	v_cmp_eq_u32_e64 s[8:9], 3, v68
	v_cmp_eq_u32_e64 s[10:11], 4, v68
	v_cndmask_b32_e64 v32, v32, v87, s[6:7]
	v_cndmask_b32_e64 v32, v32, v86, s[8:9]
	v_cndmask_b32_e64 v32, v32, v61, s[10:11]
	v_cmp_eq_u32_e64 s[12:13], 5, v68
	v_cmp_eq_u32_e64 s[14:15], 6, v68
	v_cmp_eq_u32_e64 s[16:17], 7, v68
	v_cndmask_b32_e64 v32, v32, v60, s[12:13]
	v_cndmask_b32_e64 v32, v32, v59, s[14:15]
	v_cndmask_b32_e64 v32, v32, v58, s[16:17]
	;; [unrolled: 6-line block ×4, first 2 shown]
	v_cmp_eq_u32_e64 s[34:35], 14, v68
	v_cmp_eq_u32_e64 s[38:39], 15, v68
	s_ashr_i32 s5, s4, 31
	v_cndmask_b32_e64 v32, v32, v46, s[34:35]
	v_cndmask_b32_e64 v32, v32, v47, s[38:39]
	s_lshl_b64 s[68:69], s[4:5], 1
	ds_bpermute_b32 v55, v83, v32
	s_add_u32 s68, s71, s68
	s_addc_u32 s69, s72, s69
	v_writelane_b32 v95, s68, 27
	v_cmp_eq_u32_e64 s[72:73], 11, v69
	s_waitcnt lgkmcnt(0)
	v_cndmask_b32_e64 v39, v42, v55, s[22:23]
	v_writelane_b32 v95, s69, 28
	v_cmp_le_i32_e64 s[68:69], s70, v75
	v_cndmask_b32_e64 v42, v58, v55, s[16:17]
	v_cndmask_b32_e32 v33, v33, v55, vcc
	v_cndmask_b32_e64 v32, 0, v85, s[68:69]
	v_cmp_le_i32_e64 s[68:69], s70, v76
	v_pk_mul_f32 v[16:17], v[32:33], v[16:17] op_sel_hi:[0,1]
	v_cndmask_b32_e64 v34, v47, v55, s[38:39]
	v_cndmask_b32_e64 v58, 0, v85, s[68:69]
	v_cmp_eq_u32_e64 s[68:69], 0, v68
	v_pk_mul_f32 v[0:1], v[58:59], v[0:1] op_sel_hi:[0,1]
	v_cndmask_b32_e64 v35, v46, v55, s[34:35]
	v_cndmask_b32_e64 v36, v45, v55, s[30:31]
	;; [unrolled: 1-line block ×12, first 2 shown]
	v_pk_mul_f32 v[30:31], v[32:33], v[30:31] op_sel_hi:[0,1]
	v_pk_mul_f32 v[28:29], v[32:33], v[28:29] op_sel_hi:[0,1]
	;; [unrolled: 1-line block ×7, first 2 shown]
	v_cndmask_b32_e64 v32, v16, v17, s[60:61]
	v_pk_mul_f32 v[54:55], v[58:59], v[4:5] op_sel_hi:[0,1]
	v_pk_mul_f32 v[2:3], v[58:59], v[2:3] op_sel_hi:[0,1]
	v_cndmask_b32_e64 v4, v0, v1, s[60:61]
	v_cndmask_b32_e64 v32, v32, v18, s[28:29]
	;; [unrolled: 1-line block ×8, first 2 shown]
	v_pk_mul_f32 v[6:7], v[58:59], v[6:7] op_sel_hi:[0,1]
	v_cndmask_b32_e64 v4, v4, v55, s[44:45]
	v_cndmask_b32_e64 v32, v32, v22, s[46:47]
	v_cndmask_b32_e64 v4, v4, v6, s[46:47]
	v_cndmask_b32_e64 v32, v32, v23, s[48:49]
	v_pk_mul_f32 v[8:9], v[58:59], v[8:9] op_sel_hi:[0,1]
	v_cndmask_b32_e64 v4, v4, v7, s[48:49]
	v_cndmask_b32_e64 v32, v32, v24, s[50:51]
	v_cndmask_b32_e64 v4, v4, v8, s[50:51]
	v_cndmask_b32_e64 v32, v32, v25, s[52:53]
	;; [unrolled: 5-line block ×5, first 2 shown]
	v_cndmask_b32_e64 v4, v4, v15, s[66:67]
	ds_bpermute_b32 v32, v83, v32
	ds_bpermute_b32 v5, v83, v4
	v_cmp_eq_u32_e64 s[70:71], 10, v69
	v_cmp_eq_u32_e64 s[76:77], 13, v69
	;; [unrolled: 1-line block ×3, first 2 shown]
	s_waitcnt lgkmcnt(1)
	v_cndmask_b32_e64 v4, v17, v32, s[60:61]
	v_cmp_eq_u32_e64 s[60:61], 1, v69
	v_cndmask_b32_e64 v18, v18, v32, s[28:29]
	s_waitcnt lgkmcnt(0)
	v_cndmask_b32_e64 v2, v2, v5, s[28:29]
	v_cmp_ne_u32_e64 s[28:29], 0, v67
	v_cndmask_b32_e64 v17, v57, v33, s[60:61]
	v_cndmask_b32_e64 v31, v31, v32, s[66:67]
	;; [unrolled: 1-line block ×3, first 2 shown]
	v_cmp_eq_u32_e64 s[66:67], 2, v69
	v_cndmask_b32_e64 v1, v1, v5, s[28:29]
	v_cndmask_b32_e64 v16, v16, v32, s[36:37]
	;; [unrolled: 1-line block ×6, first 2 shown]
	v_cmp_eq_u32_e64 s[64:65], 3, v69
	v_cndmask_b32_e64 v29, v29, v32, s[62:63]
	v_cndmask_b32_e64 v13, v13, v5, s[62:63]
	;; [unrolled: 1-line block ×22, first 2 shown]
	v_cndmask_b32_e32 v32, v16, v4, vcc
	v_cndmask_b32_e32 v5, v0, v1, vcc
	v_cndmask_b32_e64 v17, v17, v46, s[64:65]
	v_cmp_eq_u32_e64 s[62:63], 4, v69
	v_cndmask_b32_e64 v32, v32, v18, s[6:7]
	v_cndmask_b32_e64 v5, v5, v2, s[6:7]
	v_cndmask_b32_e64 v17, v17, v45, s[62:63]
	v_cmp_eq_u32_e64 s[58:59], 5, v69
	v_cndmask_b32_e64 v32, v32, v19, s[8:9]
	v_cndmask_b32_e64 v5, v5, v3, s[8:9]
	;; [unrolled: 4-line block ×6, first 2 shown]
	v_cndmask_b32_e64 v17, v17, v40, s[50:51]
	v_cndmask_b32_e64 v32, v32, v24, s[18:19]
	;; [unrolled: 1-line block ×7, first 2 shown]
	v_cmp_eq_u32_e64 s[44:45], 12, v69
	v_cndmask_b32_e64 v32, v32, v26, s[22:23]
	v_cndmask_b32_e64 v5, v5, v10, s[22:23]
	;; [unrolled: 1-line block ×6, first 2 shown]
	v_cmp_eq_u32_e64 s[40:41], 14, v69
	v_cndmask_b32_e64 v32, v32, v28, s[26:27]
	v_cndmask_b32_e64 v5, v5, v12, s[26:27]
	;; [unrolled: 1-line block ×8, first 2 shown]
	ds_bpermute_b32 v17, v83, v17
	v_cndmask_b32_e64 v32, v32, v31, s[38:39]
	v_cndmask_b32_e64 v5, v5, v15, s[38:39]
	ds_bpermute_b32 v32, v83, v32
	ds_bpermute_b32 v5, v83, v5
	v_cmp_eq_u32_e64 s[42:43], 0, v69
	s_waitcnt lgkmcnt(2)
	v_cndmask_b32_e64 v34, v34, v17, s[78:79]
	v_cndmask_b32_e64 v35, v35, v17, s[40:41]
	;; [unrolled: 1-line block ×16, first 2 shown]
	v_cmp_eq_u32_e64 s[28:29], 1, v70
	s_waitcnt lgkmcnt(1)
	v_cndmask_b32_e64 v30, v30, v32, s[34:35]
	s_waitcnt lgkmcnt(0)
	v_cndmask_b32_e64 v14, v14, v5, s[34:35]
	v_cndmask_b32_e64 v57, v17, v33, s[28:29]
	v_cmp_eq_u32_e64 s[34:35], 2, v70
	v_cndmask_b32_e32 v1, v1, v5, vcc
	v_cndmask_b32_e64 v0, v0, v5, s[68:69]
	v_cndmask_b32_e64 v15, v15, v5, s[38:39]
	;; [unrolled: 1-line block ×5, first 2 shown]
	v_cmp_eq_u32_e64 s[30:31], 3, v70
	v_cndmask_b32_e64 v12, v12, v5, s[26:27]
	v_cndmask_b32_e64 v11, v11, v5, s[24:25]
	;; [unrolled: 1-line block ×11, first 2 shown]
	v_cndmask_b32_e32 v4, v4, v32, vcc
	v_cndmask_b32_e64 v16, v16, v32, s[68:69]
	v_cndmask_b32_e64 v5, v0, v1, s[60:61]
	;; [unrolled: 1-line block ×5, first 2 shown]
	v_cmp_eq_u32_e64 s[26:27], 4, v70
	v_cndmask_b32_e64 v27, v27, v32, s[24:25]
	v_cndmask_b32_e64 v26, v26, v32, s[22:23]
	;; [unrolled: 1-line block ×13, first 2 shown]
	v_cmp_eq_u32_e64 s[24:25], 5, v70
	v_cndmask_b32_e64 v32, v32, v18, s[66:67]
	v_cndmask_b32_e64 v5, v5, v3, s[64:65]
	v_cndmask_b32_e64 v57, v57, v44, s[24:25]
	v_cmp_eq_u32_e64 s[22:23], 6, v70
	v_cndmask_b32_e64 v32, v32, v19, s[64:65]
	v_cndmask_b32_e64 v5, v5, v54, s[62:63]
	v_cndmask_b32_e64 v57, v57, v43, s[22:23]
	;; [unrolled: 4-line block ×11, first 2 shown]
	v_cndmask_b32_e64 v32, v32, v29, s[76:77]
	v_cndmask_b32_e64 v5, v5, v14, s[40:41]
	ds_bpermute_b32 v57, v83, v57
	v_cndmask_b32_e64 v32, v32, v30, s[40:41]
	v_cndmask_b32_e64 v5, v5, v15, s[78:79]
	;; [unrolled: 1-line block ×3, first 2 shown]
	ds_bpermute_b32 v5, v83, v5
	ds_bpermute_b32 v32, v83, v32
	v_cmp_eq_u32_e64 s[14:15], 0, v70
	s_waitcnt lgkmcnt(2)
	v_cndmask_b32_e64 v33, v33, v57, s[28:29]
	v_cmp_eq_u32_e64 s[10:11], 1, v71
	v_cndmask_b32_e64 v17, v17, v57, s[14:15]
	v_cndmask_b32_e64 v34, v34, v57, s[84:85]
	;; [unrolled: 1-line block ×16, first 2 shown]
	v_cmp_eq_u32_e64 s[12:13], 2, v71
	s_waitcnt lgkmcnt(1)
	v_cndmask_b32_e64 v1, v1, v5, s[60:61]
	v_cndmask_b32_e64 v0, v0, v5, s[42:43]
	;; [unrolled: 1-line block ×6, first 2 shown]
	v_cmp_eq_u32_e64 s[20:21], 3, v71
	v_cndmask_b32_e64 v12, v12, v5, s[44:45]
	v_cndmask_b32_e64 v11, v11, v5, s[72:73]
	;; [unrolled: 1-line block ×11, first 2 shown]
	s_waitcnt lgkmcnt(0)
	v_cndmask_b32_e64 v4, v4, v32, s[60:61]
	v_cndmask_b32_e64 v16, v16, v32, s[42:43]
	;; [unrolled: 1-line block ×8, first 2 shown]
	v_cmp_eq_u32_e64 s[36:37], 4, v71
	v_cndmask_b32_e64 v27, v27, v32, s[72:73]
	v_cndmask_b32_e64 v26, v26, v32, s[70:71]
	;; [unrolled: 1-line block ×13, first 2 shown]
	v_cmp_eq_u32_e64 s[40:41], 5, v71
	v_cndmask_b32_e64 v32, v32, v18, s[34:35]
	v_cndmask_b32_e64 v5, v5, v3, s[30:31]
	v_cndmask_b32_e64 v57, v57, v44, s[40:41]
	v_cmp_eq_u32_e64 s[44:45], 6, v71
	v_cndmask_b32_e64 v32, v32, v19, s[30:31]
	v_cndmask_b32_e64 v5, v5, v54, s[26:27]
	v_cndmask_b32_e64 v57, v57, v43, s[44:45]
	;; [unrolled: 4-line block ×11, first 2 shown]
	v_cndmask_b32_e64 v32, v32, v29, s[8:9]
	v_cndmask_b32_e64 v5, v5, v14, s[80:81]
	ds_bpermute_b32 v57, v83, v57
	v_cndmask_b32_e64 v32, v32, v30, s[80:81]
	v_cndmask_b32_e64 v5, v5, v15, s[84:85]
	;; [unrolled: 1-line block ×3, first 2 shown]
	ds_bpermute_b32 v5, v83, v5
	ds_bpermute_b32 v32, v83, v32
	v_cmp_eq_u32_e64 s[58:59], 0, v71
	s_waitcnt lgkmcnt(2)
	v_cndmask_b32_e64 v33, v33, v57, s[10:11]
	v_cmp_eq_u32_e32 vcc, 1, v72
	v_cndmask_b32_e64 v17, v17, v57, s[58:59]
	v_cndmask_b32_e64 v34, v34, v57, s[86:87]
	;; [unrolled: 1-line block ×15, first 2 shown]
	v_cndmask_b32_e32 v57, v17, v33, vcc
	v_cmp_eq_u32_e64 s[6:7], 2, v72
	s_waitcnt lgkmcnt(1)
	v_cndmask_b32_e64 v1, v1, v5, s[28:29]
	v_cndmask_b32_e64 v0, v0, v5, s[14:15]
	;; [unrolled: 1-line block ×5, first 2 shown]
	s_waitcnt lgkmcnt(0)
	v_cndmask_b32_e64 v29, v29, v32, s[8:9]
	v_cndmask_b32_e64 v13, v13, v5, s[8:9]
	v_cmp_eq_u32_e64 s[8:9], 3, v72
	v_cndmask_b32_e64 v12, v12, v5, s[38:39]
	v_cndmask_b32_e64 v11, v11, v5, s[74:75]
	;; [unrolled: 1-line block ×14, first 2 shown]
	v_cmp_eq_u32_e64 s[38:39], 4, v72
	v_cndmask_b32_e64 v4, v4, v32, s[28:29]
	v_cndmask_b32_e64 v16, v16, v32, s[14:15]
	v_cndmask_b32_e64 v5, v5, v2, s[12:13]
	v_cndmask_b32_e64 v31, v31, v32, s[84:85]
	v_cndmask_b32_e64 v30, v30, v32, s[80:81]
	v_cndmask_b32_e64 v57, v57, v45, s[38:39]
	v_cndmask_b32_e64 v27, v27, v32, s[74:75]
	v_cmp_eq_u32_e64 s[42:43], 5, v72
	v_cndmask_b32_e64 v26, v26, v32, s[46:47]
	v_cndmask_b32_e64 v25, v25, v32, s[16:17]
	;; [unrolled: 1-line block ×12, first 2 shown]
	v_cmp_eq_u32_e64 s[46:47], 6, v72
	v_cndmask_b32_e64 v32, v32, v18, s[12:13]
	v_cndmask_b32_e64 v5, v5, v54, s[36:37]
	v_cndmask_b32_e64 v57, v57, v43, s[46:47]
	v_cmp_eq_u32_e64 s[52:53], 7, v72
	v_cndmask_b32_e64 v32, v32, v19, s[20:21]
	v_cndmask_b32_e64 v5, v5, v55, s[40:41]
	v_cndmask_b32_e64 v57, v57, v42, s[52:53]
	;; [unrolled: 4-line block ×10, first 2 shown]
	v_cndmask_b32_e64 v32, v32, v28, s[78:79]
	v_cndmask_b32_e64 v5, v5, v14, s[82:83]
	ds_bpermute_b32 v57, v83, v57
	v_cndmask_b32_e64 v32, v32, v29, s[64:65]
	v_cndmask_b32_e64 v5, v5, v15, s[86:87]
	;; [unrolled: 1-line block ×3, first 2 shown]
	ds_bpermute_b32 v5, v83, v5
	v_cndmask_b32_e64 v32, v32, v31, s[86:87]
	ds_bpermute_b32 v32, v83, v32
	v_cmp_eq_u32_e64 s[48:49], 0, v72
	s_waitcnt lgkmcnt(2)
	v_cndmask_b32_e32 v33, v33, v57, vcc
	v_cmp_eq_u32_e64 s[14:15], 1, v73
	v_cndmask_b32_e64 v17, v17, v57, s[48:49]
	v_cndmask_b32_e64 v34, v34, v57, s[84:85]
	;; [unrolled: 1-line block ×15, first 2 shown]
	s_waitcnt lgkmcnt(1)
	v_cndmask_b32_e64 v15, v15, v5, s[86:87]
	v_cndmask_b32_e64 v57, v17, v33, s[14:15]
	;; [unrolled: 1-line block ×3, first 2 shown]
	v_cmp_eq_u32_e64 s[16:17], 2, v73
	v_cndmask_b32_e64 v13, v13, v5, s[64:65]
	v_cndmask_b32_e64 v12, v12, v5, s[78:79]
	;; [unrolled: 1-line block ×15, first 2 shown]
	v_cmp_eq_u32_e64 s[18:19], 3, v73
	v_cndmask_b32_e32 v0, v5, v1, vcc
	s_waitcnt lgkmcnt(0)
	v_cndmask_b32_e64 v31, v31, v32, s[86:87]
	v_cndmask_b32_e64 v30, v30, v32, s[82:83]
	;; [unrolled: 1-line block ×5, first 2 shown]
	v_cmp_eq_u32_e64 s[22:23], 4, v73
	v_cndmask_b32_e64 v27, v27, v32, s[76:77]
	v_cndmask_b32_e64 v26, v26, v32, s[72:73]
	;; [unrolled: 1-line block ×14, first 2 shown]
	v_cmp_eq_u32_e64 s[24:25], 5, v73
	v_cndmask_b32_e32 v16, v32, v4, vcc
	v_cndmask_b32_e64 v0, v0, v3, s[8:9]
	v_cndmask_b32_e64 v57, v57, v44, s[24:25]
	v_cmp_eq_u32_e64 s[26:27], 6, v73
	v_cndmask_b32_e64 v16, v16, v18, s[6:7]
	v_cndmask_b32_e64 v0, v0, v54, s[38:39]
	v_cndmask_b32_e64 v57, v57, v43, s[26:27]
	v_cmp_eq_u32_e64 s[28:29], 7, v73
	v_cndmask_b32_e64 v16, v16, v19, s[8:9]
	;; [unrolled: 4-line block ×10, first 2 shown]
	v_cndmask_b32_e64 v0, v0, v13, s[74:75]
	v_cndmask_b32_e64 v57, v57, v34, s[64:65]
	;; [unrolled: 1-line block ×4, first 2 shown]
	ds_bpermute_b32 v57, v83, v57
	v_cndmask_b32_e64 v16, v16, v29, s[74:75]
	v_cndmask_b32_e64 v0, v0, v15, s[84:85]
	;; [unrolled: 1-line block ×3, first 2 shown]
	ds_bpermute_b32 v59, v83, v0
	v_cndmask_b32_e64 v16, v16, v31, s[84:85]
	ds_bpermute_b32 v58, v83, v16
	v_cmp_eq_u32_e64 s[68:69], 0, v73
	s_waitcnt lgkmcnt(2)
	v_cndmask_b32_e64 v33, v33, v57, s[14:15]
	v_cmp_eq_u32_e64 s[10:11], 1, v74
	v_cndmask_b32_e64 v0, v17, v57, s[68:69]
	v_cndmask_b32_e64 v34, v34, v57, s[64:65]
	v_cndmask_b32_e64 v35, v35, v57, s[50:51]
	v_cndmask_b32_e64 v36, v36, v57, s[20:21]
	v_cndmask_b32_e64 v37, v37, v57, s[36:37]
	v_cndmask_b32_e64 v38, v38, v57, s[40:41]
	v_cndmask_b32_e64 v39, v39, v57, s[44:45]
	v_cndmask_b32_e64 v40, v40, v57, s[34:35]
	v_cndmask_b32_e64 v41, v41, v57, s[30:31]
	v_cndmask_b32_e64 v42, v42, v57, s[28:29]
	v_cndmask_b32_e64 v43, v43, v57, s[26:27]
	v_cndmask_b32_e64 v44, v44, v57, s[24:25]
	v_cndmask_b32_e64 v45, v45, v57, s[22:23]
	v_cndmask_b32_e64 v46, v46, v57, s[18:19]
	v_cndmask_b32_e64 v47, v47, v57, s[16:17]
	s_waitcnt lgkmcnt(1)
	v_cndmask_b32_e64 v57, v15, v59, s[84:85]
	v_cndmask_b32_e64 v15, v0, v33, s[10:11]
	v_cmp_eq_u32_e64 s[12:13], 2, v74
	v_cndmask_b32_e64 v16, v14, v59, s[80:81]
	v_cmp_eq_u32_e64 s[58:59], 3, v74
	v_cndmask_b32_e64 v14, v15, v47, s[12:13]
	v_cndmask_b32_e64 v17, v13, v59, s[74:75]
	;; [unrolled: 1-line block ×3, first 2 shown]
	s_waitcnt lgkmcnt(0)
	v_cndmask_b32_e64 v28, v28, v58, s[66:67]
	v_cndmask_b32_e64 v60, v12, v59, s[66:67]
	v_cmp_eq_u32_e64 s[66:67], 4, v74
	v_cndmask_b32_e64 v27, v27, v58, s[62:63]
	v_cndmask_b32_e64 v61, v11, v59, s[62:63]
	v_cndmask_b32_e64 v12, v13, v45, s[66:67]
	v_cmp_eq_u32_e64 s[62:63], 5, v74
	v_cndmask_b32_e64 v26, v26, v58, s[60:61]
	;; [unrolled: 4-line block ×10, first 2 shown]
	v_cndmask_b32_e64 v91, v2, v59, s[6:7]
	v_cndmask_b32_e64 v3, v6, v36, s[8:9]
	v_cmp_eq_u32_e64 s[6:7], 14, v74
	v_cndmask_b32_e32 v92, v4, v58, vcc
	v_cndmask_b32_e32 v93, v1, v59, vcc
	v_cndmask_b32_e64 v2, v3, v35, s[6:7]
	v_cmp_eq_u32_e32 vcc, 15, v74
	v_cndmask_b32_e64 v29, v29, v58, s[74:75]
	v_cndmask_b32_e64 v30, v30, v58, s[80:81]
	v_cndmask_b32_e32 v1, v2, v34, vcc
	ds_bpermute_b32 v94, v83, v1
	v_cndmask_b32_e64 v1, v32, v58, s[48:49]
	v_cndmask_b32_e64 v2, v1, v92, s[14:15]
	;; [unrolled: 1-line block ×18, first 2 shown]
	s_waitcnt lgkmcnt(0)
	v_cndmask_b32_e32 v15, v34, v94, vcc
	ds_bpermute_b32 v34, v83, v2
	v_cndmask_b32_e64 v13, v36, v94, s[8:9]
	v_cndmask_b32_e64 v36, v32, v93, s[14:15]
	;; [unrolled: 1-line block ×6, first 2 shown]
	s_waitcnt lgkmcnt(0)
	v_cndmask_b32_e64 v31, v31, v34, s[64:65]
	v_cndmask_b32_e64 v30, v30, v34, s[50:51]
	;; [unrolled: 1-line block ×38, first 2 shown]
	ds_bpermute_b32 v36, v83, v36
	v_cndmask_b32_e64 v1, v1, v28, s[38:39]
	v_cndmask_b32_e64 v1, v1, v29, s[8:9]
	;; [unrolled: 1-line block ×3, first 2 shown]
	v_cndmask_b32_e32 v1, v1, v31, vcc
	v_cndmask_b32_e64 v12, v37, v94, s[38:39]
	ds_bpermute_b32 v37, v83, v1
	v_cndmask_b32_e64 v1, v33, v94, s[10:11]
	s_waitcnt lgkmcnt(1)
	v_cndmask_b32_e64 v33, v57, v36, s[64:65]
	v_cndmask_b32_e64 v57, v86, v36, s[34:35]
	;; [unrolled: 1-line block ×35, first 2 shown]
	v_cndmask_b32_e32 v16, v16, v33, vcc
	ds_bpermute_b32 v87, v83, v16
	v_cndmask_b32_e64 v3, v46, v94, s[58:59]
	s_waitcnt lgkmcnt(1)
	v_cndmask_b32_e64 v30, v30, v37, s[6:7]
	v_readlane_b32 s71, v95, 25
	v_cmp_eq_u32_e64 s[48:49], 0, v74
	s_waitcnt lgkmcnt(0)
	v_cndmask_b32_e64 v46, v38, v87, s[6:7]
	v_readlane_b32 s6, v95, 27
	v_readlane_b32 s7, v95, 28
	;; [unrolled: 1-line block ×5, first 2 shown]
	s_mov_b32 s5, 0
	s_max_i32 s70, s71, 0
	v_subrev_u32_e32 v84, s97, v84
	v_cndmask_b32_e64 v6, v43, v94, s[60:61]
	v_cndmask_b32_e64 v5, v44, v94, s[62:63]
	v_cndmask_b32_e64 v4, v45, v94, s[66:67]
	v_cndmask_b32_e64 v2, v47, v94, s[12:13]
	v_cndmask_b32_e64 v0, v0, v94, s[48:49]
	v_cndmask_b32_e32 v31, v31, v37, vcc
	v_cndmask_b32_e64 v29, v29, v37, s[8:9]
	v_cndmask_b32_e64 v28, v28, v37, s[38:39]
	;; [unrolled: 1-line block ×14, first 2 shown]
	v_cndmask_b32_e32 v47, v33, v87, vcc
	v_cndmask_b32_e64 v45, v39, v87, s[8:9]
	v_cndmask_b32_e64 v44, v40, v87, s[38:39]
	;; [unrolled: 1-line block ×14, first 2 shown]
	v_lshl_add_u64 v[54:55], s[6:7], 0, v[48:49]
	s_mov_b64 s[6:7], 0
	s_mov_b32 s16, 0
	v_readlane_b32 s25, v95, 11
	v_readlane_b32 s27, v95, 13
	;; [unrolled: 1-line block ×10, first 2 shown]
	s_mov_b64 s[20:21], 0x80
	v_readlane_b32 s39, v95, 26
                                        ; implicit-def: $sgpr8_sgpr9
	s_branch .LBB76_29
.LBB76_27:                              ;   in Loop: Header=BB76_29 Depth=2
	s_or_b64 exec, exec, s[12:13]
	s_andn2_b64 s[8:9], s[8:9], exec
	s_and_b64 s[12:13], s[14:15], exec
	s_or_b64 s[8:9], s[8:9], s[12:13]
.LBB76_28:                              ;   in Loop: Header=BB76_29 Depth=2
	s_or_b64 exec, exec, s[10:11]
	s_and_b64 s[10:11], exec, s[8:9]
	s_or_b64 s[6:7], s[10:11], s[6:7]
	s_andn2_b64 exec, exec, s[6:7]
	s_cbranch_execz .LBB76_32
.LBB76_29:                              ;   Parent Loop BB76_7 Depth=1
                                        ; =>  This Inner Loop Header: Depth=2
	s_and_b32 s12, s5, 24
	v_or_b32_e32 v57, s12, v81
	v_add_u32_e32 v58, s70, v57
	v_cmp_gt_u32_e32 vcc, 32, v58
	s_or_b64 s[8:9], s[8:9], exec
	s_and_saveexec_b64 s[10:11], vcc
	s_cbranch_execz .LBB76_28
; %bb.30:                               ;   in Loop: Header=BB76_29 Depth=2
	s_add_i32 s13, s16, 1
	s_set_gpr_idx_on s16, gpr_idx(SRC0)
	v_mov_b32_e32 v58, v0
	s_set_gpr_idx_off
	v_cvt_f16_f32_e32 v60, v58
	s_set_gpr_idx_on s13, gpr_idx(SRC0)
	v_mov_b32_e32 v58, v0
	s_set_gpr_idx_off
	v_cvt_f16_f32_sdwa v61, v58 dst_sel:WORD_1 dst_unused:UNUSED_PAD src0_sel:DWORD
	v_mul_lo_u32 v58, v57, s89
	v_ashrrev_i32_e32 v59, 31, v58
	v_lshl_add_u64 v[58:59], v[58:59], 1, v[54:55]
	v_or_b32_e32 v57, v61, v60
	;;#ASMSTART
	global_atomic_pk_add_f16 v[58:59], v57, off
	
	;;#ASMEND
	s_set_gpr_idx_on s16, gpr_idx(SRC0)
	v_mov_b32_e32 v57, v16
	s_set_gpr_idx_off
	v_cvt_f16_f32_e32 v57, v57
	s_set_gpr_idx_on s13, gpr_idx(SRC0)
	v_mov_b32_e32 v60, v16
	s_set_gpr_idx_off
	v_cvt_f16_f32_sdwa v85, v60 dst_sel:WORD_1 dst_unused:UNUSED_PAD src0_sel:DWORD
	v_lshl_add_u64 v[60:61], v[58:59], 0, 64
	v_lshl_add_u64 v[58:59], v[58:59], 0, s[20:21]
	s_mov_b64 s[14:15], -1
	v_or_b32_e32 v57, v85, v57
	;;#ASMSTART
	global_atomic_pk_add_f16 v[60:61], v57, off
	
	;;#ASMEND
	s_set_gpr_idx_on s16, gpr_idx(SRC0)
	v_mov_b32_e32 v57, v32
	s_set_gpr_idx_off
	v_cvt_f16_f32_e32 v57, v57
	s_set_gpr_idx_on s13, gpr_idx(SRC0)
	v_mov_b32_e32 v60, v32
	s_set_gpr_idx_off
	v_cvt_f16_f32_sdwa v60, v60 dst_sel:WORD_1 dst_unused:UNUSED_PAD src0_sel:DWORD
	s_nop 0
	v_or_b32_e32 v57, v60, v57
	;;#ASMSTART
	global_atomic_pk_add_f16 v[58:59], v57, off
	
	;;#ASMEND
	v_or_b32_e32 v57, s12, v82
	v_add_u32_e32 v58, s70, v57
	v_cmp_gt_u32_e32 vcc, 32, v58
	s_and_saveexec_b64 s[12:13], vcc
	s_cbranch_execz .LBB76_27
; %bb.31:                               ;   in Loop: Header=BB76_29 Depth=2
	s_add_i32 s14, s16, 2
	s_add_i32 s15, s16, 3
	s_set_gpr_idx_on s14, gpr_idx(SRC0)
	v_mov_b32_e32 v58, v0
	s_set_gpr_idx_off
	v_cvt_f16_f32_e32 v60, v58
	s_set_gpr_idx_on s15, gpr_idx(SRC0)
	v_mov_b32_e32 v58, v0
	s_set_gpr_idx_off
	v_cvt_f16_f32_sdwa v61, v58 dst_sel:WORD_1 dst_unused:UNUSED_PAD src0_sel:DWORD
	v_mul_lo_u32 v58, v57, s89
	v_ashrrev_i32_e32 v59, 31, v58
	v_lshl_add_u64 v[58:59], v[58:59], 1, v[54:55]
	v_or_b32_e32 v57, v61, v60
	;;#ASMSTART
	global_atomic_pk_add_f16 v[58:59], v57, off
	
	;;#ASMEND
	s_set_gpr_idx_on s14, gpr_idx(SRC0)
	v_mov_b32_e32 v57, v16
	s_set_gpr_idx_off
	v_cvt_f16_f32_e32 v57, v57
	s_set_gpr_idx_on s15, gpr_idx(SRC0)
	v_mov_b32_e32 v60, v16
	s_set_gpr_idx_off
	v_cvt_f16_f32_sdwa v85, v60 dst_sel:WORD_1 dst_unused:UNUSED_PAD src0_sel:DWORD
	v_lshl_add_u64 v[60:61], v[58:59], 0, 64
	s_add_i32 s16, s16, 4
	s_add_i32 s5, s5, 8
	v_or_b32_e32 v57, v85, v57
	;;#ASMSTART
	global_atomic_pk_add_f16 v[60:61], v57, off
	
	;;#ASMEND
	s_set_gpr_idx_on s14, gpr_idx(SRC0)
	v_mov_b32_e32 v57, v32
	s_set_gpr_idx_off
	v_cvt_f16_f32_e32 v57, v57
	s_set_gpr_idx_on s15, gpr_idx(SRC0)
	v_mov_b32_e32 v60, v32
	s_set_gpr_idx_off
	v_cvt_f16_f32_sdwa v60, v60 dst_sel:WORD_1 dst_unused:UNUSED_PAD src0_sel:DWORD
	s_cmp_eq_u32 s16, 16
	s_cselect_b64 s[14:15], -1, 0
	s_orn2_b64 s[14:15], s[14:15], exec
	v_lshl_add_u64 v[58:59], v[58:59], 0, s[20:21]
	v_or_b32_e32 v57, v60, v57
	;;#ASMSTART
	global_atomic_pk_add_f16 v[58:59], v57, off
	
	;;#ASMEND
	s_branch .LBB76_27
.LBB76_32:                              ;   in Loop: Header=BB76_7 Depth=1
	s_or_b64 exec, exec, s[6:7]
	v_readlane_b32 s16, v95, 2
	v_readlane_b32 s8, v95, 23
	;; [unrolled: 1-line block ×12, first 2 shown]
.LBB76_33:                              ;   in Loop: Header=BB76_7 Depth=1
	s_or_b64 exec, exec, s[8:9]
.LBB76_34:                              ;   in Loop: Header=BB76_7 Depth=1
	s_andn2_saveexec_b64 s[0:1], s[0:1]
	s_cbranch_execz .LBB76_43
; %bb.35:                               ;   in Loop: Header=BB76_7 Depth=1
	s_mul_i32 s12, s97, 3
	v_cmp_gt_i32_e32 vcc, s12, v84
	s_and_saveexec_b64 s[6:7], vcc
	s_cbranch_execz .LBB76_42
; %bb.36:                               ;   in Loop: Header=BB76_7 Depth=1
	s_mul_i32 s4, s4, s91
	s_ashr_i32 s5, s4, 31
	s_add_u32 s4, s18, s4
	s_addc_u32 s5, s19, s5
	s_ashr_i32 s8, s39, 31
	s_add_u32 s4, s4, s39
	s_addc_u32 s5, s5, s8
	v_lshl_add_u64 v[0:1], s[4:5], 0, v[52:53]
	v_lshl_add_u64 v[8:9], v[0:1], 0, v[50:51]
	s_mov_b64 s[4:5], 0
	s_branch .LBB76_38
.LBB76_37:                              ;   in Loop: Header=BB76_38 Depth=2
	s_or_b64 exec, exec, s[8:9]
	v_lshl_or_b32 v12, v10, 11, v77
	;;#ASMSTART
	s_waitcnt vmcnt(1)
	;;#ASMEND
	ds_write2_b32 v12, v4, v5 offset1:32
	ds_write2_b32 v12, v6, v7 offset0:64 offset1:96
	v_add_u32_e32 v4, 0x400, v12
	v_add_u32_e32 v84, s94, v84
	;;#ASMSTART
	s_waitcnt vmcnt(0)
	;;#ASMEND
	ds_write2_b32 v4, v0, v1 offset1:32
	ds_write2_b32 v4, v2, v3 offset0:64 offset1:96
	v_add_u32_e32 v0, 1, v63
	v_add_u32_e32 v56, s94, v10
	v_cmp_le_i32_e32 vcc, s12, v84
	ds_write_b32 v11, v0 offset:8
	v_add_u32_e32 v0, 2, v63
	s_or_b64 s[4:5], vcc, s[4:5]
	v_cmp_lt_i32_e32 vcc, 5, v56
	s_nop 1
	v_cndmask_b32_e32 v63, v63, v0, vcc
	s_andn2_b64 exec, exec, s[4:5]
	s_cbranch_execz .LBB76_41
.LBB76_38:                              ;   Parent Loop BB76_7 Depth=1
                                        ; =>  This Loop Header: Depth=2
                                        ;       Child Loop BB76_40 Depth 3
	v_cmp_gt_i32_e32 vcc, 6, v56
	s_mov_b32 s8, 0x55555556
	s_nop 0
	v_cndmask_b32_e64 v0, -6, 0, vcc
	v_add_u32_e32 v10, v0, v56
	v_mul_hi_i32 v0, v84, s8
	v_lshrrev_b32_e32 v1, 31, v0
	v_add_u32_e32 v0, v0, v1
	v_lshl_add_u32 v1, v0, 1, v0
	v_sub_u32_e32 v2, v84, v1
	v_lshlrev_b32_e32 v0, 6, v0
	v_ashrrev_i32_e32 v1, 31, v0
	v_mul_lo_u32 v2, s33, v2
	v_lshl_add_u64 v[0:1], v[8:9], 0, v[0:1]
	v_ashrrev_i32_e32 v3, 31, v2
	v_lshl_add_u64 v[0:1], v[0:1], 0, v[2:3]
	v_lshlrev_b32_e32 v11, 2, v10
	;;#ASMSTART
	global_load_dwordx4 v[4:7], v[0:1], off offset:0   sc0 sc1 nt  
	global_load_dwordx4 v[0:3], v[0:1], off offset:32  sc0 sc1 nt  
	
	;;#ASMEND
	ds_read_b32 v12, v11 offset:16392
	v_add_u32_e32 v11, 0x4000, v11
	s_waitcnt lgkmcnt(0)
	v_cmp_ne_u32_e32 vcc, v12, v63
	s_and_saveexec_b64 s[8:9], vcc
	s_cbranch_execz .LBB76_37
; %bb.39:                               ;   in Loop: Header=BB76_38 Depth=2
	s_mov_b64 s[10:11], 0
.LBB76_40:                              ;   Parent Loop BB76_7 Depth=1
                                        ;     Parent Loop BB76_38 Depth=2
                                        ; =>    This Inner Loop Header: Depth=3
	;;#ASMSTART
	s_sleep 0
	;;#ASMEND
	ds_read_b32 v12, v11 offset:8
	s_waitcnt lgkmcnt(0)
	v_cmp_eq_u32_e32 vcc, v12, v63
	s_or_b64 s[10:11], vcc, s[10:11]
	s_andn2_b64 exec, exec, s[10:11]
	s_cbranch_execnz .LBB76_40
	s_branch .LBB76_37
.LBB76_41:                              ;   in Loop: Header=BB76_7 Depth=1
	s_or_b64 exec, exec, s[4:5]
.LBB76_42:                              ;   in Loop: Header=BB76_7 Depth=1
	s_or_b64 exec, exec, s[6:7]
	v_subrev_u32_e32 v84, s12, v84
.LBB76_43:                              ;   in Loop: Header=BB76_7 Depth=1
	s_or_b64 exec, exec, s[0:1]
.LBB76_44:                              ;   in Loop: Header=BB76_7 Depth=1
	s_andn2_saveexec_b64 s[0:1], s[98:99]
	s_cbranch_execz .LBB76_6
; %bb.45:                               ;   in Loop: Header=BB76_7 Depth=1
	v_cmp_gt_i32_e32 vcc, s97, v84
	s_and_saveexec_b64 s[4:5], vcc
	s_cbranch_execz .LBB76_5
; %bb.46:                               ;   in Loop: Header=BB76_7 Depth=1
	s_mul_i32 s3, s3, s90
	s_ashr_i32 s6, s3, 31
	s_add_u32 s3, s16, s3
	s_addc_u32 s7, s17, s6
	s_ashr_i32 s8, s39, 31
	v_cmp_le_i32_e32 vcc, s71, v78
	s_add_u32 s6, s3, s39
	s_addc_u32 s7, s7, s8
	v_cndmask_b32_e32 v0, 0, v79, vcc
	v_ashrrev_i32_e32 v1, 31, v0
	v_lshl_add_u64 v[0:1], s[6:7], 0, v[0:1]
	v_lshl_add_u64 v[8:9], v[0:1], 0, v[50:51]
	s_mov_b64 s[6:7], 0
	s_branch .LBB76_48
.LBB76_47:                              ;   in Loop: Header=BB76_48 Depth=2
	s_or_b64 exec, exec, s[8:9]
	v_lshl_add_u32 v12, v10, 11, v80
	;;#ASMSTART
	s_waitcnt vmcnt(1)
	;;#ASMEND
	ds_write2_b32 v12, v4, v5 offset1:32
	ds_write2_b32 v12, v6, v7 offset0:64 offset1:96
	v_add_u32_e32 v4, 0x400, v12
	v_add_u32_e32 v84, s93, v84
	;;#ASMSTART
	s_waitcnt vmcnt(0)
	;;#ASMEND
	ds_write2_b32 v4, v0, v1 offset1:32
	ds_write2_b32 v4, v2, v3 offset0:64 offset1:96
	v_add_u32_e32 v0, 1, v63
	v_add_u32_e32 v56, s93, v10
	v_cmp_le_i32_e32 vcc, s97, v84
	ds_write_b32 v11, v0
	v_add_u32_e32 v0, 2, v63
	s_or_b64 s[6:7], vcc, s[6:7]
	v_cmp_lt_i32_e32 vcc, 1, v56
	s_nop 1
	v_cndmask_b32_e32 v63, v63, v0, vcc
	s_andn2_b64 exec, exec, s[6:7]
	s_cbranch_execz .LBB76_4
.LBB76_48:                              ;   Parent Loop BB76_7 Depth=1
                                        ; =>  This Loop Header: Depth=2
                                        ;       Child Loop BB76_50 Depth 3
	v_cmp_gt_i32_e32 vcc, 2, v56
	s_nop 1
	v_cndmask_b32_e64 v0, -2, 0, vcc
	v_add_u32_e32 v10, v0, v56
	v_lshlrev_b32_e32 v0, 6, v84
	v_ashrrev_i32_e32 v1, 31, v0
	v_lshl_add_u64 v[0:1], v[8:9], 0, v[0:1]
	v_lshlrev_b32_e32 v11, 2, v10
	;;#ASMSTART
	global_load_dwordx4 v[4:7], v[0:1], off offset:0   
	global_load_dwordx4 v[0:3], v[0:1], off offset:32  
	
	;;#ASMEND
	ds_read_b32 v12, v11 offset:16384
	v_add_u32_e32 v11, 0x4000, v11
	s_waitcnt lgkmcnt(0)
	v_cmp_ne_u32_e32 vcc, v12, v63
	s_and_saveexec_b64 s[8:9], vcc
	s_cbranch_execz .LBB76_47
; %bb.49:                               ;   in Loop: Header=BB76_48 Depth=2
	s_mov_b64 s[10:11], 0
.LBB76_50:                              ;   Parent Loop BB76_7 Depth=1
                                        ;     Parent Loop BB76_48 Depth=2
                                        ; =>    This Inner Loop Header: Depth=3
	;;#ASMSTART
	s_sleep 0
	;;#ASMEND
	ds_read_b32 v12, v11
	s_waitcnt lgkmcnt(0)
	v_cmp_eq_u32_e32 vcc, v12, v63
	s_or_b64 s[10:11], vcc, s[10:11]
	s_andn2_b64 exec, exec, s[10:11]
	s_cbranch_execnz .LBB76_50
	s_branch .LBB76_47
.LBB76_51:
	s_endpgm
	.section	.rodata,"a",@progbits
	.p2align	6, 0x0
	.amdhsa_kernel _Z19_skinny_gemm_kernelILi1ELi3ELi2ELi32ELi4EEvPKhS1_P6__halfPKfiiiiiiii
		.amdhsa_group_segment_fixed_size 16416
		.amdhsa_private_segment_fixed_size 0
		.amdhsa_kernarg_size 64
		.amdhsa_user_sgpr_count 2
		.amdhsa_user_sgpr_dispatch_ptr 0
		.amdhsa_user_sgpr_queue_ptr 0
		.amdhsa_user_sgpr_kernarg_segment_ptr 1
		.amdhsa_user_sgpr_dispatch_id 0
		.amdhsa_user_sgpr_kernarg_preload_length 0
		.amdhsa_user_sgpr_kernarg_preload_offset 0
		.amdhsa_user_sgpr_private_segment_size 0
		.amdhsa_uses_dynamic_stack 0
		.amdhsa_enable_private_segment 0
		.amdhsa_system_sgpr_workgroup_id_x 1
		.amdhsa_system_sgpr_workgroup_id_y 0
		.amdhsa_system_sgpr_workgroup_id_z 0
		.amdhsa_system_sgpr_workgroup_info 0
		.amdhsa_system_vgpr_workitem_id 0
		.amdhsa_next_free_vgpr 96
		.amdhsa_next_free_sgpr 100
		.amdhsa_accum_offset 96
		.amdhsa_reserve_vcc 1
		.amdhsa_float_round_mode_32 0
		.amdhsa_float_round_mode_16_64 0
		.amdhsa_float_denorm_mode_32 3
		.amdhsa_float_denorm_mode_16_64 3
		.amdhsa_dx10_clamp 1
		.amdhsa_ieee_mode 1
		.amdhsa_fp16_overflow 0
		.amdhsa_tg_split 0
		.amdhsa_exception_fp_ieee_invalid_op 0
		.amdhsa_exception_fp_denorm_src 0
		.amdhsa_exception_fp_ieee_div_zero 0
		.amdhsa_exception_fp_ieee_overflow 0
		.amdhsa_exception_fp_ieee_underflow 0
		.amdhsa_exception_fp_ieee_inexact 0
		.amdhsa_exception_int_div_zero 0
	.end_amdhsa_kernel
	.section	.text._Z19_skinny_gemm_kernelILi1ELi3ELi2ELi32ELi4EEvPKhS1_P6__halfPKfiiiiiiii,"axG",@progbits,_Z19_skinny_gemm_kernelILi1ELi3ELi2ELi32ELi4EEvPKhS1_P6__halfPKfiiiiiiii,comdat
.Lfunc_end76:
	.size	_Z19_skinny_gemm_kernelILi1ELi3ELi2ELi32ELi4EEvPKhS1_P6__halfPKfiiiiiiii, .Lfunc_end76-_Z19_skinny_gemm_kernelILi1ELi3ELi2ELi32ELi4EEvPKhS1_P6__halfPKfiiiiiiii
                                        ; -- End function
	.set _Z19_skinny_gemm_kernelILi1ELi3ELi2ELi32ELi4EEvPKhS1_P6__halfPKfiiiiiiii.num_vgpr, 96
	.set _Z19_skinny_gemm_kernelILi1ELi3ELi2ELi32ELi4EEvPKhS1_P6__halfPKfiiiiiiii.num_agpr, 0
	.set _Z19_skinny_gemm_kernelILi1ELi3ELi2ELi32ELi4EEvPKhS1_P6__halfPKfiiiiiiii.numbered_sgpr, 100
	.set _Z19_skinny_gemm_kernelILi1ELi3ELi2ELi32ELi4EEvPKhS1_P6__halfPKfiiiiiiii.num_named_barrier, 0
	.set _Z19_skinny_gemm_kernelILi1ELi3ELi2ELi32ELi4EEvPKhS1_P6__halfPKfiiiiiiii.private_seg_size, 0
	.set _Z19_skinny_gemm_kernelILi1ELi3ELi2ELi32ELi4EEvPKhS1_P6__halfPKfiiiiiiii.uses_vcc, 1
	.set _Z19_skinny_gemm_kernelILi1ELi3ELi2ELi32ELi4EEvPKhS1_P6__halfPKfiiiiiiii.uses_flat_scratch, 0
	.set _Z19_skinny_gemm_kernelILi1ELi3ELi2ELi32ELi4EEvPKhS1_P6__halfPKfiiiiiiii.has_dyn_sized_stack, 0
	.set _Z19_skinny_gemm_kernelILi1ELi3ELi2ELi32ELi4EEvPKhS1_P6__halfPKfiiiiiiii.has_recursion, 0
	.set _Z19_skinny_gemm_kernelILi1ELi3ELi2ELi32ELi4EEvPKhS1_P6__halfPKfiiiiiiii.has_indirect_call, 0
	.section	.AMDGPU.csdata,"",@progbits
; Kernel info:
; codeLenInByte = 11488
; TotalNumSgprs: 106
; NumVgprs: 96
; NumAgprs: 0
; TotalNumVgprs: 96
; ScratchSize: 0
; MemoryBound: 0
; FloatMode: 240
; IeeeMode: 1
; LDSByteSize: 16416 bytes/workgroup (compile time only)
; SGPRBlocks: 13
; VGPRBlocks: 11
; NumSGPRsForWavesPerEU: 106
; NumVGPRsForWavesPerEU: 96
; AccumOffset: 96
; Occupancy: 5
; WaveLimiterHint : 0
; COMPUTE_PGM_RSRC2:SCRATCH_EN: 0
; COMPUTE_PGM_RSRC2:USER_SGPR: 2
; COMPUTE_PGM_RSRC2:TRAP_HANDLER: 0
; COMPUTE_PGM_RSRC2:TGID_X_EN: 1
; COMPUTE_PGM_RSRC2:TGID_Y_EN: 0
; COMPUTE_PGM_RSRC2:TGID_Z_EN: 0
; COMPUTE_PGM_RSRC2:TIDIG_COMP_CNT: 0
; COMPUTE_PGM_RSRC3_GFX90A:ACCUM_OFFSET: 23
; COMPUTE_PGM_RSRC3_GFX90A:TG_SPLIT: 0
	.section	.text._Z19_skinny_gemm_kernelILi1ELi3ELi2ELi32ELi8EEvPKhS1_P6__halfPKfiiiiiiii,"axG",@progbits,_Z19_skinny_gemm_kernelILi1ELi3ELi2ELi32ELi8EEvPKhS1_P6__halfPKfiiiiiiii,comdat
	.protected	_Z19_skinny_gemm_kernelILi1ELi3ELi2ELi32ELi8EEvPKhS1_P6__halfPKfiiiiiiii ; -- Begin function _Z19_skinny_gemm_kernelILi1ELi3ELi2ELi32ELi8EEvPKhS1_P6__halfPKfiiiiiiii
	.globl	_Z19_skinny_gemm_kernelILi1ELi3ELi2ELi32ELi8EEvPKhS1_P6__halfPKfiiiiiiii
	.p2align	8
	.type	_Z19_skinny_gemm_kernelILi1ELi3ELi2ELi32ELi8EEvPKhS1_P6__halfPKfiiiiiiii,@function
_Z19_skinny_gemm_kernelILi1ELi3ELi2ELi32ELi8EEvPKhS1_P6__halfPKfiiiiiiii: ; @_Z19_skinny_gemm_kernelILi1ELi3ELi2ELi32ELi8EEvPKhS1_P6__halfPKfiiiiiiii
; %bb.0:
	v_cmp_gt_u32_e32 vcc, 8, v0
	s_and_saveexec_b64 s[4:5], vcc
; %bb.1:
	v_lshlrev_b32_e32 v1, 2, v0
	v_mov_b32_e32 v2, 0
	ds_write_b32 v1, v2 offset:32768
; %bb.2:
	s_or_b64 exec, exec, s[4:5]
	s_load_dwordx8 s[88:95], s[0:1], 0x20
	s_waitcnt lgkmcnt(0)
	s_barrier
	s_add_i32 s3, s88, 31
	s_ashr_i32 s5, s3, 31
	s_add_i32 s4, s89, 0x5f
	s_lshr_b32 s5, s5, 27
	s_mul_hi_i32 s4, s4, 0x2aaaaaab
	s_add_i32 s3, s3, s5
	s_ashr_i32 s14, s3, 5
	s_lshr_b32 s3, s4, 31
	s_ashr_i32 s4, s4, 4
	s_add_i32 s15, s4, s3
	s_mul_i32 s3, s15, s14
	s_mul_i32 s3, s3, s92
	s_add_i32 s4, s3, 0x12f
	s_mul_hi_i32 s4, s4, 0x6bca1af3
	s_lshr_b32 s5, s4, 31
	s_ashr_i32 s4, s4, 7
	s_add_i32 s4, s4, s5
	s_add_i32 s5, s2, 1
	s_mul_i32 s5, s4, s5
	v_cvt_f64_i32_e32 v[2:3], s3
	v_cvt_f64_u32_e32 v[4:5], s5
	v_min_f64 v[2:3], v[2:3], v[4:5]
	v_cvt_i32_f64_e32 v70, v[2:3]
	s_mul_i32 s2, s4, s2
	v_cmp_ge_i32_e32 vcc, s2, v70
	s_cbranch_vccnz .LBB77_51
; %bb.3:
	s_load_dwordx8 s[16:23], s[0:1], 0x0
	v_lshrrev_b32_e32 v1, 6, v0
	s_add_i32 s0, s94, s93
	v_cmp_le_i32_e64 s[24:25], s0, v1
	v_mov_b32_e32 v2, s93
	v_cmp_le_i32_e64 s[26:27], s93, v1
	v_mov_b32_e32 v3, s94
	v_cndmask_b32_e64 v3, 0, v3, s[24:25]
	v_cndmask_b32_e64 v2, 0, v2, s[26:27]
	s_abs_i32 s1, s92
	v_add_u32_e32 v2, v2, v3
	v_cvt_f32_u32_e32 v3, s1
	v_sub_u32_e32 v56, v1, v2
	s_ashr_i32 s3, s90, 31
	s_lshr_b32 s3, s3, 25
	v_rcp_iflag_f32_e32 v2, v3
	s_sub_i32 s6, 0, s1
	s_add_i32 s3, s90, s3
	s_ashr_i32 s3, s3, 7
	v_mul_f32_e32 v2, 0x4f7ffffe, v2
	v_cvt_u32_f32_e32 v2, v2
	s_abs_i32 s5, s3
	s_xor_b32 s4, s3, s92
	s_ashr_i32 s4, s4, 31
	v_readfirstlane_b32 s7, v2
	s_mul_i32 s6, s6, s7
	s_mul_hi_u32 s6, s7, s6
	s_add_i32 s7, s7, s6
	s_mul_hi_u32 s6, s5, s7
	s_mul_i32 s7, s6, s1
	s_sub_i32 s5, s5, s7
	s_add_i32 s7, s6, 1
	s_sub_i32 s8, s5, s1
	s_cmp_ge_u32 s5, s1
	s_cselect_b32 s6, s7, s6
	s_cselect_b32 s5, s8, s5
	s_add_i32 s7, s6, 1
	s_cmp_ge_u32 s5, s1
	v_lshrrev_b32_e32 v2, 3, v0
	v_lshrrev_b32_e32 v7, 1, v0
	s_cselect_b32 s1, s7, s6
	s_add_i32 s0, s0, s95
	v_and_b32_e32 v72, 31, v0
	v_and_b32_e32 v3, 4, v2
	;; [unrolled: 1-line block ×3, first 2 shown]
	v_lshlrev_b32_e32 v7, 4, v0
	s_add_i32 s29, s92, -1
	v_cmp_gt_i32_e64 s[34:35], s0, v1
	v_lshlrev_b32_e32 v1, 2, v72
	v_lshlrev_b32_e32 v2, 6, v3
	v_and_b32_e32 v7, 0x200, v7
	s_abs_i32 s92, s14
                                        ; implicit-def: $vgpr102 : SGPR spill to VGPR lane
	v_or_b32_e32 v4, 0x6000, v1
	v_or_b32_e32 v74, v1, v2
	v_and_b32_e32 v5, 1, v0
	v_or_b32_e32 v85, v1, v7
	v_cvt_f32_u32_e32 v1, s92
	v_writelane_b32 v102, s14, 0
	v_or_b32_e32 v73, v4, v2
	v_lshlrev_b32_e32 v2, 1, v5
	v_writelane_b32 v102, s15, 1
	v_sub_u32_e32 v2, v0, v2
	s_waitcnt lgkmcnt(0)
	v_writelane_b32 v102, s16, 2
	v_add_u32_e32 v2, 1, v2
	v_and_b32_e32 v6, 63, v2
	v_writelane_b32 v102, s17, 3
	v_bitop3_b32 v75, v0, 1, v0 bitop3:0xc
	v_bitop3_b32 v76, v0, 3, 1 bitop3:0x6c
	;; [unrolled: 1-line block ×8, first 2 shown]
	v_and_b32_e32 v2, 30, v0
	v_bitop3_b32 v86, v0, 31, v0 bitop3:0xc
	v_rcp_iflag_f32_e32 v0, v1
	s_abs_i32 s96, s15
	v_writelane_b32 v102, s18, 4
	v_cvt_f32_u32_e32 v1, s96
	v_writelane_b32 v102, s19, 5
	v_writelane_b32 v102, s20, 6
	;; [unrolled: 1-line block ×3, first 2 shown]
	v_mul_f32_e32 v0, 0x4f7ffffe, v0
	v_writelane_b32 v102, s22, 8
	v_cvt_u32_f32_e32 v0, v0
	v_rcp_iflag_f32_e32 v1, v1
	v_writelane_b32 v102, s23, 9
	v_cndmask_b32_e64 v71, 0, 1, s[24:25]
	s_xor_b32 s1, s1, s4
	v_writelane_b32 v102, s24, 10
	s_sub_i32 s28, s1, s4
	s_mul_i32 s1, s28, s29
	v_writelane_b32 v102, s25, 11
	v_writelane_b32 v102, s26, 12
	s_sub_i32 s30, s3, s1
	v_readfirstlane_b32 s1, v0
	v_mul_f32_e32 v0, 0x4f7ffffe, v1
	v_writelane_b32 v102, s27, 13
	v_cvt_u32_f32_e32 v0, v0
	v_writelane_b32 v102, s28, 14
	s_sub_i32 s0, 0, s92
	v_writelane_b32 v102, s29, 15
	s_mul_i32 s0, s0, s1
	v_writelane_b32 v102, s30, 16
	s_mul_hi_u32 s0, s1, s0
	v_writelane_b32 v102, s34, 17
	s_ashr_i32 s31, s14, 31
	s_add_i32 s36, s1, s0
	s_sub_i32 s0, 0, s96
	v_readfirstlane_b32 s1, v0
	v_mbcnt_lo_u32_b32 v0, -1, 0
	v_writelane_b32 v102, s35, 18
	s_mul_i32 s0, s0, s1
	v_mbcnt_hi_u32_b32 v0, -1, v0
	v_writelane_b32 v102, s31, 19
	v_mov_b32_e32 v49, 0
	v_mul_lo_u32 v52, s91, v72
	v_or_b32_e32 v89, v5, v3
	s_ashr_i32 s37, s15, 31
	s_mul_hi_u32 s0, s1, s0
	v_and_or_b32 v0, v0, 64, v6
	v_writelane_b32 v102, s36, 20
	v_or_b32_e32 v83, 32, v72
	v_or_b32_e32 v84, 64, v72
	v_ashrrev_i32_e32 v53, 31, v52
	v_mov_b32_e32 v51, v49
	s_lshl_b32 s33, s91, 5
	v_mul_lo_u32 v87, s90, v72
	v_or_b32_e32 v88, v4, v7
	v_or_b32_e32 v90, 2, v89
	s_add_i32 s38, s1, s0
	v_lshlrev_b32_e32 v48, 1, v2
	v_lshlrev_b32_e32 v91, 2, v0
	v_mov_b32_e32 v92, v56
	v_writelane_b32 v102, s37, 21
	v_writelane_b32 v102, s38, 22
	s_branch .LBB77_7
.LBB77_4:                               ;   in Loop: Header=BB77_7 Depth=1
	s_or_b64 exec, exec, s[6:7]
.LBB77_5:                               ;   in Loop: Header=BB77_7 Depth=1
	s_or_b64 exec, exec, s[4:5]
	v_subrev_u32_e32 v92, s97, v92
.LBB77_6:                               ;   in Loop: Header=BB77_7 Depth=1
	s_or_b64 exec, exec, s[0:1]
	s_add_i32 s2, s2, 1
	v_cmp_ge_i32_e32 vcc, s2, v70
	s_cbranch_vccnz .LBB77_51
.LBB77_7:                               ; =>This Loop Header: Depth=1
                                        ;     Child Loop BB77_13 Depth 2
                                        ;       Child Loop BB77_15 Depth 3
                                        ;       Child Loop BB77_18 Depth 3
	;; [unrolled: 1-line block ×4, first 2 shown]
                                        ;     Child Loop BB77_29 Depth 2
                                        ;     Child Loop BB77_38 Depth 2
                                        ;       Child Loop BB77_40 Depth 3
                                        ;     Child Loop BB77_48 Depth 2
                                        ;       Child Loop BB77_50 Depth 3
	s_abs_i32 s1, s2
	s_mul_hi_u32 s3, s1, s36
	s_mul_i32 s4, s3, s92
	s_ashr_i32 s0, s2, 31
	s_sub_i32 s1, s1, s4
	s_xor_b32 s0, s0, s31
	s_add_i32 s4, s3, 1
	s_sub_i32 s5, s1, s92
	s_cmp_ge_u32 s1, s92
	s_cselect_b32 s3, s4, s3
	s_cselect_b32 s1, s5, s1
	s_add_i32 s4, s3, 1
	s_cmp_ge_u32 s1, s92
	s_cselect_b32 s1, s4, s3
	s_xor_b32 s1, s1, s0
	s_sub_i32 s0, s1, s0
	s_abs_i32 s4, s0
	s_mul_i32 s1, s0, s14
	s_mul_hi_u32 s5, s4, s38
	s_sub_i32 s1, s2, s1
	s_mul_i32 s6, s5, s96
	s_lshl_b32 s3, s1, 5
	s_ashr_i32 s1, s0, 31
	s_sub_i32 s4, s4, s6
	s_xor_b32 s1, s1, s37
	s_add_i32 s6, s5, 1
	s_sub_i32 s7, s4, s96
	s_cmp_ge_u32 s4, s96
	s_cselect_b32 s5, s6, s5
	s_cselect_b32 s4, s7, s4
	s_add_i32 s6, s5, 1
	s_cmp_ge_u32 s4, s96
	s_cselect_b32 s4, s6, s5
	s_xor_b32 s4, s4, s1
	s_sub_i32 s1, s4, s1
	s_mul_i32 s4, s1, s28
	s_lshl_b32 s39, s4, 7
	s_cmp_eq_u32 s1, s29
	s_cselect_b32 s97, s30, s28
	s_sub_i32 s4, s3, s88
	s_add_i32 s61, s4, 32
	s_and_saveexec_b64 s[4:5], s[26:27]
	s_xor_b64 s[98:99], exec, s[4:5]
	s_cbranch_execz .LBB77_44
; %bb.8:                                ;   in Loop: Header=BB77_7 Depth=1
	s_mul_i32 s1, s1, s15
	s_sub_i32 s0, s0, s1
	s_mulk_i32 s0, 0x60
	s_sub_i32 s70, s0, s89
	s_addk_i32 s70, 0x60
	s_max_i32 s1, s70, 0
	s_sub_i32 s4, s0, s1
	s_and_saveexec_b64 s[0:1], s[24:25]
	s_xor_b64 s[0:1], exec, s[0:1]
	s_cbranch_execz .LBB77_34
; %bb.9:                                ;   in Loop: Header=BB77_7 Depth=1
	s_and_saveexec_b64 s[8:9], s[34:35]
	s_cbranch_execz .LBB77_33
; %bb.10:                               ;   in Loop: Header=BB77_7 Depth=1
	global_load_dword v93, v49, s[22:23]
	v_mov_b32_e32 v47, 0
	v_writelane_b32 v102, s8, 23
	v_cmp_gt_i32_e32 vcc, s97, v92
	v_mov_b32_e32 v46, v47
	v_mov_b32_e32 v45, v47
	;; [unrolled: 1-line block ×47, first 2 shown]
	v_writelane_b32 v102, s9, 24
	s_and_saveexec_b64 s[6:7], vcc
	s_cbranch_execz .LBB77_26
; %bb.11:                               ;   in Loop: Header=BB77_7 Depth=1
	v_mov_b32_e32 v0, 0
	s_mov_b64 s[8:9], 0
	v_mov_b32_e32 v1, v0
	v_mov_b32_e32 v2, v0
	;; [unrolled: 1-line block ×47, first 2 shown]
	s_branch .LBB77_13
.LBB77_12:                              ;   in Loop: Header=BB77_13 Depth=2
	s_or_b64 exec, exec, s[10:11]
	v_add_u32_e32 v100, 0x2000, v97
	ds_read2_b32 v[98:99], v100 offset1:32
	v_add_u32_e32 v92, s95, v92
	s_waitcnt lgkmcnt(0)
	v_mfma_f32_32x32x16_fp8_fp8 v[0:15], v[68:69], v[98:99], v[0:15]
	ds_read2_b32 v[68:69], v100 offset0:128 offset1:160
	s_waitcnt lgkmcnt(0)
	v_mfma_f32_32x32x16_fp8_fp8 v[0:15], v[66:67], v[68:69], v[0:15]
	v_add_u32_e32 v68, 0x2400, v97
	ds_read2_b32 v[66:67], v68 offset1:32
	s_waitcnt lgkmcnt(0)
	v_mfma_f32_32x32x16_fp8_fp8 v[0:15], v[64:65], v[66:67], v[0:15]
	ds_read2_b32 v[64:65], v68 offset0:128 offset1:160
	s_waitcnt lgkmcnt(0)
	v_mfma_f32_32x32x16_fp8_fp8 v[0:15], v[62:63], v[64:65], v[0:15]
	v_add_u32_e32 v64, 0x2800, v97
	ds_read2_b32 v[62:63], v64 offset1:32
	;; [unrolled: 7-line block ×3, first 2 shown]
	ds_read2_b32 v[60:61], v60 offset0:128 offset1:160
	ds_write_b32 v95, v96 offset:32788
	s_waitcnt lgkmcnt(2)
	v_mfma_f32_32x32x16_fp8_fp8 v[0:15], v[56:57], v[58:59], v[0:15]
	v_add_u32_e32 v56, s95, v94
	v_add_u32_e32 v57, 2, v71
	v_cmp_lt_i32_e32 vcc, 1, v56
	s_nop 1
	v_cndmask_b32_e32 v71, v71, v57, vcc
	v_cmp_le_i32_e32 vcc, s97, v92
	s_waitcnt lgkmcnt(1)
	v_mfma_f32_32x32x16_fp8_fp8 v[0:15], v[54:55], v[60:61], v[0:15]
	s_or_b64 s[8:9], vcc, s[8:9]
	s_andn2_b64 exec, exec, s[8:9]
	s_cbranch_execz .LBB77_25
.LBB77_13:                              ;   Parent Loop BB77_7 Depth=1
                                        ; =>  This Loop Header: Depth=2
                                        ;       Child Loop BB77_15 Depth 3
                                        ;       Child Loop BB77_18 Depth 3
	;; [unrolled: 1-line block ×4, first 2 shown]
	v_cmp_gt_i32_e32 vcc, 2, v56
	s_nop 1
	v_cndmask_b32_e64 v54, -2, 0, vcc
	v_add_u32_e32 v94, v54, v56
	v_mul_lo_u32 v95, v94, 24
	ds_read_b32 v54, v95 offset:32768
	s_waitcnt lgkmcnt(0)
	v_cmp_ne_u32_e32 vcc, v54, v71
	s_and_saveexec_b64 s[10:11], vcc
	s_cbranch_execz .LBB77_16
; %bb.14:                               ;   in Loop: Header=BB77_13 Depth=2
	s_mov_b64 s[12:13], 0
.LBB77_15:                              ;   Parent Loop BB77_7 Depth=1
                                        ;     Parent Loop BB77_13 Depth=2
                                        ; =>    This Inner Loop Header: Depth=3
	;;#ASMSTART
	s_sleep 0
	;;#ASMEND
	ds_read_b32 v54, v95 offset:32768
	s_waitcnt lgkmcnt(0)
	v_cmp_eq_u32_e32 vcc, v54, v71
	s_or_b64 s[12:13], vcc, s[12:13]
	s_andn2_b64 exec, exec, s[12:13]
	s_cbranch_execnz .LBB77_15
.LBB77_16:                              ;   in Loop: Header=BB77_13 Depth=2
	s_or_b64 exec, exec, s[10:11]
	v_lshl_add_u32 v54, v94, 12, v73
	v_add_u32_e32 v55, 0x400, v54
	ds_read2_b32 v[68:69], v54 offset1:32
	ds_read2_b32 v[66:67], v54 offset0:128 offset1:160
	ds_read2_b32 v[64:65], v55 offset1:32
	ds_read2_b32 v[62:63], v55 offset0:128 offset1:160
	v_add_u32_e32 v55, 0x800, v54
	v_add_u32_e32 v54, 0xc00, v54
	ds_read2_b32 v[60:61], v55 offset1:32
	ds_read2_b32 v[58:59], v55 offset0:128 offset1:160
	ds_read2_b32 v[56:57], v54 offset1:32
	ds_read_b32 v97, v95 offset:32772
	ds_read2_b32 v[54:55], v54 offset0:128 offset1:160
	v_add_u32_e32 v96, 1, v71
	ds_write_b32 v95, v96 offset:32768
	s_waitcnt lgkmcnt(2)
	v_cmp_ne_u32_e32 vcc, v97, v71
	s_and_saveexec_b64 s[10:11], vcc
	s_cbranch_execz .LBB77_19
; %bb.17:                               ;   in Loop: Header=BB77_13 Depth=2
	s_mov_b64 s[12:13], 0
.LBB77_18:                              ;   Parent Loop BB77_7 Depth=1
                                        ;     Parent Loop BB77_13 Depth=2
                                        ; =>    This Inner Loop Header: Depth=3
	;;#ASMSTART
	s_sleep 0
	;;#ASMEND
	ds_read_b32 v97, v95 offset:32772
	s_waitcnt lgkmcnt(0)
	v_cmp_eq_u32_e32 vcc, v97, v71
	s_or_b64 s[12:13], vcc, s[12:13]
	s_andn2_b64 exec, exec, s[12:13]
	s_cbranch_execnz .LBB77_18
.LBB77_19:                              ;   in Loop: Header=BB77_13 Depth=2
	s_or_b64 exec, exec, s[10:11]
	s_movk_i32 s5, 0x3000
	v_mul_lo_u32 v97, v94, s5
	v_or_b32_e32 v100, v74, v97
	ds_read2_b32 v[98:99], v100 offset1:32
	v_add_u32_e32 v101, 0x400, v100
	ds_write_b32 v95, v96 offset:32772
	s_waitcnt lgkmcnt(1)
	v_mfma_f32_32x32x16_fp8_fp8 v[32:47], v[68:69], v[98:99], v[32:47]
	ds_read2_b32 v[98:99], v100 offset0:128 offset1:160
	s_waitcnt lgkmcnt(0)
	v_mfma_f32_32x32x16_fp8_fp8 v[32:47], v[66:67], v[98:99], v[32:47]
	ds_read2_b32 v[98:99], v101 offset1:32
	s_waitcnt lgkmcnt(0)
	v_mfma_f32_32x32x16_fp8_fp8 v[32:47], v[64:65], v[98:99], v[32:47]
	ds_read2_b32 v[98:99], v101 offset0:128 offset1:160
	v_add_u32_e32 v101, 0x800, v100
	v_add_u32_e32 v100, 0xc00, v100
	s_waitcnt lgkmcnt(0)
	v_mfma_f32_32x32x16_fp8_fp8 v[32:47], v[62:63], v[98:99], v[32:47]
	ds_read2_b32 v[98:99], v101 offset1:32
	s_waitcnt lgkmcnt(0)
	v_mfma_f32_32x32x16_fp8_fp8 v[32:47], v[60:61], v[98:99], v[32:47]
	ds_read2_b32 v[98:99], v101 offset0:128 offset1:160
	s_waitcnt lgkmcnt(0)
	v_mfma_f32_32x32x16_fp8_fp8 v[32:47], v[58:59], v[98:99], v[32:47]
	ds_read2_b32 v[98:99], v100 offset1:32
	s_waitcnt lgkmcnt(0)
	v_mfma_f32_32x32x16_fp8_fp8 v[32:47], v[56:57], v[98:99], v[32:47]
	ds_read2_b32 v[98:99], v100 offset0:128 offset1:160
	ds_read_b32 v100, v95 offset:32780
	s_waitcnt lgkmcnt(0)
	v_cmp_ne_u32_e32 vcc, v100, v71
	v_mfma_f32_32x32x16_fp8_fp8 v[32:47], v[54:55], v[98:99], v[32:47]
	s_and_saveexec_b64 s[10:11], vcc
	s_cbranch_execz .LBB77_22
; %bb.20:                               ;   in Loop: Header=BB77_13 Depth=2
	s_mov_b64 s[12:13], 0
.LBB77_21:                              ;   Parent Loop BB77_7 Depth=1
                                        ;     Parent Loop BB77_13 Depth=2
                                        ; =>    This Inner Loop Header: Depth=3
	;;#ASMSTART
	s_sleep 0
	;;#ASMEND
	ds_read_b32 v98, v95 offset:32780
	s_waitcnt lgkmcnt(0)
	v_cmp_eq_u32_e32 vcc, v98, v71
	s_or_b64 s[12:13], vcc, s[12:13]
	s_andn2_b64 exec, exec, s[12:13]
	s_cbranch_execnz .LBB77_21
.LBB77_22:                              ;   in Loop: Header=BB77_13 Depth=2
	s_or_b64 exec, exec, s[10:11]
	v_add_u32_e32 v97, v74, v97
	v_add_u32_e32 v100, 0x1000, v97
	ds_read2_b32 v[98:99], v100 offset1:32
	ds_write_b32 v95, v96 offset:32780
	s_waitcnt lgkmcnt(1)
	v_mfma_f32_32x32x16_fp8_fp8 v[16:31], v[68:69], v[98:99], v[16:31]
	ds_read2_b32 v[98:99], v100 offset0:128 offset1:160
	v_add_u32_e32 v100, 0x1400, v97
	s_waitcnt lgkmcnt(0)
	v_mfma_f32_32x32x16_fp8_fp8 v[16:31], v[66:67], v[98:99], v[16:31]
	ds_read2_b32 v[98:99], v100 offset1:32
	s_waitcnt lgkmcnt(0)
	v_mfma_f32_32x32x16_fp8_fp8 v[16:31], v[64:65], v[98:99], v[16:31]
	ds_read2_b32 v[98:99], v100 offset0:128 offset1:160
	v_add_u32_e32 v100, 0x1800, v97
	s_waitcnt lgkmcnt(0)
	v_mfma_f32_32x32x16_fp8_fp8 v[16:31], v[62:63], v[98:99], v[16:31]
	ds_read2_b32 v[98:99], v100 offset1:32
	;; [unrolled: 7-line block ×3, first 2 shown]
	s_waitcnt lgkmcnt(0)
	v_mfma_f32_32x32x16_fp8_fp8 v[16:31], v[56:57], v[98:99], v[16:31]
	ds_read2_b32 v[98:99], v100 offset0:128 offset1:160
	ds_read_b32 v100, v95 offset:32788
	s_waitcnt lgkmcnt(0)
	v_cmp_ne_u32_e32 vcc, v100, v71
	v_mfma_f32_32x32x16_fp8_fp8 v[16:31], v[54:55], v[98:99], v[16:31]
	s_and_saveexec_b64 s[10:11], vcc
	s_cbranch_execz .LBB77_12
; %bb.23:                               ;   in Loop: Header=BB77_13 Depth=2
	s_mov_b64 s[12:13], 0
.LBB77_24:                              ;   Parent Loop BB77_7 Depth=1
                                        ;     Parent Loop BB77_13 Depth=2
                                        ; =>    This Inner Loop Header: Depth=3
	;;#ASMSTART
	s_sleep 0
	;;#ASMEND
	ds_read_b32 v98, v95 offset:32788
	s_waitcnt lgkmcnt(0)
	v_cmp_eq_u32_e32 vcc, v98, v71
	s_or_b64 s[12:13], vcc, s[12:13]
	s_andn2_b64 exec, exec, s[12:13]
	s_cbranch_execnz .LBB77_24
	s_branch .LBB77_12
.LBB77_25:                              ;   in Loop: Header=BB77_7 Depth=1
	s_or_b64 exec, exec, s[8:9]
.LBB77_26:                              ;   in Loop: Header=BB77_7 Depth=1
	v_writelane_b32 v102, s61, 25
	v_writelane_b32 v102, s39, 26
	s_or_b64 exec, exec, s[6:7]
	v_cmp_le_i32_e32 vcc, s70, v72
	v_cmp_eq_u32_e64 s[60:61], 1, v75
	v_cmp_eq_u32_e64 s[38:39], 2, v75
	s_waitcnt vmcnt(0)
	v_cndmask_b32_e32 v54, 0, v93, vcc
	v_pk_mul_f32 v[32:33], v[54:55], v[32:33] op_sel_hi:[0,1]
	v_pk_mul_f32 v[46:47], v[54:55], v[46:47] op_sel_hi:[0,1]
	;; [unrolled: 1-line block ×8, first 2 shown]
	v_cndmask_b32_e64 v54, v32, v33, s[60:61]
	v_cndmask_b32_e64 v54, v54, v34, s[38:39]
	v_cmp_eq_u32_e64 s[40:41], 3, v75
	v_cmp_eq_u32_e64 s[42:43], 4, v75
	v_cmp_eq_u32_e64 s[44:45], 5, v75
	v_cndmask_b32_e64 v54, v54, v35, s[40:41]
	v_cndmask_b32_e64 v54, v54, v36, s[42:43]
	v_cndmask_b32_e64 v54, v54, v37, s[44:45]
	v_cmp_eq_u32_e64 s[46:47], 6, v75
	v_cmp_eq_u32_e64 s[48:49], 7, v75
	v_cmp_eq_u32_e64 s[50:51], 8, v75
	v_cndmask_b32_e64 v54, v54, v38, s[46:47]
	;; [unrolled: 6-line block ×4, first 2 shown]
	v_cndmask_b32_e64 v54, v54, v45, s[62:63]
	v_cndmask_b32_e64 v54, v54, v46, s[64:65]
	v_cmp_eq_u32_e64 s[66:67], 15, v75
	s_mul_i32 s6, s3, s89
	s_ashr_i32 s7, s6, 31
	v_cndmask_b32_e64 v54, v54, v47, s[66:67]
	ds_bpermute_b32 v54, v91, v54
	s_lshl_b64 s[6:7], s[6:7], 1
	v_cmp_eq_u32_e64 s[34:35], 0, v75
	s_add_u32 s68, s20, s6
	v_cmp_eq_u32_e32 vcc, 1, v76
	s_waitcnt lgkmcnt(0)
	v_cndmask_b32_e64 v47, v47, v54, s[66:67]
	v_cndmask_b32_e64 v46, v46, v54, s[64:65]
	;; [unrolled: 1-line block ×16, first 2 shown]
	s_addc_u32 s69, s21, s7
	v_cndmask_b32_e32 v32, v54, v33, vcc
	v_cmp_eq_u32_e64 s[6:7], 2, v76
	v_cmp_eq_u32_e64 s[8:9], 3, v76
	;; [unrolled: 1-line block ×3, first 2 shown]
	v_cndmask_b32_e64 v32, v32, v63, s[6:7]
	v_cndmask_b32_e64 v32, v32, v62, s[8:9]
	;; [unrolled: 1-line block ×3, first 2 shown]
	v_cmp_eq_u32_e64 s[12:13], 5, v76
	v_cmp_eq_u32_e64 s[14:15], 6, v76
	;; [unrolled: 1-line block ×3, first 2 shown]
	v_cndmask_b32_e64 v32, v32, v60, s[12:13]
	v_cndmask_b32_e64 v32, v32, v59, s[14:15]
	;; [unrolled: 1-line block ×3, first 2 shown]
	v_cmp_eq_u32_e64 s[18:19], 8, v76
	v_cmp_eq_u32_e64 s[20:21], 9, v76
	;; [unrolled: 1-line block ×3, first 2 shown]
	v_cndmask_b32_e64 v32, v32, v57, s[18:19]
	v_cndmask_b32_e64 v32, v32, v41, s[20:21]
	s_ashr_i32 s5, s4, 31
	v_cndmask_b32_e64 v32, v32, v42, s[22:23]
	v_cmp_eq_u32_e64 s[24:25], 11, v76
	s_lshl_b64 s[36:37], s[4:5], 1
	v_cmp_eq_u32_e64 s[26:27], 12, v76
	v_cndmask_b32_e64 v32, v32, v43, s[24:25]
	s_add_u32 s36, s68, s36
	v_cndmask_b32_e64 v32, v32, v44, s[26:27]
	v_cmp_eq_u32_e64 s[28:29], 13, v76
	s_addc_u32 s37, s69, s37
	v_cmp_eq_u32_e64 s[30:31], 14, v76
	v_cndmask_b32_e64 v32, v32, v45, s[28:29]
	v_writelane_b32 v102, s36, 27
	v_cndmask_b32_e64 v32, v32, v46, s[30:31]
	v_cmp_le_i32_e64 s[68:69], s70, v83
	v_writelane_b32 v102, s37, 28
	v_cmp_eq_u32_e64 s[36:37], 15, v76
	v_cmp_eq_u32_e64 s[72:73], 11, v77
	;; [unrolled: 1-line block ×3, first 2 shown]
	v_cndmask_b32_e64 v32, v32, v47, s[36:37]
	ds_bpermute_b32 v55, v91, v32
	v_cndmask_b32_e64 v32, 0, v93, s[68:69]
	v_cmp_le_i32_e64 s[68:69], s70, v84
	v_cmp_eq_u32_e64 s[78:79], 14, v77
	v_cmp_eq_u32_e64 s[70:71], 8, v78
	s_waitcnt lgkmcnt(0)
	v_cndmask_b32_e64 v39, v42, v55, s[22:23]
	v_cndmask_b32_e64 v42, v58, v55, s[16:17]
	v_cndmask_b32_e32 v33, v33, v55, vcc
	v_cndmask_b32_e64 v58, 0, v93, s[68:69]
	v_pk_mul_f32 v[16:17], v[32:33], v[16:17] op_sel_hi:[0,1]
	v_pk_mul_f32 v[0:1], v[58:59], v[0:1] op_sel_hi:[0,1]
	v_cndmask_b32_e64 v36, v45, v55, s[28:29]
	v_cndmask_b32_e64 v37, v44, v55, s[26:27]
	;; [unrolled: 1-line block ×4, first 2 shown]
	v_pk_mul_f32 v[30:31], v[32:33], v[30:31] op_sel_hi:[0,1]
	v_pk_mul_f32 v[28:29], v[32:33], v[28:29] op_sel_hi:[0,1]
	;; [unrolled: 1-line block ×7, first 2 shown]
	v_cndmask_b32_e64 v32, v16, v17, s[60:61]
	v_pk_mul_f32 v[60:61], v[58:59], v[2:3] op_sel_hi:[0,1]
	v_cndmask_b32_e64 v2, v0, v1, s[60:61]
	v_cndmask_b32_e64 v32, v32, v18, s[38:39]
	v_cndmask_b32_e64 v2, v2, v60, s[38:39]
	v_cndmask_b32_e64 v32, v32, v19, s[40:41]
	v_pk_mul_f32 v[4:5], v[58:59], v[4:5] op_sel_hi:[0,1]
	v_cndmask_b32_e64 v2, v2, v61, s[40:41]
	v_cndmask_b32_e64 v32, v32, v20, s[42:43]
	v_cndmask_b32_e64 v2, v2, v4, s[42:43]
	;; [unrolled: 5-line block ×7, first 2 shown]
	v_cndmask_b32_e64 v32, v32, v31, s[66:67]
	v_cndmask_b32_e64 v2, v2, v15, s[66:67]
	ds_bpermute_b32 v32, v91, v32
	ds_bpermute_b32 v3, v91, v2
	v_cndmask_b32_e64 v40, v41, v55, s[20:21]
	v_cndmask_b32_e64 v41, v57, v55, s[18:19]
	v_cmp_eq_u32_e64 s[68:69], 0, v76
	s_waitcnt lgkmcnt(1)
	v_cndmask_b32_e64 v18, v18, v32, s[38:39]
	s_waitcnt lgkmcnt(0)
	v_cndmask_b32_e64 v57, v60, v3, s[38:39]
	v_cmp_ne_u32_e64 s[38:39], 0, v75
	v_cndmask_b32_e64 v54, v54, v55, s[68:69]
	v_cndmask_b32_e64 v2, v17, v32, s[60:61]
	v_cmp_eq_u32_e64 s[60:61], 1, v77
	v_cndmask_b32_e64 v1, v1, v3, s[38:39]
	v_cndmask_b32_e64 v16, v16, v32, s[34:35]
	;; [unrolled: 1-line block ×12, first 2 shown]
	v_cmp_eq_u32_e64 s[66:67], 2, v77
	v_cndmask_b32_e64 v30, v30, v32, s[64:65]
	v_cndmask_b32_e64 v14, v14, v3, s[64:65]
	;; [unrolled: 1-line block ×24, first 2 shown]
	v_cndmask_b32_e32 v32, v16, v2, vcc
	v_cndmask_b32_e32 v3, v0, v1, vcc
	v_cndmask_b32_e64 v17, v17, v47, s[66:67]
	v_cmp_eq_u32_e64 s[64:65], 3, v77
	v_cndmask_b32_e64 v32, v32, v18, s[6:7]
	v_cndmask_b32_e64 v3, v3, v57, s[6:7]
	v_cndmask_b32_e64 v17, v17, v46, s[64:65]
	v_cmp_eq_u32_e64 s[62:63], 4, v77
	v_cndmask_b32_e64 v32, v32, v19, s[8:9]
	v_cndmask_b32_e64 v3, v3, v55, s[8:9]
	;; [unrolled: 4-line block ×8, first 2 shown]
	v_cndmask_b32_e64 v17, v17, v39, s[48:49]
	v_cndmask_b32_e64 v32, v32, v26, s[22:23]
	;; [unrolled: 1-line block ×4, first 2 shown]
	v_cmp_eq_u32_e64 s[44:45], 12, v77
	v_cndmask_b32_e64 v32, v32, v27, s[24:25]
	v_cndmask_b32_e64 v3, v3, v11, s[24:25]
	;; [unrolled: 1-line block ×9, first 2 shown]
	v_cmp_eq_u32_e64 s[38:39], 15, v77
	v_cndmask_b32_e64 v32, v32, v30, s[30:31]
	v_cndmask_b32_e64 v3, v3, v14, s[30:31]
	;; [unrolled: 1-line block ×5, first 2 shown]
	ds_bpermute_b32 v17, v91, v17
	ds_bpermute_b32 v32, v91, v32
	ds_bpermute_b32 v3, v91, v3
	v_cmp_eq_u32_e64 s[40:41], 0, v77
	v_cmp_eq_u32_e64 s[34:35], 1, v78
	s_waitcnt lgkmcnt(2)
	v_cndmask_b32_e64 v34, v34, v17, s[38:39]
	v_cndmask_b32_e64 v35, v35, v17, s[78:79]
	;; [unrolled: 1-line block ×16, first 2 shown]
	s_waitcnt lgkmcnt(1)
	v_cndmask_b32_e32 v2, v2, v32, vcc
	s_waitcnt lgkmcnt(0)
	v_cndmask_b32_e32 v1, v1, v3, vcc
	v_cndmask_b32_e64 v16, v16, v32, s[68:69]
	v_cndmask_b32_e64 v0, v0, v3, s[68:69]
	;; [unrolled: 1-line block ×7, first 2 shown]
	v_cmp_eq_u32_e64 s[30:31], 2, v78
	v_cndmask_b32_e64 v29, v29, v32, s[28:29]
	v_cndmask_b32_e64 v13, v13, v3, s[28:29]
	;; [unrolled: 1-line block ×27, first 2 shown]
	v_cmp_eq_u32_e64 s[28:29], 3, v78
	v_cndmask_b32_e64 v32, v32, v18, s[66:67]
	v_cndmask_b32_e64 v3, v3, v57, s[66:67]
	v_cndmask_b32_e64 v54, v54, v46, s[28:29]
	v_cmp_eq_u32_e64 s[26:27], 4, v78
	v_cndmask_b32_e64 v32, v32, v19, s[64:65]
	v_cndmask_b32_e64 v3, v3, v55, s[64:65]
	v_cndmask_b32_e64 v54, v54, v45, s[26:27]
	;; [unrolled: 4-line block ×5, first 2 shown]
	v_cndmask_b32_e64 v32, v32, v23, s[54:55]
	v_cndmask_b32_e64 v3, v3, v7, s[54:55]
	v_cndmask_b32_e64 v54, v54, v41, s[70:71]
	v_cmp_eq_u32_e64 s[16:17], 9, v78
	v_cndmask_b32_e64 v32, v32, v24, s[52:53]
	v_cndmask_b32_e64 v3, v3, v8, s[52:53]
	v_cndmask_b32_e64 v54, v54, v40, s[16:17]
	v_cmp_eq_u32_e64 s[46:47], 10, v78
	;; [unrolled: 4-line block ×6, first 2 shown]
	v_cndmask_b32_e64 v32, v32, v29, s[76:77]
	v_cndmask_b32_e64 v3, v3, v13, s[76:77]
	v_cndmask_b32_e64 v54, v54, v35, s[6:7]
	v_cmp_eq_u32_e32 vcc, 15, v78
	v_cndmask_b32_e64 v32, v32, v30, s[78:79]
	v_cndmask_b32_e64 v3, v3, v14, s[78:79]
	v_cndmask_b32_e32 v54, v54, v34, vcc
	v_cndmask_b32_e64 v32, v32, v31, s[38:39]
	v_cndmask_b32_e64 v3, v3, v15, s[38:39]
	ds_bpermute_b32 v54, v91, v54
	ds_bpermute_b32 v32, v91, v32
	;; [unrolled: 1-line block ×3, first 2 shown]
	v_cmp_eq_u32_e64 s[14:15], 0, v78
	v_cmp_eq_u32_e64 s[10:11], 1, v79
	s_waitcnt lgkmcnt(2)
	v_cndmask_b32_e64 v33, v33, v54, s[34:35]
	v_cndmask_b32_e64 v17, v17, v54, s[14:15]
	s_waitcnt lgkmcnt(1)
	v_cndmask_b32_e64 v2, v2, v32, s[60:61]
	s_waitcnt lgkmcnt(0)
	v_cndmask_b32_e64 v1, v1, v3, s[60:61]
	v_cndmask_b32_e64 v16, v16, v32, s[40:41]
	;; [unrolled: 1-line block ×3, first 2 shown]
	v_cndmask_b32_e32 v34, v34, v54, vcc
	v_cndmask_b32_e64 v35, v35, v54, s[6:7]
	v_cndmask_b32_e64 v36, v36, v54, s[8:9]
	v_cndmask_b32_e64 v37, v37, v54, s[36:37]
	v_cndmask_b32_e64 v38, v38, v54, s[74:75]
	v_cndmask_b32_e64 v39, v39, v54, s[46:47]
	v_cndmask_b32_e64 v40, v40, v54, s[16:17]
	v_cndmask_b32_e64 v41, v41, v54, s[70:71]
	v_cndmask_b32_e64 v42, v42, v54, s[20:21]
	v_cndmask_b32_e64 v43, v43, v54, s[42:43]
	v_cndmask_b32_e64 v44, v44, v54, s[24:25]
	v_cndmask_b32_e64 v45, v45, v54, s[26:27]
	v_cndmask_b32_e64 v46, v46, v54, s[28:29]
	v_cndmask_b32_e64 v47, v47, v54, s[30:31]
	v_cndmask_b32_e64 v31, v31, v32, s[38:39]
	v_cndmask_b32_e64 v15, v15, v3, s[38:39]
	v_cndmask_b32_e64 v54, v17, v33, s[10:11]
	v_cndmask_b32_e64 v30, v30, v32, s[78:79]
	v_cndmask_b32_e64 v14, v14, v3, s[78:79]
	v_cmp_eq_u32_e64 s[12:13], 2, v79
	v_cndmask_b32_e64 v29, v29, v32, s[76:77]
	v_cndmask_b32_e64 v13, v13, v3, s[76:77]
	;; [unrolled: 1-line block ×27, first 2 shown]
	v_cmp_eq_u32_e64 s[18:19], 3, v79
	v_cndmask_b32_e64 v32, v32, v18, s[30:31]
	v_cndmask_b32_e64 v3, v3, v57, s[30:31]
	v_cndmask_b32_e64 v54, v54, v46, s[18:19]
	v_cmp_eq_u32_e64 s[22:23], 4, v79
	v_cndmask_b32_e64 v32, v32, v19, s[28:29]
	v_cndmask_b32_e64 v3, v3, v55, s[28:29]
	v_cndmask_b32_e64 v54, v54, v45, s[22:23]
	;; [unrolled: 4-line block ×13, first 2 shown]
	v_cndmask_b32_e32 v32, v32, v31, vcc
	v_cndmask_b32_e32 v3, v3, v15, vcc
	ds_bpermute_b32 v54, v91, v54
	ds_bpermute_b32 v32, v91, v32
	;; [unrolled: 1-line block ×3, first 2 shown]
	v_cmp_eq_u32_e64 s[58:59], 0, v79
	v_cmp_eq_u32_e64 s[40:41], 5, v80
	s_waitcnt lgkmcnt(2)
	v_cndmask_b32_e64 v33, v33, v54, s[10:11]
	v_cndmask_b32_e64 v17, v17, v54, s[58:59]
	s_waitcnt lgkmcnt(1)
	v_cndmask_b32_e32 v31, v31, v32, vcc
	s_waitcnt lgkmcnt(0)
	v_cndmask_b32_e32 v15, v15, v3, vcc
	v_cmp_eq_u32_e32 vcc, 1, v80
	v_cndmask_b32_e64 v34, v34, v54, s[84:85]
	v_cndmask_b32_e64 v35, v35, v54, s[82:83]
	v_cndmask_b32_e64 v36, v36, v54, s[80:81]
	v_cndmask_b32_e64 v37, v37, v54, s[78:79]
	v_cndmask_b32_e64 v38, v38, v54, s[76:77]
	v_cndmask_b32_e64 v39, v39, v54, s[72:73]
	v_cndmask_b32_e64 v40, v40, v54, s[68:69]
	v_cndmask_b32_e64 v41, v41, v54, s[52:53]
	v_cndmask_b32_e64 v42, v42, v54, s[48:49]
	v_cndmask_b32_e64 v43, v43, v54, s[44:45]
	v_cndmask_b32_e64 v44, v44, v54, s[38:39]
	v_cndmask_b32_e64 v45, v45, v54, s[22:23]
	v_cndmask_b32_e64 v46, v46, v54, s[18:19]
	v_cndmask_b32_e64 v47, v47, v54, s[12:13]
	v_cndmask_b32_e32 v54, v17, v33, vcc
	v_cndmask_b32_e64 v30, v30, v32, s[6:7]
	v_cndmask_b32_e64 v14, v14, v3, s[6:7]
	v_cmp_eq_u32_e64 s[6:7], 2, v80
	v_cndmask_b32_e64 v29, v29, v32, s[8:9]
	v_cndmask_b32_e64 v13, v13, v3, s[8:9]
	v_cndmask_b32_e64 v54, v54, v47, s[6:7]
	v_cmp_eq_u32_e64 s[8:9], 3, v80
	v_cndmask_b32_e64 v28, v28, v32, s[36:37]
	;; [unrolled: 4-line block ×3, first 2 shown]
	v_cndmask_b32_e64 v10, v10, v3, s[46:47]
	v_cndmask_b32_e64 v54, v54, v45, s[36:37]
	;; [unrolled: 1-line block ×3, first 2 shown]
	v_cmp_eq_u32_e64 s[46:47], 6, v80
	v_cmp_eq_u32_e64 s[50:51], 7, v80
	v_cmp_eq_u32_e64 s[54:55], 8, v80
	v_cndmask_b32_e64 v54, v54, v43, s[46:47]
	v_cndmask_b32_e64 v54, v54, v42, s[50:51]
	;; [unrolled: 1-line block ×3, first 2 shown]
	v_cmp_eq_u32_e64 s[56:57], 9, v80
	v_cmp_eq_u32_e64 s[62:63], 10, v80
	v_cndmask_b32_e64 v2, v2, v32, s[34:35]
	v_cndmask_b32_e64 v54, v54, v40, s[56:57]
	;; [unrolled: 1-line block ×18, first 2 shown]
	v_cmp_eq_u32_e64 s[64:65], 11, v80
	v_cndmask_b32_e64 v20, v20, v32, s[26:27]
	v_cndmask_b32_e64 v4, v4, v3, s[26:27]
	;; [unrolled: 1-line block ×9, first 2 shown]
	v_cmp_eq_u32_e64 s[66:67], 12, v80
	v_cndmask_b32_e64 v32, v32, v18, s[12:13]
	v_cndmask_b32_e64 v3, v3, v57, s[12:13]
	v_cndmask_b32_e64 v54, v54, v37, s[66:67]
	v_cmp_eq_u32_e64 s[70:71], 13, v80
	v_cndmask_b32_e64 v32, v32, v19, s[18:19]
	v_cndmask_b32_e64 v3, v3, v55, s[18:19]
	v_cndmask_b32_e64 v54, v54, v36, s[70:71]
	;; [unrolled: 4-line block ×4, first 2 shown]
	v_cndmask_b32_e64 v32, v32, v22, s[44:45]
	v_cndmask_b32_e64 v3, v3, v6, s[44:45]
	ds_bpermute_b32 v1, v91, v1
	v_cndmask_b32_e64 v32, v32, v23, s[48:49]
	v_cndmask_b32_e64 v3, v3, v7, s[48:49]
	;; [unrolled: 1-line block ×10, first 2 shown]
	v_cmp_eq_u32_e64 s[60:61], 0, v80
	v_cndmask_b32_e64 v32, v32, v28, s[78:79]
	v_cndmask_b32_e64 v3, v3, v12, s[78:79]
	s_waitcnt lgkmcnt(0)
	v_cndmask_b32_e32 v33, v33, v1, vcc
	v_cndmask_b32_e64 v17, v17, v1, s[60:61]
	v_cmp_eq_u32_e64 s[14:15], 1, v81
	v_cndmask_b32_e64 v34, v34, v1, s[86:87]
	v_cndmask_b32_e64 v35, v35, v1, s[74:75]
	;; [unrolled: 1-line block ×17, first 2 shown]
	v_cmp_eq_u32_e64 s[16:17], 2, v81
	v_cndmask_b32_e64 v32, v32, v30, s[82:83]
	v_cndmask_b32_e64 v3, v3, v14, s[82:83]
	;; [unrolled: 1-line block ×3, first 2 shown]
	v_cmp_eq_u32_e64 s[20:21], 3, v81
	v_cndmask_b32_e64 v32, v32, v31, s[84:85]
	v_cndmask_b32_e64 v3, v3, v15, s[84:85]
	;; [unrolled: 1-line block ×3, first 2 shown]
	v_cmp_eq_u32_e64 s[24:25], 4, v81
	ds_bpermute_b32 v32, v91, v32
	ds_bpermute_b32 v3, v91, v3
	v_cndmask_b32_e64 v1, v1, v45, s[24:25]
	v_cmp_eq_u32_e64 s[26:27], 5, v81
	v_cmp_eq_u32_e64 s[28:29], 6, v81
	;; [unrolled: 1-line block ×3, first 2 shown]
	v_cndmask_b32_e64 v1, v1, v44, s[26:27]
	v_cndmask_b32_e64 v1, v1, v43, s[28:29]
	;; [unrolled: 1-line block ×3, first 2 shown]
	v_cmp_eq_u32_e64 s[34:35], 8, v81
	v_cmp_eq_u32_e64 s[42:43], 9, v81
	s_waitcnt lgkmcnt(1)
	v_cndmask_b32_e64 v22, v22, v32, s[44:45]
	v_cndmask_b32_e64 v1, v1, v41, s[34:35]
	;; [unrolled: 1-line block ×3, first 2 shown]
	s_waitcnt lgkmcnt(0)
	v_cndmask_b32_e64 v6, v6, v3, s[44:45]
	v_cmp_eq_u32_e64 s[44:45], 10, v81
	v_cndmask_b32_e64 v21, v21, v32, s[38:39]
	v_cndmask_b32_e64 v5, v5, v3, s[38:39]
	v_cndmask_b32_e64 v1, v1, v39, s[44:45]
	v_cmp_eq_u32_e64 s[38:39], 11, v81
	v_cndmask_b32_e64 v20, v20, v32, s[22:23]
	v_cndmask_b32_e64 v4, v4, v3, s[22:23]
	v_cndmask_b32_e64 v1, v1, v38, s[38:39]
	v_cmp_eq_u32_e64 s[22:23], 12, v81
	v_cndmask_b32_e64 v19, v19, v32, s[18:19]
	v_cndmask_b32_e64 v54, v55, v3, s[18:19]
	v_cndmask_b32_e64 v1, v1, v37, s[22:23]
	v_cmp_eq_u32_e64 s[18:19], 13, v81
	v_cndmask_b32_e64 v15, v15, v3, s[84:85]
	v_cndmask_b32_e64 v14, v14, v3, s[82:83]
	v_cndmask_b32_e64 v13, v13, v3, s[80:81]
	v_cndmask_b32_e64 v12, v12, v3, s[78:79]
	;; [unrolled: 1-line block ×11, first 2 shown]
	v_cndmask_b32_e32 v0, v3, v57, vcc
	v_cndmask_b32_e64 v31, v31, v32, s[84:85]
	v_cndmask_b32_e64 v30, v30, v32, s[82:83]
	;; [unrolled: 1-line block ×13, first 2 shown]
	v_cndmask_b32_e32 v16, v32, v2, vcc
	v_cndmask_b32_e64 v0, v0, v54, s[8:9]
	v_cndmask_b32_e64 v16, v16, v18, s[6:7]
	;; [unrolled: 1-line block ×17, first 2 shown]
	v_cmp_eq_u32_e64 s[12:13], 14, v81
	v_cndmask_b32_e64 v16, v16, v26, s[62:63]
	v_cndmask_b32_e64 v0, v0, v12, s[66:67]
	;; [unrolled: 1-line block ×3, first 2 shown]
	v_cmp_eq_u32_e64 s[10:11], 15, v81
	v_cndmask_b32_e64 v16, v16, v27, s[64:65]
	v_cndmask_b32_e64 v0, v0, v13, s[70:71]
	;; [unrolled: 1-line block ×5, first 2 shown]
	ds_bpermute_b32 v55, v91, v55
	v_cndmask_b32_e64 v16, v16, v29, s[70:71]
	v_cndmask_b32_e64 v0, v0, v15, s[86:87]
	;; [unrolled: 1-line block ×3, first 2 shown]
	ds_bpermute_b32 v59, v91, v0
	v_cndmask_b32_e64 v16, v16, v31, s[86:87]
	ds_bpermute_b32 v58, v91, v16
	v_cmp_eq_u32_e64 s[68:69], 0, v81
	s_waitcnt lgkmcnt(2)
	v_cndmask_b32_e64 v33, v33, v55, s[14:15]
	v_cmp_eq_u32_e64 s[48:49], 1, v82
	v_cndmask_b32_e64 v0, v17, v55, s[68:69]
	v_cndmask_b32_e64 v34, v34, v55, s[10:11]
	;; [unrolled: 1-line block ×15, first 2 shown]
	s_waitcnt lgkmcnt(1)
	v_cndmask_b32_e64 v55, v15, v59, s[86:87]
	v_cndmask_b32_e64 v15, v0, v33, s[48:49]
	v_cmp_eq_u32_e64 s[52:53], 2, v82
	v_cndmask_b32_e64 v16, v14, v59, s[74:75]
	v_cmp_eq_u32_e64 s[58:59], 3, v82
	v_cndmask_b32_e64 v14, v15, v47, s[52:53]
	v_cndmask_b32_e64 v17, v13, v59, s[70:71]
	;; [unrolled: 1-line block ×3, first 2 shown]
	s_waitcnt lgkmcnt(0)
	v_cndmask_b32_e64 v28, v28, v58, s[66:67]
	v_cndmask_b32_e64 v60, v12, v59, s[66:67]
	v_cmp_eq_u32_e64 s[66:67], 4, v82
	v_cndmask_b32_e64 v27, v27, v58, s[64:65]
	v_cndmask_b32_e64 v61, v11, v59, s[64:65]
	v_cndmask_b32_e64 v12, v13, v45, s[66:67]
	v_cmp_eq_u32_e64 s[64:65], 5, v82
	v_cndmask_b32_e64 v26, v26, v58, s[62:63]
	;; [unrolled: 4-line block ×10, first 2 shown]
	v_cndmask_b32_e64 v69, v1, v59, s[6:7]
	v_cndmask_b32_e64 v4, v4, v36, s[8:9]
	v_cmp_eq_u32_e64 s[6:7], 14, v82
	v_cndmask_b32_e32 v93, v2, v58, vcc
	v_cndmask_b32_e32 v57, v57, v59, vcc
	v_cndmask_b32_e64 v1, v4, v35, s[6:7]
	v_cmp_eq_u32_e32 vcc, 15, v82
	v_cndmask_b32_e64 v29, v29, v58, s[70:71]
	v_cndmask_b32_e64 v30, v30, v58, s[74:75]
	v_cndmask_b32_e32 v1, v1, v34, vcc
	ds_bpermute_b32 v94, v91, v1
	v_cndmask_b32_e64 v1, v32, v58, s[60:61]
	v_cndmask_b32_e64 v2, v1, v93, s[14:15]
	;; [unrolled: 1-line block ×18, first 2 shown]
	s_waitcnt lgkmcnt(0)
	v_cndmask_b32_e32 v15, v34, v94, vcc
	v_cndmask_b32_e64 v13, v36, v94, s[8:9]
	ds_bpermute_b32 v34, v91, v2
	v_cndmask_b32_e64 v36, v32, v57, s[14:15]
	v_cndmask_b32_e64 v36, v36, v69, s[16:17]
	;; [unrolled: 1-line block ×6, first 2 shown]
	s_waitcnt lgkmcnt(0)
	v_cndmask_b32_e64 v31, v31, v34, s[10:11]
	v_cndmask_b32_e64 v30, v30, v34, s[12:13]
	v_cndmask_b32_e64 v29, v29, v34, s[18:19]
	v_cndmask_b32_e64 v28, v28, v34, s[22:23]
	v_cndmask_b32_e64 v27, v27, v34, s[38:39]
	v_cndmask_b32_e64 v26, v26, v34, s[44:45]
	v_cndmask_b32_e64 v25, v25, v34, s[42:43]
	v_cndmask_b32_e64 v24, v24, v34, s[34:35]
	v_cndmask_b32_e64 v23, v23, v34, s[30:31]
	v_cndmask_b32_e64 v22, v22, v34, s[28:29]
	v_cndmask_b32_e64 v21, v21, v34, s[26:27]
	v_cndmask_b32_e64 v20, v20, v34, s[24:25]
	v_cndmask_b32_e64 v19, v19, v34, s[20:21]
	v_cndmask_b32_e64 v18, v18, v34, s[16:17]
	v_cndmask_b32_e64 v35, v93, v34, s[14:15]
	v_cndmask_b32_e64 v34, v1, v34, s[68:69]
	v_cndmask_b32_e64 v36, v36, v66, s[28:29]
	v_cndmask_b32_e64 v1, v34, v35, s[48:49]
	v_cndmask_b32_e64 v36, v36, v65, s[30:31]
	v_cndmask_b32_e64 v1, v1, v18, s[52:53]
	v_cndmask_b32_e64 v36, v36, v64, s[34:35]
	v_cndmask_b32_e64 v1, v1, v19, s[58:59]
	v_cndmask_b32_e64 v36, v36, v63, s[42:43]
	v_cndmask_b32_e64 v1, v1, v20, s[66:67]
	v_cndmask_b32_e64 v36, v36, v62, s[44:45]
	v_cndmask_b32_e64 v1, v1, v21, s[64:65]
	v_cndmask_b32_e64 v36, v36, v61, s[38:39]
	v_cndmask_b32_e64 v1, v1, v22, s[62:63]
	v_cndmask_b32_e64 v36, v36, v60, s[22:23]
	v_cndmask_b32_e64 v1, v1, v23, s[56:57]
	v_cndmask_b32_e64 v36, v36, v17, s[18:19]
	v_cndmask_b32_e64 v1, v1, v24, s[54:55]
	v_cndmask_b32_e64 v36, v36, v16, s[12:13]
	v_cndmask_b32_e64 v1, v1, v25, s[50:51]
	v_cndmask_b32_e64 v36, v36, v55, s[10:11]
	v_cndmask_b32_e64 v1, v1, v26, s[46:47]
	ds_bpermute_b32 v36, v91, v36
	v_cndmask_b32_e64 v1, v1, v27, s[40:41]
	v_cndmask_b32_e64 v1, v1, v28, s[36:37]
	;; [unrolled: 1-line block ×4, first 2 shown]
	v_cndmask_b32_e32 v1, v1, v31, vcc
	s_waitcnt lgkmcnt(0)
	v_cndmask_b32_e64 v57, v57, v36, s[14:15]
	v_cndmask_b32_e64 v32, v32, v36, s[68:69]
	;; [unrolled: 1-line block ×4, first 2 shown]
	ds_bpermute_b32 v37, v91, v1
	v_cndmask_b32_e64 v1, v33, v94, s[48:49]
	v_cndmask_b32_e64 v33, v55, v36, s[10:11]
	;; [unrolled: 1-line block ×33, first 2 shown]
	v_cndmask_b32_e32 v16, v16, v33, vcc
	ds_bpermute_b32 v64, v91, v16
	v_cndmask_b32_e64 v3, v46, v94, s[58:59]
	s_waitcnt lgkmcnt(1)
	v_cndmask_b32_e64 v30, v30, v37, s[6:7]
	v_readlane_b32 s61, v102, 25
	v_cmp_eq_u32_e64 s[10:11], 0, v82
	s_waitcnt lgkmcnt(0)
	v_cndmask_b32_e64 v46, v38, v64, s[6:7]
	v_readlane_b32 s6, v102, 27
	v_readlane_b32 s7, v102, 28
	;; [unrolled: 1-line block ×5, first 2 shown]
	s_mov_b32 s5, 0
	s_max_i32 s60, s61, 0
	v_subrev_u32_e32 v92, s97, v92
	v_cndmask_b32_e64 v6, v43, v94, s[62:63]
	v_cndmask_b32_e64 v5, v44, v94, s[64:65]
	;; [unrolled: 1-line block ×5, first 2 shown]
	v_cndmask_b32_e32 v31, v31, v37, vcc
	v_cndmask_b32_e64 v29, v29, v37, s[8:9]
	v_cndmask_b32_e64 v28, v28, v37, s[36:37]
	;; [unrolled: 1-line block ×14, first 2 shown]
	v_cndmask_b32_e32 v47, v33, v64, vcc
	v_cndmask_b32_e64 v45, v39, v64, s[8:9]
	v_cndmask_b32_e64 v44, v40, v64, s[36:37]
	;; [unrolled: 1-line block ×14, first 2 shown]
	v_lshl_add_u64 v[54:55], s[6:7], 0, v[48:49]
	s_mov_b64 s[6:7], 0
	s_mov_b32 s16, 0
	v_readlane_b32 s25, v102, 11
	v_readlane_b32 s27, v102, 13
	;; [unrolled: 1-line block ×10, first 2 shown]
	s_mov_b64 s[20:21], 0x80
	v_readlane_b32 s39, v102, 26
                                        ; implicit-def: $sgpr8_sgpr9
	s_branch .LBB77_29
.LBB77_27:                              ;   in Loop: Header=BB77_29 Depth=2
	s_or_b64 exec, exec, s[12:13]
	s_andn2_b64 s[8:9], s[8:9], exec
	s_and_b64 s[12:13], s[14:15], exec
	s_or_b64 s[8:9], s[8:9], s[12:13]
.LBB77_28:                              ;   in Loop: Header=BB77_29 Depth=2
	s_or_b64 exec, exec, s[10:11]
	s_and_b64 s[10:11], exec, s[8:9]
	s_or_b64 s[6:7], s[10:11], s[6:7]
	s_andn2_b64 exec, exec, s[6:7]
	s_cbranch_execz .LBB77_32
.LBB77_29:                              ;   Parent Loop BB77_7 Depth=1
                                        ; =>  This Inner Loop Header: Depth=2
	s_and_b32 s12, s5, 24
	v_or_b32_e32 v57, s12, v89
	v_add_u32_e32 v58, s60, v57
	v_cmp_gt_u32_e32 vcc, 32, v58
	s_or_b64 s[8:9], s[8:9], exec
	s_and_saveexec_b64 s[10:11], vcc
	s_cbranch_execz .LBB77_28
; %bb.30:                               ;   in Loop: Header=BB77_29 Depth=2
	s_add_i32 s13, s16, 1
	s_set_gpr_idx_on s16, gpr_idx(SRC0)
	v_mov_b32_e32 v58, v0
	s_set_gpr_idx_off
	v_cvt_f16_f32_e32 v60, v58
	s_set_gpr_idx_on s13, gpr_idx(SRC0)
	v_mov_b32_e32 v58, v0
	s_set_gpr_idx_off
	v_cvt_f16_f32_sdwa v61, v58 dst_sel:WORD_1 dst_unused:UNUSED_PAD src0_sel:DWORD
	v_mul_lo_u32 v58, v57, s89
	v_ashrrev_i32_e32 v59, 31, v58
	v_lshl_add_u64 v[58:59], v[58:59], 1, v[54:55]
	v_or_b32_e32 v57, v61, v60
	;;#ASMSTART
	global_atomic_pk_add_f16 v[58:59], v57, off
	
	;;#ASMEND
	s_set_gpr_idx_on s16, gpr_idx(SRC0)
	v_mov_b32_e32 v57, v16
	s_set_gpr_idx_off
	v_cvt_f16_f32_e32 v57, v57
	s_set_gpr_idx_on s13, gpr_idx(SRC0)
	v_mov_b32_e32 v60, v16
	s_set_gpr_idx_off
	v_cvt_f16_f32_sdwa v62, v60 dst_sel:WORD_1 dst_unused:UNUSED_PAD src0_sel:DWORD
	v_lshl_add_u64 v[60:61], v[58:59], 0, 64
	v_lshl_add_u64 v[58:59], v[58:59], 0, s[20:21]
	s_mov_b64 s[14:15], -1
	v_or_b32_e32 v57, v62, v57
	;;#ASMSTART
	global_atomic_pk_add_f16 v[60:61], v57, off
	
	;;#ASMEND
	s_set_gpr_idx_on s16, gpr_idx(SRC0)
	v_mov_b32_e32 v57, v32
	s_set_gpr_idx_off
	v_cvt_f16_f32_e32 v57, v57
	s_set_gpr_idx_on s13, gpr_idx(SRC0)
	v_mov_b32_e32 v60, v32
	s_set_gpr_idx_off
	v_cvt_f16_f32_sdwa v60, v60 dst_sel:WORD_1 dst_unused:UNUSED_PAD src0_sel:DWORD
	s_nop 0
	v_or_b32_e32 v57, v60, v57
	;;#ASMSTART
	global_atomic_pk_add_f16 v[58:59], v57, off
	
	;;#ASMEND
	v_or_b32_e32 v57, s12, v90
	v_add_u32_e32 v58, s60, v57
	v_cmp_gt_u32_e32 vcc, 32, v58
	s_and_saveexec_b64 s[12:13], vcc
	s_cbranch_execz .LBB77_27
; %bb.31:                               ;   in Loop: Header=BB77_29 Depth=2
	s_add_i32 s14, s16, 2
	s_add_i32 s15, s16, 3
	s_set_gpr_idx_on s14, gpr_idx(SRC0)
	v_mov_b32_e32 v58, v0
	s_set_gpr_idx_off
	v_cvt_f16_f32_e32 v60, v58
	s_set_gpr_idx_on s15, gpr_idx(SRC0)
	v_mov_b32_e32 v58, v0
	s_set_gpr_idx_off
	v_cvt_f16_f32_sdwa v61, v58 dst_sel:WORD_1 dst_unused:UNUSED_PAD src0_sel:DWORD
	v_mul_lo_u32 v58, v57, s89
	v_ashrrev_i32_e32 v59, 31, v58
	v_lshl_add_u64 v[58:59], v[58:59], 1, v[54:55]
	v_or_b32_e32 v57, v61, v60
	;;#ASMSTART
	global_atomic_pk_add_f16 v[58:59], v57, off
	
	;;#ASMEND
	s_set_gpr_idx_on s14, gpr_idx(SRC0)
	v_mov_b32_e32 v57, v16
	s_set_gpr_idx_off
	v_cvt_f16_f32_e32 v57, v57
	s_set_gpr_idx_on s15, gpr_idx(SRC0)
	v_mov_b32_e32 v60, v16
	s_set_gpr_idx_off
	v_cvt_f16_f32_sdwa v62, v60 dst_sel:WORD_1 dst_unused:UNUSED_PAD src0_sel:DWORD
	v_lshl_add_u64 v[60:61], v[58:59], 0, 64
	s_add_i32 s16, s16, 4
	s_add_i32 s5, s5, 8
	v_or_b32_e32 v57, v62, v57
	;;#ASMSTART
	global_atomic_pk_add_f16 v[60:61], v57, off
	
	;;#ASMEND
	s_set_gpr_idx_on s14, gpr_idx(SRC0)
	v_mov_b32_e32 v57, v32
	s_set_gpr_idx_off
	v_cvt_f16_f32_e32 v57, v57
	s_set_gpr_idx_on s15, gpr_idx(SRC0)
	v_mov_b32_e32 v60, v32
	s_set_gpr_idx_off
	v_cvt_f16_f32_sdwa v60, v60 dst_sel:WORD_1 dst_unused:UNUSED_PAD src0_sel:DWORD
	s_cmp_eq_u32 s16, 16
	s_cselect_b64 s[14:15], -1, 0
	s_orn2_b64 s[14:15], s[14:15], exec
	v_lshl_add_u64 v[58:59], v[58:59], 0, s[20:21]
	v_or_b32_e32 v57, v60, v57
	;;#ASMSTART
	global_atomic_pk_add_f16 v[58:59], v57, off
	
	;;#ASMEND
	s_branch .LBB77_27
.LBB77_32:                              ;   in Loop: Header=BB77_7 Depth=1
	s_or_b64 exec, exec, s[6:7]
	v_readlane_b32 s16, v102, 2
	v_readlane_b32 s8, v102, 23
	v_readlane_b32 s14, v102, 0
	v_readlane_b32 s15, v102, 1
	v_readlane_b32 s17, v102, 3
	v_readlane_b32 s18, v102, 4
	v_readlane_b32 s19, v102, 5
	v_readlane_b32 s20, v102, 6
	v_readlane_b32 s21, v102, 7
	v_readlane_b32 s22, v102, 8
	v_readlane_b32 s23, v102, 9
	v_readlane_b32 s9, v102, 24
.LBB77_33:                              ;   in Loop: Header=BB77_7 Depth=1
	s_or_b64 exec, exec, s[8:9]
.LBB77_34:                              ;   in Loop: Header=BB77_7 Depth=1
	s_andn2_saveexec_b64 s[0:1], s[0:1]
	s_cbranch_execz .LBB77_43
; %bb.35:                               ;   in Loop: Header=BB77_7 Depth=1
	s_mul_i32 s12, s97, 3
	v_cmp_gt_i32_e32 vcc, s12, v92
	s_and_saveexec_b64 s[6:7], vcc
	s_cbranch_execz .LBB77_42
; %bb.36:                               ;   in Loop: Header=BB77_7 Depth=1
	s_mul_i32 s4, s4, s91
	s_ashr_i32 s5, s4, 31
	s_add_u32 s4, s18, s4
	s_addc_u32 s5, s19, s5
	s_ashr_i32 s8, s39, 31
	s_add_u32 s4, s4, s39
	s_addc_u32 s5, s5, s8
	v_lshl_add_u64 v[0:1], s[4:5], 0, v[52:53]
	v_lshl_add_u64 v[16:17], v[0:1], 0, v[50:51]
	s_mov_b64 s[4:5], 0
	s_branch .LBB77_38
.LBB77_37:                              ;   in Loop: Header=BB77_38 Depth=2
	s_or_b64 exec, exec, s[8:9]
	v_lshl_or_b32 v20, v18, 12, v85
	;;#ASMSTART
	s_waitcnt vmcnt(3)
	;;#ASMEND
	ds_write2_b32 v20, v12, v13 offset1:32
	ds_write2_b32 v20, v14, v15 offset0:64 offset1:96
	v_add_u32_e32 v12, 0x400, v20
	;;#ASMSTART
	s_waitcnt vmcnt(2)
	;;#ASMEND
	ds_write2_b32 v12, v8, v9 offset1:32
	ds_write2_b32 v12, v10, v11 offset0:64 offset1:96
	v_add_u32_e32 v8, 0x800, v20
	;; [unrolled: 6-line block ×3, first 2 shown]
	v_add_u32_e32 v92, s94, v92
	;;#ASMSTART
	s_waitcnt vmcnt(0)
	;;#ASMEND
	ds_write2_b32 v4, v0, v1 offset1:32
	ds_write2_b32 v4, v2, v3 offset0:64 offset1:96
	v_add_u32_e32 v0, 1, v71
	v_add_u32_e32 v56, s94, v18
	v_cmp_le_i32_e32 vcc, s12, v92
	ds_write_b32 v19, v0 offset:8
	v_add_u32_e32 v0, 2, v71
	s_or_b64 s[4:5], vcc, s[4:5]
	v_cmp_lt_i32_e32 vcc, 5, v56
	s_nop 1
	v_cndmask_b32_e32 v71, v71, v0, vcc
	s_andn2_b64 exec, exec, s[4:5]
	s_cbranch_execz .LBB77_41
.LBB77_38:                              ;   Parent Loop BB77_7 Depth=1
                                        ; =>  This Loop Header: Depth=2
                                        ;       Child Loop BB77_40 Depth 3
	v_cmp_gt_i32_e32 vcc, 6, v56
	s_mov_b32 s8, 0x55555556
	s_nop 0
	v_cndmask_b32_e64 v0, -6, 0, vcc
	v_add_u32_e32 v18, v0, v56
	v_mul_hi_i32 v0, v92, s8
	v_lshrrev_b32_e32 v1, 31, v0
	v_add_u32_e32 v0, v0, v1
	v_lshl_add_u32 v1, v0, 1, v0
	v_sub_u32_e32 v2, v92, v1
	v_lshlrev_b32_e32 v0, 7, v0
	v_ashrrev_i32_e32 v1, 31, v0
	v_mul_lo_u32 v2, s33, v2
	v_lshl_add_u64 v[0:1], v[16:17], 0, v[0:1]
	v_ashrrev_i32_e32 v3, 31, v2
	v_lshl_add_u64 v[0:1], v[0:1], 0, v[2:3]
	v_lshlrev_b32_e32 v19, 2, v18
	;;#ASMSTART
	global_load_dwordx4 v[12:15], v[0:1], off offset:0   sc0 sc1 nt  
	global_load_dwordx4 v[8:11], v[0:1], off offset:32  sc0 sc1 nt  
	global_load_dwordx4 v[4:7], v[0:1], off offset:64  sc0 sc1 nt  
	;; [unrolled: 1-line block ×3, first 2 shown]
	
	;;#ASMEND
	ds_read_b32 v20, v19 offset:32776
	v_add_u32_e32 v19, 0x8000, v19
	s_waitcnt lgkmcnt(0)
	v_cmp_ne_u32_e32 vcc, v20, v71
	s_and_saveexec_b64 s[8:9], vcc
	s_cbranch_execz .LBB77_37
; %bb.39:                               ;   in Loop: Header=BB77_38 Depth=2
	s_mov_b64 s[10:11], 0
.LBB77_40:                              ;   Parent Loop BB77_7 Depth=1
                                        ;     Parent Loop BB77_38 Depth=2
                                        ; =>    This Inner Loop Header: Depth=3
	;;#ASMSTART
	s_sleep 0
	;;#ASMEND
	ds_read_b32 v20, v19 offset:8
	s_waitcnt lgkmcnt(0)
	v_cmp_eq_u32_e32 vcc, v20, v71
	s_or_b64 s[10:11], vcc, s[10:11]
	s_andn2_b64 exec, exec, s[10:11]
	s_cbranch_execnz .LBB77_40
	s_branch .LBB77_37
.LBB77_41:                              ;   in Loop: Header=BB77_7 Depth=1
	s_or_b64 exec, exec, s[4:5]
.LBB77_42:                              ;   in Loop: Header=BB77_7 Depth=1
	s_or_b64 exec, exec, s[6:7]
	v_subrev_u32_e32 v92, s12, v92
.LBB77_43:                              ;   in Loop: Header=BB77_7 Depth=1
	s_or_b64 exec, exec, s[0:1]
.LBB77_44:                              ;   in Loop: Header=BB77_7 Depth=1
	s_andn2_saveexec_b64 s[0:1], s[98:99]
	s_cbranch_execz .LBB77_6
; %bb.45:                               ;   in Loop: Header=BB77_7 Depth=1
	v_cmp_gt_i32_e32 vcc, s97, v92
	s_and_saveexec_b64 s[4:5], vcc
	s_cbranch_execz .LBB77_5
; %bb.46:                               ;   in Loop: Header=BB77_7 Depth=1
	s_mul_i32 s3, s3, s90
	s_ashr_i32 s6, s3, 31
	s_add_u32 s3, s16, s3
	s_addc_u32 s7, s17, s6
	s_ashr_i32 s8, s39, 31
	v_cmp_le_i32_e32 vcc, s61, v86
	s_add_u32 s6, s3, s39
	s_addc_u32 s7, s7, s8
	v_cndmask_b32_e32 v0, 0, v87, vcc
	v_ashrrev_i32_e32 v1, 31, v0
	v_lshl_add_u64 v[0:1], s[6:7], 0, v[0:1]
	v_lshl_add_u64 v[16:17], v[0:1], 0, v[50:51]
	s_mov_b64 s[6:7], 0
	s_branch .LBB77_48
.LBB77_47:                              ;   in Loop: Header=BB77_48 Depth=2
	s_or_b64 exec, exec, s[8:9]
	v_lshl_add_u32 v20, v18, 12, v88
	;;#ASMSTART
	s_waitcnt vmcnt(3)
	;;#ASMEND
	ds_write2_b32 v20, v12, v13 offset1:32
	ds_write2_b32 v20, v14, v15 offset0:64 offset1:96
	v_add_u32_e32 v12, 0x400, v20
	;;#ASMSTART
	s_waitcnt vmcnt(2)
	;;#ASMEND
	ds_write2_b32 v12, v8, v9 offset1:32
	ds_write2_b32 v12, v10, v11 offset0:64 offset1:96
	v_add_u32_e32 v8, 0x800, v20
	;; [unrolled: 6-line block ×3, first 2 shown]
	v_add_u32_e32 v92, s93, v92
	;;#ASMSTART
	s_waitcnt vmcnt(0)
	;;#ASMEND
	ds_write2_b32 v4, v0, v1 offset1:32
	ds_write2_b32 v4, v2, v3 offset0:64 offset1:96
	v_add_u32_e32 v0, 1, v71
	v_add_u32_e32 v56, s93, v18
	v_cmp_le_i32_e32 vcc, s97, v92
	ds_write_b32 v19, v0
	v_add_u32_e32 v0, 2, v71
	s_or_b64 s[6:7], vcc, s[6:7]
	v_cmp_lt_i32_e32 vcc, 1, v56
	s_nop 1
	v_cndmask_b32_e32 v71, v71, v0, vcc
	s_andn2_b64 exec, exec, s[6:7]
	s_cbranch_execz .LBB77_4
.LBB77_48:                              ;   Parent Loop BB77_7 Depth=1
                                        ; =>  This Loop Header: Depth=2
                                        ;       Child Loop BB77_50 Depth 3
	v_cmp_gt_i32_e32 vcc, 2, v56
	s_nop 1
	v_cndmask_b32_e64 v0, -2, 0, vcc
	v_add_u32_e32 v18, v0, v56
	v_lshlrev_b32_e32 v0, 7, v92
	v_ashrrev_i32_e32 v1, 31, v0
	v_lshl_add_u64 v[0:1], v[16:17], 0, v[0:1]
	v_lshlrev_b32_e32 v19, 2, v18
	;;#ASMSTART
	global_load_dwordx4 v[12:15], v[0:1], off offset:0   
	global_load_dwordx4 v[8:11], v[0:1], off offset:32  
	;; [unrolled: 1-line block ×4, first 2 shown]
	
	;;#ASMEND
	ds_read_b32 v20, v19 offset:32768
	v_add_u32_e32 v19, 0x8000, v19
	s_waitcnt lgkmcnt(0)
	v_cmp_ne_u32_e32 vcc, v20, v71
	s_and_saveexec_b64 s[8:9], vcc
	s_cbranch_execz .LBB77_47
; %bb.49:                               ;   in Loop: Header=BB77_48 Depth=2
	s_mov_b64 s[10:11], 0
.LBB77_50:                              ;   Parent Loop BB77_7 Depth=1
                                        ;     Parent Loop BB77_48 Depth=2
                                        ; =>    This Inner Loop Header: Depth=3
	;;#ASMSTART
	s_sleep 0
	;;#ASMEND
	ds_read_b32 v20, v19
	s_waitcnt lgkmcnt(0)
	v_cmp_eq_u32_e32 vcc, v20, v71
	s_or_b64 s[10:11], vcc, s[10:11]
	s_andn2_b64 exec, exec, s[10:11]
	s_cbranch_execnz .LBB77_50
	s_branch .LBB77_47
.LBB77_51:
	s_endpgm
	.section	.rodata,"a",@progbits
	.p2align	6, 0x0
	.amdhsa_kernel _Z19_skinny_gemm_kernelILi1ELi3ELi2ELi32ELi8EEvPKhS1_P6__halfPKfiiiiiiii
		.amdhsa_group_segment_fixed_size 32800
		.amdhsa_private_segment_fixed_size 0
		.amdhsa_kernarg_size 64
		.amdhsa_user_sgpr_count 2
		.amdhsa_user_sgpr_dispatch_ptr 0
		.amdhsa_user_sgpr_queue_ptr 0
		.amdhsa_user_sgpr_kernarg_segment_ptr 1
		.amdhsa_user_sgpr_dispatch_id 0
		.amdhsa_user_sgpr_kernarg_preload_length 0
		.amdhsa_user_sgpr_kernarg_preload_offset 0
		.amdhsa_user_sgpr_private_segment_size 0
		.amdhsa_uses_dynamic_stack 0
		.amdhsa_enable_private_segment 0
		.amdhsa_system_sgpr_workgroup_id_x 1
		.amdhsa_system_sgpr_workgroup_id_y 0
		.amdhsa_system_sgpr_workgroup_id_z 0
		.amdhsa_system_sgpr_workgroup_info 0
		.amdhsa_system_vgpr_workitem_id 0
		.amdhsa_next_free_vgpr 103
		.amdhsa_next_free_sgpr 100
		.amdhsa_accum_offset 104
		.amdhsa_reserve_vcc 1
		.amdhsa_float_round_mode_32 0
		.amdhsa_float_round_mode_16_64 0
		.amdhsa_float_denorm_mode_32 3
		.amdhsa_float_denorm_mode_16_64 3
		.amdhsa_dx10_clamp 1
		.amdhsa_ieee_mode 1
		.amdhsa_fp16_overflow 0
		.amdhsa_tg_split 0
		.amdhsa_exception_fp_ieee_invalid_op 0
		.amdhsa_exception_fp_denorm_src 0
		.amdhsa_exception_fp_ieee_div_zero 0
		.amdhsa_exception_fp_ieee_overflow 0
		.amdhsa_exception_fp_ieee_underflow 0
		.amdhsa_exception_fp_ieee_inexact 0
		.amdhsa_exception_int_div_zero 0
	.end_amdhsa_kernel
	.section	.text._Z19_skinny_gemm_kernelILi1ELi3ELi2ELi32ELi8EEvPKhS1_P6__halfPKfiiiiiiii,"axG",@progbits,_Z19_skinny_gemm_kernelILi1ELi3ELi2ELi32ELi8EEvPKhS1_P6__halfPKfiiiiiiii,comdat
.Lfunc_end77:
	.size	_Z19_skinny_gemm_kernelILi1ELi3ELi2ELi32ELi8EEvPKhS1_P6__halfPKfiiiiiiii, .Lfunc_end77-_Z19_skinny_gemm_kernelILi1ELi3ELi2ELi32ELi8EEvPKhS1_P6__halfPKfiiiiiiii
                                        ; -- End function
	.set _Z19_skinny_gemm_kernelILi1ELi3ELi2ELi32ELi8EEvPKhS1_P6__halfPKfiiiiiiii.num_vgpr, 103
	.set _Z19_skinny_gemm_kernelILi1ELi3ELi2ELi32ELi8EEvPKhS1_P6__halfPKfiiiiiiii.num_agpr, 0
	.set _Z19_skinny_gemm_kernelILi1ELi3ELi2ELi32ELi8EEvPKhS1_P6__halfPKfiiiiiiii.numbered_sgpr, 100
	.set _Z19_skinny_gemm_kernelILi1ELi3ELi2ELi32ELi8EEvPKhS1_P6__halfPKfiiiiiiii.num_named_barrier, 0
	.set _Z19_skinny_gemm_kernelILi1ELi3ELi2ELi32ELi8EEvPKhS1_P6__halfPKfiiiiiiii.private_seg_size, 0
	.set _Z19_skinny_gemm_kernelILi1ELi3ELi2ELi32ELi8EEvPKhS1_P6__halfPKfiiiiiiii.uses_vcc, 1
	.set _Z19_skinny_gemm_kernelILi1ELi3ELi2ELi32ELi8EEvPKhS1_P6__halfPKfiiiiiiii.uses_flat_scratch, 0
	.set _Z19_skinny_gemm_kernelILi1ELi3ELi2ELi32ELi8EEvPKhS1_P6__halfPKfiiiiiiii.has_dyn_sized_stack, 0
	.set _Z19_skinny_gemm_kernelILi1ELi3ELi2ELi32ELi8EEvPKhS1_P6__halfPKfiiiiiiii.has_recursion, 0
	.set _Z19_skinny_gemm_kernelILi1ELi3ELi2ELi32ELi8EEvPKhS1_P6__halfPKfiiiiiiii.has_indirect_call, 0
	.section	.AMDGPU.csdata,"",@progbits
; Kernel info:
; codeLenInByte = 12020
; TotalNumSgprs: 106
; NumVgprs: 103
; NumAgprs: 0
; TotalNumVgprs: 103
; ScratchSize: 0
; MemoryBound: 0
; FloatMode: 240
; IeeeMode: 1
; LDSByteSize: 32800 bytes/workgroup (compile time only)
; SGPRBlocks: 13
; VGPRBlocks: 12
; NumSGPRsForWavesPerEU: 106
; NumVGPRsForWavesPerEU: 103
; AccumOffset: 104
; Occupancy: 4
; WaveLimiterHint : 0
; COMPUTE_PGM_RSRC2:SCRATCH_EN: 0
; COMPUTE_PGM_RSRC2:USER_SGPR: 2
; COMPUTE_PGM_RSRC2:TRAP_HANDLER: 0
; COMPUTE_PGM_RSRC2:TGID_X_EN: 1
; COMPUTE_PGM_RSRC2:TGID_Y_EN: 0
; COMPUTE_PGM_RSRC2:TGID_Z_EN: 0
; COMPUTE_PGM_RSRC2:TIDIG_COMP_CNT: 0
; COMPUTE_PGM_RSRC3_GFX90A:ACCUM_OFFSET: 25
; COMPUTE_PGM_RSRC3_GFX90A:TG_SPLIT: 0
	.section	.text._Z19_skinny_gemm_kernelILi1ELi3ELi3ELi8ELi4EEvPKhS1_P6__halfPKfiiiiiiii,"axG",@progbits,_Z19_skinny_gemm_kernelILi1ELi3ELi3ELi8ELi4EEvPKhS1_P6__halfPKfiiiiiiii,comdat
	.protected	_Z19_skinny_gemm_kernelILi1ELi3ELi3ELi8ELi4EEvPKhS1_P6__halfPKfiiiiiiii ; -- Begin function _Z19_skinny_gemm_kernelILi1ELi3ELi3ELi8ELi4EEvPKhS1_P6__halfPKfiiiiiiii
	.globl	_Z19_skinny_gemm_kernelILi1ELi3ELi3ELi8ELi4EEvPKhS1_P6__halfPKfiiiiiiii
	.p2align	8
	.type	_Z19_skinny_gemm_kernelILi1ELi3ELi3ELi8ELi4EEvPKhS1_P6__halfPKfiiiiiiii,@function
_Z19_skinny_gemm_kernelILi1ELi3ELi3ELi8ELi4EEvPKhS1_P6__halfPKfiiiiiiii: ; @_Z19_skinny_gemm_kernelILi1ELi3ELi3ELi8ELi4EEvPKhS1_P6__halfPKfiiiiiiii
; %bb.0:
	v_cmp_gt_u32_e32 vcc, 12, v0
	v_lshlrev_b32_e32 v1, 2, v0
	s_and_saveexec_b64 s[4:5], vcc
; %bb.1:
	v_mov_b32_e32 v2, 0
	ds_write_b32 v1, v2 offset:43008
; %bb.2:
	s_or_b64 exec, exec, s[4:5]
	s_load_dwordx8 s[12:19], s[0:1], 0x20
	s_waitcnt lgkmcnt(0)
	s_barrier
	s_add_i32 s3, s12, 7
	s_ashr_i32 s5, s3, 31
	s_add_i32 s4, s13, 47
	s_lshr_b32 s5, s5, 29
	s_mul_hi_i32 s4, s4, 0x2aaaaaab
	s_add_i32 s3, s3, s5
	s_ashr_i32 s33, s3, 3
	s_lshr_b32 s3, s4, 31
	s_ashr_i32 s42, s4, 3
	s_add_i32 s42, s42, s3
	s_mul_i32 s3, s42, s33
	s_mul_i32 s3, s3, s16
	s_add_i32 s4, s3, 0x12f
	s_mul_hi_i32 s4, s4, 0x6bca1af3
	s_lshr_b32 s5, s4, 31
	s_ashr_i32 s4, s4, 7
	s_add_i32 s4, s4, s5
	s_add_i32 s5, s2, 1
	s_mul_i32 s5, s4, s5
	v_cvt_f64_i32_e32 v[2:3], s3
	v_cvt_f64_u32_e32 v[4:5], s5
	v_min_f64 v[2:3], v[2:3], v[4:5]
	v_cvt_i32_f64_e32 v17, v[2:3]
	s_mul_i32 s43, s4, s2
	v_cmp_ge_i32_e32 vcc, s43, v17
	s_cbranch_vccnz .LBB78_47
; %bb.3:
	v_lshrrev_b32_e32 v2, 6, v0
	s_add_i32 s4, s18, s17
	s_load_dwordx8 s[20:27], s[0:1], 0x0
	v_cmp_le_i32_e64 s[0:1], s4, v2
	v_mov_b32_e32 v3, s17
	v_cmp_le_i32_e64 s[2:3], s17, v2
	v_mov_b32_e32 v4, s18
	v_cndmask_b32_e64 v4, 0, v4, s[0:1]
	v_cndmask_b32_e64 v3, 0, v3, s[2:3]
	s_abs_i32 s5, s16
	v_add_u32_e32 v3, v3, v4
	v_cvt_f32_u32_e32 v4, s5
	v_sub_u32_e32 v14, v2, v3
	s_ashr_i32 s6, s14, 31
	s_lshr_b32 s6, s6, 24
	v_rcp_iflag_f32_e32 v3, v4
	s_sub_i32 s9, 0, s5
	s_add_i32 s6, s14, s6
	s_ashr_i32 s6, s6, 8
	v_mul_f32_e32 v3, 0x4f7ffffe, v3
	v_cvt_u32_f32_e32 v3, v3
	s_abs_i32 s8, s6
	s_xor_b32 s7, s6, s16
	s_ashr_i32 s7, s7, 31
	v_readfirstlane_b32 s10, v3
	s_mul_i32 s9, s9, s10
	s_mul_hi_u32 s9, s10, s9
	s_add_i32 s10, s10, s9
	s_mul_hi_u32 s9, s8, s10
	s_mul_i32 s10, s9, s5
	s_sub_i32 s8, s8, s10
	s_add_i32 s10, s9, 1
	s_sub_i32 s11, s8, s5
	s_cmp_ge_u32 s8, s5
	s_cselect_b32 s9, s10, s9
	s_cselect_b32 s8, s11, s8
	s_add_i32 s10, s9, 1
	s_cmp_ge_u32 s8, s5
	s_cselect_b32 s5, s10, s9
	s_xor_b32 s5, s5, s7
	s_sub_i32 s44, s5, s7
	s_add_i32 s16, s16, -1
	s_mul_i32 s5, s44, s16
	s_add_i32 s4, s4, s19
	s_sub_i32 s45, s6, s5
	v_cmp_gt_i32_e64 s[4:5], s4, v2
	v_and_b32_e32 v2, 1, v0
	v_lshlrev_b32_e32 v3, 1, v0
	v_and_b32_e32 v3, 0x7c, v3
	v_lshlrev_b32_e32 v4, 8, v2
	v_lshlrev_b32_e32 v5, 4, v0
	s_mov_b32 s7, 0x9000
	s_movk_i32 s6, 0x7c
	v_and_b32_e32 v6, 0x200, v5
	v_or3_b32 v34, v3, v4, s7
	v_lshrrev_b32_e32 v3, 3, v0
	v_cmp_eq_u32_e32 vcc, 0, v2
	v_and_or_b32 v35, v1, s6, v6
	v_lshlrev_b32_e32 v1, 1, v2
	v_and_or_b32 v2, v3, 6, v2
	v_sub_u32_e32 v39, 8, v2
	v_mul_lo_u32 v18, s13, v2
	v_bfe_u32 v2, v0, 2, 4
	v_lshlrev_b32_e32 v4, 8, v0
	v_lshlrev_b32_e32 v6, 6, v0
	v_mul_lo_u32 v24, s15, v2
	v_and_b32_e32 v2, 60, v0
	v_and_b32_e32 v4, 0x200, v4
	;; [unrolled: 1-line block ×3, first 2 shown]
	s_abs_i32 s47, s33
	v_or3_b32 v40, v2, v4, v6
	v_cvt_f32_u32_e32 v6, s47
	v_lshlrev_b32_e32 v4, 7, v0
	v_and_b32_e32 v16, 14, v0
	v_bitop3_b32 v36, v0, 1, v0 bitop3:0xc
	v_sub_u32_e32 v1, v0, v1
	v_bfe_u32 v2, v0, 3, 3
	v_and_b32_e32 v4, 0x200, v4
	v_lshlrev_b32_e32 v0, 5, v0
	v_lshl_or_b32 v4, v2, 2, v4
	v_and_b32_e32 v0, 0x60, v0
	v_or3_b32 v41, v4, v0, s7
	v_rcp_iflag_f32_e32 v0, v6
	s_abs_i32 s48, s42
	v_mul_lo_u32 v43, s14, v2
	v_cvt_f32_u32_e32 v2, s48
	v_mul_f32_e32 v0, 0x4f7ffffe, v0
	v_cvt_u32_f32_e32 v0, v0
	s_sub_i32 s6, 0, s47
	v_rcp_iflag_f32_e32 v2, v2
	v_add_u32_e32 v1, 1, v1
	v_readfirstlane_b32 s7, v0
	s_mul_i32 s6, s6, s7
	v_mul_f32_e32 v0, 0x4f7ffffe, v2
	v_cvt_u32_f32_e32 v0, v0
	s_mul_hi_u32 s6, s7, s6
	s_add_i32 s50, s7, s6
	s_sub_i32 s6, 0, s48
	v_readfirstlane_b32 s7, v0
	v_mbcnt_lo_u32_b32 v0, -1, 0
	v_and_b32_e32 v1, 63, v1
	s_mul_i32 s6, s6, s7
	v_mbcnt_hi_u32_b32 v0, -1, v0
	v_mov_b32_e32 v7, 0xeeee
	v_mov_b32_e32 v8, 0x4444
	v_mov_b32_e32 v21, 0
	s_mul_hi_u32 s6, s7, s6
	v_and_or_b32 v0, v0, 64, v1
	v_cndmask_b32_e64 v32, 0, 1, s[0:1]
	s_mov_b32 s29, 0
	v_cndmask_b32_e32 v33, v7, v8, vcc
	v_or_b32_e32 v37, 16, v16
	v_or_b32_e32 v38, 32, v16
	v_ashrrev_i32_e32 v19, 31, v18
	v_and_b32_e32 v22, 48, v5
	v_ashrrev_i32_e32 v25, 31, v24
	v_mov_b32_e32 v23, v21
	s_lshl_b32 s46, s15, 4
	v_bitop3_b32 v42, v3, 7, v3 bitop3:0xc
	v_and_b32_e32 v26, 0x70, v5
	v_mov_b32_e32 v27, v21
	s_lshl_b32 s28, s17, 8
	s_ashr_i32 s49, s33, 31
	s_ashr_i32 s51, s42, 31
	s_add_i32 s52, s7, s6
	s_movk_i32 s53, 0x3000
	s_mov_b32 s54, 0x55555556
	v_lshlrev_b32_e32 v44, 2, v0
	v_mov_b32_e32 v45, v14
	s_branch .LBB78_7
.LBB78_4:                               ;   in Loop: Header=BB78_7 Depth=1
	s_or_b64 exec, exec, s[10:11]
.LBB78_5:                               ;   in Loop: Header=BB78_7 Depth=1
	s_or_b64 exec, exec, s[8:9]
	v_subrev_u32_e32 v45, s55, v45
.LBB78_6:                               ;   in Loop: Header=BB78_7 Depth=1
	s_or_b64 exec, exec, s[6:7]
	s_add_i32 s43, s43, 1
	v_cmp_ge_i32_e32 vcc, s43, v17
	s_cbranch_vccnz .LBB78_47
.LBB78_7:                               ; =>This Loop Header: Depth=1
                                        ;     Child Loop BB78_13 Depth 2
                                        ;       Child Loop BB78_15 Depth 3
                                        ;       Child Loop BB78_18 Depth 3
	;; [unrolled: 1-line block ×4, first 2 shown]
                                        ;     Child Loop BB78_34 Depth 2
                                        ;       Child Loop BB78_36 Depth 3
                                        ;     Child Loop BB78_44 Depth 2
                                        ;       Child Loop BB78_46 Depth 3
	s_abs_i32 s7, s43
	s_mul_hi_u32 s8, s7, s50
	s_mul_i32 s9, s8, s47
	s_ashr_i32 s6, s43, 31
	s_sub_i32 s7, s7, s9
	s_xor_b32 s6, s6, s49
	s_add_i32 s9, s8, 1
	s_sub_i32 s10, s7, s47
	s_cmp_ge_u32 s7, s47
	s_cselect_b32 s8, s9, s8
	s_cselect_b32 s7, s10, s7
	s_add_i32 s9, s8, 1
	s_cmp_ge_u32 s7, s47
	s_cselect_b32 s7, s9, s8
	s_xor_b32 s7, s7, s6
	s_sub_i32 s6, s7, s6
	s_abs_i32 s8, s6
	s_mul_i32 s7, s6, s33
	s_mul_hi_u32 s9, s8, s52
	s_sub_i32 s7, s43, s7
	s_mul_i32 s10, s9, s48
	s_lshl_b32 s56, s7, 3
	s_ashr_i32 s7, s6, 31
	s_sub_i32 s8, s8, s10
	s_xor_b32 s7, s7, s51
	s_add_i32 s10, s9, 1
	s_sub_i32 s11, s8, s48
	s_cmp_ge_u32 s8, s48
	s_cselect_b32 s9, s10, s9
	s_cselect_b32 s8, s11, s8
	s_add_i32 s10, s9, 1
	s_cmp_ge_u32 s8, s48
	s_cselect_b32 s8, s10, s9
	s_xor_b32 s8, s8, s7
	s_sub_i32 s7, s8, s7
	s_mul_i32 s8, s7, s44
	s_lshl_b32 s57, s8, 8
	s_cmp_eq_u32 s7, s16
	s_cselect_b32 s55, s45, s44
	s_sub_i32 s58, s56, s12
	s_add_i32 s58, s58, 8
	s_and_saveexec_b64 s[8:9], s[2:3]
	s_xor_b64 s[30:31], exec, s[8:9]
	s_cbranch_execz .LBB78_40
; %bb.8:                                ;   in Loop: Header=BB78_7 Depth=1
	s_mul_i32 s7, s7, s42
	s_sub_i32 s6, s6, s7
	s_mul_i32 s6, s6, 48
	s_sub_i32 s35, s6, s13
	s_add_i32 s35, s35, 48
	s_max_i32 s7, s35, 0
	s_sub_i32 s34, s6, s7
	s_and_saveexec_b64 s[6:7], s[0:1]
	s_xor_b64 s[36:37], exec, s[6:7]
	s_cbranch_execz .LBB78_30
; %bb.9:                                ;   in Loop: Header=BB78_7 Depth=1
	s_and_saveexec_b64 s[38:39], s[4:5]
	s_cbranch_execz .LBB78_29
; %bb.10:                               ;   in Loop: Header=BB78_7 Depth=1
	s_waitcnt lgkmcnt(0)
	global_load_dword v20, v21, s[26:27]
	v_mov_b32_e32 v11, 0
	v_cmp_gt_i32_e32 vcc, s55, v45
	v_mov_b32_e32 v10, v11
	v_mov_b32_e32 v9, v11
	;; [unrolled: 1-line block ×11, first 2 shown]
	s_and_saveexec_b64 s[6:7], vcc
	s_cbranch_execz .LBB78_26
; %bb.11:                               ;   in Loop: Header=BB78_7 Depth=1
	v_mov_b32_e32 v0, 0
	s_mov_b64 s[8:9], 0
	v_mov_b32_e32 v1, v0
	v_mov_b32_e32 v2, v0
	;; [unrolled: 1-line block ×11, first 2 shown]
	s_branch .LBB78_13
.LBB78_12:                              ;   in Loop: Header=BB78_13 Depth=2
	s_or_b64 exec, exec, s[10:11]
	v_add_u32_e32 v52, 0x2000, v49
	ds_read2_b32 v[50:51], v52 offset1:32
	ds_read2_b32 v[52:53], v52 offset0:64 offset1:96
	v_add_u32_e32 v56, 0x2400, v49
	ds_read2_b32 v[54:55], v56 offset1:32
	ds_read2_b32 v[56:57], v56 offset0:64 offset1:96
	v_add_u32_e32 v45, s19, v45
	v_cmp_le_i32_e32 vcc, s55, v45
	s_waitcnt lgkmcnt(2)
	v_smfmac_f32_16x16x64_fp8_fp8 v[0:3], v[30:31], v[50:53], v33 cbsz:7 abid:1
	v_add_u32_e32 v30, 0x2800, v49
	ds_read2_b32 v[50:51], v30 offset1:32
	ds_read2_b32 v[52:53], v30 offset0:64 offset1:96
	v_add_u32_e32 v30, 0x2c00, v49
	s_waitcnt lgkmcnt(2)
	v_smfmac_f32_16x16x64_fp8_fp8 v[0:3], v[28:29], v[54:57], v33 cbsz:7 abid:1
	ds_read2_b32 v[28:29], v30 offset1:32
	ds_read2_b32 v[30:31], v30 offset0:64 offset1:96
	s_or_b64 s[8:9], vcc, s[8:9]
	ds_write_b32 v47, v48 offset:43028
	s_waitcnt lgkmcnt(3)
	v_smfmac_f32_16x16x64_fp8_fp8 v[0:3], v[14:15], v[50:53], v33 cbsz:7 abid:1
	v_add_u32_e32 v14, s19, v46
	v_add_u32_e32 v15, 2, v32
	v_cmp_lt_i32_e32 vcc, 2, v14
	s_waitcnt lgkmcnt(1)
	v_smfmac_f32_16x16x64_fp8_fp8 v[0:3], v[12:13], v[28:31], v33 cbsz:7 abid:1
	v_cndmask_b32_e32 v32, v32, v15, vcc
	s_andn2_b64 exec, exec, s[8:9]
	s_cbranch_execz .LBB78_25
.LBB78_13:                              ;   Parent Loop BB78_7 Depth=1
                                        ; =>  This Loop Header: Depth=2
                                        ;       Child Loop BB78_15 Depth 3
                                        ;       Child Loop BB78_18 Depth 3
	;; [unrolled: 1-line block ×4, first 2 shown]
	v_cmp_gt_i32_e32 vcc, 3, v14
	s_nop 1
	v_cndmask_b32_e64 v12, -3, 0, vcc
	v_add_u32_e32 v46, v12, v14
	v_lshlrev_b32_e32 v12, 2, v46
	ds_read_b32 v13, v12 offset:43008
	v_add_u32_e32 v49, 0xa800, v12
	s_waitcnt lgkmcnt(0)
	v_cmp_ne_u32_e32 vcc, v13, v32
	s_and_saveexec_b64 s[10:11], vcc
	s_cbranch_execz .LBB78_16
; %bb.14:                               ;   in Loop: Header=BB78_13 Depth=2
	s_mov_b64 s[40:41], 0
.LBB78_15:                              ;   Parent Loop BB78_7 Depth=1
                                        ;     Parent Loop BB78_13 Depth=2
                                        ; =>    This Inner Loop Header: Depth=3
	;;#ASMSTART
	s_sleep 0
	;;#ASMEND
	ds_read_b32 v12, v49
	s_waitcnt lgkmcnt(0)
	v_cmp_eq_u32_e32 vcc, v12, v32
	s_or_b64 s[40:41], vcc, s[40:41]
	s_andn2_b64 exec, exec, s[40:41]
	s_cbranch_execnz .LBB78_15
.LBB78_16:                              ;   in Loop: Header=BB78_13 Depth=2
	s_or_b64 exec, exec, s[10:11]
	v_lshl_add_u32 v12, v46, 11, v34
	ds_read2_b32 v[30:31], v12 offset1:32
	ds_read2_b32 v[28:29], v12 offset0:128 offset1:160
	v_add_u32_e32 v12, 0x400, v12
	v_mul_lo_u32 v47, v46, 12
	ds_read2_b32 v[14:15], v12 offset1:32
	ds_read2_b32 v[12:13], v12 offset0:128 offset1:160
	;;#ASMSTART
	s_waitcnt lgkmcnt(0)
	;;#ASMEND
	ds_read_b32 v50, v47 offset:43020
	v_add_u32_e32 v48, 1, v32
	ds_write_b32 v49, v48
	s_waitcnt lgkmcnt(1)
	v_cmp_ne_u32_e32 vcc, v50, v32
	s_and_saveexec_b64 s[10:11], vcc
	s_cbranch_execz .LBB78_19
; %bb.17:                               ;   in Loop: Header=BB78_13 Depth=2
	s_mov_b64 s[40:41], 0
.LBB78_18:                              ;   Parent Loop BB78_7 Depth=1
                                        ;     Parent Loop BB78_13 Depth=2
                                        ; =>    This Inner Loop Header: Depth=3
	;;#ASMSTART
	s_sleep 0
	;;#ASMEND
	ds_read_b32 v49, v47 offset:43020
	s_waitcnt lgkmcnt(0)
	v_cmp_eq_u32_e32 vcc, v49, v32
	s_or_b64 s[40:41], vcc, s[40:41]
	s_andn2_b64 exec, exec, s[40:41]
	s_cbranch_execnz .LBB78_18
.LBB78_19:                              ;   in Loop: Header=BB78_13 Depth=2
	s_or_b64 exec, exec, s[10:11]
	v_mul_lo_u32 v49, v46, s53
	v_or_b32_e32 v58, v35, v49
	ds_read2_b32 v[50:51], v58 offset1:32
	ds_read2_b32 v[52:53], v58 offset0:64 offset1:96
	v_add_u32_e32 v56, 0x400, v58
	ds_read2_b32 v[54:55], v56 offset1:32
	ds_read2_b32 v[56:57], v56 offset0:64 offset1:96
	s_waitcnt lgkmcnt(2)
	v_smfmac_f32_16x16x64_fp8_fp8 v[8:11], v[30:31], v[50:53], v33 cbsz:7 abid:1
	v_add_u32_e32 v52, 0x800, v58
	ds_read2_b32 v[50:51], v52 offset1:32
	ds_read2_b32 v[52:53], v52 offset0:64 offset1:96
	s_waitcnt lgkmcnt(2)
	v_smfmac_f32_16x16x64_fp8_fp8 v[8:11], v[28:29], v[54:57], v33 cbsz:7 abid:1
	v_add_u32_e32 v56, 0xc00, v58
	ds_read2_b32 v[54:55], v56 offset1:32
	s_waitcnt lgkmcnt(1)
	v_smfmac_f32_16x16x64_fp8_fp8 v[8:11], v[14:15], v[50:53], v33 cbsz:7 abid:1
	ds_read2_b32 v[56:57], v56 offset0:64 offset1:96
	ds_read_b32 v50, v47 offset:43024
	ds_write_b32 v47, v48 offset:43020
	s_waitcnt lgkmcnt(1)
	v_cmp_ne_u32_e32 vcc, v50, v32
	v_smfmac_f32_16x16x64_fp8_fp8 v[8:11], v[12:13], v[54:57], v33 cbsz:7 abid:1
	s_and_saveexec_b64 s[10:11], vcc
	s_cbranch_execz .LBB78_22
; %bb.20:                               ;   in Loop: Header=BB78_13 Depth=2
	s_mov_b64 s[40:41], 0
.LBB78_21:                              ;   Parent Loop BB78_7 Depth=1
                                        ;     Parent Loop BB78_13 Depth=2
                                        ; =>    This Inner Loop Header: Depth=3
	;;#ASMSTART
	s_sleep 0
	;;#ASMEND
	ds_read_b32 v50, v47 offset:43024
	s_waitcnt lgkmcnt(0)
	v_cmp_eq_u32_e32 vcc, v50, v32
	s_or_b64 s[40:41], vcc, s[40:41]
	s_andn2_b64 exec, exec, s[40:41]
	s_cbranch_execnz .LBB78_21
.LBB78_22:                              ;   in Loop: Header=BB78_13 Depth=2
	s_or_b64 exec, exec, s[10:11]
	v_add_u32_e32 v49, v35, v49
	v_add_u32_e32 v52, 0x1000, v49
	ds_read2_b32 v[50:51], v52 offset1:32
	ds_read2_b32 v[52:53], v52 offset0:64 offset1:96
	v_add_u32_e32 v56, 0x1400, v49
	ds_read2_b32 v[54:55], v56 offset1:32
	ds_read2_b32 v[56:57], v56 offset0:64 offset1:96
	s_waitcnt lgkmcnt(2)
	v_smfmac_f32_16x16x64_fp8_fp8 v[4:7], v[30:31], v[50:53], v33 cbsz:7 abid:1
	v_add_u32_e32 v52, 0x1800, v49
	ds_read2_b32 v[50:51], v52 offset1:32
	ds_read2_b32 v[52:53], v52 offset0:64 offset1:96
	s_waitcnt lgkmcnt(2)
	v_smfmac_f32_16x16x64_fp8_fp8 v[4:7], v[28:29], v[54:57], v33 cbsz:7 abid:1
	v_add_u32_e32 v56, 0x1c00, v49
	ds_read2_b32 v[54:55], v56 offset1:32
	s_waitcnt lgkmcnt(1)
	v_smfmac_f32_16x16x64_fp8_fp8 v[4:7], v[14:15], v[50:53], v33 cbsz:7 abid:1
	ds_read2_b32 v[56:57], v56 offset0:64 offset1:96
	ds_read_b32 v50, v47 offset:43028
	ds_write_b32 v47, v48 offset:43024
	s_waitcnt lgkmcnt(1)
	v_cmp_ne_u32_e32 vcc, v50, v32
	v_smfmac_f32_16x16x64_fp8_fp8 v[4:7], v[12:13], v[54:57], v33 cbsz:7 abid:1
	s_and_saveexec_b64 s[10:11], vcc
	s_cbranch_execz .LBB78_12
; %bb.23:                               ;   in Loop: Header=BB78_13 Depth=2
	s_mov_b64 s[40:41], 0
.LBB78_24:                              ;   Parent Loop BB78_7 Depth=1
                                        ;     Parent Loop BB78_13 Depth=2
                                        ; =>    This Inner Loop Header: Depth=3
	;;#ASMSTART
	s_sleep 0
	;;#ASMEND
	ds_read_b32 v50, v47 offset:43028
	s_waitcnt lgkmcnt(0)
	v_cmp_eq_u32_e32 vcc, v50, v32
	s_or_b64 s[40:41], vcc, s[40:41]
	s_andn2_b64 exec, exec, s[40:41]
	s_cbranch_execnz .LBB78_24
	s_branch .LBB78_12
.LBB78_25:                              ;   in Loop: Header=BB78_7 Depth=1
	s_or_b64 exec, exec, s[8:9]
.LBB78_26:                              ;   in Loop: Header=BB78_7 Depth=1
	s_or_b64 exec, exec, s[6:7]
	v_cmp_le_i32_e32 vcc, s35, v16
	v_mov_b32_e32 v28, v9
	v_mov_b32_e32 v29, v10
	;; [unrolled: 1-line block ×3, first 2 shown]
	s_waitcnt vmcnt(0)
	v_cndmask_b32_e32 v12, 0, v20, vcc
	v_pk_add_f32 v[8:9], v[28:29], v[8:9]
	v_cmp_eq_u32_e32 vcc, 1, v36
	v_pk_mul_f32 v[8:9], v[12:13], v[8:9] op_sel_hi:[0,1]
	v_cmp_eq_u32_e64 s[6:7], 2, v36
	v_cndmask_b32_e32 v12, v8, v9, vcc
	v_cmp_le_i32_e64 s[10:11], s35, v37
	v_mov_b32_e32 v28, v5
	v_mov_b32_e32 v29, v6
	;; [unrolled: 1-line block ×3, first 2 shown]
	v_cndmask_b32_e64 v10, v12, v10, s[6:7]
	v_cndmask_b32_e64 v12, 0, v20, s[10:11]
	v_pk_add_f32 v[4:5], v[28:29], v[4:5]
	v_cmp_eq_u32_e64 s[8:9], 3, v36
	v_pk_mul_f32 v[4:5], v[12:13], v[4:5] op_sel_hi:[0,1]
	v_mov_b32_e32 v28, v1
	v_cndmask_b32_e64 v10, v10, v11, s[8:9]
	v_cndmask_b32_e32 v11, v4, v5, vcc
	v_cmp_le_i32_e32 vcc, s35, v38
	v_mov_b32_e32 v29, v2
	v_mov_b32_e32 v1, v3
	v_cndmask_b32_e32 v12, 0, v20, vcc
	v_pk_add_f32 v[0:1], v[28:29], v[0:1]
	v_cndmask_b32_e64 v6, v11, v6, s[6:7]
	v_pk_mul_f32 v[0:1], v[12:13], v[0:1] op_sel_hi:[0,1]
	v_cmp_ne_u32_e32 vcc, 0, v36
	v_cndmask_b32_e64 v6, v6, v7, s[8:9]
	ds_bpermute_b32 v10, v44, v10
	v_cndmask_b32_e32 v7, v0, v1, vcc
	v_cndmask_b32_e64 v2, v7, v2, s[6:7]
	v_cndmask_b32_e64 v2, v2, v3, s[8:9]
	ds_bpermute_b32 v6, v44, v6
	ds_bpermute_b32 v2, v44, v2
	v_cmp_lt_i32_e32 vcc, s58, v39
	s_and_saveexec_b64 s[8:9], vcc
	s_cbranch_execz .LBB78_28
; %bb.27:                               ;   in Loop: Header=BB78_7 Depth=1
	s_mul_i32 s6, s56, s13
	s_ashr_i32 s7, s6, 31
	s_lshl_b64 s[6:7], s[6:7], 1
	s_add_u32 s10, s24, s6
	s_addc_u32 s11, s25, s7
	s_ashr_i32 s35, s34, 31
	s_lshl_b64 s[6:7], s[34:35], 1
	s_add_u32 s10, s10, s6
	s_addc_u32 s11, s11, s7
	v_cmp_ne_u32_e32 vcc, 0, v36
	v_cmp_eq_u32_e64 s[6:7], 0, v36
	v_lshlrev_b32_e32 v20, 1, v16
	s_waitcnt lgkmcnt(0)
	v_cndmask_b32_e32 v7, v1, v2, vcc
	v_cndmask_b32_e64 v11, v0, v2, s[6:7]
	v_cndmask_b32_e32 v0, v9, v10, vcc
	v_cndmask_b32_e64 v1, v8, v10, s[6:7]
	;; [unrolled: 2-line block ×3, first 2 shown]
	v_cvt_f16_f32_e32 v4, v1
	v_cvt_f16_f32_sdwa v5, v0 dst_sel:WORD_1 dst_unused:UNUSED_PAD src0_sel:DWORD
	v_lshl_add_u64 v[0:1], v[18:19], 1, s[10:11]
	v_lshl_add_u64 v[0:1], v[0:1], 0, v[20:21]
	v_cvt_f16_f32_e32 v6, v11
	v_or_b32_e32 v4, v5, v4
	;;#ASMSTART
	global_atomic_pk_add_f16 v[0:1], v4, off
	
	;;#ASMEND
	v_cvt_f16_f32_e32 v4, v3
	v_cvt_f16_f32_sdwa v5, v2 dst_sel:WORD_1 dst_unused:UNUSED_PAD src0_sel:DWORD
	v_cvt_f16_f32_sdwa v7, v7 dst_sel:WORD_1 dst_unused:UNUSED_PAD src0_sel:DWORD
	v_lshl_add_u64 v[2:3], v[0:1], 0, 32
	v_lshl_add_u64 v[0:1], v[0:1], 0, 64
	v_or_b32_e32 v4, v5, v4
	;;#ASMSTART
	global_atomic_pk_add_f16 v[2:3], v4, off
	
	;;#ASMEND
	v_or_b32_e32 v2, v7, v6
	;;#ASMSTART
	global_atomic_pk_add_f16 v[0:1], v2, off
	
	;;#ASMEND
.LBB78_28:                              ;   in Loop: Header=BB78_7 Depth=1
	s_or_b64 exec, exec, s[8:9]
	v_subrev_u32_e32 v45, s55, v45
.LBB78_29:                              ;   in Loop: Header=BB78_7 Depth=1
	s_or_b64 exec, exec, s[38:39]
.LBB78_30:                              ;   in Loop: Header=BB78_7 Depth=1
	s_andn2_saveexec_b64 s[6:7], s[36:37]
	s_cbranch_execz .LBB78_39
; %bb.31:                               ;   in Loop: Header=BB78_7 Depth=1
	s_mul_i32 s38, s55, 3
	v_cmp_gt_i32_e32 vcc, s38, v45
	s_and_saveexec_b64 s[8:9], vcc
	s_cbranch_execz .LBB78_38
; %bb.32:                               ;   in Loop: Header=BB78_7 Depth=1
	s_mul_i32 s10, s34, s15
	s_ashr_i32 s11, s10, 31
	s_waitcnt lgkmcnt(0)
	s_add_u32 s10, s22, s10
	s_addc_u32 s11, s23, s11
	s_ashr_i32 s34, s57, 31
	s_add_u32 s10, s10, s57
	s_addc_u32 s11, s11, s34
	v_lshl_add_u64 v[0:1], s[10:11], 0, v[24:25]
	v_lshl_add_u64 v[28:29], v[0:1], 0, v[22:23]
	s_mov_b64 s[10:11], 0
	s_branch .LBB78_34
.LBB78_33:                              ;   in Loop: Header=BB78_34 Depth=2
	s_or_b64 exec, exec, s[34:35]
	v_lshl_or_b32 v31, v20, 12, v40
	;;#ASMSTART
	s_waitcnt vmcnt(3)
	;;#ASMEND
	ds_write2_b32 v31, v12, v13 offset1:32
	ds_write2_b32 v31, v14, v15 offset0:64 offset1:96
	v_add_u32_e32 v12, 0x400, v31
	;;#ASMSTART
	s_waitcnt vmcnt(2)
	;;#ASMEND
	ds_write2_b32 v12, v8, v9 offset1:32
	ds_write2_b32 v12, v10, v11 offset0:64 offset1:96
	v_add_u32_e32 v8, 0x800, v31
	;; [unrolled: 6-line block ×3, first 2 shown]
	v_add_u32_e32 v45, s18, v45
	;;#ASMSTART
	s_waitcnt vmcnt(0)
	;;#ASMEND
	ds_write2_b32 v4, v0, v1 offset1:32
	ds_write2_b32 v4, v2, v3 offset0:64 offset1:96
	v_add_u32_e32 v0, 1, v32
	v_add_u32_e32 v14, s18, v20
	v_cmp_le_i32_e32 vcc, s38, v45
	ds_write_b32 v30, v0 offset:12
	v_add_u32_e32 v0, 2, v32
	s_or_b64 s[10:11], vcc, s[10:11]
	v_cmp_lt_i32_e32 vcc, 8, v14
	s_nop 1
	v_cndmask_b32_e32 v32, v32, v0, vcc
	s_andn2_b64 exec, exec, s[10:11]
	s_cbranch_execz .LBB78_37
.LBB78_34:                              ;   Parent Loop BB78_7 Depth=1
                                        ; =>  This Loop Header: Depth=2
                                        ;       Child Loop BB78_36 Depth 3
	v_cmp_gt_i32_e32 vcc, 9, v14
	s_nop 1
	v_cndmask_b32_e64 v0, -9, 0, vcc
	v_add_u32_e32 v20, v0, v14
	v_mul_hi_i32 v0, v45, s54
	v_lshrrev_b32_e32 v1, 31, v0
	v_add_u32_e32 v0, v0, v1
	v_lshl_add_u32 v1, v0, 1, v0
	v_sub_u32_e32 v2, v45, v1
	v_lshlrev_b32_e32 v0, 8, v0
	v_ashrrev_i32_e32 v1, 31, v0
	v_mul_lo_u32 v2, s46, v2
	v_lshl_add_u64 v[0:1], v[28:29], 0, v[0:1]
	v_ashrrev_i32_e32 v3, 31, v2
	v_lshl_add_u64 v[0:1], v[0:1], 0, v[2:3]
	v_lshlrev_b32_e32 v30, 2, v20
	;;#ASMSTART
	global_load_dwordx4 v[12:15], v[0:1], off offset:0    sc0 sc1 nt  
	global_load_dwordx4 v[8:11], v[0:1], off offset:64   sc0 sc1 nt  
	global_load_dwordx4 v[4:7], v[0:1], off offset:128  sc0 sc1 nt  
	global_load_dwordx4 v[0:3], v[0:1], off offset:192  sc0 sc1 nt  
	
	;;#ASMEND
	ds_read_b32 v31, v30 offset:43020
	v_add_u32_e32 v30, 0xa800, v30
	s_waitcnt lgkmcnt(0)
	v_cmp_ne_u32_e32 vcc, v31, v32
	s_and_saveexec_b64 s[34:35], vcc
	s_cbranch_execz .LBB78_33
; %bb.35:                               ;   in Loop: Header=BB78_34 Depth=2
	s_mov_b64 s[36:37], 0
.LBB78_36:                              ;   Parent Loop BB78_7 Depth=1
                                        ;     Parent Loop BB78_34 Depth=2
                                        ; =>    This Inner Loop Header: Depth=3
	;;#ASMSTART
	s_sleep 0
	;;#ASMEND
	ds_read_b32 v31, v30 offset:12
	s_waitcnt lgkmcnt(0)
	v_cmp_eq_u32_e32 vcc, v31, v32
	s_or_b64 s[36:37], vcc, s[36:37]
	s_andn2_b64 exec, exec, s[36:37]
	s_cbranch_execnz .LBB78_36
	s_branch .LBB78_33
.LBB78_37:                              ;   in Loop: Header=BB78_7 Depth=1
	s_or_b64 exec, exec, s[10:11]
.LBB78_38:                              ;   in Loop: Header=BB78_7 Depth=1
	s_or_b64 exec, exec, s[8:9]
	v_subrev_u32_e32 v45, s38, v45
.LBB78_39:                              ;   in Loop: Header=BB78_7 Depth=1
	s_or_b64 exec, exec, s[6:7]
.LBB78_40:                              ;   in Loop: Header=BB78_7 Depth=1
	s_andn2_saveexec_b64 s[6:7], s[30:31]
	s_cbranch_execz .LBB78_6
; %bb.41:                               ;   in Loop: Header=BB78_7 Depth=1
	v_cmp_gt_i32_e32 vcc, s55, v45
	s_and_saveexec_b64 s[8:9], vcc
	s_cbranch_execz .LBB78_5
; %bb.42:                               ;   in Loop: Header=BB78_7 Depth=1
	s_mul_i32 s56, s56, s14
	s_ashr_i32 s10, s56, 31
	s_waitcnt lgkmcnt(0)
	s_add_u32 s11, s20, s56
	s_addc_u32 s30, s21, s10
	s_ashr_i32 s31, s57, 31
	v_cmp_le_i32_e32 vcc, s58, v42
	s_add_u32 s10, s11, s57
	s_addc_u32 s11, s30, s31
	v_cndmask_b32_e32 v0, 0, v43, vcc
	v_ashrrev_i32_e32 v1, 31, v0
	v_lshl_add_u64 v[0:1], s[10:11], 0, v[0:1]
	v_lshlrev_b32_e32 v2, 8, v45
	v_lshl_add_u64 v[0:1], v[0:1], 0, v[26:27]
	v_ashrrev_i32_e32 v3, 31, v2
	v_lshl_add_u64 v[8:9], v[0:1], 0, v[2:3]
	s_mov_b64 s[10:11], 0
	s_branch .LBB78_44
.LBB78_43:                              ;   in Loop: Header=BB78_44 Depth=2
	s_or_b64 exec, exec, s[30:31]
	;;#ASMSTART
	s_waitcnt vmcnt(1)
	v_pack_b32_f16 v12, v4, v5, op_sel:[0,0]
	v_pack_b32_f16 v13, v4, v5, op_sel:[1,1]
	;; [unrolled: 1-line block ×4, first 2 shown]
	v_swap_b32 v12, v4
	v_swap_b32 v13, v6
	v_swap_b32 v14, v5
	v_swap_b32 v15, v7
	;;#ASMEND
	v_add_u32_e32 v45, s17, v45
	v_lshl_add_u32 v12, v10, 11, v41
	ds_write2_b32 v12, v4, v5 offset1:32
	ds_write2_b32 v12, v6, v7 offset0:64 offset1:96
	;;#ASMSTART
	s_waitcnt vmcnt(0)
	v_pack_b32_f16 v4, v0, v1, op_sel:[0,0]
	v_pack_b32_f16 v5, v0, v1, op_sel:[1,1]
	;; [unrolled: 1-line block ×4, first 2 shown]
	v_swap_b32 v4, v0
	v_swap_b32 v5, v2
	;; [unrolled: 1-line block ×4, first 2 shown]
	;;#ASMEND
	v_add_u32_e32 v14, s17, v10
	v_add_u32_e32 v4, 0x400, v12
	ds_write2_b32 v4, v0, v1 offset1:32
	ds_write2_b32 v4, v2, v3 offset0:64 offset1:96
	v_add_u32_e32 v0, 1, v32
	v_cmp_le_i32_e32 vcc, s55, v45
	ds_write_b32 v11, v0
	v_add_u32_e32 v0, 2, v32
	s_or_b64 s[10:11], vcc, s[10:11]
	v_cmp_lt_i32_e32 vcc, 2, v14
	v_lshl_add_u64 v[8:9], v[8:9], 0, s[28:29]
	s_nop 0
	v_cndmask_b32_e32 v32, v32, v0, vcc
	s_andn2_b64 exec, exec, s[10:11]
	s_cbranch_execz .LBB78_4
.LBB78_44:                              ;   Parent Loop BB78_7 Depth=1
                                        ; =>  This Loop Header: Depth=2
                                        ;       Child Loop BB78_46 Depth 3
	v_cmp_gt_i32_e32 vcc, 3, v14
	s_nop 1
	v_cndmask_b32_e64 v0, -3, 0, vcc
	v_add_u32_e32 v10, v0, v14
	v_lshlrev_b32_e32 v11, 2, v10
	;;#ASMSTART
	global_load_dwordx4 v[4:7], v[8:9], off offset:0  
	global_load_dwordx4 v[0:3], v[8:9], off offset:128
	
	;;#ASMEND
	ds_read_b32 v12, v11 offset:43008
	v_add_u32_e32 v11, 0xa800, v11
	s_waitcnt lgkmcnt(0)
	v_cmp_ne_u32_e32 vcc, v12, v32
	s_and_saveexec_b64 s[30:31], vcc
	s_cbranch_execz .LBB78_43
; %bb.45:                               ;   in Loop: Header=BB78_44 Depth=2
	s_mov_b64 s[34:35], 0
.LBB78_46:                              ;   Parent Loop BB78_7 Depth=1
                                        ;     Parent Loop BB78_44 Depth=2
                                        ; =>    This Inner Loop Header: Depth=3
	;;#ASMSTART
	s_sleep 0
	;;#ASMEND
	ds_read_b32 v12, v11
	s_waitcnt lgkmcnt(0)
	v_cmp_eq_u32_e32 vcc, v12, v32
	s_or_b64 s[34:35], vcc, s[34:35]
	s_andn2_b64 exec, exec, s[34:35]
	s_cbranch_execnz .LBB78_46
	s_branch .LBB78_43
.LBB78_47:
	s_endpgm
	.section	.rodata,"a",@progbits
	.p2align	6, 0x0
	.amdhsa_kernel _Z19_skinny_gemm_kernelILi1ELi3ELi3ELi8ELi4EEvPKhS1_P6__halfPKfiiiiiiii
		.amdhsa_group_segment_fixed_size 43056
		.amdhsa_private_segment_fixed_size 0
		.amdhsa_kernarg_size 64
		.amdhsa_user_sgpr_count 2
		.amdhsa_user_sgpr_dispatch_ptr 0
		.amdhsa_user_sgpr_queue_ptr 0
		.amdhsa_user_sgpr_kernarg_segment_ptr 1
		.amdhsa_user_sgpr_dispatch_id 0
		.amdhsa_user_sgpr_kernarg_preload_length 0
		.amdhsa_user_sgpr_kernarg_preload_offset 0
		.amdhsa_user_sgpr_private_segment_size 0
		.amdhsa_uses_dynamic_stack 0
		.amdhsa_enable_private_segment 0
		.amdhsa_system_sgpr_workgroup_id_x 1
		.amdhsa_system_sgpr_workgroup_id_y 0
		.amdhsa_system_sgpr_workgroup_id_z 0
		.amdhsa_system_sgpr_workgroup_info 0
		.amdhsa_system_vgpr_workitem_id 0
		.amdhsa_next_free_vgpr 59
		.amdhsa_next_free_sgpr 59
		.amdhsa_accum_offset 60
		.amdhsa_reserve_vcc 1
		.amdhsa_float_round_mode_32 0
		.amdhsa_float_round_mode_16_64 0
		.amdhsa_float_denorm_mode_32 3
		.amdhsa_float_denorm_mode_16_64 3
		.amdhsa_dx10_clamp 1
		.amdhsa_ieee_mode 1
		.amdhsa_fp16_overflow 0
		.amdhsa_tg_split 0
		.amdhsa_exception_fp_ieee_invalid_op 0
		.amdhsa_exception_fp_denorm_src 0
		.amdhsa_exception_fp_ieee_div_zero 0
		.amdhsa_exception_fp_ieee_overflow 0
		.amdhsa_exception_fp_ieee_underflow 0
		.amdhsa_exception_fp_ieee_inexact 0
		.amdhsa_exception_int_div_zero 0
	.end_amdhsa_kernel
	.section	.text._Z19_skinny_gemm_kernelILi1ELi3ELi3ELi8ELi4EEvPKhS1_P6__halfPKfiiiiiiii,"axG",@progbits,_Z19_skinny_gemm_kernelILi1ELi3ELi3ELi8ELi4EEvPKhS1_P6__halfPKfiiiiiiii,comdat
.Lfunc_end78:
	.size	_Z19_skinny_gemm_kernelILi1ELi3ELi3ELi8ELi4EEvPKhS1_P6__halfPKfiiiiiiii, .Lfunc_end78-_Z19_skinny_gemm_kernelILi1ELi3ELi3ELi8ELi4EEvPKhS1_P6__halfPKfiiiiiiii
                                        ; -- End function
	.set _Z19_skinny_gemm_kernelILi1ELi3ELi3ELi8ELi4EEvPKhS1_P6__halfPKfiiiiiiii.num_vgpr, 59
	.set _Z19_skinny_gemm_kernelILi1ELi3ELi3ELi8ELi4EEvPKhS1_P6__halfPKfiiiiiiii.num_agpr, 0
	.set _Z19_skinny_gemm_kernelILi1ELi3ELi3ELi8ELi4EEvPKhS1_P6__halfPKfiiiiiiii.numbered_sgpr, 59
	.set _Z19_skinny_gemm_kernelILi1ELi3ELi3ELi8ELi4EEvPKhS1_P6__halfPKfiiiiiiii.num_named_barrier, 0
	.set _Z19_skinny_gemm_kernelILi1ELi3ELi3ELi8ELi4EEvPKhS1_P6__halfPKfiiiiiiii.private_seg_size, 0
	.set _Z19_skinny_gemm_kernelILi1ELi3ELi3ELi8ELi4EEvPKhS1_P6__halfPKfiiiiiiii.uses_vcc, 1
	.set _Z19_skinny_gemm_kernelILi1ELi3ELi3ELi8ELi4EEvPKhS1_P6__halfPKfiiiiiiii.uses_flat_scratch, 0
	.set _Z19_skinny_gemm_kernelILi1ELi3ELi3ELi8ELi4EEvPKhS1_P6__halfPKfiiiiiiii.has_dyn_sized_stack, 0
	.set _Z19_skinny_gemm_kernelILi1ELi3ELi3ELi8ELi4EEvPKhS1_P6__halfPKfiiiiiiii.has_recursion, 0
	.set _Z19_skinny_gemm_kernelILi1ELi3ELi3ELi8ELi4EEvPKhS1_P6__halfPKfiiiiiiii.has_indirect_call, 0
	.section	.AMDGPU.csdata,"",@progbits
; Kernel info:
; codeLenInByte = 3800
; TotalNumSgprs: 65
; NumVgprs: 59
; NumAgprs: 0
; TotalNumVgprs: 59
; ScratchSize: 0
; MemoryBound: 0
; FloatMode: 240
; IeeeMode: 1
; LDSByteSize: 43056 bytes/workgroup (compile time only)
; SGPRBlocks: 8
; VGPRBlocks: 7
; NumSGPRsForWavesPerEU: 65
; NumVGPRsForWavesPerEU: 59
; AccumOffset: 60
; Occupancy: 8
; WaveLimiterHint : 0
; COMPUTE_PGM_RSRC2:SCRATCH_EN: 0
; COMPUTE_PGM_RSRC2:USER_SGPR: 2
; COMPUTE_PGM_RSRC2:TRAP_HANDLER: 0
; COMPUTE_PGM_RSRC2:TGID_X_EN: 1
; COMPUTE_PGM_RSRC2:TGID_Y_EN: 0
; COMPUTE_PGM_RSRC2:TGID_Z_EN: 0
; COMPUTE_PGM_RSRC2:TIDIG_COMP_CNT: 0
; COMPUTE_PGM_RSRC3_GFX90A:ACCUM_OFFSET: 14
; COMPUTE_PGM_RSRC3_GFX90A:TG_SPLIT: 0
	.section	.text._Z19_skinny_gemm_kernelILi1ELi3ELi3ELi16ELi4EEvPKhS1_P6__halfPKfiiiiiiii,"axG",@progbits,_Z19_skinny_gemm_kernelILi1ELi3ELi3ELi16ELi4EEvPKhS1_P6__halfPKfiiiiiiii,comdat
	.protected	_Z19_skinny_gemm_kernelILi1ELi3ELi3ELi16ELi4EEvPKhS1_P6__halfPKfiiiiiiii ; -- Begin function _Z19_skinny_gemm_kernelILi1ELi3ELi3ELi16ELi4EEvPKhS1_P6__halfPKfiiiiiiii
	.globl	_Z19_skinny_gemm_kernelILi1ELi3ELi3ELi16ELi4EEvPKhS1_P6__halfPKfiiiiiiii
	.p2align	8
	.type	_Z19_skinny_gemm_kernelILi1ELi3ELi3ELi16ELi4EEvPKhS1_P6__halfPKfiiiiiiii,@function
_Z19_skinny_gemm_kernelILi1ELi3ELi3ELi16ELi4EEvPKhS1_P6__halfPKfiiiiiiii: ; @_Z19_skinny_gemm_kernelILi1ELi3ELi3ELi16ELi4EEvPKhS1_P6__halfPKfiiiiiiii
; %bb.0:
	v_cmp_gt_u32_e32 vcc, 12, v0
	v_lshlrev_b32_e32 v1, 2, v0
	s_and_saveexec_b64 s[4:5], vcc
; %bb.1:
	v_mov_b32_e32 v2, 0
	ds_write_b32 v1, v2 offset:24576
; %bb.2:
	s_or_b64 exec, exec, s[4:5]
	s_load_dwordx8 s[20:27], s[0:1], 0x20
	s_waitcnt lgkmcnt(0)
	s_barrier
	s_add_i32 s3, s20, 15
	s_ashr_i32 s5, s3, 31
	s_add_i32 s4, s21, 47
	s_lshr_b32 s5, s5, 28
	s_mul_hi_i32 s4, s4, 0x2aaaaaab
	s_add_i32 s3, s3, s5
	s_ashr_i32 s33, s3, 4
	s_lshr_b32 s3, s4, 31
	s_ashr_i32 s48, s4, 3
	s_add_i32 s48, s48, s3
	s_mul_i32 s3, s48, s33
	s_mul_i32 s3, s3, s24
	s_add_i32 s4, s3, 0x12f
	s_mul_hi_i32 s4, s4, 0x6bca1af3
	s_lshr_b32 s5, s4, 31
	s_ashr_i32 s4, s4, 7
	s_add_i32 s4, s4, s5
	s_add_i32 s5, s2, 1
	s_mul_i32 s5, s4, s5
	v_cvt_f64_i32_e32 v[2:3], s3
	v_cvt_f64_u32_e32 v[4:5], s5
	v_min_f64 v[2:3], v[2:3], v[4:5]
	v_cvt_i32_f64_e32 v13, v[2:3]
	s_mul_i32 s49, s4, s2
	v_cmp_ge_i32_e32 vcc, s49, v13
	s_cbranch_vccnz .LBB79_48
; %bb.3:
	v_lshrrev_b32_e32 v2, 6, v0
	s_add_i32 s4, s26, s25
	s_load_dwordx8 s[36:43], s[0:1], 0x0
	v_cmp_le_i32_e64 s[0:1], s4, v2
	v_mov_b32_e32 v3, s25
	v_cmp_le_i32_e64 s[2:3], s25, v2
	v_mov_b32_e32 v4, s26
	v_cndmask_b32_e64 v4, 0, v4, s[0:1]
	v_cndmask_b32_e64 v3, 0, v3, s[2:3]
	s_abs_i32 s5, s24
	v_add_u32_e32 v3, v3, v4
	v_cvt_f32_u32_e32 v4, s5
	v_sub_u32_e32 v20, v2, v3
	s_ashr_i32 s6, s22, 31
	s_lshr_b32 s6, s6, 25
	v_rcp_iflag_f32_e32 v3, v4
	s_sub_i32 s9, 0, s5
	s_add_i32 s6, s22, s6
	s_ashr_i32 s6, s6, 7
	v_mul_f32_e32 v3, 0x4f7ffffe, v3
	v_cvt_u32_f32_e32 v3, v3
	s_abs_i32 s8, s6
	s_xor_b32 s7, s6, s24
	s_ashr_i32 s7, s7, 31
	v_readfirstlane_b32 s10, v3
	s_mul_i32 s9, s9, s10
	s_mul_hi_u32 s9, s10, s9
	s_add_i32 s10, s10, s9
	s_mul_hi_u32 s9, s8, s10
	s_mul_i32 s10, s9, s5
	s_sub_i32 s8, s8, s10
	s_add_i32 s10, s9, 1
	s_sub_i32 s11, s8, s5
	s_cmp_ge_u32 s8, s5
	s_cselect_b32 s9, s10, s9
	s_cselect_b32 s8, s11, s8
	s_add_i32 s10, s9, 1
	s_cmp_ge_u32 s8, s5
	s_cselect_b32 s5, s10, s9
	s_xor_b32 s5, s5, s7
	s_sub_i32 s50, s5, s7
	s_add_i32 s24, s24, -1
	s_mul_i32 s5, s50, s24
	s_add_i32 s4, s4, s27
	s_sub_i32 s51, s6, s5
	v_cmp_gt_i32_e64 s[4:5], s4, v2
	v_lshlrev_b32_e32 v2, 1, v0
	v_lshlrev_b32_e32 v3, 4, v0
	v_and_b32_e32 v1, 60, v1
	v_and_b32_e32 v2, 64, v2
	;; [unrolled: 1-line block ×3, first 2 shown]
	s_abs_i32 s52, s33
	v_or3_b32 v35, v1, v2, v4
	v_and_b32_e32 v1, 1, v0
	v_cvt_f32_u32_e32 v6, s52
	v_lshlrev_b32_e32 v2, 1, v1
	v_lshrrev_b32_e32 v4, 2, v0
	v_and_b32_e32 v12, 14, v0
	v_sub_u32_e32 v2, v0, v2
	v_and_or_b32 v37, v4, 12, v1
	v_bitop3_b32 v38, v0, 1, v0 bitop3:0xc
	v_bitop3_b32 v39, v0, 3, 1 bitop3:0x6c
	v_and_b32_e32 v16, 48, v3
	v_bfe_u32 v1, v0, 2, 4
	v_and_b32_e32 v3, 60, v0
	v_lshlrev_b32_e32 v5, 8, v0
	v_lshlrev_b32_e32 v0, 6, v0
	v_and_b32_e32 v5, 0x200, v5
	v_and_b32_e32 v0, 64, v0
	v_or3_b32 v42, v3, v5, v0
	v_rcp_iflag_f32_e32 v0, v6
	s_abs_i32 s54, s48
	v_mul_lo_u32 v18, s23, v1
	v_mul_lo_u32 v44, s22, v1
	v_cvt_f32_u32_e32 v1, s54
	v_mul_f32_e32 v0, 0x4f7ffffe, v0
	v_cvt_u32_f32_e32 v0, v0
	v_mad_u64_u32 v[14:15], s[6:7], s21, v37, v[12:13]
	v_rcp_iflag_f32_e32 v1, v1
	v_readfirstlane_b32 s7, v0
	s_sub_i32 s6, 0, s52
	s_mul_i32 s6, s6, s7
	v_mul_f32_e32 v0, 0x4f7ffffe, v1
	v_cvt_u32_f32_e32 v0, v0
	s_mul_hi_u32 s6, s7, s6
	v_add_u32_e32 v2, 1, v2
	s_add_i32 s56, s7, s6
	s_sub_i32 s6, 0, s54
	v_readfirstlane_b32 s7, v0
	v_mbcnt_lo_u32_b32 v0, -1, 0
	v_and_b32_e32 v2, 63, v2
	s_mul_i32 s6, s6, s7
	v_mbcnt_hi_u32_b32 v0, -1, v0
	s_mul_hi_u32 s6, s7, s6
	v_and_or_b32 v0, v0, 64, v2
	v_cndmask_b32_e64 v34, 0, 1, s[0:1]
	v_or_b32_e32 v36, 0x4800, v35
	v_or_b32_e32 v40, 16, v12
	;; [unrolled: 1-line block ×3, first 2 shown]
	v_ashrrev_i32_e32 v15, 31, v14
	s_ashr_i32 s29, s21, 31
	s_mov_b32 s28, s21
	v_ashrrev_i32_e32 v19, 31, v18
	v_mov_b32_e32 v17, 0
	s_lshl_b32 s53, s23, 4
	v_bitop3_b32 v43, v4, 15, v4 bitop3:0xc
	v_or_b32_e32 v45, 0x4800, v42
	s_ashr_i32 s55, s33, 31
	s_ashr_i32 s57, s48, 31
	s_add_i32 s58, s7, s6
	s_movk_i32 s59, 0x1800
	s_mov_b32 s60, 0x55555556
	v_lshlrev_b32_e32 v46, 2, v0
	v_mov_b32_e32 v47, v20
	s_branch .LBB79_7
.LBB79_4:                               ;   in Loop: Header=BB79_7 Depth=1
	s_or_b64 exec, exec, s[10:11]
.LBB79_5:                               ;   in Loop: Header=BB79_7 Depth=1
	s_or_b64 exec, exec, s[8:9]
	v_subrev_u32_e32 v47, s61, v47
.LBB79_6:                               ;   in Loop: Header=BB79_7 Depth=1
	s_or_b64 exec, exec, s[6:7]
	s_add_i32 s49, s49, 1
	v_cmp_ge_i32_e32 vcc, s49, v13
	s_cbranch_vccnz .LBB79_48
.LBB79_7:                               ; =>This Loop Header: Depth=1
                                        ;     Child Loop BB79_13 Depth 2
                                        ;       Child Loop BB79_15 Depth 3
                                        ;       Child Loop BB79_18 Depth 3
                                        ;       Child Loop BB79_21 Depth 3
                                        ;       Child Loop BB79_24 Depth 3
                                        ;     Child Loop BB79_35 Depth 2
                                        ;       Child Loop BB79_37 Depth 3
                                        ;     Child Loop BB79_45 Depth 2
                                        ;       Child Loop BB79_47 Depth 3
	s_abs_i32 s7, s49
	s_mul_hi_u32 s8, s7, s56
	s_mul_i32 s9, s8, s52
	s_ashr_i32 s6, s49, 31
	s_sub_i32 s7, s7, s9
	s_xor_b32 s6, s6, s55
	s_add_i32 s9, s8, 1
	s_sub_i32 s10, s7, s52
	s_cmp_ge_u32 s7, s52
	s_cselect_b32 s8, s9, s8
	s_cselect_b32 s7, s10, s7
	s_add_i32 s9, s8, 1
	s_cmp_ge_u32 s7, s52
	s_cselect_b32 s7, s9, s8
	s_xor_b32 s7, s7, s6
	s_sub_i32 s6, s7, s6
	s_abs_i32 s8, s6
	s_mul_i32 s7, s6, s33
	s_mul_hi_u32 s9, s8, s58
	s_sub_i32 s7, s49, s7
	s_mul_i32 s10, s9, s54
	s_lshl_b32 s62, s7, 4
	s_ashr_i32 s7, s6, 31
	s_sub_i32 s8, s8, s10
	s_xor_b32 s7, s7, s57
	s_add_i32 s10, s9, 1
	s_sub_i32 s11, s8, s54
	s_cmp_ge_u32 s8, s54
	s_cselect_b32 s9, s10, s9
	s_cselect_b32 s8, s11, s8
	s_add_i32 s10, s9, 1
	s_cmp_ge_u32 s8, s54
	s_cselect_b32 s8, s10, s9
	s_xor_b32 s8, s8, s7
	s_sub_i32 s7, s8, s7
	s_mul_i32 s8, s7, s50
	s_lshl_b32 s63, s8, 7
	s_cmp_eq_u32 s7, s24
	s_cselect_b32 s61, s51, s50
	s_sub_i32 s64, s62, s20
	s_add_i32 s64, s64, 16
	s_and_saveexec_b64 s[8:9], s[2:3]
	s_xor_b64 s[30:31], exec, s[8:9]
	s_cbranch_execz .LBB79_41
; %bb.8:                                ;   in Loop: Header=BB79_7 Depth=1
	s_mul_i32 s7, s7, s48
	s_sub_i32 s6, s6, s7
	s_mul_i32 s6, s6, 48
	s_sub_i32 s18, s6, s21
	s_add_i32 s18, s18, 48
	s_max_i32 s7, s18, 0
	s_sub_i32 s34, s6, s7
	s_and_saveexec_b64 s[6:7], s[0:1]
	s_xor_b64 s[44:45], exec, s[6:7]
	s_cbranch_execz .LBB79_31
; %bb.9:                                ;   in Loop: Header=BB79_7 Depth=1
	s_and_saveexec_b64 s[46:47], s[4:5]
	s_cbranch_execz .LBB79_30
; %bb.10:                               ;   in Loop: Header=BB79_7 Depth=1
	s_waitcnt lgkmcnt(0)
	global_load_dword v48, v17, s[42:43]
	v_mov_b32_e32 v11, 0
	v_cmp_gt_i32_e32 vcc, s61, v47
	v_mov_b32_e32 v10, v11
	v_mov_b32_e32 v9, v11
	;; [unrolled: 1-line block ×11, first 2 shown]
	s_and_saveexec_b64 s[6:7], vcc
	s_cbranch_execz .LBB79_26
; %bb.11:                               ;   in Loop: Header=BB79_7 Depth=1
	v_mov_b32_e32 v0, 0
	s_mov_b64 s[8:9], 0
	v_mov_b32_e32 v1, v0
	v_mov_b32_e32 v2, v0
	;; [unrolled: 1-line block ×11, first 2 shown]
	s_branch .LBB79_13
.LBB79_12:                              ;   in Loop: Header=BB79_13 Depth=2
	s_or_b64 exec, exec, s[10:11]
	v_add_u32_e32 v29, 0x1000, v28
	ds_read2_b32 v[30:31], v29 offset1:32
	v_add_u32_e32 v47, s27, v47
	v_cmp_le_i32_e32 vcc, s61, v47
	s_or_b64 s[8:9], vcc, s[8:9]
	s_waitcnt lgkmcnt(0)
	v_mfma_f32_16x16x32_fp8_fp8 v[0:3], v[22:23], v[30:31], v[0:3]
	ds_read2_b32 v[22:23], v29 offset0:128 offset1:160
	v_add_u32_e32 v30, 0x1400, v28
	ds_read2_b32 v[28:29], v30 offset1:32
	s_waitcnt lgkmcnt(1)
	v_mfma_f32_16x16x32_fp8_fp8 v[0:3], v[20:21], v[22:23], v[0:3]
	ds_read2_b32 v[22:23], v30 offset0:128 offset1:160
	v_add_u32_e32 v20, s27, v50
	v_add_u32_e32 v21, 2, v34
	s_waitcnt lgkmcnt(1)
	v_mfma_f32_16x16x32_fp8_fp8 v[0:3], v[26:27], v[28:29], v[0:3]
	v_cmp_lt_i32_e32 vcc, 2, v20
	;;#ASMSTART
	s_waitcnt lgkmcnt(0)
	;;#ASMEND
	ds_write_b32 v49, v51 offset:24596
	s_waitcnt lgkmcnt(1)
	v_mfma_f32_16x16x32_fp8_fp8 v[0:3], v[24:25], v[22:23], v[0:3]
	v_cndmask_b32_e32 v34, v34, v21, vcc
	s_andn2_b64 exec, exec, s[8:9]
	s_cbranch_execz .LBB79_25
.LBB79_13:                              ;   Parent Loop BB79_7 Depth=1
                                        ; =>  This Loop Header: Depth=2
                                        ;       Child Loop BB79_15 Depth 3
                                        ;       Child Loop BB79_18 Depth 3
	;; [unrolled: 1-line block ×4, first 2 shown]
	v_cmp_gt_i32_e32 vcc, 3, v20
	s_nop 1
	v_cndmask_b32_e64 v21, -3, 0, vcc
	v_add_u32_e32 v50, v21, v20
	v_mul_lo_u32 v49, v50, 12
	ds_read_b32 v20, v49 offset:24588
	s_waitcnt lgkmcnt(0)
	v_cmp_ne_u32_e32 vcc, v20, v34
	s_and_saveexec_b64 s[10:11], vcc
	s_cbranch_execz .LBB79_16
; %bb.14:                               ;   in Loop: Header=BB79_13 Depth=2
	s_mov_b64 s[12:13], 0
.LBB79_15:                              ;   Parent Loop BB79_7 Depth=1
                                        ;     Parent Loop BB79_13 Depth=2
                                        ; =>    This Inner Loop Header: Depth=3
	;;#ASMSTART
	s_sleep 0
	;;#ASMEND
	ds_read_b32 v20, v49 offset:24588
	s_waitcnt lgkmcnt(0)
	v_cmp_eq_u32_e32 vcc, v20, v34
	s_or_b64 s[12:13], vcc, s[12:13]
	s_andn2_b64 exec, exec, s[12:13]
	s_cbranch_execnz .LBB79_15
.LBB79_16:                              ;   in Loop: Header=BB79_13 Depth=2
	s_or_b64 exec, exec, s[10:11]
	v_mul_lo_u32 v52, v50, s59
	v_or_b32_e32 v20, v35, v52
	ds_read2_b32 v[24:25], v20 offset1:32
	ds_read2_b32 v[28:29], v20 offset0:128 offset1:160
	v_add_u32_e32 v20, 0x400, v20
	ds_read2_b32 v[32:33], v20 offset1:32
	ds_read2_b32 v[30:31], v20 offset0:128 offset1:160
	v_lshlrev_b32_e32 v20, 2, v50
	;;#ASMSTART
	s_waitcnt lgkmcnt(0)
	;;#ASMEND
	ds_read_b32 v21, v20 offset:24576
	v_add_u32_e32 v51, 1, v34
	v_add_u32_e32 v53, 0x6000, v20
	ds_write_b32 v49, v51 offset:24588
	s_waitcnt lgkmcnt(1)
	v_cmp_ne_u32_e32 vcc, v21, v34
	s_and_saveexec_b64 s[10:11], vcc
	s_cbranch_execz .LBB79_19
; %bb.17:                               ;   in Loop: Header=BB79_13 Depth=2
	s_mov_b64 s[12:13], 0
.LBB79_18:                              ;   Parent Loop BB79_7 Depth=1
                                        ;     Parent Loop BB79_13 Depth=2
                                        ; =>    This Inner Loop Header: Depth=3
	;;#ASMSTART
	s_sleep 0
	;;#ASMEND
	ds_read_b32 v20, v53
	s_waitcnt lgkmcnt(0)
	v_cmp_eq_u32_e32 vcc, v20, v34
	s_or_b64 s[12:13], vcc, s[12:13]
	s_andn2_b64 exec, exec, s[12:13]
	s_cbranch_execnz .LBB79_18
.LBB79_19:                              ;   in Loop: Header=BB79_13 Depth=2
	s_or_b64 exec, exec, s[10:11]
	v_lshl_add_u32 v26, v50, 11, v36
	ds_read2_b32 v[22:23], v26 offset1:32
	ds_read2_b32 v[20:21], v26 offset0:128 offset1:160
	v_add_u32_e32 v54, 0x400, v26
	ds_read2_b32 v[26:27], v54 offset1:32
	ds_write_b32 v53, v51
	s_waitcnt lgkmcnt(3)
	v_mfma_f32_16x16x32_fp8_fp8 v[8:11], v[22:23], v[24:25], v[8:11]
	ds_read2_b32 v[24:25], v54 offset0:128 offset1:160
	s_waitcnt lgkmcnt(3)
	v_mfma_f32_16x16x32_fp8_fp8 v[8:11], v[20:21], v[28:29], v[8:11]
	ds_read_b32 v28, v49 offset:24592
	s_waitcnt lgkmcnt(0)
	v_cmp_ne_u32_e32 vcc, v28, v34
	v_mfma_f32_16x16x32_fp8_fp8 v[8:11], v[26:27], v[32:33], v[8:11]
	v_mfma_f32_16x16x32_fp8_fp8 v[8:11], v[24:25], v[30:31], v[8:11]
	s_and_saveexec_b64 s[10:11], vcc
	s_cbranch_execz .LBB79_22
; %bb.20:                               ;   in Loop: Header=BB79_13 Depth=2
	s_mov_b64 s[12:13], 0
.LBB79_21:                              ;   Parent Loop BB79_7 Depth=1
                                        ;     Parent Loop BB79_13 Depth=2
                                        ; =>    This Inner Loop Header: Depth=3
	;;#ASMSTART
	s_sleep 0
	;;#ASMEND
	ds_read_b32 v28, v49 offset:24592
	s_waitcnt lgkmcnt(0)
	v_cmp_eq_u32_e32 vcc, v28, v34
	s_or_b64 s[12:13], vcc, s[12:13]
	s_andn2_b64 exec, exec, s[12:13]
	s_cbranch_execnz .LBB79_21
.LBB79_22:                              ;   in Loop: Header=BB79_13 Depth=2
	s_or_b64 exec, exec, s[10:11]
	v_add_u32_e32 v28, v35, v52
	v_add_u32_e32 v29, 0x800, v28
	ds_read2_b32 v[30:31], v29 offset1:32
	s_waitcnt lgkmcnt(0)
	v_mfma_f32_16x16x32_fp8_fp8 v[4:7], v[22:23], v[30:31], v[4:7]
	ds_read2_b32 v[30:31], v29 offset0:128 offset1:160
	v_add_u32_e32 v29, 0xc00, v28
	s_waitcnt lgkmcnt(0)
	v_mfma_f32_16x16x32_fp8_fp8 v[4:7], v[20:21], v[30:31], v[4:7]
	ds_read2_b32 v[30:31], v29 offset1:32
	ds_read2_b32 v[32:33], v29 offset0:128 offset1:160
	;;#ASMSTART
	s_waitcnt lgkmcnt(0)
	;;#ASMEND
	ds_read_b32 v29, v49 offset:24596
	s_waitcnt lgkmcnt(2)
	v_mfma_f32_16x16x32_fp8_fp8 v[4:7], v[26:27], v[30:31], v[4:7]
	ds_write_b32 v49, v51 offset:24592
	s_waitcnt lgkmcnt(1)
	v_cmp_ne_u32_e32 vcc, v29, v34
	v_mfma_f32_16x16x32_fp8_fp8 v[4:7], v[24:25], v[32:33], v[4:7]
	s_and_saveexec_b64 s[10:11], vcc
	s_cbranch_execz .LBB79_12
; %bb.23:                               ;   in Loop: Header=BB79_13 Depth=2
	s_mov_b64 s[12:13], 0
.LBB79_24:                              ;   Parent Loop BB79_7 Depth=1
                                        ;     Parent Loop BB79_13 Depth=2
                                        ; =>    This Inner Loop Header: Depth=3
	;;#ASMSTART
	s_sleep 0
	;;#ASMEND
	ds_read_b32 v29, v49 offset:24596
	s_waitcnt lgkmcnt(0)
	v_cmp_eq_u32_e32 vcc, v29, v34
	s_or_b64 s[12:13], vcc, s[12:13]
	s_andn2_b64 exec, exec, s[12:13]
	s_cbranch_execnz .LBB79_24
	s_branch .LBB79_12
.LBB79_25:                              ;   in Loop: Header=BB79_7 Depth=1
	s_or_b64 exec, exec, s[8:9]
.LBB79_26:                              ;   in Loop: Header=BB79_7 Depth=1
	s_or_b64 exec, exec, s[6:7]
	v_cmp_le_i32_e32 vcc, s18, v12
	v_cmp_eq_u32_e64 s[6:7], 2, v38
	v_cmp_eq_u32_e64 s[8:9], 3, v38
	s_waitcnt vmcnt(0)
	v_cndmask_b32_e32 v22, 0, v48, vcc
	v_pk_mul_f32 v[10:11], v[22:23], v[10:11] op_sel_hi:[0,1]
	v_pk_mul_f32 v[22:23], v[22:23], v[8:9] op_sel_hi:[0,1]
	v_cmp_eq_u32_e32 vcc, 1, v38
	v_cmp_eq_u32_e64 s[10:11], 0, v38
	v_cmp_le_i32_e64 s[14:15], s18, v40
	v_cndmask_b32_e32 v8, v22, v23, vcc
	v_cndmask_b32_e64 v8, v8, v10, s[6:7]
	v_cndmask_b32_e64 v8, v8, v11, s[8:9]
	ds_bpermute_b32 v21, v46, v8
	v_cmp_le_i32_e64 s[18:19], s18, v41
	v_cmp_eq_u32_e64 s[12:13], 1, v39
	v_cmp_eq_u32_e64 s[16:17], 3, v39
	s_waitcnt lgkmcnt(0)
	v_cndmask_b32_e64 v8, v11, v21, s[8:9]
	v_cndmask_b32_e64 v11, v22, v21, s[10:11]
	v_cndmask_b32_e64 v22, 0, v48, s[14:15]
	v_cndmask_b32_e64 v9, v10, v21, s[6:7]
	v_cndmask_b32_e32 v10, v23, v21, vcc
	v_pk_mul_f32 v[6:7], v[22:23], v[6:7] op_sel_hi:[0,1]
	v_pk_mul_f32 v[22:23], v[22:23], v[4:5] op_sel_hi:[0,1]
	v_cndmask_b32_e32 v4, v22, v23, vcc
	v_cndmask_b32_e64 v4, v4, v6, s[6:7]
	v_cndmask_b32_e64 v4, v4, v7, s[8:9]
	ds_bpermute_b32 v24, v46, v4
	v_cmp_eq_u32_e64 s[14:15], 2, v39
	v_cndmask_b32_e64 v21, v11, v10, s[12:13]
	s_waitcnt lgkmcnt(0)
	v_cndmask_b32_e64 v5, v7, v24, s[8:9]
	v_cndmask_b32_e64 v6, v6, v24, s[6:7]
	v_cndmask_b32_e32 v23, v23, v24, vcc
	v_cndmask_b32_e64 v24, v22, v24, s[10:11]
	v_cndmask_b32_e64 v22, 0, v48, s[18:19]
	v_pk_mul_f32 v[28:29], v[22:23], v[0:1] op_sel_hi:[0,1]
	v_pk_mul_f32 v[26:27], v[22:23], v[2:3] op_sel_hi:[0,1]
	v_cndmask_b32_e32 v0, v28, v29, vcc
	v_cndmask_b32_e64 v0, v0, v26, s[6:7]
	v_cndmask_b32_e64 v0, v0, v27, s[8:9]
	ds_bpermute_b32 v1, v46, v0
	v_cndmask_b32_e64 v0, v24, v23, s[12:13]
	v_cndmask_b32_e64 v0, v0, v6, s[14:15]
	;; [unrolled: 1-line block ×3, first 2 shown]
	v_cmp_ne_u32_e32 vcc, 0, v38
	ds_bpermute_b32 v7, v46, v0
	s_waitcnt lgkmcnt(1)
	v_cndmask_b32_e64 v2, v27, v1, s[8:9]
	v_cndmask_b32_e64 v3, v26, v1, s[6:7]
	v_cndmask_b32_e32 v0, v29, v1, vcc
	v_cndmask_b32_e64 v1, v28, v1, s[10:11]
	v_cndmask_b32_e64 v4, v21, v9, s[14:15]
	;; [unrolled: 1-line block ×6, first 2 shown]
	ds_bpermute_b32 v4, v46, v4
	ds_bpermute_b32 v21, v46, v21
	s_max_i32 s6, s64, 0
	v_add_u32_e32 v22, s6, v37
	v_cmp_gt_u32_e32 vcc, 16, v22
	s_and_saveexec_b64 s[12:13], vcc
	s_cbranch_execz .LBB79_29
; %bb.27:                               ;   in Loop: Header=BB79_7 Depth=1
	v_cmp_eq_u32_e64 s[8:9], 1, v39
	v_cmp_eq_u32_e64 s[10:11], 0, v39
	v_cmp_eq_u32_e32 vcc, 3, v39
	s_waitcnt lgkmcnt(1)
	v_cndmask_b32_e64 v10, v10, v4, s[8:9]
	v_cndmask_b32_e64 v23, v23, v7, s[8:9]
	s_waitcnt lgkmcnt(0)
	v_cndmask_b32_e64 v25, v0, v21, s[8:9]
	s_mul_i32 s8, s62, s21
	s_ashr_i32 s9, s8, 31
	s_lshl_b64 s[8:9], s[8:9], 1
	v_cndmask_b32_e64 v11, v11, v4, s[10:11]
	v_cndmask_b32_e64 v24, v24, v7, s[10:11]
	;; [unrolled: 1-line block ×3, first 2 shown]
	s_add_u32 s10, s40, s8
	s_addc_u32 s11, s41, s9
	s_ashr_i32 s35, s34, 31
	v_cvt_f16_f32_e32 v11, v11
	v_cvt_f16_f32_sdwa v10, v10 dst_sel:WORD_1 dst_unused:UNUSED_PAD src0_sel:DWORD
	s_lshl_b64 s[8:9], s[34:35], 1
	v_cvt_f16_f32_e32 v24, v24
	v_cvt_f16_f32_sdwa v23, v23 dst_sel:WORD_1 dst_unused:UNUSED_PAD src0_sel:DWORD
	s_add_u32 s8, s10, s8
	v_cvt_f16_f32_e32 v26, v26
	v_cvt_f16_f32_sdwa v25, v25 dst_sel:WORD_1 dst_unused:UNUSED_PAD src0_sel:DWORD
	s_addc_u32 s9, s11, s9
	v_lshl_add_u64 v[0:1], v[14:15], 1, s[8:9]
	v_or_b32_e32 v10, v10, v11
	v_cmp_eq_u32_e64 s[6:7], 2, v39
	;;#ASMSTART
	global_atomic_pk_add_f16 v[0:1], v10, off
	
	;;#ASMEND
	v_lshl_add_u64 v[10:11], v[0:1], 0, 32
	v_or_b32_e32 v23, v23, v24
	v_cmp_gt_u32_e64 s[8:9], 14, v22
	;;#ASMSTART
	global_atomic_pk_add_f16 v[10:11], v23, off
	
	;;#ASMEND
	v_lshl_add_u64 v[10:11], v[0:1], 0, 64
	v_or_b32_e32 v23, v25, v26
	;;#ASMSTART
	global_atomic_pk_add_f16 v[10:11], v23, off
	
	;;#ASMEND
	s_and_b64 exec, exec, s[8:9]
	s_cbranch_execz .LBB79_29
; %bb.28:                               ;   in Loop: Header=BB79_7 Depth=1
	v_cndmask_b32_e32 v8, v8, v4, vcc
	v_cndmask_b32_e64 v4, v9, v4, s[6:7]
	v_cndmask_b32_e32 v5, v5, v7, vcc
	v_cndmask_b32_e64 v6, v6, v7, s[6:7]
	v_cvt_f16_f32_e32 v4, v4
	v_cvt_f16_f32_sdwa v7, v8 dst_sel:WORD_1 dst_unused:UNUSED_PAD src0_sel:DWORD
	v_cndmask_b32_e32 v8, v2, v21, vcc
	v_cndmask_b32_e64 v9, v3, v21, s[6:7]
	v_cvt_f16_f32_sdwa v5, v5 dst_sel:WORD_1 dst_unused:UNUSED_PAD src0_sel:DWORD
	v_or_b32_e32 v2, v7, v4
	v_cvt_f16_f32_e32 v4, v6
	v_cvt_f16_f32_e32 v6, v9
	v_cvt_f16_f32_sdwa v7, v8 dst_sel:WORD_1 dst_unused:UNUSED_PAD src0_sel:DWORD
	v_lshl_add_u64 v[0:1], s[28:29], 2, v[0:1]
	;;#ASMSTART
	global_atomic_pk_add_f16 v[0:1], v2, off
	
	;;#ASMEND
	v_lshl_add_u64 v[2:3], v[0:1], 0, 32
	v_or_b32_e32 v4, v5, v4
	;;#ASMSTART
	global_atomic_pk_add_f16 v[2:3], v4, off
	
	;;#ASMEND
	v_lshl_add_u64 v[0:1], v[0:1], 0, 64
	v_or_b32_e32 v2, v7, v6
	;;#ASMSTART
	global_atomic_pk_add_f16 v[0:1], v2, off
	
	;;#ASMEND
.LBB79_29:                              ;   in Loop: Header=BB79_7 Depth=1
	s_or_b64 exec, exec, s[12:13]
	v_subrev_u32_e32 v47, s61, v47
.LBB79_30:                              ;   in Loop: Header=BB79_7 Depth=1
	s_or_b64 exec, exec, s[46:47]
.LBB79_31:                              ;   in Loop: Header=BB79_7 Depth=1
	s_andn2_saveexec_b64 s[6:7], s[44:45]
	s_cbranch_execz .LBB79_40
; %bb.32:                               ;   in Loop: Header=BB79_7 Depth=1
	s_mul_i32 s16, s61, 3
	v_cmp_gt_i32_e32 vcc, s16, v47
	s_and_saveexec_b64 s[8:9], vcc
	s_cbranch_execz .LBB79_39
; %bb.33:                               ;   in Loop: Header=BB79_7 Depth=1
	s_mul_i32 s10, s34, s23
	s_ashr_i32 s11, s10, 31
	s_waitcnt lgkmcnt(0)
	s_add_u32 s10, s38, s10
	s_addc_u32 s11, s39, s11
	s_ashr_i32 s12, s63, 31
	s_add_u32 s10, s10, s63
	s_addc_u32 s11, s11, s12
	v_lshl_add_u64 v[0:1], s[10:11], 0, v[18:19]
	v_lshl_add_u64 v[8:9], v[0:1], 0, v[16:17]
	s_mov_b64 s[10:11], 0
	s_branch .LBB79_35
.LBB79_34:                              ;   in Loop: Header=BB79_35 Depth=2
	s_or_b64 exec, exec, s[12:13]
	v_lshl_or_b32 v20, v10, 11, v42
	;;#ASMSTART
	s_waitcnt vmcnt(1)
	;;#ASMEND
	ds_write2_b32 v20, v4, v5 offset1:32
	ds_write2_b32 v20, v6, v7 offset0:64 offset1:96
	v_add_u32_e32 v4, 0x400, v20
	v_add_u32_e32 v47, s26, v47
	;;#ASMSTART
	s_waitcnt vmcnt(0)
	;;#ASMEND
	ds_write2_b32 v4, v0, v1 offset1:32
	ds_write2_b32 v4, v2, v3 offset0:64 offset1:96
	v_add_u32_e32 v0, 1, v34
	v_add_u32_e32 v20, s26, v10
	v_cmp_le_i32_e32 vcc, s16, v47
	ds_write_b32 v11, v0 offset:12
	v_add_u32_e32 v0, 2, v34
	s_or_b64 s[10:11], vcc, s[10:11]
	v_cmp_lt_i32_e32 vcc, 8, v20
	s_nop 1
	v_cndmask_b32_e32 v34, v34, v0, vcc
	s_andn2_b64 exec, exec, s[10:11]
	s_cbranch_execz .LBB79_38
.LBB79_35:                              ;   Parent Loop BB79_7 Depth=1
                                        ; =>  This Loop Header: Depth=2
                                        ;       Child Loop BB79_37 Depth 3
	v_cmp_gt_i32_e32 vcc, 9, v20
	s_nop 1
	v_cndmask_b32_e64 v0, -9, 0, vcc
	v_add_u32_e32 v10, v0, v20
	v_mul_hi_i32 v0, v47, s60
	v_lshrrev_b32_e32 v1, 31, v0
	v_add_u32_e32 v0, v0, v1
	v_lshl_add_u32 v1, v0, 1, v0
	v_sub_u32_e32 v2, v47, v1
	v_lshlrev_b32_e32 v0, 7, v0
	v_ashrrev_i32_e32 v1, 31, v0
	v_mul_lo_u32 v2, s53, v2
	v_lshl_add_u64 v[0:1], v[8:9], 0, v[0:1]
	v_ashrrev_i32_e32 v3, 31, v2
	v_lshl_add_u64 v[0:1], v[0:1], 0, v[2:3]
	v_lshlrev_b32_e32 v11, 2, v10
	;;#ASMSTART
	global_load_dwordx4 v[4:7], v[0:1], off offset:0   sc0 sc1 nt  
	global_load_dwordx4 v[0:3], v[0:1], off offset:64  sc0 sc1 nt  
	
	;;#ASMEND
	ds_read_b32 v20, v11 offset:24588
	v_add_u32_e32 v11, 0x6000, v11
	s_waitcnt lgkmcnt(0)
	v_cmp_ne_u32_e32 vcc, v20, v34
	s_and_saveexec_b64 s[12:13], vcc
	s_cbranch_execz .LBB79_34
; %bb.36:                               ;   in Loop: Header=BB79_35 Depth=2
	s_mov_b64 s[14:15], 0
.LBB79_37:                              ;   Parent Loop BB79_7 Depth=1
                                        ;     Parent Loop BB79_35 Depth=2
                                        ; =>    This Inner Loop Header: Depth=3
	;;#ASMSTART
	s_sleep 0
	;;#ASMEND
	ds_read_b32 v20, v11 offset:12
	s_waitcnt lgkmcnt(0)
	v_cmp_eq_u32_e32 vcc, v20, v34
	s_or_b64 s[14:15], vcc, s[14:15]
	s_andn2_b64 exec, exec, s[14:15]
	s_cbranch_execnz .LBB79_37
	s_branch .LBB79_34
.LBB79_38:                              ;   in Loop: Header=BB79_7 Depth=1
	s_or_b64 exec, exec, s[10:11]
.LBB79_39:                              ;   in Loop: Header=BB79_7 Depth=1
	s_or_b64 exec, exec, s[8:9]
	v_subrev_u32_e32 v47, s16, v47
.LBB79_40:                              ;   in Loop: Header=BB79_7 Depth=1
	s_or_b64 exec, exec, s[6:7]
.LBB79_41:                              ;   in Loop: Header=BB79_7 Depth=1
	s_andn2_saveexec_b64 s[6:7], s[30:31]
	s_cbranch_execz .LBB79_6
; %bb.42:                               ;   in Loop: Header=BB79_7 Depth=1
	v_cmp_gt_i32_e32 vcc, s61, v47
	s_and_saveexec_b64 s[8:9], vcc
	s_cbranch_execz .LBB79_5
; %bb.43:                               ;   in Loop: Header=BB79_7 Depth=1
	s_mul_i32 s62, s62, s22
	s_ashr_i32 s10, s62, 31
	s_waitcnt lgkmcnt(0)
	s_add_u32 s11, s36, s62
	s_addc_u32 s12, s37, s10
	s_ashr_i32 s13, s63, 31
	v_cmp_le_i32_e32 vcc, s64, v43
	s_add_u32 s10, s11, s63
	s_addc_u32 s11, s12, s13
	v_cndmask_b32_e32 v0, 0, v44, vcc
	v_ashrrev_i32_e32 v1, 31, v0
	v_lshl_add_u64 v[0:1], s[10:11], 0, v[0:1]
	v_lshl_add_u64 v[8:9], v[0:1], 0, v[16:17]
	s_mov_b64 s[10:11], 0
	s_branch .LBB79_45
.LBB79_44:                              ;   in Loop: Header=BB79_45 Depth=2
	s_or_b64 exec, exec, s[12:13]
	v_lshl_add_u32 v20, v10, 11, v45
	;;#ASMSTART
	s_waitcnt vmcnt(1)
	;;#ASMEND
	ds_write2_b32 v20, v4, v5 offset1:32
	ds_write2_b32 v20, v6, v7 offset0:64 offset1:96
	v_add_u32_e32 v4, 0x400, v20
	v_add_u32_e32 v47, s25, v47
	;;#ASMSTART
	s_waitcnt vmcnt(0)
	;;#ASMEND
	ds_write2_b32 v4, v0, v1 offset1:32
	ds_write2_b32 v4, v2, v3 offset0:64 offset1:96
	v_add_u32_e32 v0, 1, v34
	v_add_u32_e32 v20, s25, v10
	v_cmp_le_i32_e32 vcc, s61, v47
	ds_write_b32 v11, v0
	v_add_u32_e32 v0, 2, v34
	s_or_b64 s[10:11], vcc, s[10:11]
	v_cmp_lt_i32_e32 vcc, 2, v20
	s_nop 1
	v_cndmask_b32_e32 v34, v34, v0, vcc
	s_andn2_b64 exec, exec, s[10:11]
	s_cbranch_execz .LBB79_4
.LBB79_45:                              ;   Parent Loop BB79_7 Depth=1
                                        ; =>  This Loop Header: Depth=2
                                        ;       Child Loop BB79_47 Depth 3
	v_cmp_gt_i32_e32 vcc, 3, v20
	s_nop 1
	v_cndmask_b32_e64 v0, -3, 0, vcc
	v_add_u32_e32 v10, v0, v20
	v_lshlrev_b32_e32 v0, 7, v47
	v_ashrrev_i32_e32 v1, 31, v0
	v_lshl_add_u64 v[0:1], v[8:9], 0, v[0:1]
	v_lshlrev_b32_e32 v11, 2, v10
	;;#ASMSTART
	global_load_dwordx4 v[4:7], v[0:1], off offset:0   
	global_load_dwordx4 v[0:3], v[0:1], off offset:64  
	
	;;#ASMEND
	ds_read_b32 v20, v11 offset:24576
	v_add_u32_e32 v11, 0x6000, v11
	s_waitcnt lgkmcnt(0)
	v_cmp_ne_u32_e32 vcc, v20, v34
	s_and_saveexec_b64 s[12:13], vcc
	s_cbranch_execz .LBB79_44
; %bb.46:                               ;   in Loop: Header=BB79_45 Depth=2
	s_mov_b64 s[14:15], 0
.LBB79_47:                              ;   Parent Loop BB79_7 Depth=1
                                        ;     Parent Loop BB79_45 Depth=2
                                        ; =>    This Inner Loop Header: Depth=3
	;;#ASMSTART
	s_sleep 0
	;;#ASMEND
	ds_read_b32 v20, v11
	s_waitcnt lgkmcnt(0)
	v_cmp_eq_u32_e32 vcc, v20, v34
	s_or_b64 s[14:15], vcc, s[14:15]
	s_andn2_b64 exec, exec, s[14:15]
	s_cbranch_execnz .LBB79_47
	s_branch .LBB79_44
.LBB79_48:
	s_endpgm
	.section	.rodata,"a",@progbits
	.p2align	6, 0x0
	.amdhsa_kernel _Z19_skinny_gemm_kernelILi1ELi3ELi3ELi16ELi4EEvPKhS1_P6__halfPKfiiiiiiii
		.amdhsa_group_segment_fixed_size 24624
		.amdhsa_private_segment_fixed_size 0
		.amdhsa_kernarg_size 64
		.amdhsa_user_sgpr_count 2
		.amdhsa_user_sgpr_dispatch_ptr 0
		.amdhsa_user_sgpr_queue_ptr 0
		.amdhsa_user_sgpr_kernarg_segment_ptr 1
		.amdhsa_user_sgpr_dispatch_id 0
		.amdhsa_user_sgpr_kernarg_preload_length 0
		.amdhsa_user_sgpr_kernarg_preload_offset 0
		.amdhsa_user_sgpr_private_segment_size 0
		.amdhsa_uses_dynamic_stack 0
		.amdhsa_enable_private_segment 0
		.amdhsa_system_sgpr_workgroup_id_x 1
		.amdhsa_system_sgpr_workgroup_id_y 0
		.amdhsa_system_sgpr_workgroup_id_z 0
		.amdhsa_system_sgpr_workgroup_info 0
		.amdhsa_system_vgpr_workitem_id 0
		.amdhsa_next_free_vgpr 55
		.amdhsa_next_free_sgpr 65
		.amdhsa_accum_offset 56
		.amdhsa_reserve_vcc 1
		.amdhsa_float_round_mode_32 0
		.amdhsa_float_round_mode_16_64 0
		.amdhsa_float_denorm_mode_32 3
		.amdhsa_float_denorm_mode_16_64 3
		.amdhsa_dx10_clamp 1
		.amdhsa_ieee_mode 1
		.amdhsa_fp16_overflow 0
		.amdhsa_tg_split 0
		.amdhsa_exception_fp_ieee_invalid_op 0
		.amdhsa_exception_fp_denorm_src 0
		.amdhsa_exception_fp_ieee_div_zero 0
		.amdhsa_exception_fp_ieee_overflow 0
		.amdhsa_exception_fp_ieee_underflow 0
		.amdhsa_exception_fp_ieee_inexact 0
		.amdhsa_exception_int_div_zero 0
	.end_amdhsa_kernel
	.section	.text._Z19_skinny_gemm_kernelILi1ELi3ELi3ELi16ELi4EEvPKhS1_P6__halfPKfiiiiiiii,"axG",@progbits,_Z19_skinny_gemm_kernelILi1ELi3ELi3ELi16ELi4EEvPKhS1_P6__halfPKfiiiiiiii,comdat
.Lfunc_end79:
	.size	_Z19_skinny_gemm_kernelILi1ELi3ELi3ELi16ELi4EEvPKhS1_P6__halfPKfiiiiiiii, .Lfunc_end79-_Z19_skinny_gemm_kernelILi1ELi3ELi3ELi16ELi4EEvPKhS1_P6__halfPKfiiiiiiii
                                        ; -- End function
	.set _Z19_skinny_gemm_kernelILi1ELi3ELi3ELi16ELi4EEvPKhS1_P6__halfPKfiiiiiiii.num_vgpr, 55
	.set _Z19_skinny_gemm_kernelILi1ELi3ELi3ELi16ELi4EEvPKhS1_P6__halfPKfiiiiiiii.num_agpr, 0
	.set _Z19_skinny_gemm_kernelILi1ELi3ELi3ELi16ELi4EEvPKhS1_P6__halfPKfiiiiiiii.numbered_sgpr, 65
	.set _Z19_skinny_gemm_kernelILi1ELi3ELi3ELi16ELi4EEvPKhS1_P6__halfPKfiiiiiiii.num_named_barrier, 0
	.set _Z19_skinny_gemm_kernelILi1ELi3ELi3ELi16ELi4EEvPKhS1_P6__halfPKfiiiiiiii.private_seg_size, 0
	.set _Z19_skinny_gemm_kernelILi1ELi3ELi3ELi16ELi4EEvPKhS1_P6__halfPKfiiiiiiii.uses_vcc, 1
	.set _Z19_skinny_gemm_kernelILi1ELi3ELi3ELi16ELi4EEvPKhS1_P6__halfPKfiiiiiiii.uses_flat_scratch, 0
	.set _Z19_skinny_gemm_kernelILi1ELi3ELi3ELi16ELi4EEvPKhS1_P6__halfPKfiiiiiiii.has_dyn_sized_stack, 0
	.set _Z19_skinny_gemm_kernelILi1ELi3ELi3ELi16ELi4EEvPKhS1_P6__halfPKfiiiiiiii.has_recursion, 0
	.set _Z19_skinny_gemm_kernelILi1ELi3ELi3ELi16ELi4EEvPKhS1_P6__halfPKfiiiiiiii.has_indirect_call, 0
	.section	.AMDGPU.csdata,"",@progbits
; Kernel info:
; codeLenInByte = 3612
; TotalNumSgprs: 71
; NumVgprs: 55
; NumAgprs: 0
; TotalNumVgprs: 55
; ScratchSize: 0
; MemoryBound: 0
; FloatMode: 240
; IeeeMode: 1
; LDSByteSize: 24624 bytes/workgroup (compile time only)
; SGPRBlocks: 8
; VGPRBlocks: 6
; NumSGPRsForWavesPerEU: 71
; NumVGPRsForWavesPerEU: 55
; AccumOffset: 56
; Occupancy: 8
; WaveLimiterHint : 0
; COMPUTE_PGM_RSRC2:SCRATCH_EN: 0
; COMPUTE_PGM_RSRC2:USER_SGPR: 2
; COMPUTE_PGM_RSRC2:TRAP_HANDLER: 0
; COMPUTE_PGM_RSRC2:TGID_X_EN: 1
; COMPUTE_PGM_RSRC2:TGID_Y_EN: 0
; COMPUTE_PGM_RSRC2:TGID_Z_EN: 0
; COMPUTE_PGM_RSRC2:TIDIG_COMP_CNT: 0
; COMPUTE_PGM_RSRC3_GFX90A:ACCUM_OFFSET: 13
; COMPUTE_PGM_RSRC3_GFX90A:TG_SPLIT: 0
	.section	.text._Z19_skinny_gemm_kernelILi1ELi3ELi3ELi16ELi8EEvPKhS1_P6__halfPKfiiiiiiii,"axG",@progbits,_Z19_skinny_gemm_kernelILi1ELi3ELi3ELi16ELi8EEvPKhS1_P6__halfPKfiiiiiiii,comdat
	.protected	_Z19_skinny_gemm_kernelILi1ELi3ELi3ELi16ELi8EEvPKhS1_P6__halfPKfiiiiiiii ; -- Begin function _Z19_skinny_gemm_kernelILi1ELi3ELi3ELi16ELi8EEvPKhS1_P6__halfPKfiiiiiiii
	.globl	_Z19_skinny_gemm_kernelILi1ELi3ELi3ELi16ELi8EEvPKhS1_P6__halfPKfiiiiiiii
	.p2align	8
	.type	_Z19_skinny_gemm_kernelILi1ELi3ELi3ELi16ELi8EEvPKhS1_P6__halfPKfiiiiiiii,@function
_Z19_skinny_gemm_kernelILi1ELi3ELi3ELi16ELi8EEvPKhS1_P6__halfPKfiiiiiiii: ; @_Z19_skinny_gemm_kernelILi1ELi3ELi3ELi16ELi8EEvPKhS1_P6__halfPKfiiiiiiii
; %bb.0:
	v_cmp_gt_u32_e32 vcc, 12, v0
	v_lshlrev_b32_e32 v1, 2, v0
	s_and_saveexec_b64 s[4:5], vcc
; %bb.1:
	v_mov_b32_e32 v2, 0
	ds_write_b32 v1, v2 offset:49152
; %bb.2:
	s_or_b64 exec, exec, s[4:5]
	s_load_dwordx8 s[20:27], s[0:1], 0x20
	s_waitcnt lgkmcnt(0)
	s_barrier
	s_add_i32 s3, s20, 15
	s_ashr_i32 s5, s3, 31
	s_add_i32 s4, s21, 47
	s_lshr_b32 s5, s5, 28
	s_mul_hi_i32 s4, s4, 0x2aaaaaab
	s_add_i32 s3, s3, s5
	s_ashr_i32 s33, s3, 4
	s_lshr_b32 s3, s4, 31
	s_ashr_i32 s48, s4, 3
	s_add_i32 s48, s48, s3
	s_mul_i32 s3, s48, s33
	s_mul_i32 s3, s3, s24
	s_add_i32 s4, s3, 0x12f
	s_mul_hi_i32 s4, s4, 0x6bca1af3
	s_lshr_b32 s5, s4, 31
	s_ashr_i32 s4, s4, 7
	s_add_i32 s4, s4, s5
	s_add_i32 s5, s2, 1
	s_mul_i32 s5, s4, s5
	v_cvt_f64_i32_e32 v[2:3], s3
	v_cvt_f64_u32_e32 v[4:5], s5
	v_min_f64 v[2:3], v[2:3], v[4:5]
	v_cvt_i32_f64_e32 v17, v[2:3]
	s_mul_i32 s49, s4, s2
	v_cmp_ge_i32_e32 vcc, s49, v17
	s_cbranch_vccnz .LBB80_48
; %bb.3:
	v_lshrrev_b32_e32 v2, 6, v0
	s_add_i32 s4, s26, s25
	s_load_dwordx8 s[36:43], s[0:1], 0x0
	v_cmp_le_i32_e64 s[0:1], s4, v2
	v_mov_b32_e32 v3, s25
	v_cmp_le_i32_e64 s[2:3], s25, v2
	v_mov_b32_e32 v4, s26
	v_cndmask_b32_e64 v4, 0, v4, s[0:1]
	v_cndmask_b32_e64 v3, 0, v3, s[2:3]
	s_abs_i32 s5, s24
	v_add_u32_e32 v3, v3, v4
	v_cvt_f32_u32_e32 v4, s5
	v_sub_u32_e32 v12, v2, v3
	s_ashr_i32 s6, s22, 31
	s_lshr_b32 s6, s6, 24
	v_rcp_iflag_f32_e32 v3, v4
	s_sub_i32 s9, 0, s5
	s_add_i32 s6, s22, s6
	s_ashr_i32 s6, s6, 8
	v_mul_f32_e32 v3, 0x4f7ffffe, v3
	v_cvt_u32_f32_e32 v3, v3
	s_abs_i32 s8, s6
	s_xor_b32 s7, s6, s24
	s_ashr_i32 s7, s7, 31
	v_readfirstlane_b32 s10, v3
	s_mul_i32 s9, s9, s10
	s_mul_hi_u32 s9, s10, s9
	s_add_i32 s10, s10, s9
	s_mul_hi_u32 s9, s8, s10
	s_mul_i32 s10, s9, s5
	s_sub_i32 s8, s8, s10
	s_add_i32 s10, s9, 1
	s_sub_i32 s11, s8, s5
	s_cmp_ge_u32 s8, s5
	s_cselect_b32 s9, s10, s9
	s_cselect_b32 s8, s11, s8
	s_add_i32 s10, s9, 1
	s_cmp_ge_u32 s8, s5
	s_cselect_b32 s5, s10, s9
	s_xor_b32 s5, s5, s7
	s_sub_i32 s50, s5, s7
	s_add_i32 s24, s24, -1
	s_mul_i32 s5, s50, s24
	s_add_i32 s4, s4, s27
	s_sub_i32 s51, s6, s5
	v_cmp_gt_i32_e64 s[4:5], s4, v2
	v_lshlrev_b32_e32 v2, 1, v0
	v_lshlrev_b32_e32 v3, 4, v0
	v_and_b32_e32 v1, 60, v1
	v_and_b32_e32 v2, 64, v2
	;; [unrolled: 1-line block ×3, first 2 shown]
	s_abs_i32 s52, s33
	v_or3_b32 v47, v1, v2, v4
	v_and_b32_e32 v1, 1, v0
	v_cvt_f32_u32_e32 v6, s52
	v_lshlrev_b32_e32 v2, 1, v1
	v_lshrrev_b32_e32 v4, 2, v0
	v_and_b32_e32 v16, 14, v0
	v_sub_u32_e32 v2, v0, v2
	v_and_or_b32 v48, v4, 12, v1
	v_bitop3_b32 v49, v0, 1, v0 bitop3:0xc
	v_bitop3_b32 v50, v0, 3, 1 bitop3:0x6c
	v_and_b32_e32 v20, 48, v3
	v_bfe_u32 v1, v0, 2, 4
	v_and_b32_e32 v3, 60, v0
	v_lshlrev_b32_e32 v5, 8, v0
	v_lshlrev_b32_e32 v0, 6, v0
	v_and_b32_e32 v5, 0x200, v5
	v_and_b32_e32 v0, 64, v0
	v_or3_b32 v52, v3, v5, v0
	v_rcp_iflag_f32_e32 v0, v6
	s_abs_i32 s54, s48
	v_mul_lo_u32 v22, s23, v1
	v_mul_lo_u32 v54, s22, v1
	v_cvt_f32_u32_e32 v1, s54
	v_mul_f32_e32 v0, 0x4f7ffffe, v0
	v_cvt_u32_f32_e32 v0, v0
	v_mad_u64_u32 v[18:19], s[6:7], s21, v48, v[16:17]
	v_rcp_iflag_f32_e32 v1, v1
	v_readfirstlane_b32 s7, v0
	s_sub_i32 s6, 0, s52
	s_mul_i32 s6, s6, s7
	v_mul_f32_e32 v0, 0x4f7ffffe, v1
	v_cvt_u32_f32_e32 v0, v0
	s_mul_hi_u32 s6, s7, s6
	v_add_u32_e32 v2, 1, v2
	s_add_i32 s56, s7, s6
	s_sub_i32 s6, 0, s54
	v_readfirstlane_b32 s7, v0
	v_mbcnt_lo_u32_b32 v0, -1, 0
	v_and_b32_e32 v2, 63, v2
	s_mul_i32 s6, s6, s7
	v_mbcnt_hi_u32_b32 v0, -1, v0
	s_mul_hi_u32 s6, s7, s6
	v_and_or_b32 v0, v0, 64, v2
	v_cndmask_b32_e64 v46, 0, 1, s[0:1]
	v_or_b32_e32 v51, 32, v16
	v_ashrrev_i32_e32 v19, 31, v18
	s_ashr_i32 s29, s21, 31
	s_mov_b32 s28, s21
	v_ashrrev_i32_e32 v23, 31, v22
	v_mov_b32_e32 v21, 0
	s_lshl_b32 s53, s23, 4
	v_bitop3_b32 v53, v4, 15, v4 bitop3:0xc
	v_or_b32_e32 v55, 0x9000, v52
	s_ashr_i32 s55, s33, 31
	s_ashr_i32 s57, s48, 31
	s_add_i32 s58, s7, s6
	s_movk_i32 s59, 0x3000
	s_mov_b32 s60, 0x55555556
	v_lshlrev_b32_e32 v56, 2, v0
	v_mov_b32_e32 v57, v12
	s_branch .LBB80_7
.LBB80_4:                               ;   in Loop: Header=BB80_7 Depth=1
	s_or_b64 exec, exec, s[10:11]
.LBB80_5:                               ;   in Loop: Header=BB80_7 Depth=1
	s_or_b64 exec, exec, s[8:9]
	v_subrev_u32_e32 v57, s61, v57
.LBB80_6:                               ;   in Loop: Header=BB80_7 Depth=1
	s_or_b64 exec, exec, s[6:7]
	s_add_i32 s49, s49, 1
	v_cmp_ge_i32_e32 vcc, s49, v17
	s_cbranch_vccnz .LBB80_48
.LBB80_7:                               ; =>This Loop Header: Depth=1
                                        ;     Child Loop BB80_13 Depth 2
                                        ;       Child Loop BB80_15 Depth 3
                                        ;       Child Loop BB80_18 Depth 3
	;; [unrolled: 1-line block ×4, first 2 shown]
                                        ;     Child Loop BB80_35 Depth 2
                                        ;       Child Loop BB80_37 Depth 3
                                        ;     Child Loop BB80_45 Depth 2
                                        ;       Child Loop BB80_47 Depth 3
	s_abs_i32 s7, s49
	s_mul_hi_u32 s8, s7, s56
	s_mul_i32 s9, s8, s52
	s_ashr_i32 s6, s49, 31
	s_sub_i32 s7, s7, s9
	s_xor_b32 s6, s6, s55
	s_add_i32 s9, s8, 1
	s_sub_i32 s10, s7, s52
	s_cmp_ge_u32 s7, s52
	s_cselect_b32 s8, s9, s8
	s_cselect_b32 s7, s10, s7
	s_add_i32 s9, s8, 1
	s_cmp_ge_u32 s7, s52
	s_cselect_b32 s7, s9, s8
	s_xor_b32 s7, s7, s6
	s_sub_i32 s6, s7, s6
	s_abs_i32 s8, s6
	s_mul_i32 s7, s6, s33
	s_mul_hi_u32 s9, s8, s58
	s_sub_i32 s7, s49, s7
	s_mul_i32 s10, s9, s54
	s_lshl_b32 s62, s7, 4
	s_ashr_i32 s7, s6, 31
	s_sub_i32 s8, s8, s10
	s_xor_b32 s7, s7, s57
	s_add_i32 s10, s9, 1
	s_sub_i32 s11, s8, s54
	s_cmp_ge_u32 s8, s54
	s_cselect_b32 s9, s10, s9
	s_cselect_b32 s8, s11, s8
	s_add_i32 s10, s9, 1
	s_cmp_ge_u32 s8, s54
	s_cselect_b32 s8, s10, s9
	s_xor_b32 s8, s8, s7
	s_sub_i32 s7, s8, s7
	s_mul_i32 s8, s7, s50
	s_lshl_b32 s63, s8, 8
	s_cmp_eq_u32 s7, s24
	s_cselect_b32 s61, s51, s50
	s_sub_i32 s64, s62, s20
	s_add_i32 s64, s64, 16
	s_and_saveexec_b64 s[8:9], s[2:3]
	s_xor_b64 s[30:31], exec, s[8:9]
	s_cbranch_execz .LBB80_41
; %bb.8:                                ;   in Loop: Header=BB80_7 Depth=1
	s_mul_i32 s7, s7, s48
	s_sub_i32 s6, s6, s7
	s_mul_i32 s6, s6, 48
	s_sub_i32 s18, s6, s21
	s_add_i32 s18, s18, 48
	s_max_i32 s7, s18, 0
	s_sub_i32 s34, s6, s7
	s_and_saveexec_b64 s[6:7], s[0:1]
	s_xor_b64 s[44:45], exec, s[6:7]
	s_cbranch_execz .LBB80_31
; %bb.9:                                ;   in Loop: Header=BB80_7 Depth=1
	s_and_saveexec_b64 s[46:47], s[4:5]
	s_cbranch_execz .LBB80_30
; %bb.10:                               ;   in Loop: Header=BB80_7 Depth=1
	s_waitcnt lgkmcnt(0)
	global_load_dword v58, v21, s[42:43]
	v_mov_b32_e32 v11, 0
	v_cmp_gt_i32_e32 vcc, s61, v57
	v_mov_b32_e32 v10, v11
	v_mov_b32_e32 v9, v11
	;; [unrolled: 1-line block ×11, first 2 shown]
	s_and_saveexec_b64 s[6:7], vcc
	s_cbranch_execz .LBB80_26
; %bb.11:                               ;   in Loop: Header=BB80_7 Depth=1
	v_mov_b32_e32 v0, 0
	s_mov_b64 s[8:9], 0
	v_mov_b32_e32 v1, v0
	v_mov_b32_e32 v2, v0
	;; [unrolled: 1-line block ×11, first 2 shown]
	s_branch .LBB80_13
.LBB80_12:                              ;   in Loop: Header=BB80_13 Depth=2
	s_or_b64 exec, exec, s[10:11]
	v_add_u32_e32 v37, 0x2000, v36
	ds_read2_b32 v[38:39], v37 offset1:32
	v_add_u32_e32 v57, s27, v57
	v_cmp_le_i32_e32 vcc, s61, v57
	s_or_b64 s[8:9], vcc, s[8:9]
	s_waitcnt lgkmcnt(0)
	v_mfma_f32_16x16x32_fp8_fp8 v[0:3], v[12:13], v[38:39], v[0:3]
	ds_read2_b32 v[12:13], v37 offset0:128 offset1:160
	v_add_u32_e32 v37, 0x2400, v36
	s_waitcnt lgkmcnt(0)
	v_mfma_f32_16x16x32_fp8_fp8 v[0:3], v[14:15], v[12:13], v[0:3]
	ds_read2_b32 v[12:13], v37 offset1:32
	v_add_u32_e32 v14, 0x2800, v36
	s_waitcnt lgkmcnt(0)
	v_mfma_f32_16x16x32_fp8_fp8 v[0:3], v[32:33], v[12:13], v[0:3]
	ds_read2_b32 v[12:13], v37 offset0:128 offset1:160
	s_waitcnt lgkmcnt(0)
	v_mfma_f32_16x16x32_fp8_fp8 v[0:3], v[30:31], v[12:13], v[0:3]
	ds_read2_b32 v[12:13], v14 offset1:32
	v_add_u32_e32 v30, 0x2c00, v36
	s_waitcnt lgkmcnt(0)
	v_mfma_f32_16x16x32_fp8_fp8 v[0:3], v[34:35], v[12:13], v[0:3]
	ds_read2_b32 v[12:13], v14 offset0:128 offset1:160
	ds_read2_b32 v[14:15], v30 offset1:32
	s_waitcnt lgkmcnt(1)
	v_mfma_f32_16x16x32_fp8_fp8 v[0:3], v[28:29], v[12:13], v[0:3]
	ds_read2_b32 v[28:29], v30 offset0:128 offset1:160
	v_add_u32_e32 v12, s27, v60
	v_add_u32_e32 v13, 2, v46
	s_waitcnt lgkmcnt(1)
	v_mfma_f32_16x16x32_fp8_fp8 v[0:3], v[26:27], v[14:15], v[0:3]
	v_cmp_lt_i32_e32 vcc, 2, v12
	;;#ASMSTART
	s_waitcnt lgkmcnt(0)
	;;#ASMEND
	ds_write_b32 v59, v61 offset:49172
	s_waitcnt lgkmcnt(1)
	v_mfma_f32_16x16x32_fp8_fp8 v[0:3], v[24:25], v[28:29], v[0:3]
	v_cndmask_b32_e32 v46, v46, v13, vcc
	s_andn2_b64 exec, exec, s[8:9]
	s_cbranch_execz .LBB80_25
.LBB80_13:                              ;   Parent Loop BB80_7 Depth=1
                                        ; =>  This Loop Header: Depth=2
                                        ;       Child Loop BB80_15 Depth 3
                                        ;       Child Loop BB80_18 Depth 3
	;; [unrolled: 1-line block ×4, first 2 shown]
	v_cmp_gt_i32_e32 vcc, 3, v12
	s_nop 1
	v_cndmask_b32_e64 v13, -3, 0, vcc
	v_add_u32_e32 v60, v13, v12
	v_mul_lo_u32 v59, v60, 12
	ds_read_b32 v12, v59 offset:49164
	s_waitcnt lgkmcnt(0)
	v_cmp_ne_u32_e32 vcc, v12, v46
	s_and_saveexec_b64 s[10:11], vcc
	s_cbranch_execz .LBB80_16
; %bb.14:                               ;   in Loop: Header=BB80_13 Depth=2
	s_mov_b64 s[12:13], 0
.LBB80_15:                              ;   Parent Loop BB80_7 Depth=1
                                        ;     Parent Loop BB80_13 Depth=2
                                        ; =>    This Inner Loop Header: Depth=3
	;;#ASMSTART
	s_sleep 0
	;;#ASMEND
	ds_read_b32 v12, v59 offset:49164
	s_waitcnt lgkmcnt(0)
	v_cmp_eq_u32_e32 vcc, v12, v46
	s_or_b64 s[12:13], vcc, s[12:13]
	s_andn2_b64 exec, exec, s[12:13]
	s_cbranch_execnz .LBB80_15
.LBB80_16:                              ;   in Loop: Header=BB80_13 Depth=2
	s_or_b64 exec, exec, s[10:11]
	v_mul_lo_u32 v62, v60, s59
	v_or_b32_e32 v12, v47, v62
	v_add_u32_e32 v13, 0x400, v12
	ds_read2_b32 v[24:25], v12 offset1:32
	ds_read2_b32 v[26:27], v12 offset0:128 offset1:160
	ds_read2_b32 v[28:29], v13 offset1:32
	ds_read2_b32 v[36:37], v13 offset0:128 offset1:160
	v_add_u32_e32 v13, 0x800, v12
	v_add_u32_e32 v12, 0xc00, v12
	ds_read2_b32 v[38:39], v13 offset1:32
	ds_read2_b32 v[40:41], v13 offset0:128 offset1:160
	ds_read2_b32 v[44:45], v12 offset1:32
	ds_read2_b32 v[42:43], v12 offset0:128 offset1:160
	v_lshlrev_b32_e32 v12, 2, v60
	;;#ASMSTART
	s_waitcnt lgkmcnt(0)
	;;#ASMEND
	ds_read_b32 v13, v12 offset:49152
	v_add_u32_e32 v61, 1, v46
	v_add_u32_e32 v63, 0xc000, v12
	ds_write_b32 v59, v61 offset:49164
	s_waitcnt lgkmcnt(1)
	v_cmp_ne_u32_e32 vcc, v13, v46
	s_and_saveexec_b64 s[10:11], vcc
	s_cbranch_execz .LBB80_19
; %bb.17:                               ;   in Loop: Header=BB80_13 Depth=2
	s_mov_b64 s[12:13], 0
.LBB80_18:                              ;   Parent Loop BB80_7 Depth=1
                                        ;     Parent Loop BB80_13 Depth=2
                                        ; =>    This Inner Loop Header: Depth=3
	;;#ASMSTART
	s_sleep 0
	;;#ASMEND
	ds_read_b32 v12, v63
	s_waitcnt lgkmcnt(0)
	v_cmp_eq_u32_e32 vcc, v12, v46
	s_or_b64 s[12:13], vcc, s[12:13]
	s_andn2_b64 exec, exec, s[12:13]
	s_cbranch_execnz .LBB80_18
.LBB80_19:                              ;   in Loop: Header=BB80_13 Depth=2
	s_or_b64 exec, exec, s[10:11]
	v_or_b32_e32 v12, 0x9000, v47
	v_lshl_add_u32 v64, v60, 12, v12
	ds_read2_b32 v[12:13], v64 offset1:32
	ds_read2_b32 v[14:15], v64 offset0:128 offset1:160
	v_add_u32_e32 v30, 0x400, v64
	ds_read2_b32 v[32:33], v30 offset1:32
	ds_read2_b32 v[30:31], v30 offset0:128 offset1:160
	s_waitcnt lgkmcnt(3)
	v_mfma_f32_16x16x32_fp8_fp8 v[8:11], v[12:13], v[24:25], v[8:11]
	v_add_u32_e32 v24, 0x800, v64
	ds_read2_b32 v[34:35], v24 offset1:32
	ds_write_b32 v63, v61
	s_waitcnt lgkmcnt(4)
	v_mfma_f32_16x16x32_fp8_fp8 v[8:11], v[14:15], v[26:27], v[8:11]
	s_waitcnt lgkmcnt(3)
	v_mfma_f32_16x16x32_fp8_fp8 v[8:11], v[32:33], v[28:29], v[8:11]
	ds_read2_b32 v[28:29], v24 offset0:128 offset1:160
	v_add_u32_e32 v24, 0xc00, v64
	ds_read2_b32 v[26:27], v24 offset1:32
	s_waitcnt lgkmcnt(4)
	v_mfma_f32_16x16x32_fp8_fp8 v[8:11], v[30:31], v[36:37], v[8:11]
	ds_read2_b32 v[24:25], v24 offset0:128 offset1:160
	ds_read_b32 v36, v59 offset:49168
	s_waitcnt lgkmcnt(0)
	v_cmp_ne_u32_e32 vcc, v36, v46
	v_mfma_f32_16x16x32_fp8_fp8 v[8:11], v[34:35], v[38:39], v[8:11]
	v_mfma_f32_16x16x32_fp8_fp8 v[8:11], v[28:29], v[40:41], v[8:11]
	;; [unrolled: 1-line block ×4, first 2 shown]
	s_and_saveexec_b64 s[10:11], vcc
	s_cbranch_execz .LBB80_22
; %bb.20:                               ;   in Loop: Header=BB80_13 Depth=2
	s_mov_b64 s[12:13], 0
.LBB80_21:                              ;   Parent Loop BB80_7 Depth=1
                                        ;     Parent Loop BB80_13 Depth=2
                                        ; =>    This Inner Loop Header: Depth=3
	;;#ASMSTART
	s_sleep 0
	;;#ASMEND
	ds_read_b32 v36, v59 offset:49168
	s_waitcnt lgkmcnt(0)
	v_cmp_eq_u32_e32 vcc, v36, v46
	s_or_b64 s[12:13], vcc, s[12:13]
	s_andn2_b64 exec, exec, s[12:13]
	s_cbranch_execnz .LBB80_21
.LBB80_22:                              ;   in Loop: Header=BB80_13 Depth=2
	s_or_b64 exec, exec, s[10:11]
	v_add_u32_e32 v36, v47, v62
	v_add_u32_e32 v37, 0x1000, v36
	ds_read2_b32 v[38:39], v37 offset1:32
	s_waitcnt lgkmcnt(0)
	v_mfma_f32_16x16x32_fp8_fp8 v[4:7], v[12:13], v[38:39], v[4:7]
	ds_read2_b32 v[38:39], v37 offset0:128 offset1:160
	v_add_u32_e32 v37, 0x1400, v36
	s_waitcnt lgkmcnt(0)
	v_mfma_f32_16x16x32_fp8_fp8 v[4:7], v[14:15], v[38:39], v[4:7]
	ds_read2_b32 v[38:39], v37 offset1:32
	s_waitcnt lgkmcnt(0)
	v_mfma_f32_16x16x32_fp8_fp8 v[4:7], v[32:33], v[38:39], v[4:7]
	ds_read2_b32 v[38:39], v37 offset0:128 offset1:160
	v_add_u32_e32 v37, 0x1800, v36
	s_waitcnt lgkmcnt(0)
	v_mfma_f32_16x16x32_fp8_fp8 v[4:7], v[30:31], v[38:39], v[4:7]
	;; [unrolled: 7-line block ×3, first 2 shown]
	ds_read2_b32 v[38:39], v37 offset1:32
	ds_read2_b32 v[40:41], v37 offset0:128 offset1:160
	;;#ASMSTART
	s_waitcnt lgkmcnt(0)
	;;#ASMEND
	ds_read_b32 v37, v59 offset:49172
	s_waitcnt lgkmcnt(2)
	v_mfma_f32_16x16x32_fp8_fp8 v[4:7], v[26:27], v[38:39], v[4:7]
	ds_write_b32 v59, v61 offset:49168
	s_waitcnt lgkmcnt(1)
	v_cmp_ne_u32_e32 vcc, v37, v46
	v_mfma_f32_16x16x32_fp8_fp8 v[4:7], v[24:25], v[40:41], v[4:7]
	s_and_saveexec_b64 s[10:11], vcc
	s_cbranch_execz .LBB80_12
; %bb.23:                               ;   in Loop: Header=BB80_13 Depth=2
	s_mov_b64 s[12:13], 0
.LBB80_24:                              ;   Parent Loop BB80_7 Depth=1
                                        ;     Parent Loop BB80_13 Depth=2
                                        ; =>    This Inner Loop Header: Depth=3
	;;#ASMSTART
	s_sleep 0
	;;#ASMEND
	ds_read_b32 v37, v59 offset:49172
	s_waitcnt lgkmcnt(0)
	v_cmp_eq_u32_e32 vcc, v37, v46
	s_or_b64 s[12:13], vcc, s[12:13]
	s_andn2_b64 exec, exec, s[12:13]
	s_cbranch_execnz .LBB80_24
	s_branch .LBB80_12
.LBB80_25:                              ;   in Loop: Header=BB80_7 Depth=1
	s_or_b64 exec, exec, s[8:9]
.LBB80_26:                              ;   in Loop: Header=BB80_7 Depth=1
	s_or_b64 exec, exec, s[6:7]
	v_cmp_le_i32_e32 vcc, s18, v16
	v_cmp_eq_u32_e64 s[6:7], 2, v49
	v_cmp_eq_u32_e64 s[8:9], 3, v49
	s_waitcnt vmcnt(0)
	v_cndmask_b32_e32 v14, 0, v58, vcc
	v_pk_mul_f32 v[10:11], v[14:15], v[10:11] op_sel_hi:[0,1]
	v_pk_mul_f32 v[14:15], v[14:15], v[8:9] op_sel_hi:[0,1]
	v_cmp_eq_u32_e32 vcc, 1, v49
	v_cmp_eq_u32_e64 s[10:11], 0, v49
	v_cmp_eq_u32_e64 s[12:13], 1, v50
	v_cndmask_b32_e32 v8, v14, v15, vcc
	v_cndmask_b32_e64 v8, v8, v10, s[6:7]
	v_cndmask_b32_e64 v8, v8, v11, s[8:9]
	ds_bpermute_b32 v13, v56, v8
	v_cmp_eq_u32_e64 s[16:17], 3, v50
	s_waitcnt lgkmcnt(0)
	v_cndmask_b32_e64 v8, v11, v13, s[8:9]
	v_cndmask_b32_e64 v11, v14, v13, s[10:11]
	v_or_b32_e32 v14, 16, v16
	v_cmp_le_i32_e64 s[14:15], s18, v14
	v_cndmask_b32_e64 v9, v10, v13, s[6:7]
	v_cndmask_b32_e32 v10, v15, v13, vcc
	v_cndmask_b32_e64 v14, 0, v58, s[14:15]
	v_pk_mul_f32 v[6:7], v[14:15], v[6:7] op_sel_hi:[0,1]
	v_pk_mul_f32 v[14:15], v[14:15], v[4:5] op_sel_hi:[0,1]
	v_cndmask_b32_e32 v4, v14, v15, vcc
	v_cndmask_b32_e64 v4, v4, v6, s[6:7]
	v_cndmask_b32_e64 v4, v4, v7, s[8:9]
	ds_bpermute_b32 v24, v56, v4
	v_cmp_le_i32_e64 s[18:19], s18, v51
	v_cmp_eq_u32_e64 s[14:15], 2, v50
	v_cndmask_b32_e64 v13, v11, v10, s[12:13]
	s_waitcnt lgkmcnt(0)
	v_cndmask_b32_e64 v5, v7, v24, s[8:9]
	v_cndmask_b32_e64 v6, v6, v24, s[6:7]
	v_cndmask_b32_e32 v15, v15, v24, vcc
	v_cndmask_b32_e64 v24, v14, v24, s[10:11]
	v_cndmask_b32_e64 v14, 0, v58, s[18:19]
	v_pk_mul_f32 v[28:29], v[14:15], v[0:1] op_sel_hi:[0,1]
	v_pk_mul_f32 v[26:27], v[14:15], v[2:3] op_sel_hi:[0,1]
	v_cndmask_b32_e32 v0, v28, v29, vcc
	v_cndmask_b32_e64 v0, v0, v26, s[6:7]
	v_cndmask_b32_e64 v0, v0, v27, s[8:9]
	ds_bpermute_b32 v1, v56, v0
	v_cndmask_b32_e64 v0, v24, v15, s[12:13]
	v_cndmask_b32_e64 v0, v0, v6, s[14:15]
	;; [unrolled: 1-line block ×3, first 2 shown]
	v_cmp_ne_u32_e32 vcc, 0, v49
	ds_bpermute_b32 v7, v56, v0
	s_waitcnt lgkmcnt(1)
	v_cndmask_b32_e64 v2, v27, v1, s[8:9]
	v_cndmask_b32_e64 v3, v26, v1, s[6:7]
	v_cndmask_b32_e32 v0, v29, v1, vcc
	v_cndmask_b32_e64 v1, v28, v1, s[10:11]
	v_cndmask_b32_e64 v4, v13, v9, s[14:15]
	;; [unrolled: 1-line block ×6, first 2 shown]
	ds_bpermute_b32 v4, v56, v4
	ds_bpermute_b32 v13, v56, v13
	s_max_i32 s6, s64, 0
	v_add_u32_e32 v14, s6, v48
	v_cmp_gt_u32_e32 vcc, 16, v14
	s_and_saveexec_b64 s[12:13], vcc
	s_cbranch_execz .LBB80_29
; %bb.27:                               ;   in Loop: Header=BB80_7 Depth=1
	v_cmp_eq_u32_e64 s[8:9], 1, v50
	v_cmp_eq_u32_e64 s[10:11], 0, v50
	v_cmp_eq_u32_e32 vcc, 3, v50
	s_waitcnt lgkmcnt(1)
	v_cndmask_b32_e64 v10, v10, v4, s[8:9]
	v_cndmask_b32_e64 v15, v15, v7, s[8:9]
	s_waitcnt lgkmcnt(0)
	v_cndmask_b32_e64 v25, v0, v13, s[8:9]
	s_mul_i32 s8, s62, s21
	s_ashr_i32 s9, s8, 31
	s_lshl_b64 s[8:9], s[8:9], 1
	v_cndmask_b32_e64 v11, v11, v4, s[10:11]
	v_cndmask_b32_e64 v24, v24, v7, s[10:11]
	;; [unrolled: 1-line block ×3, first 2 shown]
	s_add_u32 s10, s40, s8
	s_addc_u32 s11, s41, s9
	s_ashr_i32 s35, s34, 31
	v_cvt_f16_f32_e32 v11, v11
	v_cvt_f16_f32_sdwa v10, v10 dst_sel:WORD_1 dst_unused:UNUSED_PAD src0_sel:DWORD
	s_lshl_b64 s[8:9], s[34:35], 1
	v_cvt_f16_f32_e32 v24, v24
	v_cvt_f16_f32_sdwa v15, v15 dst_sel:WORD_1 dst_unused:UNUSED_PAD src0_sel:DWORD
	s_add_u32 s8, s10, s8
	v_cvt_f16_f32_e32 v26, v26
	v_cvt_f16_f32_sdwa v25, v25 dst_sel:WORD_1 dst_unused:UNUSED_PAD src0_sel:DWORD
	s_addc_u32 s9, s11, s9
	v_lshl_add_u64 v[0:1], v[18:19], 1, s[8:9]
	v_or_b32_e32 v10, v10, v11
	v_cmp_eq_u32_e64 s[6:7], 2, v50
	;;#ASMSTART
	global_atomic_pk_add_f16 v[0:1], v10, off
	
	;;#ASMEND
	v_lshl_add_u64 v[10:11], v[0:1], 0, 32
	v_or_b32_e32 v15, v15, v24
	v_cmp_gt_u32_e64 s[8:9], 14, v14
	;;#ASMSTART
	global_atomic_pk_add_f16 v[10:11], v15, off
	
	;;#ASMEND
	v_lshl_add_u64 v[10:11], v[0:1], 0, 64
	v_or_b32_e32 v15, v25, v26
	;;#ASMSTART
	global_atomic_pk_add_f16 v[10:11], v15, off
	
	;;#ASMEND
	s_and_b64 exec, exec, s[8:9]
	s_cbranch_execz .LBB80_29
; %bb.28:                               ;   in Loop: Header=BB80_7 Depth=1
	v_cndmask_b32_e32 v8, v8, v4, vcc
	v_cndmask_b32_e64 v4, v9, v4, s[6:7]
	v_cndmask_b32_e32 v5, v5, v7, vcc
	v_cndmask_b32_e64 v6, v6, v7, s[6:7]
	v_cvt_f16_f32_e32 v4, v4
	v_cvt_f16_f32_sdwa v7, v8 dst_sel:WORD_1 dst_unused:UNUSED_PAD src0_sel:DWORD
	v_cndmask_b32_e32 v8, v2, v13, vcc
	v_cndmask_b32_e64 v9, v3, v13, s[6:7]
	v_cvt_f16_f32_sdwa v5, v5 dst_sel:WORD_1 dst_unused:UNUSED_PAD src0_sel:DWORD
	v_or_b32_e32 v2, v7, v4
	v_cvt_f16_f32_e32 v4, v6
	v_cvt_f16_f32_e32 v6, v9
	v_cvt_f16_f32_sdwa v7, v8 dst_sel:WORD_1 dst_unused:UNUSED_PAD src0_sel:DWORD
	v_lshl_add_u64 v[0:1], s[28:29], 2, v[0:1]
	;;#ASMSTART
	global_atomic_pk_add_f16 v[0:1], v2, off
	
	;;#ASMEND
	v_lshl_add_u64 v[2:3], v[0:1], 0, 32
	v_or_b32_e32 v4, v5, v4
	;;#ASMSTART
	global_atomic_pk_add_f16 v[2:3], v4, off
	
	;;#ASMEND
	v_lshl_add_u64 v[0:1], v[0:1], 0, 64
	v_or_b32_e32 v2, v7, v6
	;;#ASMSTART
	global_atomic_pk_add_f16 v[0:1], v2, off
	
	;;#ASMEND
.LBB80_29:                              ;   in Loop: Header=BB80_7 Depth=1
	s_or_b64 exec, exec, s[12:13]
	v_subrev_u32_e32 v57, s61, v57
.LBB80_30:                              ;   in Loop: Header=BB80_7 Depth=1
	s_or_b64 exec, exec, s[46:47]
.LBB80_31:                              ;   in Loop: Header=BB80_7 Depth=1
	s_andn2_saveexec_b64 s[6:7], s[44:45]
	s_cbranch_execz .LBB80_40
; %bb.32:                               ;   in Loop: Header=BB80_7 Depth=1
	s_mul_i32 s16, s61, 3
	v_cmp_gt_i32_e32 vcc, s16, v57
	s_and_saveexec_b64 s[8:9], vcc
	s_cbranch_execz .LBB80_39
; %bb.33:                               ;   in Loop: Header=BB80_7 Depth=1
	s_mul_i32 s10, s34, s23
	s_ashr_i32 s11, s10, 31
	s_waitcnt lgkmcnt(0)
	s_add_u32 s10, s38, s10
	s_addc_u32 s11, s39, s11
	s_ashr_i32 s12, s63, 31
	s_add_u32 s10, s10, s63
	s_addc_u32 s11, s11, s12
	v_lshl_add_u64 v[0:1], s[10:11], 0, v[22:23]
	v_lshl_add_u64 v[24:25], v[0:1], 0, v[20:21]
	s_mov_b64 s[10:11], 0
	s_branch .LBB80_35
.LBB80_34:                              ;   in Loop: Header=BB80_35 Depth=2
	s_or_b64 exec, exec, s[12:13]
	v_lshl_or_b32 v28, v26, 12, v52
	;;#ASMSTART
	s_waitcnt vmcnt(3)
	;;#ASMEND
	ds_write2_b32 v28, v12, v13 offset1:32
	ds_write2_b32 v28, v14, v15 offset0:64 offset1:96
	v_add_u32_e32 v12, 0x400, v28
	;;#ASMSTART
	s_waitcnt vmcnt(2)
	;;#ASMEND
	ds_write2_b32 v12, v8, v9 offset1:32
	ds_write2_b32 v12, v10, v11 offset0:64 offset1:96
	v_add_u32_e32 v8, 0x800, v28
	;; [unrolled: 6-line block ×3, first 2 shown]
	v_add_u32_e32 v57, s26, v57
	;;#ASMSTART
	s_waitcnt vmcnt(0)
	;;#ASMEND
	ds_write2_b32 v4, v0, v1 offset1:32
	ds_write2_b32 v4, v2, v3 offset0:64 offset1:96
	v_add_u32_e32 v0, 1, v46
	v_add_u32_e32 v12, s26, v26
	v_cmp_le_i32_e32 vcc, s16, v57
	ds_write_b32 v27, v0 offset:12
	v_add_u32_e32 v0, 2, v46
	s_or_b64 s[10:11], vcc, s[10:11]
	v_cmp_lt_i32_e32 vcc, 8, v12
	s_nop 1
	v_cndmask_b32_e32 v46, v46, v0, vcc
	s_andn2_b64 exec, exec, s[10:11]
	s_cbranch_execz .LBB80_38
.LBB80_35:                              ;   Parent Loop BB80_7 Depth=1
                                        ; =>  This Loop Header: Depth=2
                                        ;       Child Loop BB80_37 Depth 3
	v_cmp_gt_i32_e32 vcc, 9, v12
	s_nop 1
	v_cndmask_b32_e64 v0, -9, 0, vcc
	v_add_u32_e32 v26, v0, v12
	v_mul_hi_i32 v0, v57, s60
	v_lshrrev_b32_e32 v1, 31, v0
	v_add_u32_e32 v0, v0, v1
	v_lshl_add_u32 v1, v0, 1, v0
	v_sub_u32_e32 v2, v57, v1
	v_lshlrev_b32_e32 v0, 8, v0
	v_ashrrev_i32_e32 v1, 31, v0
	v_mul_lo_u32 v2, s53, v2
	v_lshl_add_u64 v[0:1], v[24:25], 0, v[0:1]
	v_ashrrev_i32_e32 v3, 31, v2
	v_lshl_add_u64 v[0:1], v[0:1], 0, v[2:3]
	v_lshlrev_b32_e32 v27, 2, v26
	;;#ASMSTART
	global_load_dwordx4 v[12:15], v[0:1], off offset:0    sc0 sc1 nt  
	global_load_dwordx4 v[8:11], v[0:1], off offset:64   sc0 sc1 nt  
	global_load_dwordx4 v[4:7], v[0:1], off offset:128  sc0 sc1 nt  
	global_load_dwordx4 v[0:3], v[0:1], off offset:192  sc0 sc1 nt  
	
	;;#ASMEND
	ds_read_b32 v28, v27 offset:49164
	v_add_u32_e32 v27, 0xc000, v27
	s_waitcnt lgkmcnt(0)
	v_cmp_ne_u32_e32 vcc, v28, v46
	s_and_saveexec_b64 s[12:13], vcc
	s_cbranch_execz .LBB80_34
; %bb.36:                               ;   in Loop: Header=BB80_35 Depth=2
	s_mov_b64 s[14:15], 0
.LBB80_37:                              ;   Parent Loop BB80_7 Depth=1
                                        ;     Parent Loop BB80_35 Depth=2
                                        ; =>    This Inner Loop Header: Depth=3
	;;#ASMSTART
	s_sleep 0
	;;#ASMEND
	ds_read_b32 v28, v27 offset:12
	s_waitcnt lgkmcnt(0)
	v_cmp_eq_u32_e32 vcc, v28, v46
	s_or_b64 s[14:15], vcc, s[14:15]
	s_andn2_b64 exec, exec, s[14:15]
	s_cbranch_execnz .LBB80_37
	s_branch .LBB80_34
.LBB80_38:                              ;   in Loop: Header=BB80_7 Depth=1
	s_or_b64 exec, exec, s[10:11]
.LBB80_39:                              ;   in Loop: Header=BB80_7 Depth=1
	s_or_b64 exec, exec, s[8:9]
	v_subrev_u32_e32 v57, s16, v57
.LBB80_40:                              ;   in Loop: Header=BB80_7 Depth=1
	s_or_b64 exec, exec, s[6:7]
.LBB80_41:                              ;   in Loop: Header=BB80_7 Depth=1
	s_andn2_saveexec_b64 s[6:7], s[30:31]
	s_cbranch_execz .LBB80_6
; %bb.42:                               ;   in Loop: Header=BB80_7 Depth=1
	v_cmp_gt_i32_e32 vcc, s61, v57
	s_and_saveexec_b64 s[8:9], vcc
	s_cbranch_execz .LBB80_5
; %bb.43:                               ;   in Loop: Header=BB80_7 Depth=1
	s_mul_i32 s62, s62, s22
	s_ashr_i32 s10, s62, 31
	s_waitcnt lgkmcnt(0)
	s_add_u32 s11, s36, s62
	s_addc_u32 s12, s37, s10
	s_ashr_i32 s13, s63, 31
	v_cmp_le_i32_e32 vcc, s64, v53
	s_add_u32 s10, s11, s63
	s_addc_u32 s11, s12, s13
	v_cndmask_b32_e32 v0, 0, v54, vcc
	v_ashrrev_i32_e32 v1, 31, v0
	v_lshl_add_u64 v[0:1], s[10:11], 0, v[0:1]
	v_lshl_add_u64 v[24:25], v[0:1], 0, v[20:21]
	s_mov_b64 s[10:11], 0
	s_branch .LBB80_45
.LBB80_44:                              ;   in Loop: Header=BB80_45 Depth=2
	s_or_b64 exec, exec, s[12:13]
	v_lshl_add_u32 v28, v26, 12, v55
	;;#ASMSTART
	s_waitcnt vmcnt(3)
	;;#ASMEND
	ds_write2_b32 v28, v12, v13 offset1:32
	ds_write2_b32 v28, v14, v15 offset0:64 offset1:96
	v_add_u32_e32 v12, 0x400, v28
	;;#ASMSTART
	s_waitcnt vmcnt(2)
	;;#ASMEND
	ds_write2_b32 v12, v8, v9 offset1:32
	ds_write2_b32 v12, v10, v11 offset0:64 offset1:96
	v_add_u32_e32 v8, 0x800, v28
	;; [unrolled: 6-line block ×3, first 2 shown]
	v_add_u32_e32 v57, s25, v57
	;;#ASMSTART
	s_waitcnt vmcnt(0)
	;;#ASMEND
	ds_write2_b32 v4, v0, v1 offset1:32
	ds_write2_b32 v4, v2, v3 offset0:64 offset1:96
	v_add_u32_e32 v0, 1, v46
	v_add_u32_e32 v12, s25, v26
	v_cmp_le_i32_e32 vcc, s61, v57
	ds_write_b32 v27, v0
	v_add_u32_e32 v0, 2, v46
	s_or_b64 s[10:11], vcc, s[10:11]
	v_cmp_lt_i32_e32 vcc, 2, v12
	s_nop 1
	v_cndmask_b32_e32 v46, v46, v0, vcc
	s_andn2_b64 exec, exec, s[10:11]
	s_cbranch_execz .LBB80_4
.LBB80_45:                              ;   Parent Loop BB80_7 Depth=1
                                        ; =>  This Loop Header: Depth=2
                                        ;       Child Loop BB80_47 Depth 3
	v_cmp_gt_i32_e32 vcc, 3, v12
	s_nop 1
	v_cndmask_b32_e64 v0, -3, 0, vcc
	v_add_u32_e32 v26, v0, v12
	v_lshlrev_b32_e32 v0, 8, v57
	v_ashrrev_i32_e32 v1, 31, v0
	v_lshl_add_u64 v[0:1], v[24:25], 0, v[0:1]
	v_lshlrev_b32_e32 v27, 2, v26
	;;#ASMSTART
	global_load_dwordx4 v[12:15], v[0:1], off offset:0    
	global_load_dwordx4 v[8:11], v[0:1], off offset:64   
	;; [unrolled: 1-line block ×4, first 2 shown]
	
	;;#ASMEND
	ds_read_b32 v28, v27 offset:49152
	v_add_u32_e32 v27, 0xc000, v27
	s_waitcnt lgkmcnt(0)
	v_cmp_ne_u32_e32 vcc, v28, v46
	s_and_saveexec_b64 s[12:13], vcc
	s_cbranch_execz .LBB80_44
; %bb.46:                               ;   in Loop: Header=BB80_45 Depth=2
	s_mov_b64 s[14:15], 0
.LBB80_47:                              ;   Parent Loop BB80_7 Depth=1
                                        ;     Parent Loop BB80_45 Depth=2
                                        ; =>    This Inner Loop Header: Depth=3
	;;#ASMSTART
	s_sleep 0
	;;#ASMEND
	ds_read_b32 v28, v27
	s_waitcnt lgkmcnt(0)
	v_cmp_eq_u32_e32 vcc, v28, v46
	s_or_b64 s[14:15], vcc, s[14:15]
	s_andn2_b64 exec, exec, s[14:15]
	s_cbranch_execnz .LBB80_47
	s_branch .LBB80_44
.LBB80_48:
	s_endpgm
	.section	.rodata,"a",@progbits
	.p2align	6, 0x0
	.amdhsa_kernel _Z19_skinny_gemm_kernelILi1ELi3ELi3ELi16ELi8EEvPKhS1_P6__halfPKfiiiiiiii
		.amdhsa_group_segment_fixed_size 49200
		.amdhsa_private_segment_fixed_size 0
		.amdhsa_kernarg_size 64
		.amdhsa_user_sgpr_count 2
		.amdhsa_user_sgpr_dispatch_ptr 0
		.amdhsa_user_sgpr_queue_ptr 0
		.amdhsa_user_sgpr_kernarg_segment_ptr 1
		.amdhsa_user_sgpr_dispatch_id 0
		.amdhsa_user_sgpr_kernarg_preload_length 0
		.amdhsa_user_sgpr_kernarg_preload_offset 0
		.amdhsa_user_sgpr_private_segment_size 0
		.amdhsa_uses_dynamic_stack 0
		.amdhsa_enable_private_segment 0
		.amdhsa_system_sgpr_workgroup_id_x 1
		.amdhsa_system_sgpr_workgroup_id_y 0
		.amdhsa_system_sgpr_workgroup_id_z 0
		.amdhsa_system_sgpr_workgroup_info 0
		.amdhsa_system_vgpr_workitem_id 0
		.amdhsa_next_free_vgpr 65
		.amdhsa_next_free_sgpr 65
		.amdhsa_accum_offset 68
		.amdhsa_reserve_vcc 1
		.amdhsa_float_round_mode_32 0
		.amdhsa_float_round_mode_16_64 0
		.amdhsa_float_denorm_mode_32 3
		.amdhsa_float_denorm_mode_16_64 3
		.amdhsa_dx10_clamp 1
		.amdhsa_ieee_mode 1
		.amdhsa_fp16_overflow 0
		.amdhsa_tg_split 0
		.amdhsa_exception_fp_ieee_invalid_op 0
		.amdhsa_exception_fp_denorm_src 0
		.amdhsa_exception_fp_ieee_div_zero 0
		.amdhsa_exception_fp_ieee_overflow 0
		.amdhsa_exception_fp_ieee_underflow 0
		.amdhsa_exception_fp_ieee_inexact 0
		.amdhsa_exception_int_div_zero 0
	.end_amdhsa_kernel
	.section	.text._Z19_skinny_gemm_kernelILi1ELi3ELi3ELi16ELi8EEvPKhS1_P6__halfPKfiiiiiiii,"axG",@progbits,_Z19_skinny_gemm_kernelILi1ELi3ELi3ELi16ELi8EEvPKhS1_P6__halfPKfiiiiiiii,comdat
.Lfunc_end80:
	.size	_Z19_skinny_gemm_kernelILi1ELi3ELi3ELi16ELi8EEvPKhS1_P6__halfPKfiiiiiiii, .Lfunc_end80-_Z19_skinny_gemm_kernelILi1ELi3ELi3ELi16ELi8EEvPKhS1_P6__halfPKfiiiiiiii
                                        ; -- End function
	.set _Z19_skinny_gemm_kernelILi1ELi3ELi3ELi16ELi8EEvPKhS1_P6__halfPKfiiiiiiii.num_vgpr, 65
	.set _Z19_skinny_gemm_kernelILi1ELi3ELi3ELi16ELi8EEvPKhS1_P6__halfPKfiiiiiiii.num_agpr, 0
	.set _Z19_skinny_gemm_kernelILi1ELi3ELi3ELi16ELi8EEvPKhS1_P6__halfPKfiiiiiiii.numbered_sgpr, 65
	.set _Z19_skinny_gemm_kernelILi1ELi3ELi3ELi16ELi8EEvPKhS1_P6__halfPKfiiiiiiii.num_named_barrier, 0
	.set _Z19_skinny_gemm_kernelILi1ELi3ELi3ELi16ELi8EEvPKhS1_P6__halfPKfiiiiiiii.private_seg_size, 0
	.set _Z19_skinny_gemm_kernelILi1ELi3ELi3ELi16ELi8EEvPKhS1_P6__halfPKfiiiiiiii.uses_vcc, 1
	.set _Z19_skinny_gemm_kernelILi1ELi3ELi3ELi16ELi8EEvPKhS1_P6__halfPKfiiiiiiii.uses_flat_scratch, 0
	.set _Z19_skinny_gemm_kernelILi1ELi3ELi3ELi16ELi8EEvPKhS1_P6__halfPKfiiiiiiii.has_dyn_sized_stack, 0
	.set _Z19_skinny_gemm_kernelILi1ELi3ELi3ELi16ELi8EEvPKhS1_P6__halfPKfiiiiiiii.has_recursion, 0
	.set _Z19_skinny_gemm_kernelILi1ELi3ELi3ELi16ELi8EEvPKhS1_P6__halfPKfiiiiiiii.has_indirect_call, 0
	.section	.AMDGPU.csdata,"",@progbits
; Kernel info:
; codeLenInByte = 4164
; TotalNumSgprs: 71
; NumVgprs: 65
; NumAgprs: 0
; TotalNumVgprs: 65
; ScratchSize: 0
; MemoryBound: 0
; FloatMode: 240
; IeeeMode: 1
; LDSByteSize: 49200 bytes/workgroup (compile time only)
; SGPRBlocks: 8
; VGPRBlocks: 8
; NumSGPRsForWavesPerEU: 71
; NumVGPRsForWavesPerEU: 65
; AccumOffset: 68
; Occupancy: 7
; WaveLimiterHint : 0
; COMPUTE_PGM_RSRC2:SCRATCH_EN: 0
; COMPUTE_PGM_RSRC2:USER_SGPR: 2
; COMPUTE_PGM_RSRC2:TRAP_HANDLER: 0
; COMPUTE_PGM_RSRC2:TGID_X_EN: 1
; COMPUTE_PGM_RSRC2:TGID_Y_EN: 0
; COMPUTE_PGM_RSRC2:TGID_Z_EN: 0
; COMPUTE_PGM_RSRC2:TIDIG_COMP_CNT: 0
; COMPUTE_PGM_RSRC3_GFX90A:ACCUM_OFFSET: 16
; COMPUTE_PGM_RSRC3_GFX90A:TG_SPLIT: 0
	.section	.text._Z19_skinny_gemm_kernelILi1ELi3ELi3ELi32ELi4EEvPKhS1_P6__halfPKfiiiiiiii,"axG",@progbits,_Z19_skinny_gemm_kernelILi1ELi3ELi3ELi32ELi4EEvPKhS1_P6__halfPKfiiiiiiii,comdat
	.protected	_Z19_skinny_gemm_kernelILi1ELi3ELi3ELi32ELi4EEvPKhS1_P6__halfPKfiiiiiiii ; -- Begin function _Z19_skinny_gemm_kernelILi1ELi3ELi3ELi32ELi4EEvPKhS1_P6__halfPKfiiiiiiii
	.globl	_Z19_skinny_gemm_kernelILi1ELi3ELi3ELi32ELi4EEvPKhS1_P6__halfPKfiiiiiiii
	.p2align	8
	.type	_Z19_skinny_gemm_kernelILi1ELi3ELi3ELi32ELi4EEvPKhS1_P6__halfPKfiiiiiiii,@function
_Z19_skinny_gemm_kernelILi1ELi3ELi3ELi32ELi4EEvPKhS1_P6__halfPKfiiiiiiii: ; @_Z19_skinny_gemm_kernelILi1ELi3ELi3ELi32ELi4EEvPKhS1_P6__halfPKfiiiiiiii
; %bb.0:
	v_cmp_gt_u32_e32 vcc, 12, v0
	s_and_saveexec_b64 s[4:5], vcc
; %bb.1:
	v_lshlrev_b32_e32 v1, 2, v0
	v_mov_b32_e32 v2, 0
	ds_write_b32 v1, v2 offset:24576
; %bb.2:
	s_or_b64 exec, exec, s[4:5]
	s_load_dwordx8 s[88:95], s[0:1], 0x20
	s_waitcnt lgkmcnt(0)
	s_barrier
	s_add_i32 s3, s88, 31
	s_ashr_i32 s5, s3, 31
	s_add_i32 s4, s89, 0x5f
	s_lshr_b32 s5, s5, 27
	s_mul_hi_i32 s4, s4, 0x2aaaaaab
	s_add_i32 s3, s3, s5
	s_ashr_i32 s14, s3, 5
	s_lshr_b32 s3, s4, 31
	s_ashr_i32 s4, s4, 4
	s_add_i32 s15, s4, s3
	s_mul_i32 s3, s15, s14
	s_mul_i32 s3, s3, s92
	s_add_i32 s4, s3, 0x12f
	s_mul_hi_i32 s4, s4, 0x6bca1af3
	s_lshr_b32 s5, s4, 31
	s_ashr_i32 s4, s4, 7
	s_add_i32 s4, s4, s5
	s_add_i32 s5, s2, 1
	s_mul_i32 s5, s4, s5
	v_cvt_f64_i32_e32 v[2:3], s3
	v_cvt_f64_u32_e32 v[4:5], s5
	v_min_f64 v[2:3], v[2:3], v[4:5]
	v_cvt_i32_f64_e32 v62, v[2:3]
	s_mul_i32 s2, s4, s2
	v_cmp_ge_i32_e32 vcc, s2, v62
	s_cbranch_vccnz .LBB81_51
; %bb.3:
	s_load_dwordx8 s[16:23], s[0:1], 0x0
	v_lshrrev_b32_e32 v1, 6, v0
	s_add_i32 s0, s94, s93
	v_cmp_le_i32_e64 s[24:25], s0, v1
	v_mov_b32_e32 v2, s93
	v_cmp_le_i32_e64 s[26:27], s93, v1
	v_mov_b32_e32 v3, s94
	v_cndmask_b32_e64 v3, 0, v3, s[24:25]
	v_cndmask_b32_e64 v2, 0, v2, s[26:27]
	s_abs_i32 s1, s92
	v_add_u32_e32 v2, v2, v3
	v_cvt_f32_u32_e32 v3, s1
	v_sub_u32_e32 v56, v1, v2
	s_ashr_i32 s3, s90, 31
	s_lshr_b32 s3, s3, 26
	v_rcp_iflag_f32_e32 v2, v3
	s_sub_i32 s6, 0, s1
	s_add_i32 s3, s90, s3
	s_ashr_i32 s3, s3, 6
	v_mul_f32_e32 v2, 0x4f7ffffe, v2
	v_cvt_u32_f32_e32 v2, v2
	s_abs_i32 s5, s3
	s_xor_b32 s4, s3, s92
	s_ashr_i32 s4, s4, 31
	v_readfirstlane_b32 s7, v2
	s_mul_i32 s6, s6, s7
	s_mul_hi_u32 s6, s7, s6
	s_add_i32 s7, s7, s6
	s_mul_hi_u32 s6, s5, s7
	s_mul_i32 s7, s6, s1
	s_sub_i32 s5, s5, s7
	s_add_i32 s7, s6, 1
	s_sub_i32 s8, s5, s1
	s_cmp_ge_u32 s5, s1
	s_cselect_b32 s6, s7, s6
	s_cselect_b32 s5, s8, s5
	s_add_i32 s7, s6, 1
	s_cmp_ge_u32 s5, s1
	v_lshrrev_b32_e32 v2, 3, v0
	v_lshrrev_b32_e32 v7, 1, v0
	s_cselect_b32 s1, s7, s6
	s_add_i32 s0, s0, s95
	v_and_b32_e32 v64, 31, v0
	v_and_b32_e32 v3, 4, v2
	;; [unrolled: 1-line block ×3, first 2 shown]
	v_lshlrev_b32_e32 v7, 4, v0
	s_add_i32 s29, s92, -1
	v_cmp_gt_i32_e64 s[34:35], s0, v1
	v_lshlrev_b32_e32 v1, 2, v64
	v_lshlrev_b32_e32 v2, 6, v3
	v_and_b32_e32 v7, 0x200, v7
	s_abs_i32 s92, s14
                                        ; implicit-def: $vgpr95 : SGPR spill to VGPR lane
	v_or_b32_e32 v4, 0x4800, v1
	v_or_b32_e32 v66, v1, v2
	v_and_b32_e32 v5, 1, v0
	v_or_b32_e32 v77, v1, v7
	v_cvt_f32_u32_e32 v1, s92
	v_writelane_b32 v95, s14, 0
	v_or_b32_e32 v65, v4, v2
	v_lshlrev_b32_e32 v2, 1, v5
	v_writelane_b32 v95, s15, 1
	v_sub_u32_e32 v2, v0, v2
	s_waitcnt lgkmcnt(0)
	v_writelane_b32 v95, s16, 2
	v_add_u32_e32 v2, 1, v2
	v_and_b32_e32 v6, 63, v2
	v_writelane_b32 v95, s17, 3
	v_bitop3_b32 v67, v0, 1, v0 bitop3:0xc
	v_bitop3_b32 v68, v0, 3, 1 bitop3:0x6c
	;; [unrolled: 1-line block ×8, first 2 shown]
	v_and_b32_e32 v2, 30, v0
	v_bitop3_b32 v78, v0, 31, v0 bitop3:0xc
	v_rcp_iflag_f32_e32 v0, v1
	s_abs_i32 s96, s15
	v_writelane_b32 v95, s18, 4
	v_cvt_f32_u32_e32 v1, s96
	v_writelane_b32 v95, s19, 5
	v_writelane_b32 v95, s20, 6
	;; [unrolled: 1-line block ×3, first 2 shown]
	v_mul_f32_e32 v0, 0x4f7ffffe, v0
	v_writelane_b32 v95, s22, 8
	v_cvt_u32_f32_e32 v0, v0
	v_rcp_iflag_f32_e32 v1, v1
	v_writelane_b32 v95, s23, 9
	v_cndmask_b32_e64 v63, 0, 1, s[24:25]
	s_xor_b32 s1, s1, s4
	v_writelane_b32 v95, s24, 10
	s_sub_i32 s28, s1, s4
	s_mul_i32 s1, s28, s29
	v_writelane_b32 v95, s25, 11
	v_writelane_b32 v95, s26, 12
	s_sub_i32 s30, s3, s1
	v_readfirstlane_b32 s1, v0
	v_mul_f32_e32 v0, 0x4f7ffffe, v1
	v_writelane_b32 v95, s27, 13
	v_cvt_u32_f32_e32 v0, v0
	v_writelane_b32 v95, s28, 14
	s_sub_i32 s0, 0, s92
	v_writelane_b32 v95, s29, 15
	s_mul_i32 s0, s0, s1
	v_writelane_b32 v95, s30, 16
	s_mul_hi_u32 s0, s1, s0
	v_writelane_b32 v95, s34, 17
	s_ashr_i32 s31, s14, 31
	s_add_i32 s36, s1, s0
	s_sub_i32 s0, 0, s96
	v_readfirstlane_b32 s1, v0
	v_mbcnt_lo_u32_b32 v0, -1, 0
	v_writelane_b32 v95, s35, 18
	s_mul_i32 s0, s0, s1
	v_mbcnt_hi_u32_b32 v0, -1, v0
	v_writelane_b32 v95, s31, 19
	v_mov_b32_e32 v49, 0
	v_mul_lo_u32 v52, s91, v64
	v_or_b32_e32 v81, v5, v3
	s_ashr_i32 s37, s15, 31
	s_mul_hi_u32 s0, s1, s0
	v_and_or_b32 v0, v0, 64, v6
	v_writelane_b32 v95, s36, 20
	v_or_b32_e32 v75, 32, v64
	v_or_b32_e32 v76, 64, v64
	v_ashrrev_i32_e32 v53, 31, v52
	v_mov_b32_e32 v51, v49
	s_lshl_b32 s33, s91, 5
	v_mul_lo_u32 v79, s90, v64
	v_or_b32_e32 v80, v4, v7
	v_or_b32_e32 v82, 2, v81
	s_add_i32 s38, s1, s0
	v_lshlrev_b32_e32 v48, 1, v2
	v_lshlrev_b32_e32 v83, 2, v0
	v_mov_b32_e32 v84, v56
	v_writelane_b32 v95, s37, 21
	v_writelane_b32 v95, s38, 22
	s_branch .LBB81_7
.LBB81_4:                               ;   in Loop: Header=BB81_7 Depth=1
	s_or_b64 exec, exec, s[6:7]
.LBB81_5:                               ;   in Loop: Header=BB81_7 Depth=1
	s_or_b64 exec, exec, s[4:5]
	v_subrev_u32_e32 v84, s97, v84
.LBB81_6:                               ;   in Loop: Header=BB81_7 Depth=1
	s_or_b64 exec, exec, s[0:1]
	s_add_i32 s2, s2, 1
	v_cmp_ge_i32_e32 vcc, s2, v62
	s_cbranch_vccnz .LBB81_51
.LBB81_7:                               ; =>This Loop Header: Depth=1
                                        ;     Child Loop BB81_13 Depth 2
                                        ;       Child Loop BB81_15 Depth 3
                                        ;       Child Loop BB81_18 Depth 3
	;; [unrolled: 1-line block ×4, first 2 shown]
                                        ;     Child Loop BB81_29 Depth 2
                                        ;     Child Loop BB81_38 Depth 2
                                        ;       Child Loop BB81_40 Depth 3
                                        ;     Child Loop BB81_48 Depth 2
                                        ;       Child Loop BB81_50 Depth 3
	s_abs_i32 s1, s2
	s_mul_hi_u32 s3, s1, s36
	s_mul_i32 s4, s3, s92
	s_ashr_i32 s0, s2, 31
	s_sub_i32 s1, s1, s4
	s_xor_b32 s0, s0, s31
	s_add_i32 s4, s3, 1
	s_sub_i32 s5, s1, s92
	s_cmp_ge_u32 s1, s92
	s_cselect_b32 s3, s4, s3
	s_cselect_b32 s1, s5, s1
	s_add_i32 s4, s3, 1
	s_cmp_ge_u32 s1, s92
	s_cselect_b32 s1, s4, s3
	s_xor_b32 s1, s1, s0
	s_sub_i32 s0, s1, s0
	s_abs_i32 s4, s0
	s_mul_i32 s1, s0, s14
	s_mul_hi_u32 s5, s4, s38
	s_sub_i32 s1, s2, s1
	s_mul_i32 s6, s5, s96
	s_lshl_b32 s3, s1, 5
	s_ashr_i32 s1, s0, 31
	s_sub_i32 s4, s4, s6
	s_xor_b32 s1, s1, s37
	s_add_i32 s6, s5, 1
	s_sub_i32 s7, s4, s96
	s_cmp_ge_u32 s4, s96
	s_cselect_b32 s5, s6, s5
	s_cselect_b32 s4, s7, s4
	s_add_i32 s6, s5, 1
	s_cmp_ge_u32 s4, s96
	s_cselect_b32 s4, s6, s5
	s_xor_b32 s4, s4, s1
	s_sub_i32 s1, s4, s1
	s_mul_i32 s4, s1, s28
	s_lshl_b32 s39, s4, 6
	s_cmp_eq_u32 s1, s29
	s_cselect_b32 s97, s30, s28
	s_sub_i32 s4, s3, s88
	s_add_i32 s71, s4, 32
	s_and_saveexec_b64 s[4:5], s[26:27]
	s_xor_b64 s[98:99], exec, s[4:5]
	s_cbranch_execz .LBB81_44
; %bb.8:                                ;   in Loop: Header=BB81_7 Depth=1
	s_mul_i32 s1, s1, s15
	s_sub_i32 s0, s0, s1
	s_mulk_i32 s0, 0x60
	s_sub_i32 s70, s0, s89
	s_addk_i32 s70, 0x60
	s_max_i32 s1, s70, 0
	s_sub_i32 s4, s0, s1
	s_and_saveexec_b64 s[0:1], s[24:25]
	s_xor_b64 s[0:1], exec, s[0:1]
	s_cbranch_execz .LBB81_34
; %bb.9:                                ;   in Loop: Header=BB81_7 Depth=1
	s_and_saveexec_b64 s[8:9], s[34:35]
	s_cbranch_execz .LBB81_33
; %bb.10:                               ;   in Loop: Header=BB81_7 Depth=1
	global_load_dword v85, v49, s[22:23]
	v_mov_b32_e32 v47, 0
	v_writelane_b32 v95, s8, 23
	v_cmp_gt_i32_e32 vcc, s97, v84
	v_mov_b32_e32 v46, v47
	v_mov_b32_e32 v45, v47
	;; [unrolled: 1-line block ×47, first 2 shown]
	v_writelane_b32 v95, s9, 24
	s_and_saveexec_b64 s[6:7], vcc
	s_cbranch_execz .LBB81_26
; %bb.11:                               ;   in Loop: Header=BB81_7 Depth=1
	v_mov_b32_e32 v0, 0
	s_mov_b64 s[8:9], 0
	v_mov_b32_e32 v1, v0
	v_mov_b32_e32 v2, v0
	;; [unrolled: 1-line block ×47, first 2 shown]
	s_branch .LBB81_13
.LBB81_12:                              ;   in Loop: Header=BB81_13 Depth=2
	s_or_b64 exec, exec, s[10:11]
	v_add_u32_e32 v92, 0x1000, v89
	ds_read2_b32 v[90:91], v92 offset1:32
	v_add_u32_e32 v84, s95, v84
	s_waitcnt lgkmcnt(0)
	v_mfma_f32_32x32x16_fp8_fp8 v[0:15], v[60:61], v[90:91], v[0:15]
	ds_read2_b32 v[60:61], v92 offset0:128 offset1:160
	s_waitcnt lgkmcnt(0)
	v_mfma_f32_32x32x16_fp8_fp8 v[0:15], v[58:59], v[60:61], v[0:15]
	v_add_u32_e32 v60, 0x1400, v89
	ds_read2_b32 v[58:59], v60 offset1:32
	ds_read2_b32 v[60:61], v60 offset0:128 offset1:160
	ds_write_b32 v87, v88 offset:24596
	s_waitcnt lgkmcnt(2)
	v_mfma_f32_32x32x16_fp8_fp8 v[0:15], v[56:57], v[58:59], v[0:15]
	v_add_u32_e32 v56, s95, v86
	v_add_u32_e32 v57, 2, v63
	v_cmp_lt_i32_e32 vcc, 2, v56
	s_nop 1
	v_cndmask_b32_e32 v63, v63, v57, vcc
	v_cmp_le_i32_e32 vcc, s97, v84
	s_waitcnt lgkmcnt(1)
	v_mfma_f32_32x32x16_fp8_fp8 v[0:15], v[54:55], v[60:61], v[0:15]
	s_or_b64 s[8:9], vcc, s[8:9]
	s_andn2_b64 exec, exec, s[8:9]
	s_cbranch_execz .LBB81_25
.LBB81_13:                              ;   Parent Loop BB81_7 Depth=1
                                        ; =>  This Loop Header: Depth=2
                                        ;       Child Loop BB81_15 Depth 3
                                        ;       Child Loop BB81_18 Depth 3
	;; [unrolled: 1-line block ×4, first 2 shown]
	v_cmp_gt_i32_e32 vcc, 3, v56
	s_nop 1
	v_cndmask_b32_e64 v54, -3, 0, vcc
	v_add_u32_e32 v86, v54, v56
	v_mul_lo_u32 v87, v86, 24
	ds_read_b32 v54, v87 offset:24576
	s_waitcnt lgkmcnt(0)
	v_cmp_ne_u32_e32 vcc, v54, v63
	s_and_saveexec_b64 s[10:11], vcc
	s_cbranch_execz .LBB81_16
; %bb.14:                               ;   in Loop: Header=BB81_13 Depth=2
	s_mov_b64 s[12:13], 0
.LBB81_15:                              ;   Parent Loop BB81_7 Depth=1
                                        ;     Parent Loop BB81_13 Depth=2
                                        ; =>    This Inner Loop Header: Depth=3
	;;#ASMSTART
	s_sleep 0
	;;#ASMEND
	ds_read_b32 v54, v87 offset:24576
	s_waitcnt lgkmcnt(0)
	v_cmp_eq_u32_e32 vcc, v54, v63
	s_or_b64 s[12:13], vcc, s[12:13]
	s_andn2_b64 exec, exec, s[12:13]
	s_cbranch_execnz .LBB81_15
.LBB81_16:                              ;   in Loop: Header=BB81_13 Depth=2
	s_or_b64 exec, exec, s[10:11]
	v_lshl_add_u32 v54, v86, 11, v65
	ds_read2_b32 v[60:61], v54 offset1:32
	ds_read2_b32 v[58:59], v54 offset0:128 offset1:160
	v_add_u32_e32 v54, 0x400, v54
	ds_read2_b32 v[56:57], v54 offset1:32
	ds_read_b32 v89, v87 offset:24580
	ds_read2_b32 v[54:55], v54 offset0:128 offset1:160
	v_add_u32_e32 v88, 1, v63
	ds_write_b32 v87, v88 offset:24576
	s_waitcnt lgkmcnt(2)
	v_cmp_ne_u32_e32 vcc, v89, v63
	s_and_saveexec_b64 s[10:11], vcc
	s_cbranch_execz .LBB81_19
; %bb.17:                               ;   in Loop: Header=BB81_13 Depth=2
	s_mov_b64 s[12:13], 0
.LBB81_18:                              ;   Parent Loop BB81_7 Depth=1
                                        ;     Parent Loop BB81_13 Depth=2
                                        ; =>    This Inner Loop Header: Depth=3
	;;#ASMSTART
	s_sleep 0
	;;#ASMEND
	ds_read_b32 v89, v87 offset:24580
	s_waitcnt lgkmcnt(0)
	v_cmp_eq_u32_e32 vcc, v89, v63
	s_or_b64 s[12:13], vcc, s[12:13]
	s_andn2_b64 exec, exec, s[12:13]
	s_cbranch_execnz .LBB81_18
.LBB81_19:                              ;   in Loop: Header=BB81_13 Depth=2
	s_or_b64 exec, exec, s[10:11]
	s_movk_i32 s5, 0x1800
	v_mul_lo_u32 v89, v86, s5
	v_or_b32_e32 v92, v66, v89
	ds_read2_b32 v[90:91], v92 offset1:32
	ds_write_b32 v87, v88 offset:24580
	s_waitcnt lgkmcnt(1)
	v_mfma_f32_32x32x16_fp8_fp8 v[32:47], v[60:61], v[90:91], v[32:47]
	ds_read2_b32 v[90:91], v92 offset0:128 offset1:160
	v_add_u32_e32 v92, 0x400, v92
	s_waitcnt lgkmcnt(0)
	v_mfma_f32_32x32x16_fp8_fp8 v[32:47], v[58:59], v[90:91], v[32:47]
	ds_read2_b32 v[90:91], v92 offset1:32
	s_waitcnt lgkmcnt(0)
	v_mfma_f32_32x32x16_fp8_fp8 v[32:47], v[56:57], v[90:91], v[32:47]
	ds_read2_b32 v[90:91], v92 offset0:128 offset1:160
	ds_read_b32 v92, v87 offset:24588
	s_waitcnt lgkmcnt(0)
	v_cmp_ne_u32_e32 vcc, v92, v63
	v_mfma_f32_32x32x16_fp8_fp8 v[32:47], v[54:55], v[90:91], v[32:47]
	s_and_saveexec_b64 s[10:11], vcc
	s_cbranch_execz .LBB81_22
; %bb.20:                               ;   in Loop: Header=BB81_13 Depth=2
	s_mov_b64 s[12:13], 0
.LBB81_21:                              ;   Parent Loop BB81_7 Depth=1
                                        ;     Parent Loop BB81_13 Depth=2
                                        ; =>    This Inner Loop Header: Depth=3
	;;#ASMSTART
	s_sleep 0
	;;#ASMEND
	ds_read_b32 v90, v87 offset:24588
	s_waitcnt lgkmcnt(0)
	v_cmp_eq_u32_e32 vcc, v90, v63
	s_or_b64 s[12:13], vcc, s[12:13]
	s_andn2_b64 exec, exec, s[12:13]
	s_cbranch_execnz .LBB81_21
.LBB81_22:                              ;   in Loop: Header=BB81_13 Depth=2
	s_or_b64 exec, exec, s[10:11]
	v_add_u32_e32 v89, v66, v89
	v_add_u32_e32 v92, 0x800, v89
	ds_read2_b32 v[90:91], v92 offset1:32
	ds_write_b32 v87, v88 offset:24588
	s_waitcnt lgkmcnt(1)
	v_mfma_f32_32x32x16_fp8_fp8 v[16:31], v[60:61], v[90:91], v[16:31]
	ds_read2_b32 v[90:91], v92 offset0:128 offset1:160
	v_add_u32_e32 v92, 0xc00, v89
	s_waitcnt lgkmcnt(0)
	v_mfma_f32_32x32x16_fp8_fp8 v[16:31], v[58:59], v[90:91], v[16:31]
	ds_read2_b32 v[90:91], v92 offset1:32
	s_waitcnt lgkmcnt(0)
	v_mfma_f32_32x32x16_fp8_fp8 v[16:31], v[56:57], v[90:91], v[16:31]
	ds_read2_b32 v[90:91], v92 offset0:128 offset1:160
	ds_read_b32 v92, v87 offset:24596
	s_waitcnt lgkmcnt(0)
	v_cmp_ne_u32_e32 vcc, v92, v63
	v_mfma_f32_32x32x16_fp8_fp8 v[16:31], v[54:55], v[90:91], v[16:31]
	s_and_saveexec_b64 s[10:11], vcc
	s_cbranch_execz .LBB81_12
; %bb.23:                               ;   in Loop: Header=BB81_13 Depth=2
	s_mov_b64 s[12:13], 0
.LBB81_24:                              ;   Parent Loop BB81_7 Depth=1
                                        ;     Parent Loop BB81_13 Depth=2
                                        ; =>    This Inner Loop Header: Depth=3
	;;#ASMSTART
	s_sleep 0
	;;#ASMEND
	ds_read_b32 v90, v87 offset:24596
	s_waitcnt lgkmcnt(0)
	v_cmp_eq_u32_e32 vcc, v90, v63
	s_or_b64 s[12:13], vcc, s[12:13]
	s_andn2_b64 exec, exec, s[12:13]
	s_cbranch_execnz .LBB81_24
	s_branch .LBB81_12
.LBB81_25:                              ;   in Loop: Header=BB81_7 Depth=1
	s_or_b64 exec, exec, s[8:9]
.LBB81_26:                              ;   in Loop: Header=BB81_7 Depth=1
	v_writelane_b32 v95, s71, 25
	v_writelane_b32 v95, s39, 26
	s_or_b64 exec, exec, s[6:7]
	v_cmp_le_i32_e32 vcc, s70, v64
	v_cmp_eq_u32_e64 s[60:61], 1, v67
	v_cmp_eq_u32_e64 s[28:29], 2, v67
	s_waitcnt vmcnt(0)
	v_cndmask_b32_e32 v54, 0, v85, vcc
	v_pk_mul_f32 v[32:33], v[54:55], v[32:33] op_sel_hi:[0,1]
	v_pk_mul_f32 v[46:47], v[54:55], v[46:47] op_sel_hi:[0,1]
	;; [unrolled: 1-line block ×8, first 2 shown]
	v_cndmask_b32_e64 v54, v32, v33, s[60:61]
	v_cndmask_b32_e64 v54, v54, v34, s[28:29]
	v_cmp_eq_u32_e64 s[40:41], 3, v67
	v_cmp_eq_u32_e64 s[42:43], 4, v67
	v_cmp_eq_u32_e64 s[44:45], 5, v67
	v_cndmask_b32_e64 v54, v54, v35, s[40:41]
	v_cndmask_b32_e64 v54, v54, v36, s[42:43]
	v_cndmask_b32_e64 v54, v54, v37, s[44:45]
	v_cmp_eq_u32_e64 s[46:47], 6, v67
	v_cmp_eq_u32_e64 s[48:49], 7, v67
	v_cmp_eq_u32_e64 s[50:51], 8, v67
	v_cndmask_b32_e64 v54, v54, v38, s[46:47]
	;; [unrolled: 6-line block ×4, first 2 shown]
	v_cndmask_b32_e64 v54, v54, v45, s[62:63]
	v_cndmask_b32_e64 v54, v54, v46, s[64:65]
	v_cmp_eq_u32_e64 s[66:67], 15, v67
	s_mul_i32 s6, s3, s89
	s_ashr_i32 s7, s6, 31
	v_cndmask_b32_e64 v54, v54, v47, s[66:67]
	ds_bpermute_b32 v54, v83, v54
	s_lshl_b64 s[6:7], s[6:7], 1
	v_cmp_eq_u32_e64 s[36:37], 0, v67
	s_add_u32 s71, s20, s6
	v_cmp_eq_u32_e32 vcc, 1, v68
	s_waitcnt lgkmcnt(0)
	v_cndmask_b32_e64 v47, v47, v54, s[66:67]
	v_cndmask_b32_e64 v46, v46, v54, s[64:65]
	;; [unrolled: 1-line block ×16, first 2 shown]
	s_addc_u32 s72, s21, s7
	v_cndmask_b32_e32 v32, v54, v33, vcc
	v_cmp_eq_u32_e64 s[6:7], 2, v68
	v_cmp_eq_u32_e64 s[8:9], 3, v68
	v_cmp_eq_u32_e64 s[10:11], 4, v68
	v_cndmask_b32_e64 v32, v32, v87, s[6:7]
	v_cndmask_b32_e64 v32, v32, v86, s[8:9]
	v_cndmask_b32_e64 v32, v32, v61, s[10:11]
	v_cmp_eq_u32_e64 s[12:13], 5, v68
	v_cmp_eq_u32_e64 s[14:15], 6, v68
	v_cmp_eq_u32_e64 s[16:17], 7, v68
	v_cndmask_b32_e64 v32, v32, v60, s[12:13]
	v_cndmask_b32_e64 v32, v32, v59, s[14:15]
	v_cndmask_b32_e64 v32, v32, v58, s[16:17]
	;; [unrolled: 6-line block ×4, first 2 shown]
	v_cmp_eq_u32_e64 s[34:35], 14, v68
	v_cmp_eq_u32_e64 s[38:39], 15, v68
	s_ashr_i32 s5, s4, 31
	v_cndmask_b32_e64 v32, v32, v46, s[34:35]
	v_cndmask_b32_e64 v32, v32, v47, s[38:39]
	s_lshl_b64 s[68:69], s[4:5], 1
	ds_bpermute_b32 v55, v83, v32
	s_add_u32 s68, s71, s68
	s_addc_u32 s69, s72, s69
	v_writelane_b32 v95, s68, 27
	v_cmp_eq_u32_e64 s[72:73], 11, v69
	s_waitcnt lgkmcnt(0)
	v_cndmask_b32_e64 v39, v42, v55, s[22:23]
	v_writelane_b32 v95, s69, 28
	v_cmp_le_i32_e64 s[68:69], s70, v75
	v_cndmask_b32_e64 v42, v58, v55, s[16:17]
	v_cndmask_b32_e32 v33, v33, v55, vcc
	v_cndmask_b32_e64 v32, 0, v85, s[68:69]
	v_cmp_le_i32_e64 s[68:69], s70, v76
	v_pk_mul_f32 v[16:17], v[32:33], v[16:17] op_sel_hi:[0,1]
	v_cndmask_b32_e64 v34, v47, v55, s[38:39]
	v_cndmask_b32_e64 v58, 0, v85, s[68:69]
	v_cmp_eq_u32_e64 s[68:69], 0, v68
	v_pk_mul_f32 v[0:1], v[58:59], v[0:1] op_sel_hi:[0,1]
	v_cndmask_b32_e64 v35, v46, v55, s[34:35]
	v_cndmask_b32_e64 v36, v45, v55, s[30:31]
	;; [unrolled: 1-line block ×12, first 2 shown]
	v_pk_mul_f32 v[30:31], v[32:33], v[30:31] op_sel_hi:[0,1]
	v_pk_mul_f32 v[28:29], v[32:33], v[28:29] op_sel_hi:[0,1]
	v_pk_mul_f32 v[26:27], v[32:33], v[26:27] op_sel_hi:[0,1]
	v_pk_mul_f32 v[24:25], v[32:33], v[24:25] op_sel_hi:[0,1]
	v_pk_mul_f32 v[22:23], v[32:33], v[22:23] op_sel_hi:[0,1]
	v_pk_mul_f32 v[20:21], v[32:33], v[20:21] op_sel_hi:[0,1]
	v_pk_mul_f32 v[18:19], v[32:33], v[18:19] op_sel_hi:[0,1]
	v_cndmask_b32_e64 v32, v16, v17, s[60:61]
	v_pk_mul_f32 v[54:55], v[58:59], v[4:5] op_sel_hi:[0,1]
	v_pk_mul_f32 v[2:3], v[58:59], v[2:3] op_sel_hi:[0,1]
	v_cndmask_b32_e64 v4, v0, v1, s[60:61]
	v_cndmask_b32_e64 v32, v32, v18, s[28:29]
	;; [unrolled: 1-line block ×8, first 2 shown]
	v_pk_mul_f32 v[6:7], v[58:59], v[6:7] op_sel_hi:[0,1]
	v_cndmask_b32_e64 v4, v4, v55, s[44:45]
	v_cndmask_b32_e64 v32, v32, v22, s[46:47]
	v_cndmask_b32_e64 v4, v4, v6, s[46:47]
	v_cndmask_b32_e64 v32, v32, v23, s[48:49]
	v_pk_mul_f32 v[8:9], v[58:59], v[8:9] op_sel_hi:[0,1]
	v_cndmask_b32_e64 v4, v4, v7, s[48:49]
	v_cndmask_b32_e64 v32, v32, v24, s[50:51]
	v_cndmask_b32_e64 v4, v4, v8, s[50:51]
	v_cndmask_b32_e64 v32, v32, v25, s[52:53]
	v_pk_mul_f32 v[10:11], v[58:59], v[10:11] op_sel_hi:[0,1]
	v_cndmask_b32_e64 v4, v4, v9, s[52:53]
	v_cndmask_b32_e64 v32, v32, v26, s[54:55]
	v_cndmask_b32_e64 v4, v4, v10, s[54:55]
	v_cndmask_b32_e64 v32, v32, v27, s[56:57]
	v_pk_mul_f32 v[12:13], v[58:59], v[12:13] op_sel_hi:[0,1]
	v_cndmask_b32_e64 v4, v4, v11, s[56:57]
	v_cndmask_b32_e64 v32, v32, v28, s[58:59]
	v_cndmask_b32_e64 v4, v4, v12, s[58:59]
	v_cndmask_b32_e64 v32, v32, v29, s[62:63]
	v_pk_mul_f32 v[14:15], v[58:59], v[14:15] op_sel_hi:[0,1]
	v_cndmask_b32_e64 v4, v4, v13, s[62:63]
	v_cndmask_b32_e64 v32, v32, v30, s[64:65]
	v_cndmask_b32_e64 v4, v4, v14, s[64:65]
	v_cndmask_b32_e64 v32, v32, v31, s[66:67]
	v_cndmask_b32_e64 v4, v4, v15, s[66:67]
	ds_bpermute_b32 v32, v83, v32
	ds_bpermute_b32 v5, v83, v4
	v_cmp_eq_u32_e64 s[70:71], 10, v69
	v_cmp_eq_u32_e64 s[76:77], 13, v69
	;; [unrolled: 1-line block ×3, first 2 shown]
	s_waitcnt lgkmcnt(1)
	v_cndmask_b32_e64 v4, v17, v32, s[60:61]
	v_cmp_eq_u32_e64 s[60:61], 1, v69
	v_cndmask_b32_e64 v18, v18, v32, s[28:29]
	s_waitcnt lgkmcnt(0)
	v_cndmask_b32_e64 v2, v2, v5, s[28:29]
	v_cmp_ne_u32_e64 s[28:29], 0, v67
	v_cndmask_b32_e64 v17, v57, v33, s[60:61]
	v_cndmask_b32_e64 v31, v31, v32, s[66:67]
	;; [unrolled: 1-line block ×3, first 2 shown]
	v_cmp_eq_u32_e64 s[66:67], 2, v69
	v_cndmask_b32_e64 v1, v1, v5, s[28:29]
	v_cndmask_b32_e64 v16, v16, v32, s[36:37]
	;; [unrolled: 1-line block ×6, first 2 shown]
	v_cmp_eq_u32_e64 s[64:65], 3, v69
	v_cndmask_b32_e64 v29, v29, v32, s[62:63]
	v_cndmask_b32_e64 v13, v13, v5, s[62:63]
	;; [unrolled: 1-line block ×22, first 2 shown]
	v_cndmask_b32_e32 v32, v16, v4, vcc
	v_cndmask_b32_e32 v5, v0, v1, vcc
	v_cndmask_b32_e64 v17, v17, v46, s[64:65]
	v_cmp_eq_u32_e64 s[62:63], 4, v69
	v_cndmask_b32_e64 v32, v32, v18, s[6:7]
	v_cndmask_b32_e64 v5, v5, v2, s[6:7]
	v_cndmask_b32_e64 v17, v17, v45, s[62:63]
	v_cmp_eq_u32_e64 s[58:59], 5, v69
	v_cndmask_b32_e64 v32, v32, v19, s[8:9]
	v_cndmask_b32_e64 v5, v5, v3, s[8:9]
	;; [unrolled: 4-line block ×6, first 2 shown]
	v_cndmask_b32_e64 v17, v17, v40, s[50:51]
	v_cndmask_b32_e64 v32, v32, v24, s[18:19]
	;; [unrolled: 1-line block ×7, first 2 shown]
	v_cmp_eq_u32_e64 s[44:45], 12, v69
	v_cndmask_b32_e64 v32, v32, v26, s[22:23]
	v_cndmask_b32_e64 v5, v5, v10, s[22:23]
	;; [unrolled: 1-line block ×6, first 2 shown]
	v_cmp_eq_u32_e64 s[40:41], 14, v69
	v_cndmask_b32_e64 v32, v32, v28, s[26:27]
	v_cndmask_b32_e64 v5, v5, v12, s[26:27]
	;; [unrolled: 1-line block ×8, first 2 shown]
	ds_bpermute_b32 v17, v83, v17
	v_cndmask_b32_e64 v32, v32, v31, s[38:39]
	v_cndmask_b32_e64 v5, v5, v15, s[38:39]
	ds_bpermute_b32 v32, v83, v32
	ds_bpermute_b32 v5, v83, v5
	v_cmp_eq_u32_e64 s[42:43], 0, v69
	s_waitcnt lgkmcnt(2)
	v_cndmask_b32_e64 v34, v34, v17, s[78:79]
	v_cndmask_b32_e64 v35, v35, v17, s[40:41]
	;; [unrolled: 1-line block ×16, first 2 shown]
	v_cmp_eq_u32_e64 s[28:29], 1, v70
	s_waitcnt lgkmcnt(1)
	v_cndmask_b32_e64 v30, v30, v32, s[34:35]
	s_waitcnt lgkmcnt(0)
	v_cndmask_b32_e64 v14, v14, v5, s[34:35]
	v_cndmask_b32_e64 v57, v17, v33, s[28:29]
	v_cmp_eq_u32_e64 s[34:35], 2, v70
	v_cndmask_b32_e32 v1, v1, v5, vcc
	v_cndmask_b32_e64 v0, v0, v5, s[68:69]
	v_cndmask_b32_e64 v15, v15, v5, s[38:39]
	;; [unrolled: 1-line block ×5, first 2 shown]
	v_cmp_eq_u32_e64 s[30:31], 3, v70
	v_cndmask_b32_e64 v12, v12, v5, s[26:27]
	v_cndmask_b32_e64 v11, v11, v5, s[24:25]
	;; [unrolled: 1-line block ×11, first 2 shown]
	v_cndmask_b32_e32 v4, v4, v32, vcc
	v_cndmask_b32_e64 v16, v16, v32, s[68:69]
	v_cndmask_b32_e64 v5, v0, v1, s[60:61]
	;; [unrolled: 1-line block ×5, first 2 shown]
	v_cmp_eq_u32_e64 s[26:27], 4, v70
	v_cndmask_b32_e64 v27, v27, v32, s[24:25]
	v_cndmask_b32_e64 v26, v26, v32, s[22:23]
	;; [unrolled: 1-line block ×13, first 2 shown]
	v_cmp_eq_u32_e64 s[24:25], 5, v70
	v_cndmask_b32_e64 v32, v32, v18, s[66:67]
	v_cndmask_b32_e64 v5, v5, v3, s[64:65]
	v_cndmask_b32_e64 v57, v57, v44, s[24:25]
	v_cmp_eq_u32_e64 s[22:23], 6, v70
	v_cndmask_b32_e64 v32, v32, v19, s[64:65]
	v_cndmask_b32_e64 v5, v5, v54, s[62:63]
	v_cndmask_b32_e64 v57, v57, v43, s[22:23]
	;; [unrolled: 4-line block ×11, first 2 shown]
	v_cndmask_b32_e64 v32, v32, v29, s[76:77]
	v_cndmask_b32_e64 v5, v5, v14, s[40:41]
	ds_bpermute_b32 v57, v83, v57
	v_cndmask_b32_e64 v32, v32, v30, s[40:41]
	v_cndmask_b32_e64 v5, v5, v15, s[78:79]
	;; [unrolled: 1-line block ×3, first 2 shown]
	ds_bpermute_b32 v5, v83, v5
	ds_bpermute_b32 v32, v83, v32
	v_cmp_eq_u32_e64 s[14:15], 0, v70
	s_waitcnt lgkmcnt(2)
	v_cndmask_b32_e64 v33, v33, v57, s[28:29]
	v_cmp_eq_u32_e64 s[10:11], 1, v71
	v_cndmask_b32_e64 v17, v17, v57, s[14:15]
	v_cndmask_b32_e64 v34, v34, v57, s[84:85]
	;; [unrolled: 1-line block ×16, first 2 shown]
	v_cmp_eq_u32_e64 s[12:13], 2, v71
	s_waitcnt lgkmcnt(1)
	v_cndmask_b32_e64 v1, v1, v5, s[60:61]
	v_cndmask_b32_e64 v0, v0, v5, s[42:43]
	;; [unrolled: 1-line block ×6, first 2 shown]
	v_cmp_eq_u32_e64 s[20:21], 3, v71
	v_cndmask_b32_e64 v12, v12, v5, s[44:45]
	v_cndmask_b32_e64 v11, v11, v5, s[72:73]
	;; [unrolled: 1-line block ×11, first 2 shown]
	s_waitcnt lgkmcnt(0)
	v_cndmask_b32_e64 v4, v4, v32, s[60:61]
	v_cndmask_b32_e64 v16, v16, v32, s[42:43]
	;; [unrolled: 1-line block ×8, first 2 shown]
	v_cmp_eq_u32_e64 s[36:37], 4, v71
	v_cndmask_b32_e64 v27, v27, v32, s[72:73]
	v_cndmask_b32_e64 v26, v26, v32, s[70:71]
	;; [unrolled: 1-line block ×13, first 2 shown]
	v_cmp_eq_u32_e64 s[40:41], 5, v71
	v_cndmask_b32_e64 v32, v32, v18, s[34:35]
	v_cndmask_b32_e64 v5, v5, v3, s[30:31]
	v_cndmask_b32_e64 v57, v57, v44, s[40:41]
	v_cmp_eq_u32_e64 s[44:45], 6, v71
	v_cndmask_b32_e64 v32, v32, v19, s[30:31]
	v_cndmask_b32_e64 v5, v5, v54, s[26:27]
	v_cndmask_b32_e64 v57, v57, v43, s[44:45]
	;; [unrolled: 4-line block ×11, first 2 shown]
	v_cndmask_b32_e64 v32, v32, v29, s[8:9]
	v_cndmask_b32_e64 v5, v5, v14, s[80:81]
	ds_bpermute_b32 v57, v83, v57
	v_cndmask_b32_e64 v32, v32, v30, s[80:81]
	v_cndmask_b32_e64 v5, v5, v15, s[84:85]
	;; [unrolled: 1-line block ×3, first 2 shown]
	ds_bpermute_b32 v5, v83, v5
	ds_bpermute_b32 v32, v83, v32
	v_cmp_eq_u32_e64 s[58:59], 0, v71
	s_waitcnt lgkmcnt(2)
	v_cndmask_b32_e64 v33, v33, v57, s[10:11]
	v_cmp_eq_u32_e32 vcc, 1, v72
	v_cndmask_b32_e64 v17, v17, v57, s[58:59]
	v_cndmask_b32_e64 v34, v34, v57, s[86:87]
	v_cndmask_b32_e64 v35, v35, v57, s[82:83]
	v_cndmask_b32_e64 v36, v36, v57, s[64:65]
	v_cndmask_b32_e64 v37, v37, v57, s[78:79]
	v_cndmask_b32_e64 v38, v38, v57, s[76:77]
	v_cndmask_b32_e64 v39, v39, v57, s[72:73]
	v_cndmask_b32_e64 v40, v40, v57, s[70:71]
	v_cndmask_b32_e64 v41, v41, v57, s[68:69]
	v_cndmask_b32_e64 v42, v42, v57, s[50:51]
	v_cndmask_b32_e64 v43, v43, v57, s[44:45]
	v_cndmask_b32_e64 v44, v44, v57, s[40:41]
	v_cndmask_b32_e64 v45, v45, v57, s[36:37]
	v_cndmask_b32_e64 v46, v46, v57, s[20:21]
	v_cndmask_b32_e64 v47, v47, v57, s[12:13]
	v_cndmask_b32_e32 v57, v17, v33, vcc
	v_cmp_eq_u32_e64 s[6:7], 2, v72
	s_waitcnt lgkmcnt(1)
	v_cndmask_b32_e64 v1, v1, v5, s[28:29]
	v_cndmask_b32_e64 v0, v0, v5, s[14:15]
	;; [unrolled: 1-line block ×5, first 2 shown]
	s_waitcnt lgkmcnt(0)
	v_cndmask_b32_e64 v29, v29, v32, s[8:9]
	v_cndmask_b32_e64 v13, v13, v5, s[8:9]
	v_cmp_eq_u32_e64 s[8:9], 3, v72
	v_cndmask_b32_e64 v12, v12, v5, s[38:39]
	v_cndmask_b32_e64 v11, v11, v5, s[74:75]
	;; [unrolled: 1-line block ×14, first 2 shown]
	v_cmp_eq_u32_e64 s[38:39], 4, v72
	v_cndmask_b32_e64 v4, v4, v32, s[28:29]
	v_cndmask_b32_e64 v16, v16, v32, s[14:15]
	;; [unrolled: 1-line block ×7, first 2 shown]
	v_cmp_eq_u32_e64 s[42:43], 5, v72
	v_cndmask_b32_e64 v26, v26, v32, s[46:47]
	v_cndmask_b32_e64 v25, v25, v32, s[16:17]
	;; [unrolled: 1-line block ×12, first 2 shown]
	v_cmp_eq_u32_e64 s[46:47], 6, v72
	v_cndmask_b32_e64 v32, v32, v18, s[12:13]
	v_cndmask_b32_e64 v5, v5, v54, s[36:37]
	v_cndmask_b32_e64 v57, v57, v43, s[46:47]
	v_cmp_eq_u32_e64 s[52:53], 7, v72
	v_cndmask_b32_e64 v32, v32, v19, s[20:21]
	v_cndmask_b32_e64 v5, v5, v55, s[40:41]
	v_cndmask_b32_e64 v57, v57, v42, s[52:53]
	v_cmp_eq_u32_e64 s[54:55], 8, v72
	v_cndmask_b32_e64 v32, v32, v20, s[36:37]
	v_cndmask_b32_e64 v5, v5, v6, s[44:45]
	v_cndmask_b32_e64 v57, v57, v41, s[54:55]
	v_cmp_eq_u32_e64 s[56:57], 9, v72
	v_cndmask_b32_e64 v32, v32, v21, s[40:41]
	v_cndmask_b32_e64 v5, v5, v7, s[50:51]
	v_cndmask_b32_e64 v57, v57, v40, s[56:57]
	v_cmp_eq_u32_e64 s[60:61], 10, v72
	v_cndmask_b32_e64 v32, v32, v22, s[44:45]
	v_cndmask_b32_e64 v5, v5, v8, s[68:69]
	v_cndmask_b32_e64 v57, v57, v39, s[60:61]
	v_cmp_eq_u32_e64 s[62:63], 11, v72
	v_cndmask_b32_e64 v32, v32, v23, s[50:51]
	v_cndmask_b32_e64 v5, v5, v9, s[70:71]
	v_cndmask_b32_e64 v57, v57, v38, s[62:63]
	v_cmp_eq_u32_e64 s[66:67], 12, v72
	v_cndmask_b32_e64 v32, v32, v24, s[68:69]
	v_cndmask_b32_e64 v5, v5, v10, s[72:73]
	v_cndmask_b32_e64 v57, v57, v37, s[66:67]
	v_cmp_eq_u32_e64 s[74:75], 13, v72
	v_cndmask_b32_e64 v32, v32, v25, s[70:71]
	v_cndmask_b32_e64 v5, v5, v11, s[76:77]
	v_cndmask_b32_e64 v57, v57, v36, s[74:75]
	v_cmp_eq_u32_e64 s[80:81], 14, v72
	v_cndmask_b32_e64 v32, v32, v26, s[72:73]
	v_cndmask_b32_e64 v5, v5, v12, s[78:79]
	v_cndmask_b32_e64 v57, v57, v35, s[80:81]
	v_cmp_eq_u32_e64 s[84:85], 15, v72
	v_cndmask_b32_e64 v32, v32, v27, s[76:77]
	v_cndmask_b32_e64 v5, v5, v13, s[64:65]
	v_cndmask_b32_e64 v57, v57, v34, s[84:85]
	v_cndmask_b32_e64 v32, v32, v28, s[78:79]
	v_cndmask_b32_e64 v5, v5, v14, s[82:83]
	ds_bpermute_b32 v57, v83, v57
	v_cndmask_b32_e64 v32, v32, v29, s[64:65]
	v_cndmask_b32_e64 v5, v5, v15, s[86:87]
	;; [unrolled: 1-line block ×3, first 2 shown]
	ds_bpermute_b32 v5, v83, v5
	v_cndmask_b32_e64 v32, v32, v31, s[86:87]
	ds_bpermute_b32 v32, v83, v32
	v_cmp_eq_u32_e64 s[48:49], 0, v72
	s_waitcnt lgkmcnt(2)
	v_cndmask_b32_e32 v33, v33, v57, vcc
	v_cmp_eq_u32_e64 s[14:15], 1, v73
	v_cndmask_b32_e64 v17, v17, v57, s[48:49]
	v_cndmask_b32_e64 v34, v34, v57, s[84:85]
	;; [unrolled: 1-line block ×15, first 2 shown]
	s_waitcnt lgkmcnt(1)
	v_cndmask_b32_e64 v15, v15, v5, s[86:87]
	v_cndmask_b32_e64 v57, v17, v33, s[14:15]
	;; [unrolled: 1-line block ×3, first 2 shown]
	v_cmp_eq_u32_e64 s[16:17], 2, v73
	v_cndmask_b32_e64 v13, v13, v5, s[64:65]
	v_cndmask_b32_e64 v12, v12, v5, s[78:79]
	;; [unrolled: 1-line block ×15, first 2 shown]
	v_cmp_eq_u32_e64 s[18:19], 3, v73
	v_cndmask_b32_e32 v0, v5, v1, vcc
	s_waitcnt lgkmcnt(0)
	v_cndmask_b32_e64 v31, v31, v32, s[86:87]
	v_cndmask_b32_e64 v30, v30, v32, s[82:83]
	;; [unrolled: 1-line block ×5, first 2 shown]
	v_cmp_eq_u32_e64 s[22:23], 4, v73
	v_cndmask_b32_e64 v27, v27, v32, s[76:77]
	v_cndmask_b32_e64 v26, v26, v32, s[72:73]
	;; [unrolled: 1-line block ×14, first 2 shown]
	v_cmp_eq_u32_e64 s[24:25], 5, v73
	v_cndmask_b32_e32 v16, v32, v4, vcc
	v_cndmask_b32_e64 v0, v0, v3, s[8:9]
	v_cndmask_b32_e64 v57, v57, v44, s[24:25]
	v_cmp_eq_u32_e64 s[26:27], 6, v73
	v_cndmask_b32_e64 v16, v16, v18, s[6:7]
	v_cndmask_b32_e64 v0, v0, v54, s[38:39]
	v_cndmask_b32_e64 v57, v57, v43, s[26:27]
	v_cmp_eq_u32_e64 s[28:29], 7, v73
	v_cndmask_b32_e64 v16, v16, v19, s[8:9]
	;; [unrolled: 4-line block ×10, first 2 shown]
	v_cndmask_b32_e64 v0, v0, v13, s[74:75]
	v_cndmask_b32_e64 v57, v57, v34, s[64:65]
	;; [unrolled: 1-line block ×4, first 2 shown]
	ds_bpermute_b32 v57, v83, v57
	v_cndmask_b32_e64 v16, v16, v29, s[74:75]
	v_cndmask_b32_e64 v0, v0, v15, s[84:85]
	;; [unrolled: 1-line block ×3, first 2 shown]
	ds_bpermute_b32 v59, v83, v0
	v_cndmask_b32_e64 v16, v16, v31, s[84:85]
	ds_bpermute_b32 v58, v83, v16
	v_cmp_eq_u32_e64 s[68:69], 0, v73
	s_waitcnt lgkmcnt(2)
	v_cndmask_b32_e64 v33, v33, v57, s[14:15]
	v_cmp_eq_u32_e64 s[10:11], 1, v74
	v_cndmask_b32_e64 v0, v17, v57, s[68:69]
	v_cndmask_b32_e64 v34, v34, v57, s[64:65]
	;; [unrolled: 1-line block ×15, first 2 shown]
	s_waitcnt lgkmcnt(1)
	v_cndmask_b32_e64 v57, v15, v59, s[84:85]
	v_cndmask_b32_e64 v15, v0, v33, s[10:11]
	v_cmp_eq_u32_e64 s[12:13], 2, v74
	v_cndmask_b32_e64 v16, v14, v59, s[80:81]
	v_cmp_eq_u32_e64 s[58:59], 3, v74
	v_cndmask_b32_e64 v14, v15, v47, s[12:13]
	v_cndmask_b32_e64 v17, v13, v59, s[74:75]
	;; [unrolled: 1-line block ×3, first 2 shown]
	s_waitcnt lgkmcnt(0)
	v_cndmask_b32_e64 v28, v28, v58, s[66:67]
	v_cndmask_b32_e64 v60, v12, v59, s[66:67]
	v_cmp_eq_u32_e64 s[66:67], 4, v74
	v_cndmask_b32_e64 v27, v27, v58, s[62:63]
	v_cndmask_b32_e64 v61, v11, v59, s[62:63]
	v_cndmask_b32_e64 v12, v13, v45, s[66:67]
	v_cmp_eq_u32_e64 s[62:63], 5, v74
	v_cndmask_b32_e64 v26, v26, v58, s[60:61]
	;; [unrolled: 4-line block ×10, first 2 shown]
	v_cndmask_b32_e64 v91, v2, v59, s[6:7]
	v_cndmask_b32_e64 v3, v6, v36, s[8:9]
	v_cmp_eq_u32_e64 s[6:7], 14, v74
	v_cndmask_b32_e32 v92, v4, v58, vcc
	v_cndmask_b32_e32 v93, v1, v59, vcc
	v_cndmask_b32_e64 v2, v3, v35, s[6:7]
	v_cmp_eq_u32_e32 vcc, 15, v74
	v_cndmask_b32_e64 v29, v29, v58, s[74:75]
	v_cndmask_b32_e64 v30, v30, v58, s[80:81]
	v_cndmask_b32_e32 v1, v2, v34, vcc
	ds_bpermute_b32 v94, v83, v1
	v_cndmask_b32_e64 v1, v32, v58, s[48:49]
	v_cndmask_b32_e64 v2, v1, v92, s[14:15]
	;; [unrolled: 1-line block ×18, first 2 shown]
	s_waitcnt lgkmcnt(0)
	v_cndmask_b32_e32 v15, v34, v94, vcc
	ds_bpermute_b32 v34, v83, v2
	v_cndmask_b32_e64 v13, v36, v94, s[8:9]
	v_cndmask_b32_e64 v36, v32, v93, s[14:15]
	;; [unrolled: 1-line block ×6, first 2 shown]
	s_waitcnt lgkmcnt(0)
	v_cndmask_b32_e64 v31, v31, v34, s[64:65]
	v_cndmask_b32_e64 v30, v30, v34, s[50:51]
	;; [unrolled: 1-line block ×38, first 2 shown]
	ds_bpermute_b32 v36, v83, v36
	v_cndmask_b32_e64 v1, v1, v28, s[38:39]
	v_cndmask_b32_e64 v1, v1, v29, s[8:9]
	v_cndmask_b32_e64 v1, v1, v30, s[6:7]
	v_cndmask_b32_e32 v1, v1, v31, vcc
	v_cndmask_b32_e64 v12, v37, v94, s[38:39]
	ds_bpermute_b32 v37, v83, v1
	v_cndmask_b32_e64 v1, v33, v94, s[10:11]
	s_waitcnt lgkmcnt(1)
	v_cndmask_b32_e64 v33, v57, v36, s[64:65]
	v_cndmask_b32_e64 v57, v86, v36, s[34:35]
	;; [unrolled: 1-line block ×35, first 2 shown]
	v_cndmask_b32_e32 v16, v16, v33, vcc
	ds_bpermute_b32 v87, v83, v16
	v_cndmask_b32_e64 v3, v46, v94, s[58:59]
	s_waitcnt lgkmcnt(1)
	v_cndmask_b32_e64 v30, v30, v37, s[6:7]
	v_readlane_b32 s71, v95, 25
	v_cmp_eq_u32_e64 s[48:49], 0, v74
	s_waitcnt lgkmcnt(0)
	v_cndmask_b32_e64 v46, v38, v87, s[6:7]
	v_readlane_b32 s6, v95, 27
	v_readlane_b32 s7, v95, 28
	;; [unrolled: 1-line block ×5, first 2 shown]
	s_mov_b32 s5, 0
	s_max_i32 s70, s71, 0
	v_subrev_u32_e32 v84, s97, v84
	v_cndmask_b32_e64 v6, v43, v94, s[60:61]
	v_cndmask_b32_e64 v5, v44, v94, s[62:63]
	;; [unrolled: 1-line block ×5, first 2 shown]
	v_cndmask_b32_e32 v31, v31, v37, vcc
	v_cndmask_b32_e64 v29, v29, v37, s[8:9]
	v_cndmask_b32_e64 v28, v28, v37, s[38:39]
	;; [unrolled: 1-line block ×14, first 2 shown]
	v_cndmask_b32_e32 v47, v33, v87, vcc
	v_cndmask_b32_e64 v45, v39, v87, s[8:9]
	v_cndmask_b32_e64 v44, v40, v87, s[38:39]
	v_cndmask_b32_e64 v43, v41, v87, s[42:43]
	v_cndmask_b32_e64 v42, v42, v87, s[46:47]
	v_cndmask_b32_e64 v41, v57, v87, s[52:53]
	v_cndmask_b32_e64 v40, v58, v87, s[54:55]
	v_cndmask_b32_e64 v39, v59, v87, s[56:57]
	v_cndmask_b32_e64 v38, v60, v87, s[60:61]
	v_cndmask_b32_e64 v37, v55, v87, s[62:63]
	v_cndmask_b32_e64 v36, v54, v87, s[66:67]
	v_cndmask_b32_e64 v35, v61, v87, s[58:59]
	v_cndmask_b32_e64 v34, v85, v87, s[12:13]
	v_cndmask_b32_e64 v33, v86, v87, s[10:11]
	v_cndmask_b32_e64 v32, v32, v87, s[48:49]
	v_lshl_add_u64 v[54:55], s[6:7], 0, v[48:49]
	s_mov_b64 s[6:7], 0
	s_mov_b32 s16, 0
	v_readlane_b32 s25, v95, 11
	v_readlane_b32 s27, v95, 13
	;; [unrolled: 1-line block ×10, first 2 shown]
	s_mov_b64 s[20:21], 0x80
	v_readlane_b32 s39, v95, 26
                                        ; implicit-def: $sgpr8_sgpr9
	s_branch .LBB81_29
.LBB81_27:                              ;   in Loop: Header=BB81_29 Depth=2
	s_or_b64 exec, exec, s[12:13]
	s_andn2_b64 s[8:9], s[8:9], exec
	s_and_b64 s[12:13], s[14:15], exec
	s_or_b64 s[8:9], s[8:9], s[12:13]
.LBB81_28:                              ;   in Loop: Header=BB81_29 Depth=2
	s_or_b64 exec, exec, s[10:11]
	s_and_b64 s[10:11], exec, s[8:9]
	s_or_b64 s[6:7], s[10:11], s[6:7]
	s_andn2_b64 exec, exec, s[6:7]
	s_cbranch_execz .LBB81_32
.LBB81_29:                              ;   Parent Loop BB81_7 Depth=1
                                        ; =>  This Inner Loop Header: Depth=2
	s_and_b32 s12, s5, 24
	v_or_b32_e32 v57, s12, v81
	v_add_u32_e32 v58, s70, v57
	v_cmp_gt_u32_e32 vcc, 32, v58
	s_or_b64 s[8:9], s[8:9], exec
	s_and_saveexec_b64 s[10:11], vcc
	s_cbranch_execz .LBB81_28
; %bb.30:                               ;   in Loop: Header=BB81_29 Depth=2
	s_add_i32 s13, s16, 1
	s_set_gpr_idx_on s16, gpr_idx(SRC0)
	v_mov_b32_e32 v58, v0
	s_set_gpr_idx_off
	v_cvt_f16_f32_e32 v60, v58
	s_set_gpr_idx_on s13, gpr_idx(SRC0)
	v_mov_b32_e32 v58, v0
	s_set_gpr_idx_off
	v_cvt_f16_f32_sdwa v61, v58 dst_sel:WORD_1 dst_unused:UNUSED_PAD src0_sel:DWORD
	v_mul_lo_u32 v58, v57, s89
	v_ashrrev_i32_e32 v59, 31, v58
	v_lshl_add_u64 v[58:59], v[58:59], 1, v[54:55]
	v_or_b32_e32 v57, v61, v60
	;;#ASMSTART
	global_atomic_pk_add_f16 v[58:59], v57, off
	
	;;#ASMEND
	s_set_gpr_idx_on s16, gpr_idx(SRC0)
	v_mov_b32_e32 v57, v16
	s_set_gpr_idx_off
	v_cvt_f16_f32_e32 v57, v57
	s_set_gpr_idx_on s13, gpr_idx(SRC0)
	v_mov_b32_e32 v60, v16
	s_set_gpr_idx_off
	v_cvt_f16_f32_sdwa v85, v60 dst_sel:WORD_1 dst_unused:UNUSED_PAD src0_sel:DWORD
	v_lshl_add_u64 v[60:61], v[58:59], 0, 64
	v_lshl_add_u64 v[58:59], v[58:59], 0, s[20:21]
	s_mov_b64 s[14:15], -1
	v_or_b32_e32 v57, v85, v57
	;;#ASMSTART
	global_atomic_pk_add_f16 v[60:61], v57, off
	
	;;#ASMEND
	s_set_gpr_idx_on s16, gpr_idx(SRC0)
	v_mov_b32_e32 v57, v32
	s_set_gpr_idx_off
	v_cvt_f16_f32_e32 v57, v57
	s_set_gpr_idx_on s13, gpr_idx(SRC0)
	v_mov_b32_e32 v60, v32
	s_set_gpr_idx_off
	v_cvt_f16_f32_sdwa v60, v60 dst_sel:WORD_1 dst_unused:UNUSED_PAD src0_sel:DWORD
	s_nop 0
	v_or_b32_e32 v57, v60, v57
	;;#ASMSTART
	global_atomic_pk_add_f16 v[58:59], v57, off
	
	;;#ASMEND
	v_or_b32_e32 v57, s12, v82
	v_add_u32_e32 v58, s70, v57
	v_cmp_gt_u32_e32 vcc, 32, v58
	s_and_saveexec_b64 s[12:13], vcc
	s_cbranch_execz .LBB81_27
; %bb.31:                               ;   in Loop: Header=BB81_29 Depth=2
	s_add_i32 s14, s16, 2
	s_add_i32 s15, s16, 3
	s_set_gpr_idx_on s14, gpr_idx(SRC0)
	v_mov_b32_e32 v58, v0
	s_set_gpr_idx_off
	v_cvt_f16_f32_e32 v60, v58
	s_set_gpr_idx_on s15, gpr_idx(SRC0)
	v_mov_b32_e32 v58, v0
	s_set_gpr_idx_off
	v_cvt_f16_f32_sdwa v61, v58 dst_sel:WORD_1 dst_unused:UNUSED_PAD src0_sel:DWORD
	v_mul_lo_u32 v58, v57, s89
	v_ashrrev_i32_e32 v59, 31, v58
	v_lshl_add_u64 v[58:59], v[58:59], 1, v[54:55]
	v_or_b32_e32 v57, v61, v60
	;;#ASMSTART
	global_atomic_pk_add_f16 v[58:59], v57, off
	
	;;#ASMEND
	s_set_gpr_idx_on s14, gpr_idx(SRC0)
	v_mov_b32_e32 v57, v16
	s_set_gpr_idx_off
	v_cvt_f16_f32_e32 v57, v57
	s_set_gpr_idx_on s15, gpr_idx(SRC0)
	v_mov_b32_e32 v60, v16
	s_set_gpr_idx_off
	v_cvt_f16_f32_sdwa v85, v60 dst_sel:WORD_1 dst_unused:UNUSED_PAD src0_sel:DWORD
	v_lshl_add_u64 v[60:61], v[58:59], 0, 64
	s_add_i32 s16, s16, 4
	s_add_i32 s5, s5, 8
	v_or_b32_e32 v57, v85, v57
	;;#ASMSTART
	global_atomic_pk_add_f16 v[60:61], v57, off
	
	;;#ASMEND
	s_set_gpr_idx_on s14, gpr_idx(SRC0)
	v_mov_b32_e32 v57, v32
	s_set_gpr_idx_off
	v_cvt_f16_f32_e32 v57, v57
	s_set_gpr_idx_on s15, gpr_idx(SRC0)
	v_mov_b32_e32 v60, v32
	s_set_gpr_idx_off
	v_cvt_f16_f32_sdwa v60, v60 dst_sel:WORD_1 dst_unused:UNUSED_PAD src0_sel:DWORD
	s_cmp_eq_u32 s16, 16
	s_cselect_b64 s[14:15], -1, 0
	s_orn2_b64 s[14:15], s[14:15], exec
	v_lshl_add_u64 v[58:59], v[58:59], 0, s[20:21]
	v_or_b32_e32 v57, v60, v57
	;;#ASMSTART
	global_atomic_pk_add_f16 v[58:59], v57, off
	
	;;#ASMEND
	s_branch .LBB81_27
.LBB81_32:                              ;   in Loop: Header=BB81_7 Depth=1
	s_or_b64 exec, exec, s[6:7]
	v_readlane_b32 s16, v95, 2
	v_readlane_b32 s8, v95, 23
	;; [unrolled: 1-line block ×12, first 2 shown]
.LBB81_33:                              ;   in Loop: Header=BB81_7 Depth=1
	s_or_b64 exec, exec, s[8:9]
.LBB81_34:                              ;   in Loop: Header=BB81_7 Depth=1
	s_andn2_saveexec_b64 s[0:1], s[0:1]
	s_cbranch_execz .LBB81_43
; %bb.35:                               ;   in Loop: Header=BB81_7 Depth=1
	s_mul_i32 s12, s97, 3
	v_cmp_gt_i32_e32 vcc, s12, v84
	s_and_saveexec_b64 s[6:7], vcc
	s_cbranch_execz .LBB81_42
; %bb.36:                               ;   in Loop: Header=BB81_7 Depth=1
	s_mul_i32 s4, s4, s91
	s_ashr_i32 s5, s4, 31
	s_add_u32 s4, s18, s4
	s_addc_u32 s5, s19, s5
	s_ashr_i32 s8, s39, 31
	s_add_u32 s4, s4, s39
	s_addc_u32 s5, s5, s8
	v_lshl_add_u64 v[0:1], s[4:5], 0, v[52:53]
	v_lshl_add_u64 v[8:9], v[0:1], 0, v[50:51]
	s_mov_b64 s[4:5], 0
	s_branch .LBB81_38
.LBB81_37:                              ;   in Loop: Header=BB81_38 Depth=2
	s_or_b64 exec, exec, s[8:9]
	v_lshl_or_b32 v12, v10, 11, v77
	;;#ASMSTART
	s_waitcnt vmcnt(1)
	;;#ASMEND
	ds_write2_b32 v12, v4, v5 offset1:32
	ds_write2_b32 v12, v6, v7 offset0:64 offset1:96
	v_add_u32_e32 v4, 0x400, v12
	v_add_u32_e32 v84, s94, v84
	;;#ASMSTART
	s_waitcnt vmcnt(0)
	;;#ASMEND
	ds_write2_b32 v4, v0, v1 offset1:32
	ds_write2_b32 v4, v2, v3 offset0:64 offset1:96
	v_add_u32_e32 v0, 1, v63
	v_add_u32_e32 v56, s94, v10
	v_cmp_le_i32_e32 vcc, s12, v84
	ds_write_b32 v11, v0 offset:12
	v_add_u32_e32 v0, 2, v63
	s_or_b64 s[4:5], vcc, s[4:5]
	v_cmp_lt_i32_e32 vcc, 8, v56
	s_nop 1
	v_cndmask_b32_e32 v63, v63, v0, vcc
	s_andn2_b64 exec, exec, s[4:5]
	s_cbranch_execz .LBB81_41
.LBB81_38:                              ;   Parent Loop BB81_7 Depth=1
                                        ; =>  This Loop Header: Depth=2
                                        ;       Child Loop BB81_40 Depth 3
	v_cmp_gt_i32_e32 vcc, 9, v56
	s_mov_b32 s8, 0x55555556
	s_nop 0
	v_cndmask_b32_e64 v0, -9, 0, vcc
	v_add_u32_e32 v10, v0, v56
	v_mul_hi_i32 v0, v84, s8
	v_lshrrev_b32_e32 v1, 31, v0
	v_add_u32_e32 v0, v0, v1
	v_lshl_add_u32 v1, v0, 1, v0
	v_sub_u32_e32 v2, v84, v1
	v_lshlrev_b32_e32 v0, 6, v0
	v_ashrrev_i32_e32 v1, 31, v0
	v_mul_lo_u32 v2, s33, v2
	v_lshl_add_u64 v[0:1], v[8:9], 0, v[0:1]
	v_ashrrev_i32_e32 v3, 31, v2
	v_lshl_add_u64 v[0:1], v[0:1], 0, v[2:3]
	v_lshlrev_b32_e32 v11, 2, v10
	;;#ASMSTART
	global_load_dwordx4 v[4:7], v[0:1], off offset:0   sc0 sc1 nt  
	global_load_dwordx4 v[0:3], v[0:1], off offset:32  sc0 sc1 nt  
	
	;;#ASMEND
	ds_read_b32 v12, v11 offset:24588
	v_add_u32_e32 v11, 0x6000, v11
	s_waitcnt lgkmcnt(0)
	v_cmp_ne_u32_e32 vcc, v12, v63
	s_and_saveexec_b64 s[8:9], vcc
	s_cbranch_execz .LBB81_37
; %bb.39:                               ;   in Loop: Header=BB81_38 Depth=2
	s_mov_b64 s[10:11], 0
.LBB81_40:                              ;   Parent Loop BB81_7 Depth=1
                                        ;     Parent Loop BB81_38 Depth=2
                                        ; =>    This Inner Loop Header: Depth=3
	;;#ASMSTART
	s_sleep 0
	;;#ASMEND
	ds_read_b32 v12, v11 offset:12
	s_waitcnt lgkmcnt(0)
	v_cmp_eq_u32_e32 vcc, v12, v63
	s_or_b64 s[10:11], vcc, s[10:11]
	s_andn2_b64 exec, exec, s[10:11]
	s_cbranch_execnz .LBB81_40
	s_branch .LBB81_37
.LBB81_41:                              ;   in Loop: Header=BB81_7 Depth=1
	s_or_b64 exec, exec, s[4:5]
.LBB81_42:                              ;   in Loop: Header=BB81_7 Depth=1
	s_or_b64 exec, exec, s[6:7]
	v_subrev_u32_e32 v84, s12, v84
.LBB81_43:                              ;   in Loop: Header=BB81_7 Depth=1
	s_or_b64 exec, exec, s[0:1]
.LBB81_44:                              ;   in Loop: Header=BB81_7 Depth=1
	s_andn2_saveexec_b64 s[0:1], s[98:99]
	s_cbranch_execz .LBB81_6
; %bb.45:                               ;   in Loop: Header=BB81_7 Depth=1
	v_cmp_gt_i32_e32 vcc, s97, v84
	s_and_saveexec_b64 s[4:5], vcc
	s_cbranch_execz .LBB81_5
; %bb.46:                               ;   in Loop: Header=BB81_7 Depth=1
	s_mul_i32 s3, s3, s90
	s_ashr_i32 s6, s3, 31
	s_add_u32 s3, s16, s3
	s_addc_u32 s7, s17, s6
	s_ashr_i32 s8, s39, 31
	v_cmp_le_i32_e32 vcc, s71, v78
	s_add_u32 s6, s3, s39
	s_addc_u32 s7, s7, s8
	v_cndmask_b32_e32 v0, 0, v79, vcc
	v_ashrrev_i32_e32 v1, 31, v0
	v_lshl_add_u64 v[0:1], s[6:7], 0, v[0:1]
	v_lshl_add_u64 v[8:9], v[0:1], 0, v[50:51]
	s_mov_b64 s[6:7], 0
	s_branch .LBB81_48
.LBB81_47:                              ;   in Loop: Header=BB81_48 Depth=2
	s_or_b64 exec, exec, s[8:9]
	v_lshl_add_u32 v12, v10, 11, v80
	;;#ASMSTART
	s_waitcnt vmcnt(1)
	;;#ASMEND
	ds_write2_b32 v12, v4, v5 offset1:32
	ds_write2_b32 v12, v6, v7 offset0:64 offset1:96
	v_add_u32_e32 v4, 0x400, v12
	v_add_u32_e32 v84, s93, v84
	;;#ASMSTART
	s_waitcnt vmcnt(0)
	;;#ASMEND
	ds_write2_b32 v4, v0, v1 offset1:32
	ds_write2_b32 v4, v2, v3 offset0:64 offset1:96
	v_add_u32_e32 v0, 1, v63
	v_add_u32_e32 v56, s93, v10
	v_cmp_le_i32_e32 vcc, s97, v84
	ds_write_b32 v11, v0
	v_add_u32_e32 v0, 2, v63
	s_or_b64 s[6:7], vcc, s[6:7]
	v_cmp_lt_i32_e32 vcc, 2, v56
	s_nop 1
	v_cndmask_b32_e32 v63, v63, v0, vcc
	s_andn2_b64 exec, exec, s[6:7]
	s_cbranch_execz .LBB81_4
.LBB81_48:                              ;   Parent Loop BB81_7 Depth=1
                                        ; =>  This Loop Header: Depth=2
                                        ;       Child Loop BB81_50 Depth 3
	v_cmp_gt_i32_e32 vcc, 3, v56
	s_nop 1
	v_cndmask_b32_e64 v0, -3, 0, vcc
	v_add_u32_e32 v10, v0, v56
	v_lshlrev_b32_e32 v0, 6, v84
	v_ashrrev_i32_e32 v1, 31, v0
	v_lshl_add_u64 v[0:1], v[8:9], 0, v[0:1]
	v_lshlrev_b32_e32 v11, 2, v10
	;;#ASMSTART
	global_load_dwordx4 v[4:7], v[0:1], off offset:0   
	global_load_dwordx4 v[0:3], v[0:1], off offset:32  
	
	;;#ASMEND
	ds_read_b32 v12, v11 offset:24576
	v_add_u32_e32 v11, 0x6000, v11
	s_waitcnt lgkmcnt(0)
	v_cmp_ne_u32_e32 vcc, v12, v63
	s_and_saveexec_b64 s[8:9], vcc
	s_cbranch_execz .LBB81_47
; %bb.49:                               ;   in Loop: Header=BB81_48 Depth=2
	s_mov_b64 s[10:11], 0
.LBB81_50:                              ;   Parent Loop BB81_7 Depth=1
                                        ;     Parent Loop BB81_48 Depth=2
                                        ; =>    This Inner Loop Header: Depth=3
	;;#ASMSTART
	s_sleep 0
	;;#ASMEND
	ds_read_b32 v12, v11
	s_waitcnt lgkmcnt(0)
	v_cmp_eq_u32_e32 vcc, v12, v63
	s_or_b64 s[10:11], vcc, s[10:11]
	s_andn2_b64 exec, exec, s[10:11]
	s_cbranch_execnz .LBB81_50
	s_branch .LBB81_47
.LBB81_51:
	s_endpgm
	.section	.rodata,"a",@progbits
	.p2align	6, 0x0
	.amdhsa_kernel _Z19_skinny_gemm_kernelILi1ELi3ELi3ELi32ELi4EEvPKhS1_P6__halfPKfiiiiiiii
		.amdhsa_group_segment_fixed_size 24624
		.amdhsa_private_segment_fixed_size 0
		.amdhsa_kernarg_size 64
		.amdhsa_user_sgpr_count 2
		.amdhsa_user_sgpr_dispatch_ptr 0
		.amdhsa_user_sgpr_queue_ptr 0
		.amdhsa_user_sgpr_kernarg_segment_ptr 1
		.amdhsa_user_sgpr_dispatch_id 0
		.amdhsa_user_sgpr_kernarg_preload_length 0
		.amdhsa_user_sgpr_kernarg_preload_offset 0
		.amdhsa_user_sgpr_private_segment_size 0
		.amdhsa_uses_dynamic_stack 0
		.amdhsa_enable_private_segment 0
		.amdhsa_system_sgpr_workgroup_id_x 1
		.amdhsa_system_sgpr_workgroup_id_y 0
		.amdhsa_system_sgpr_workgroup_id_z 0
		.amdhsa_system_sgpr_workgroup_info 0
		.amdhsa_system_vgpr_workitem_id 0
		.amdhsa_next_free_vgpr 96
		.amdhsa_next_free_sgpr 100
		.amdhsa_accum_offset 96
		.amdhsa_reserve_vcc 1
		.amdhsa_float_round_mode_32 0
		.amdhsa_float_round_mode_16_64 0
		.amdhsa_float_denorm_mode_32 3
		.amdhsa_float_denorm_mode_16_64 3
		.amdhsa_dx10_clamp 1
		.amdhsa_ieee_mode 1
		.amdhsa_fp16_overflow 0
		.amdhsa_tg_split 0
		.amdhsa_exception_fp_ieee_invalid_op 0
		.amdhsa_exception_fp_denorm_src 0
		.amdhsa_exception_fp_ieee_div_zero 0
		.amdhsa_exception_fp_ieee_overflow 0
		.amdhsa_exception_fp_ieee_underflow 0
		.amdhsa_exception_fp_ieee_inexact 0
		.amdhsa_exception_int_div_zero 0
	.end_amdhsa_kernel
	.section	.text._Z19_skinny_gemm_kernelILi1ELi3ELi3ELi32ELi4EEvPKhS1_P6__halfPKfiiiiiiii,"axG",@progbits,_Z19_skinny_gemm_kernelILi1ELi3ELi3ELi32ELi4EEvPKhS1_P6__halfPKfiiiiiiii,comdat
.Lfunc_end81:
	.size	_Z19_skinny_gemm_kernelILi1ELi3ELi3ELi32ELi4EEvPKhS1_P6__halfPKfiiiiiiii, .Lfunc_end81-_Z19_skinny_gemm_kernelILi1ELi3ELi3ELi32ELi4EEvPKhS1_P6__halfPKfiiiiiiii
                                        ; -- End function
	.set _Z19_skinny_gemm_kernelILi1ELi3ELi3ELi32ELi4EEvPKhS1_P6__halfPKfiiiiiiii.num_vgpr, 96
	.set _Z19_skinny_gemm_kernelILi1ELi3ELi3ELi32ELi4EEvPKhS1_P6__halfPKfiiiiiiii.num_agpr, 0
	.set _Z19_skinny_gemm_kernelILi1ELi3ELi3ELi32ELi4EEvPKhS1_P6__halfPKfiiiiiiii.numbered_sgpr, 100
	.set _Z19_skinny_gemm_kernelILi1ELi3ELi3ELi32ELi4EEvPKhS1_P6__halfPKfiiiiiiii.num_named_barrier, 0
	.set _Z19_skinny_gemm_kernelILi1ELi3ELi3ELi32ELi4EEvPKhS1_P6__halfPKfiiiiiiii.private_seg_size, 0
	.set _Z19_skinny_gemm_kernelILi1ELi3ELi3ELi32ELi4EEvPKhS1_P6__halfPKfiiiiiiii.uses_vcc, 1
	.set _Z19_skinny_gemm_kernelILi1ELi3ELi3ELi32ELi4EEvPKhS1_P6__halfPKfiiiiiiii.uses_flat_scratch, 0
	.set _Z19_skinny_gemm_kernelILi1ELi3ELi3ELi32ELi4EEvPKhS1_P6__halfPKfiiiiiiii.has_dyn_sized_stack, 0
	.set _Z19_skinny_gemm_kernelILi1ELi3ELi3ELi32ELi4EEvPKhS1_P6__halfPKfiiiiiiii.has_recursion, 0
	.set _Z19_skinny_gemm_kernelILi1ELi3ELi3ELi32ELi4EEvPKhS1_P6__halfPKfiiiiiiii.has_indirect_call, 0
	.section	.AMDGPU.csdata,"",@progbits
; Kernel info:
; codeLenInByte = 11488
; TotalNumSgprs: 106
; NumVgprs: 96
; NumAgprs: 0
; TotalNumVgprs: 96
; ScratchSize: 0
; MemoryBound: 0
; FloatMode: 240
; IeeeMode: 1
; LDSByteSize: 24624 bytes/workgroup (compile time only)
; SGPRBlocks: 13
; VGPRBlocks: 11
; NumSGPRsForWavesPerEU: 106
; NumVGPRsForWavesPerEU: 96
; AccumOffset: 96
; Occupancy: 5
; WaveLimiterHint : 0
; COMPUTE_PGM_RSRC2:SCRATCH_EN: 0
; COMPUTE_PGM_RSRC2:USER_SGPR: 2
; COMPUTE_PGM_RSRC2:TRAP_HANDLER: 0
; COMPUTE_PGM_RSRC2:TGID_X_EN: 1
; COMPUTE_PGM_RSRC2:TGID_Y_EN: 0
; COMPUTE_PGM_RSRC2:TGID_Z_EN: 0
; COMPUTE_PGM_RSRC2:TIDIG_COMP_CNT: 0
; COMPUTE_PGM_RSRC3_GFX90A:ACCUM_OFFSET: 23
; COMPUTE_PGM_RSRC3_GFX90A:TG_SPLIT: 0
	.section	.text._Z19_skinny_gemm_kernelILi1ELi3ELi3ELi32ELi8EEvPKhS1_P6__halfPKfiiiiiiii,"axG",@progbits,_Z19_skinny_gemm_kernelILi1ELi3ELi3ELi32ELi8EEvPKhS1_P6__halfPKfiiiiiiii,comdat
	.protected	_Z19_skinny_gemm_kernelILi1ELi3ELi3ELi32ELi8EEvPKhS1_P6__halfPKfiiiiiiii ; -- Begin function _Z19_skinny_gemm_kernelILi1ELi3ELi3ELi32ELi8EEvPKhS1_P6__halfPKfiiiiiiii
	.globl	_Z19_skinny_gemm_kernelILi1ELi3ELi3ELi32ELi8EEvPKhS1_P6__halfPKfiiiiiiii
	.p2align	8
	.type	_Z19_skinny_gemm_kernelILi1ELi3ELi3ELi32ELi8EEvPKhS1_P6__halfPKfiiiiiiii,@function
_Z19_skinny_gemm_kernelILi1ELi3ELi3ELi32ELi8EEvPKhS1_P6__halfPKfiiiiiiii: ; @_Z19_skinny_gemm_kernelILi1ELi3ELi3ELi32ELi8EEvPKhS1_P6__halfPKfiiiiiiii
; %bb.0:
	v_cmp_gt_u32_e32 vcc, 12, v0
	s_and_saveexec_b64 s[4:5], vcc
; %bb.1:
	v_lshlrev_b32_e32 v1, 2, v0
	v_mov_b32_e32 v2, 0
	ds_write_b32 v1, v2 offset:49152
; %bb.2:
	s_or_b64 exec, exec, s[4:5]
	s_load_dwordx8 s[88:95], s[0:1], 0x20
	s_waitcnt lgkmcnt(0)
	s_barrier
	s_add_i32 s3, s88, 31
	s_ashr_i32 s5, s3, 31
	s_add_i32 s4, s89, 0x5f
	s_lshr_b32 s5, s5, 27
	s_mul_hi_i32 s4, s4, 0x2aaaaaab
	s_add_i32 s3, s3, s5
	s_ashr_i32 s14, s3, 5
	s_lshr_b32 s3, s4, 31
	s_ashr_i32 s4, s4, 4
	s_add_i32 s15, s4, s3
	s_mul_i32 s3, s15, s14
	s_mul_i32 s3, s3, s92
	s_add_i32 s4, s3, 0x12f
	s_mul_hi_i32 s4, s4, 0x6bca1af3
	s_lshr_b32 s5, s4, 31
	s_ashr_i32 s4, s4, 7
	s_add_i32 s4, s4, s5
	s_add_i32 s5, s2, 1
	s_mul_i32 s5, s4, s5
	v_cvt_f64_i32_e32 v[2:3], s3
	v_cvt_f64_u32_e32 v[4:5], s5
	v_min_f64 v[2:3], v[2:3], v[4:5]
	v_cvt_i32_f64_e32 v70, v[2:3]
	s_mul_i32 s2, s4, s2
	v_cmp_ge_i32_e32 vcc, s2, v70
	s_cbranch_vccnz .LBB82_51
; %bb.3:
	s_load_dwordx8 s[16:23], s[0:1], 0x0
	v_lshrrev_b32_e32 v1, 6, v0
	s_add_i32 s0, s94, s93
	v_cmp_le_i32_e64 s[24:25], s0, v1
	v_mov_b32_e32 v2, s93
	v_cmp_le_i32_e64 s[26:27], s93, v1
	v_mov_b32_e32 v3, s94
	v_cndmask_b32_e64 v3, 0, v3, s[24:25]
	v_cndmask_b32_e64 v2, 0, v2, s[26:27]
	s_abs_i32 s1, s92
	v_add_u32_e32 v2, v2, v3
	v_cvt_f32_u32_e32 v3, s1
	v_sub_u32_e32 v56, v1, v2
	s_ashr_i32 s3, s90, 31
	s_lshr_b32 s3, s3, 25
	v_rcp_iflag_f32_e32 v2, v3
	s_sub_i32 s6, 0, s1
	s_add_i32 s3, s90, s3
	s_ashr_i32 s3, s3, 7
	v_mul_f32_e32 v2, 0x4f7ffffe, v2
	v_cvt_u32_f32_e32 v2, v2
	s_abs_i32 s5, s3
	s_xor_b32 s4, s3, s92
	s_ashr_i32 s4, s4, 31
	v_readfirstlane_b32 s7, v2
	s_mul_i32 s6, s6, s7
	s_mul_hi_u32 s6, s7, s6
	s_add_i32 s7, s7, s6
	s_mul_hi_u32 s6, s5, s7
	s_mul_i32 s7, s6, s1
	s_sub_i32 s5, s5, s7
	s_add_i32 s7, s6, 1
	s_sub_i32 s8, s5, s1
	s_cmp_ge_u32 s5, s1
	s_cselect_b32 s6, s7, s6
	s_cselect_b32 s5, s8, s5
	s_add_i32 s7, s6, 1
	s_cmp_ge_u32 s5, s1
	v_lshrrev_b32_e32 v2, 3, v0
	v_lshrrev_b32_e32 v7, 1, v0
	s_cselect_b32 s1, s7, s6
	s_add_i32 s0, s0, s95
	v_and_b32_e32 v72, 31, v0
	v_and_b32_e32 v3, 4, v2
	;; [unrolled: 1-line block ×3, first 2 shown]
	v_lshlrev_b32_e32 v7, 4, v0
	s_add_i32 s29, s92, -1
	v_cmp_gt_i32_e64 s[34:35], s0, v1
	v_lshlrev_b32_e32 v1, 2, v72
	v_lshlrev_b32_e32 v2, 6, v3
	v_and_b32_e32 v7, 0x200, v7
	s_abs_i32 s92, s14
                                        ; implicit-def: $vgpr102 : SGPR spill to VGPR lane
	v_or_b32_e32 v4, 0x9000, v1
	v_or_b32_e32 v74, v1, v2
	v_and_b32_e32 v5, 1, v0
	v_or_b32_e32 v85, v1, v7
	v_cvt_f32_u32_e32 v1, s92
	v_writelane_b32 v102, s14, 0
	v_or_b32_e32 v73, v4, v2
	v_lshlrev_b32_e32 v2, 1, v5
	v_writelane_b32 v102, s15, 1
	v_sub_u32_e32 v2, v0, v2
	s_waitcnt lgkmcnt(0)
	v_writelane_b32 v102, s16, 2
	v_add_u32_e32 v2, 1, v2
	v_and_b32_e32 v6, 63, v2
	v_writelane_b32 v102, s17, 3
	v_bitop3_b32 v75, v0, 1, v0 bitop3:0xc
	v_bitop3_b32 v76, v0, 3, 1 bitop3:0x6c
	;; [unrolled: 1-line block ×8, first 2 shown]
	v_and_b32_e32 v2, 30, v0
	v_bitop3_b32 v86, v0, 31, v0 bitop3:0xc
	v_rcp_iflag_f32_e32 v0, v1
	s_abs_i32 s96, s15
	v_writelane_b32 v102, s18, 4
	v_cvt_f32_u32_e32 v1, s96
	v_writelane_b32 v102, s19, 5
	v_writelane_b32 v102, s20, 6
	;; [unrolled: 1-line block ×3, first 2 shown]
	v_mul_f32_e32 v0, 0x4f7ffffe, v0
	v_writelane_b32 v102, s22, 8
	v_cvt_u32_f32_e32 v0, v0
	v_rcp_iflag_f32_e32 v1, v1
	v_writelane_b32 v102, s23, 9
	v_cndmask_b32_e64 v71, 0, 1, s[24:25]
	s_xor_b32 s1, s1, s4
	v_writelane_b32 v102, s24, 10
	s_sub_i32 s28, s1, s4
	s_mul_i32 s1, s28, s29
	v_writelane_b32 v102, s25, 11
	v_writelane_b32 v102, s26, 12
	s_sub_i32 s30, s3, s1
	v_readfirstlane_b32 s1, v0
	v_mul_f32_e32 v0, 0x4f7ffffe, v1
	v_writelane_b32 v102, s27, 13
	v_cvt_u32_f32_e32 v0, v0
	v_writelane_b32 v102, s28, 14
	s_sub_i32 s0, 0, s92
	v_writelane_b32 v102, s29, 15
	s_mul_i32 s0, s0, s1
	v_writelane_b32 v102, s30, 16
	s_mul_hi_u32 s0, s1, s0
	v_writelane_b32 v102, s34, 17
	s_ashr_i32 s31, s14, 31
	s_add_i32 s36, s1, s0
	s_sub_i32 s0, 0, s96
	v_readfirstlane_b32 s1, v0
	v_mbcnt_lo_u32_b32 v0, -1, 0
	v_writelane_b32 v102, s35, 18
	s_mul_i32 s0, s0, s1
	v_mbcnt_hi_u32_b32 v0, -1, v0
	v_writelane_b32 v102, s31, 19
	v_mov_b32_e32 v49, 0
	v_mul_lo_u32 v52, s91, v72
	v_or_b32_e32 v89, v5, v3
	s_ashr_i32 s37, s15, 31
	s_mul_hi_u32 s0, s1, s0
	v_and_or_b32 v0, v0, 64, v6
	v_writelane_b32 v102, s36, 20
	v_or_b32_e32 v83, 32, v72
	v_or_b32_e32 v84, 64, v72
	v_ashrrev_i32_e32 v53, 31, v52
	v_mov_b32_e32 v51, v49
	s_lshl_b32 s33, s91, 5
	v_mul_lo_u32 v87, s90, v72
	v_or_b32_e32 v88, v4, v7
	v_or_b32_e32 v90, 2, v89
	s_add_i32 s38, s1, s0
	v_lshlrev_b32_e32 v48, 1, v2
	v_lshlrev_b32_e32 v91, 2, v0
	v_mov_b32_e32 v92, v56
	v_writelane_b32 v102, s37, 21
	v_writelane_b32 v102, s38, 22
	s_branch .LBB82_7
.LBB82_4:                               ;   in Loop: Header=BB82_7 Depth=1
	s_or_b64 exec, exec, s[6:7]
.LBB82_5:                               ;   in Loop: Header=BB82_7 Depth=1
	s_or_b64 exec, exec, s[4:5]
	v_subrev_u32_e32 v92, s97, v92
.LBB82_6:                               ;   in Loop: Header=BB82_7 Depth=1
	s_or_b64 exec, exec, s[0:1]
	s_add_i32 s2, s2, 1
	v_cmp_ge_i32_e32 vcc, s2, v70
	s_cbranch_vccnz .LBB82_51
.LBB82_7:                               ; =>This Loop Header: Depth=1
                                        ;     Child Loop BB82_13 Depth 2
                                        ;       Child Loop BB82_15 Depth 3
                                        ;       Child Loop BB82_18 Depth 3
	;; [unrolled: 1-line block ×4, first 2 shown]
                                        ;     Child Loop BB82_29 Depth 2
                                        ;     Child Loop BB82_38 Depth 2
                                        ;       Child Loop BB82_40 Depth 3
                                        ;     Child Loop BB82_48 Depth 2
                                        ;       Child Loop BB82_50 Depth 3
	s_abs_i32 s1, s2
	s_mul_hi_u32 s3, s1, s36
	s_mul_i32 s4, s3, s92
	s_ashr_i32 s0, s2, 31
	s_sub_i32 s1, s1, s4
	s_xor_b32 s0, s0, s31
	s_add_i32 s4, s3, 1
	s_sub_i32 s5, s1, s92
	s_cmp_ge_u32 s1, s92
	s_cselect_b32 s3, s4, s3
	s_cselect_b32 s1, s5, s1
	s_add_i32 s4, s3, 1
	s_cmp_ge_u32 s1, s92
	s_cselect_b32 s1, s4, s3
	s_xor_b32 s1, s1, s0
	s_sub_i32 s0, s1, s0
	s_abs_i32 s4, s0
	s_mul_i32 s1, s0, s14
	s_mul_hi_u32 s5, s4, s38
	s_sub_i32 s1, s2, s1
	s_mul_i32 s6, s5, s96
	s_lshl_b32 s3, s1, 5
	s_ashr_i32 s1, s0, 31
	s_sub_i32 s4, s4, s6
	s_xor_b32 s1, s1, s37
	s_add_i32 s6, s5, 1
	s_sub_i32 s7, s4, s96
	s_cmp_ge_u32 s4, s96
	s_cselect_b32 s5, s6, s5
	s_cselect_b32 s4, s7, s4
	s_add_i32 s6, s5, 1
	s_cmp_ge_u32 s4, s96
	s_cselect_b32 s4, s6, s5
	s_xor_b32 s4, s4, s1
	s_sub_i32 s1, s4, s1
	s_mul_i32 s4, s1, s28
	s_lshl_b32 s39, s4, 7
	s_cmp_eq_u32 s1, s29
	s_cselect_b32 s97, s30, s28
	s_sub_i32 s4, s3, s88
	s_add_i32 s61, s4, 32
	s_and_saveexec_b64 s[4:5], s[26:27]
	s_xor_b64 s[98:99], exec, s[4:5]
	s_cbranch_execz .LBB82_44
; %bb.8:                                ;   in Loop: Header=BB82_7 Depth=1
	s_mul_i32 s1, s1, s15
	s_sub_i32 s0, s0, s1
	s_mulk_i32 s0, 0x60
	s_sub_i32 s70, s0, s89
	s_addk_i32 s70, 0x60
	s_max_i32 s1, s70, 0
	s_sub_i32 s4, s0, s1
	s_and_saveexec_b64 s[0:1], s[24:25]
	s_xor_b64 s[0:1], exec, s[0:1]
	s_cbranch_execz .LBB82_34
; %bb.9:                                ;   in Loop: Header=BB82_7 Depth=1
	s_and_saveexec_b64 s[8:9], s[34:35]
	s_cbranch_execz .LBB82_33
; %bb.10:                               ;   in Loop: Header=BB82_7 Depth=1
	global_load_dword v93, v49, s[22:23]
	v_mov_b32_e32 v47, 0
	v_writelane_b32 v102, s8, 23
	v_cmp_gt_i32_e32 vcc, s97, v92
	v_mov_b32_e32 v46, v47
	v_mov_b32_e32 v45, v47
	;; [unrolled: 1-line block ×47, first 2 shown]
	v_writelane_b32 v102, s9, 24
	s_and_saveexec_b64 s[6:7], vcc
	s_cbranch_execz .LBB82_26
; %bb.11:                               ;   in Loop: Header=BB82_7 Depth=1
	v_mov_b32_e32 v0, 0
	s_mov_b64 s[8:9], 0
	v_mov_b32_e32 v1, v0
	v_mov_b32_e32 v2, v0
	;; [unrolled: 1-line block ×47, first 2 shown]
	s_branch .LBB82_13
.LBB82_12:                              ;   in Loop: Header=BB82_13 Depth=2
	s_or_b64 exec, exec, s[10:11]
	v_add_u32_e32 v100, 0x2000, v97
	ds_read2_b32 v[98:99], v100 offset1:32
	v_add_u32_e32 v92, s95, v92
	s_waitcnt lgkmcnt(0)
	v_mfma_f32_32x32x16_fp8_fp8 v[0:15], v[68:69], v[98:99], v[0:15]
	ds_read2_b32 v[68:69], v100 offset0:128 offset1:160
	s_waitcnt lgkmcnt(0)
	v_mfma_f32_32x32x16_fp8_fp8 v[0:15], v[66:67], v[68:69], v[0:15]
	v_add_u32_e32 v68, 0x2400, v97
	ds_read2_b32 v[66:67], v68 offset1:32
	s_waitcnt lgkmcnt(0)
	v_mfma_f32_32x32x16_fp8_fp8 v[0:15], v[64:65], v[66:67], v[0:15]
	ds_read2_b32 v[64:65], v68 offset0:128 offset1:160
	s_waitcnt lgkmcnt(0)
	v_mfma_f32_32x32x16_fp8_fp8 v[0:15], v[62:63], v[64:65], v[0:15]
	v_add_u32_e32 v64, 0x2800, v97
	ds_read2_b32 v[62:63], v64 offset1:32
	;; [unrolled: 7-line block ×3, first 2 shown]
	ds_read2_b32 v[60:61], v60 offset0:128 offset1:160
	ds_write_b32 v95, v96 offset:49172
	s_waitcnt lgkmcnt(2)
	v_mfma_f32_32x32x16_fp8_fp8 v[0:15], v[56:57], v[58:59], v[0:15]
	v_add_u32_e32 v56, s95, v94
	v_add_u32_e32 v57, 2, v71
	v_cmp_lt_i32_e32 vcc, 2, v56
	s_nop 1
	v_cndmask_b32_e32 v71, v71, v57, vcc
	v_cmp_le_i32_e32 vcc, s97, v92
	s_waitcnt lgkmcnt(1)
	v_mfma_f32_32x32x16_fp8_fp8 v[0:15], v[54:55], v[60:61], v[0:15]
	s_or_b64 s[8:9], vcc, s[8:9]
	s_andn2_b64 exec, exec, s[8:9]
	s_cbranch_execz .LBB82_25
.LBB82_13:                              ;   Parent Loop BB82_7 Depth=1
                                        ; =>  This Loop Header: Depth=2
                                        ;       Child Loop BB82_15 Depth 3
                                        ;       Child Loop BB82_18 Depth 3
	;; [unrolled: 1-line block ×4, first 2 shown]
	v_cmp_gt_i32_e32 vcc, 3, v56
	s_nop 1
	v_cndmask_b32_e64 v54, -3, 0, vcc
	v_add_u32_e32 v94, v54, v56
	v_mul_lo_u32 v95, v94, 24
	ds_read_b32 v54, v95 offset:49152
	s_waitcnt lgkmcnt(0)
	v_cmp_ne_u32_e32 vcc, v54, v71
	s_and_saveexec_b64 s[10:11], vcc
	s_cbranch_execz .LBB82_16
; %bb.14:                               ;   in Loop: Header=BB82_13 Depth=2
	s_mov_b64 s[12:13], 0
.LBB82_15:                              ;   Parent Loop BB82_7 Depth=1
                                        ;     Parent Loop BB82_13 Depth=2
                                        ; =>    This Inner Loop Header: Depth=3
	;;#ASMSTART
	s_sleep 0
	;;#ASMEND
	ds_read_b32 v54, v95 offset:49152
	s_waitcnt lgkmcnt(0)
	v_cmp_eq_u32_e32 vcc, v54, v71
	s_or_b64 s[12:13], vcc, s[12:13]
	s_andn2_b64 exec, exec, s[12:13]
	s_cbranch_execnz .LBB82_15
.LBB82_16:                              ;   in Loop: Header=BB82_13 Depth=2
	s_or_b64 exec, exec, s[10:11]
	v_lshl_add_u32 v54, v94, 12, v73
	v_add_u32_e32 v55, 0x400, v54
	ds_read2_b32 v[68:69], v54 offset1:32
	ds_read2_b32 v[66:67], v54 offset0:128 offset1:160
	ds_read2_b32 v[64:65], v55 offset1:32
	ds_read2_b32 v[62:63], v55 offset0:128 offset1:160
	v_add_u32_e32 v55, 0x800, v54
	v_add_u32_e32 v54, 0xc00, v54
	ds_read2_b32 v[60:61], v55 offset1:32
	ds_read2_b32 v[58:59], v55 offset0:128 offset1:160
	ds_read2_b32 v[56:57], v54 offset1:32
	ds_read_b32 v97, v95 offset:49156
	ds_read2_b32 v[54:55], v54 offset0:128 offset1:160
	v_add_u32_e32 v96, 1, v71
	ds_write_b32 v95, v96 offset:49152
	s_waitcnt lgkmcnt(2)
	v_cmp_ne_u32_e32 vcc, v97, v71
	s_and_saveexec_b64 s[10:11], vcc
	s_cbranch_execz .LBB82_19
; %bb.17:                               ;   in Loop: Header=BB82_13 Depth=2
	s_mov_b64 s[12:13], 0
.LBB82_18:                              ;   Parent Loop BB82_7 Depth=1
                                        ;     Parent Loop BB82_13 Depth=2
                                        ; =>    This Inner Loop Header: Depth=3
	;;#ASMSTART
	s_sleep 0
	;;#ASMEND
	ds_read_b32 v97, v95 offset:49156
	s_waitcnt lgkmcnt(0)
	v_cmp_eq_u32_e32 vcc, v97, v71
	s_or_b64 s[12:13], vcc, s[12:13]
	s_andn2_b64 exec, exec, s[12:13]
	s_cbranch_execnz .LBB82_18
.LBB82_19:                              ;   in Loop: Header=BB82_13 Depth=2
	s_or_b64 exec, exec, s[10:11]
	s_movk_i32 s5, 0x3000
	v_mul_lo_u32 v97, v94, s5
	v_or_b32_e32 v100, v74, v97
	ds_read2_b32 v[98:99], v100 offset1:32
	v_add_u32_e32 v101, 0x400, v100
	ds_write_b32 v95, v96 offset:49156
	s_waitcnt lgkmcnt(1)
	v_mfma_f32_32x32x16_fp8_fp8 v[32:47], v[68:69], v[98:99], v[32:47]
	ds_read2_b32 v[98:99], v100 offset0:128 offset1:160
	s_waitcnt lgkmcnt(0)
	v_mfma_f32_32x32x16_fp8_fp8 v[32:47], v[66:67], v[98:99], v[32:47]
	ds_read2_b32 v[98:99], v101 offset1:32
	s_waitcnt lgkmcnt(0)
	v_mfma_f32_32x32x16_fp8_fp8 v[32:47], v[64:65], v[98:99], v[32:47]
	ds_read2_b32 v[98:99], v101 offset0:128 offset1:160
	v_add_u32_e32 v101, 0x800, v100
	v_add_u32_e32 v100, 0xc00, v100
	s_waitcnt lgkmcnt(0)
	v_mfma_f32_32x32x16_fp8_fp8 v[32:47], v[62:63], v[98:99], v[32:47]
	ds_read2_b32 v[98:99], v101 offset1:32
	s_waitcnt lgkmcnt(0)
	v_mfma_f32_32x32x16_fp8_fp8 v[32:47], v[60:61], v[98:99], v[32:47]
	ds_read2_b32 v[98:99], v101 offset0:128 offset1:160
	s_waitcnt lgkmcnt(0)
	v_mfma_f32_32x32x16_fp8_fp8 v[32:47], v[58:59], v[98:99], v[32:47]
	ds_read2_b32 v[98:99], v100 offset1:32
	s_waitcnt lgkmcnt(0)
	v_mfma_f32_32x32x16_fp8_fp8 v[32:47], v[56:57], v[98:99], v[32:47]
	ds_read2_b32 v[98:99], v100 offset0:128 offset1:160
	ds_read_b32 v100, v95 offset:49164
	s_waitcnt lgkmcnt(0)
	v_cmp_ne_u32_e32 vcc, v100, v71
	v_mfma_f32_32x32x16_fp8_fp8 v[32:47], v[54:55], v[98:99], v[32:47]
	s_and_saveexec_b64 s[10:11], vcc
	s_cbranch_execz .LBB82_22
; %bb.20:                               ;   in Loop: Header=BB82_13 Depth=2
	s_mov_b64 s[12:13], 0
.LBB82_21:                              ;   Parent Loop BB82_7 Depth=1
                                        ;     Parent Loop BB82_13 Depth=2
                                        ; =>    This Inner Loop Header: Depth=3
	;;#ASMSTART
	s_sleep 0
	;;#ASMEND
	ds_read_b32 v98, v95 offset:49164
	s_waitcnt lgkmcnt(0)
	v_cmp_eq_u32_e32 vcc, v98, v71
	s_or_b64 s[12:13], vcc, s[12:13]
	s_andn2_b64 exec, exec, s[12:13]
	s_cbranch_execnz .LBB82_21
.LBB82_22:                              ;   in Loop: Header=BB82_13 Depth=2
	s_or_b64 exec, exec, s[10:11]
	v_add_u32_e32 v97, v74, v97
	v_add_u32_e32 v100, 0x1000, v97
	ds_read2_b32 v[98:99], v100 offset1:32
	ds_write_b32 v95, v96 offset:49164
	s_waitcnt lgkmcnt(1)
	v_mfma_f32_32x32x16_fp8_fp8 v[16:31], v[68:69], v[98:99], v[16:31]
	ds_read2_b32 v[98:99], v100 offset0:128 offset1:160
	v_add_u32_e32 v100, 0x1400, v97
	s_waitcnt lgkmcnt(0)
	v_mfma_f32_32x32x16_fp8_fp8 v[16:31], v[66:67], v[98:99], v[16:31]
	ds_read2_b32 v[98:99], v100 offset1:32
	s_waitcnt lgkmcnt(0)
	v_mfma_f32_32x32x16_fp8_fp8 v[16:31], v[64:65], v[98:99], v[16:31]
	ds_read2_b32 v[98:99], v100 offset0:128 offset1:160
	v_add_u32_e32 v100, 0x1800, v97
	s_waitcnt lgkmcnt(0)
	v_mfma_f32_32x32x16_fp8_fp8 v[16:31], v[62:63], v[98:99], v[16:31]
	ds_read2_b32 v[98:99], v100 offset1:32
	;; [unrolled: 7-line block ×3, first 2 shown]
	s_waitcnt lgkmcnt(0)
	v_mfma_f32_32x32x16_fp8_fp8 v[16:31], v[56:57], v[98:99], v[16:31]
	ds_read2_b32 v[98:99], v100 offset0:128 offset1:160
	ds_read_b32 v100, v95 offset:49172
	s_waitcnt lgkmcnt(0)
	v_cmp_ne_u32_e32 vcc, v100, v71
	v_mfma_f32_32x32x16_fp8_fp8 v[16:31], v[54:55], v[98:99], v[16:31]
	s_and_saveexec_b64 s[10:11], vcc
	s_cbranch_execz .LBB82_12
; %bb.23:                               ;   in Loop: Header=BB82_13 Depth=2
	s_mov_b64 s[12:13], 0
.LBB82_24:                              ;   Parent Loop BB82_7 Depth=1
                                        ;     Parent Loop BB82_13 Depth=2
                                        ; =>    This Inner Loop Header: Depth=3
	;;#ASMSTART
	s_sleep 0
	;;#ASMEND
	ds_read_b32 v98, v95 offset:49172
	s_waitcnt lgkmcnt(0)
	v_cmp_eq_u32_e32 vcc, v98, v71
	s_or_b64 s[12:13], vcc, s[12:13]
	s_andn2_b64 exec, exec, s[12:13]
	s_cbranch_execnz .LBB82_24
	s_branch .LBB82_12
.LBB82_25:                              ;   in Loop: Header=BB82_7 Depth=1
	s_or_b64 exec, exec, s[8:9]
.LBB82_26:                              ;   in Loop: Header=BB82_7 Depth=1
	v_writelane_b32 v102, s61, 25
	v_writelane_b32 v102, s39, 26
	s_or_b64 exec, exec, s[6:7]
	v_cmp_le_i32_e32 vcc, s70, v72
	v_cmp_eq_u32_e64 s[60:61], 1, v75
	v_cmp_eq_u32_e64 s[38:39], 2, v75
	s_waitcnt vmcnt(0)
	v_cndmask_b32_e32 v54, 0, v93, vcc
	v_pk_mul_f32 v[32:33], v[54:55], v[32:33] op_sel_hi:[0,1]
	v_pk_mul_f32 v[46:47], v[54:55], v[46:47] op_sel_hi:[0,1]
	;; [unrolled: 1-line block ×8, first 2 shown]
	v_cndmask_b32_e64 v54, v32, v33, s[60:61]
	v_cndmask_b32_e64 v54, v54, v34, s[38:39]
	v_cmp_eq_u32_e64 s[40:41], 3, v75
	v_cmp_eq_u32_e64 s[42:43], 4, v75
	v_cmp_eq_u32_e64 s[44:45], 5, v75
	v_cndmask_b32_e64 v54, v54, v35, s[40:41]
	v_cndmask_b32_e64 v54, v54, v36, s[42:43]
	v_cndmask_b32_e64 v54, v54, v37, s[44:45]
	v_cmp_eq_u32_e64 s[46:47], 6, v75
	v_cmp_eq_u32_e64 s[48:49], 7, v75
	v_cmp_eq_u32_e64 s[50:51], 8, v75
	v_cndmask_b32_e64 v54, v54, v38, s[46:47]
	;; [unrolled: 6-line block ×4, first 2 shown]
	v_cndmask_b32_e64 v54, v54, v45, s[62:63]
	v_cndmask_b32_e64 v54, v54, v46, s[64:65]
	v_cmp_eq_u32_e64 s[66:67], 15, v75
	s_mul_i32 s6, s3, s89
	s_ashr_i32 s7, s6, 31
	v_cndmask_b32_e64 v54, v54, v47, s[66:67]
	ds_bpermute_b32 v54, v91, v54
	s_lshl_b64 s[6:7], s[6:7], 1
	v_cmp_eq_u32_e64 s[34:35], 0, v75
	s_add_u32 s68, s20, s6
	v_cmp_eq_u32_e32 vcc, 1, v76
	s_waitcnt lgkmcnt(0)
	v_cndmask_b32_e64 v47, v47, v54, s[66:67]
	v_cndmask_b32_e64 v46, v46, v54, s[64:65]
	;; [unrolled: 1-line block ×16, first 2 shown]
	s_addc_u32 s69, s21, s7
	v_cndmask_b32_e32 v32, v54, v33, vcc
	v_cmp_eq_u32_e64 s[6:7], 2, v76
	v_cmp_eq_u32_e64 s[8:9], 3, v76
	;; [unrolled: 1-line block ×3, first 2 shown]
	v_cndmask_b32_e64 v32, v32, v63, s[6:7]
	v_cndmask_b32_e64 v32, v32, v62, s[8:9]
	;; [unrolled: 1-line block ×3, first 2 shown]
	v_cmp_eq_u32_e64 s[12:13], 5, v76
	v_cmp_eq_u32_e64 s[14:15], 6, v76
	;; [unrolled: 1-line block ×3, first 2 shown]
	v_cndmask_b32_e64 v32, v32, v60, s[12:13]
	v_cndmask_b32_e64 v32, v32, v59, s[14:15]
	;; [unrolled: 1-line block ×3, first 2 shown]
	v_cmp_eq_u32_e64 s[18:19], 8, v76
	v_cmp_eq_u32_e64 s[20:21], 9, v76
	;; [unrolled: 1-line block ×3, first 2 shown]
	v_cndmask_b32_e64 v32, v32, v57, s[18:19]
	v_cndmask_b32_e64 v32, v32, v41, s[20:21]
	s_ashr_i32 s5, s4, 31
	v_cndmask_b32_e64 v32, v32, v42, s[22:23]
	v_cmp_eq_u32_e64 s[24:25], 11, v76
	s_lshl_b64 s[36:37], s[4:5], 1
	v_cmp_eq_u32_e64 s[26:27], 12, v76
	v_cndmask_b32_e64 v32, v32, v43, s[24:25]
	s_add_u32 s36, s68, s36
	v_cndmask_b32_e64 v32, v32, v44, s[26:27]
	v_cmp_eq_u32_e64 s[28:29], 13, v76
	s_addc_u32 s37, s69, s37
	v_cmp_eq_u32_e64 s[30:31], 14, v76
	v_cndmask_b32_e64 v32, v32, v45, s[28:29]
	v_writelane_b32 v102, s36, 27
	v_cndmask_b32_e64 v32, v32, v46, s[30:31]
	v_cmp_le_i32_e64 s[68:69], s70, v83
	v_writelane_b32 v102, s37, 28
	v_cmp_eq_u32_e64 s[36:37], 15, v76
	v_cmp_eq_u32_e64 s[72:73], 11, v77
	;; [unrolled: 1-line block ×3, first 2 shown]
	v_cndmask_b32_e64 v32, v32, v47, s[36:37]
	ds_bpermute_b32 v55, v91, v32
	v_cndmask_b32_e64 v32, 0, v93, s[68:69]
	v_cmp_le_i32_e64 s[68:69], s70, v84
	v_cmp_eq_u32_e64 s[78:79], 14, v77
	v_cmp_eq_u32_e64 s[70:71], 8, v78
	s_waitcnt lgkmcnt(0)
	v_cndmask_b32_e64 v39, v42, v55, s[22:23]
	v_cndmask_b32_e64 v42, v58, v55, s[16:17]
	v_cndmask_b32_e32 v33, v33, v55, vcc
	v_cndmask_b32_e64 v58, 0, v93, s[68:69]
	v_pk_mul_f32 v[16:17], v[32:33], v[16:17] op_sel_hi:[0,1]
	v_pk_mul_f32 v[0:1], v[58:59], v[0:1] op_sel_hi:[0,1]
	v_cndmask_b32_e64 v36, v45, v55, s[28:29]
	v_cndmask_b32_e64 v37, v44, v55, s[26:27]
	;; [unrolled: 1-line block ×4, first 2 shown]
	v_pk_mul_f32 v[30:31], v[32:33], v[30:31] op_sel_hi:[0,1]
	v_pk_mul_f32 v[28:29], v[32:33], v[28:29] op_sel_hi:[0,1]
	;; [unrolled: 1-line block ×7, first 2 shown]
	v_cndmask_b32_e64 v32, v16, v17, s[60:61]
	v_pk_mul_f32 v[60:61], v[58:59], v[2:3] op_sel_hi:[0,1]
	v_cndmask_b32_e64 v2, v0, v1, s[60:61]
	v_cndmask_b32_e64 v32, v32, v18, s[38:39]
	v_cndmask_b32_e64 v2, v2, v60, s[38:39]
	v_cndmask_b32_e64 v32, v32, v19, s[40:41]
	v_pk_mul_f32 v[4:5], v[58:59], v[4:5] op_sel_hi:[0,1]
	v_cndmask_b32_e64 v2, v2, v61, s[40:41]
	v_cndmask_b32_e64 v32, v32, v20, s[42:43]
	v_cndmask_b32_e64 v2, v2, v4, s[42:43]
	;; [unrolled: 5-line block ×7, first 2 shown]
	v_cndmask_b32_e64 v32, v32, v31, s[66:67]
	v_cndmask_b32_e64 v2, v2, v15, s[66:67]
	ds_bpermute_b32 v32, v91, v32
	ds_bpermute_b32 v3, v91, v2
	v_cndmask_b32_e64 v40, v41, v55, s[20:21]
	v_cndmask_b32_e64 v41, v57, v55, s[18:19]
	v_cmp_eq_u32_e64 s[68:69], 0, v76
	s_waitcnt lgkmcnt(1)
	v_cndmask_b32_e64 v18, v18, v32, s[38:39]
	s_waitcnt lgkmcnt(0)
	v_cndmask_b32_e64 v57, v60, v3, s[38:39]
	v_cmp_ne_u32_e64 s[38:39], 0, v75
	v_cndmask_b32_e64 v54, v54, v55, s[68:69]
	v_cndmask_b32_e64 v2, v17, v32, s[60:61]
	v_cmp_eq_u32_e64 s[60:61], 1, v77
	v_cndmask_b32_e64 v1, v1, v3, s[38:39]
	v_cndmask_b32_e64 v16, v16, v32, s[34:35]
	;; [unrolled: 1-line block ×12, first 2 shown]
	v_cmp_eq_u32_e64 s[66:67], 2, v77
	v_cndmask_b32_e64 v30, v30, v32, s[64:65]
	v_cndmask_b32_e64 v14, v14, v3, s[64:65]
	v_cndmask_b32_e64 v29, v29, v32, s[62:63]
	v_cndmask_b32_e64 v13, v13, v3, s[62:63]
	v_cndmask_b32_e64 v28, v28, v32, s[58:59]
	v_cndmask_b32_e64 v12, v12, v3, s[58:59]
	v_cndmask_b32_e64 v27, v27, v32, s[56:57]
	v_cndmask_b32_e64 v11, v11, v3, s[56:57]
	v_cndmask_b32_e64 v26, v26, v32, s[54:55]
	v_cndmask_b32_e64 v10, v10, v3, s[54:55]
	v_cndmask_b32_e64 v25, v25, v32, s[52:53]
	v_cndmask_b32_e64 v9, v9, v3, s[52:53]
	v_cndmask_b32_e64 v24, v24, v32, s[50:51]
	v_cndmask_b32_e64 v8, v8, v3, s[50:51]
	v_cndmask_b32_e64 v23, v23, v32, s[48:49]
	v_cndmask_b32_e64 v7, v7, v3, s[48:49]
	v_cndmask_b32_e64 v22, v22, v32, s[46:47]
	v_cndmask_b32_e64 v6, v6, v3, s[46:47]
	v_cndmask_b32_e64 v21, v21, v32, s[44:45]
	v_cndmask_b32_e64 v5, v5, v3, s[44:45]
	v_cndmask_b32_e64 v20, v20, v32, s[42:43]
	v_cndmask_b32_e64 v4, v4, v3, s[42:43]
	v_cndmask_b32_e64 v19, v19, v32, s[40:41]
	v_cndmask_b32_e64 v55, v61, v3, s[40:41]
	v_cndmask_b32_e32 v32, v16, v2, vcc
	v_cndmask_b32_e32 v3, v0, v1, vcc
	v_cndmask_b32_e64 v17, v17, v47, s[66:67]
	v_cmp_eq_u32_e64 s[64:65], 3, v77
	v_cndmask_b32_e64 v32, v32, v18, s[6:7]
	v_cndmask_b32_e64 v3, v3, v57, s[6:7]
	v_cndmask_b32_e64 v17, v17, v46, s[64:65]
	v_cmp_eq_u32_e64 s[62:63], 4, v77
	v_cndmask_b32_e64 v32, v32, v19, s[8:9]
	v_cndmask_b32_e64 v3, v3, v55, s[8:9]
	;; [unrolled: 4-line block ×8, first 2 shown]
	v_cndmask_b32_e64 v17, v17, v39, s[48:49]
	v_cndmask_b32_e64 v32, v32, v26, s[22:23]
	;; [unrolled: 1-line block ×4, first 2 shown]
	v_cmp_eq_u32_e64 s[44:45], 12, v77
	v_cndmask_b32_e64 v32, v32, v27, s[24:25]
	v_cndmask_b32_e64 v3, v3, v11, s[24:25]
	;; [unrolled: 1-line block ×9, first 2 shown]
	v_cmp_eq_u32_e64 s[38:39], 15, v77
	v_cndmask_b32_e64 v32, v32, v30, s[30:31]
	v_cndmask_b32_e64 v3, v3, v14, s[30:31]
	;; [unrolled: 1-line block ×5, first 2 shown]
	ds_bpermute_b32 v17, v91, v17
	ds_bpermute_b32 v32, v91, v32
	;; [unrolled: 1-line block ×3, first 2 shown]
	v_cmp_eq_u32_e64 s[40:41], 0, v77
	v_cmp_eq_u32_e64 s[34:35], 1, v78
	s_waitcnt lgkmcnt(2)
	v_cndmask_b32_e64 v34, v34, v17, s[38:39]
	v_cndmask_b32_e64 v35, v35, v17, s[78:79]
	;; [unrolled: 1-line block ×16, first 2 shown]
	s_waitcnt lgkmcnt(1)
	v_cndmask_b32_e32 v2, v2, v32, vcc
	s_waitcnt lgkmcnt(0)
	v_cndmask_b32_e32 v1, v1, v3, vcc
	v_cndmask_b32_e64 v16, v16, v32, s[68:69]
	v_cndmask_b32_e64 v0, v0, v3, s[68:69]
	v_cndmask_b32_e64 v31, v31, v32, s[36:37]
	v_cndmask_b32_e64 v15, v15, v3, s[36:37]
	v_cndmask_b32_e64 v54, v17, v33, s[34:35]
	v_cndmask_b32_e64 v30, v30, v32, s[30:31]
	v_cndmask_b32_e64 v14, v14, v3, s[30:31]
	v_cmp_eq_u32_e64 s[30:31], 2, v78
	v_cndmask_b32_e64 v29, v29, v32, s[28:29]
	v_cndmask_b32_e64 v13, v13, v3, s[28:29]
	;; [unrolled: 1-line block ×27, first 2 shown]
	v_cmp_eq_u32_e64 s[28:29], 3, v78
	v_cndmask_b32_e64 v32, v32, v18, s[66:67]
	v_cndmask_b32_e64 v3, v3, v57, s[66:67]
	v_cndmask_b32_e64 v54, v54, v46, s[28:29]
	v_cmp_eq_u32_e64 s[26:27], 4, v78
	v_cndmask_b32_e64 v32, v32, v19, s[64:65]
	v_cndmask_b32_e64 v3, v3, v55, s[64:65]
	v_cndmask_b32_e64 v54, v54, v45, s[26:27]
	;; [unrolled: 4-line block ×5, first 2 shown]
	v_cndmask_b32_e64 v32, v32, v23, s[54:55]
	v_cndmask_b32_e64 v3, v3, v7, s[54:55]
	v_cndmask_b32_e64 v54, v54, v41, s[70:71]
	v_cmp_eq_u32_e64 s[16:17], 9, v78
	v_cndmask_b32_e64 v32, v32, v24, s[52:53]
	v_cndmask_b32_e64 v3, v3, v8, s[52:53]
	v_cndmask_b32_e64 v54, v54, v40, s[16:17]
	v_cmp_eq_u32_e64 s[46:47], 10, v78
	;; [unrolled: 4-line block ×6, first 2 shown]
	v_cndmask_b32_e64 v32, v32, v29, s[76:77]
	v_cndmask_b32_e64 v3, v3, v13, s[76:77]
	;; [unrolled: 1-line block ×3, first 2 shown]
	v_cmp_eq_u32_e32 vcc, 15, v78
	v_cndmask_b32_e64 v32, v32, v30, s[78:79]
	v_cndmask_b32_e64 v3, v3, v14, s[78:79]
	v_cndmask_b32_e32 v54, v54, v34, vcc
	v_cndmask_b32_e64 v32, v32, v31, s[38:39]
	v_cndmask_b32_e64 v3, v3, v15, s[38:39]
	ds_bpermute_b32 v54, v91, v54
	ds_bpermute_b32 v32, v91, v32
	;; [unrolled: 1-line block ×3, first 2 shown]
	v_cmp_eq_u32_e64 s[14:15], 0, v78
	v_cmp_eq_u32_e64 s[10:11], 1, v79
	s_waitcnt lgkmcnt(2)
	v_cndmask_b32_e64 v33, v33, v54, s[34:35]
	v_cndmask_b32_e64 v17, v17, v54, s[14:15]
	s_waitcnt lgkmcnt(1)
	v_cndmask_b32_e64 v2, v2, v32, s[60:61]
	s_waitcnt lgkmcnt(0)
	v_cndmask_b32_e64 v1, v1, v3, s[60:61]
	v_cndmask_b32_e64 v16, v16, v32, s[40:41]
	;; [unrolled: 1-line block ×3, first 2 shown]
	v_cndmask_b32_e32 v34, v34, v54, vcc
	v_cndmask_b32_e64 v35, v35, v54, s[6:7]
	v_cndmask_b32_e64 v36, v36, v54, s[8:9]
	;; [unrolled: 1-line block ×18, first 2 shown]
	v_cmp_eq_u32_e64 s[12:13], 2, v79
	v_cndmask_b32_e64 v29, v29, v32, s[76:77]
	v_cndmask_b32_e64 v13, v13, v3, s[76:77]
	;; [unrolled: 1-line block ×27, first 2 shown]
	v_cmp_eq_u32_e64 s[18:19], 3, v79
	v_cndmask_b32_e64 v32, v32, v18, s[30:31]
	v_cndmask_b32_e64 v3, v3, v57, s[30:31]
	v_cndmask_b32_e64 v54, v54, v46, s[18:19]
	v_cmp_eq_u32_e64 s[22:23], 4, v79
	v_cndmask_b32_e64 v32, v32, v19, s[28:29]
	v_cndmask_b32_e64 v3, v3, v55, s[28:29]
	v_cndmask_b32_e64 v54, v54, v45, s[22:23]
	;; [unrolled: 4-line block ×13, first 2 shown]
	v_cndmask_b32_e32 v32, v32, v31, vcc
	v_cndmask_b32_e32 v3, v3, v15, vcc
	ds_bpermute_b32 v54, v91, v54
	ds_bpermute_b32 v32, v91, v32
	;; [unrolled: 1-line block ×3, first 2 shown]
	v_cmp_eq_u32_e64 s[58:59], 0, v79
	v_cmp_eq_u32_e64 s[40:41], 5, v80
	s_waitcnt lgkmcnt(2)
	v_cndmask_b32_e64 v33, v33, v54, s[10:11]
	v_cndmask_b32_e64 v17, v17, v54, s[58:59]
	s_waitcnt lgkmcnt(1)
	v_cndmask_b32_e32 v31, v31, v32, vcc
	s_waitcnt lgkmcnt(0)
	v_cndmask_b32_e32 v15, v15, v3, vcc
	v_cmp_eq_u32_e32 vcc, 1, v80
	v_cndmask_b32_e64 v34, v34, v54, s[84:85]
	v_cndmask_b32_e64 v35, v35, v54, s[82:83]
	;; [unrolled: 1-line block ×14, first 2 shown]
	v_cndmask_b32_e32 v54, v17, v33, vcc
	v_cndmask_b32_e64 v30, v30, v32, s[6:7]
	v_cndmask_b32_e64 v14, v14, v3, s[6:7]
	v_cmp_eq_u32_e64 s[6:7], 2, v80
	v_cndmask_b32_e64 v29, v29, v32, s[8:9]
	v_cndmask_b32_e64 v13, v13, v3, s[8:9]
	v_cndmask_b32_e64 v54, v54, v47, s[6:7]
	v_cmp_eq_u32_e64 s[8:9], 3, v80
	v_cndmask_b32_e64 v28, v28, v32, s[36:37]
	;; [unrolled: 4-line block ×3, first 2 shown]
	v_cndmask_b32_e64 v10, v10, v3, s[46:47]
	v_cndmask_b32_e64 v54, v54, v45, s[36:37]
	;; [unrolled: 1-line block ×3, first 2 shown]
	v_cmp_eq_u32_e64 s[46:47], 6, v80
	v_cmp_eq_u32_e64 s[50:51], 7, v80
	;; [unrolled: 1-line block ×3, first 2 shown]
	v_cndmask_b32_e64 v54, v54, v43, s[46:47]
	v_cndmask_b32_e64 v54, v54, v42, s[50:51]
	;; [unrolled: 1-line block ×3, first 2 shown]
	v_cmp_eq_u32_e64 s[56:57], 9, v80
	v_cmp_eq_u32_e64 s[62:63], 10, v80
	v_cndmask_b32_e64 v2, v2, v32, s[34:35]
	v_cndmask_b32_e64 v54, v54, v40, s[56:57]
	;; [unrolled: 1-line block ×18, first 2 shown]
	v_cmp_eq_u32_e64 s[64:65], 11, v80
	v_cndmask_b32_e64 v20, v20, v32, s[26:27]
	v_cndmask_b32_e64 v4, v4, v3, s[26:27]
	;; [unrolled: 1-line block ×9, first 2 shown]
	v_cmp_eq_u32_e64 s[66:67], 12, v80
	v_cndmask_b32_e64 v32, v32, v18, s[12:13]
	v_cndmask_b32_e64 v3, v3, v57, s[12:13]
	v_cndmask_b32_e64 v54, v54, v37, s[66:67]
	v_cmp_eq_u32_e64 s[70:71], 13, v80
	v_cndmask_b32_e64 v32, v32, v19, s[18:19]
	v_cndmask_b32_e64 v3, v3, v55, s[18:19]
	v_cndmask_b32_e64 v54, v54, v36, s[70:71]
	;; [unrolled: 4-line block ×4, first 2 shown]
	v_cndmask_b32_e64 v32, v32, v22, s[44:45]
	v_cndmask_b32_e64 v3, v3, v6, s[44:45]
	ds_bpermute_b32 v1, v91, v1
	v_cndmask_b32_e64 v32, v32, v23, s[48:49]
	v_cndmask_b32_e64 v3, v3, v7, s[48:49]
	v_cndmask_b32_e64 v32, v32, v24, s[52:53]
	v_cndmask_b32_e64 v3, v3, v8, s[52:53]
	v_cndmask_b32_e64 v32, v32, v25, s[68:69]
	v_cndmask_b32_e64 v3, v3, v9, s[68:69]
	v_cndmask_b32_e64 v32, v32, v26, s[72:73]
	v_cndmask_b32_e64 v3, v3, v10, s[72:73]
	v_cndmask_b32_e64 v32, v32, v27, s[76:77]
	v_cndmask_b32_e64 v3, v3, v11, s[76:77]
	v_cmp_eq_u32_e64 s[60:61], 0, v80
	v_cndmask_b32_e64 v32, v32, v28, s[78:79]
	v_cndmask_b32_e64 v3, v3, v12, s[78:79]
	s_waitcnt lgkmcnt(0)
	v_cndmask_b32_e32 v33, v33, v1, vcc
	v_cndmask_b32_e64 v17, v17, v1, s[60:61]
	v_cmp_eq_u32_e64 s[14:15], 1, v81
	v_cndmask_b32_e64 v34, v34, v1, s[86:87]
	v_cndmask_b32_e64 v35, v35, v1, s[74:75]
	v_cndmask_b32_e64 v36, v36, v1, s[70:71]
	v_cndmask_b32_e64 v37, v37, v1, s[66:67]
	v_cndmask_b32_e64 v38, v38, v1, s[64:65]
	v_cndmask_b32_e64 v39, v39, v1, s[62:63]
	v_cndmask_b32_e64 v40, v40, v1, s[56:57]
	v_cndmask_b32_e64 v41, v41, v1, s[54:55]
	v_cndmask_b32_e64 v42, v42, v1, s[50:51]
	v_cndmask_b32_e64 v43, v43, v1, s[46:47]
	v_cndmask_b32_e64 v44, v44, v1, s[40:41]
	v_cndmask_b32_e64 v45, v45, v1, s[36:37]
	v_cndmask_b32_e64 v46, v46, v1, s[8:9]
	v_cndmask_b32_e64 v47, v47, v1, s[6:7]
	v_cndmask_b32_e64 v32, v32, v29, s[80:81]
	v_cndmask_b32_e64 v3, v3, v13, s[80:81]
	v_cndmask_b32_e64 v1, v17, v33, s[14:15]
	v_cmp_eq_u32_e64 s[16:17], 2, v81
	v_cndmask_b32_e64 v32, v32, v30, s[82:83]
	v_cndmask_b32_e64 v3, v3, v14, s[82:83]
	;; [unrolled: 1-line block ×3, first 2 shown]
	v_cmp_eq_u32_e64 s[20:21], 3, v81
	v_cndmask_b32_e64 v32, v32, v31, s[84:85]
	v_cndmask_b32_e64 v3, v3, v15, s[84:85]
	;; [unrolled: 1-line block ×3, first 2 shown]
	v_cmp_eq_u32_e64 s[24:25], 4, v81
	ds_bpermute_b32 v32, v91, v32
	ds_bpermute_b32 v3, v91, v3
	v_cndmask_b32_e64 v1, v1, v45, s[24:25]
	v_cmp_eq_u32_e64 s[26:27], 5, v81
	v_cmp_eq_u32_e64 s[28:29], 6, v81
	;; [unrolled: 1-line block ×3, first 2 shown]
	v_cndmask_b32_e64 v1, v1, v44, s[26:27]
	v_cndmask_b32_e64 v1, v1, v43, s[28:29]
	;; [unrolled: 1-line block ×3, first 2 shown]
	v_cmp_eq_u32_e64 s[34:35], 8, v81
	v_cmp_eq_u32_e64 s[42:43], 9, v81
	s_waitcnt lgkmcnt(1)
	v_cndmask_b32_e64 v22, v22, v32, s[44:45]
	v_cndmask_b32_e64 v1, v1, v41, s[34:35]
	;; [unrolled: 1-line block ×3, first 2 shown]
	s_waitcnt lgkmcnt(0)
	v_cndmask_b32_e64 v6, v6, v3, s[44:45]
	v_cmp_eq_u32_e64 s[44:45], 10, v81
	v_cndmask_b32_e64 v21, v21, v32, s[38:39]
	v_cndmask_b32_e64 v5, v5, v3, s[38:39]
	v_cndmask_b32_e64 v1, v1, v39, s[44:45]
	v_cmp_eq_u32_e64 s[38:39], 11, v81
	v_cndmask_b32_e64 v20, v20, v32, s[22:23]
	v_cndmask_b32_e64 v4, v4, v3, s[22:23]
	;; [unrolled: 4-line block ×4, first 2 shown]
	v_cndmask_b32_e64 v13, v13, v3, s[80:81]
	v_cndmask_b32_e64 v12, v12, v3, s[78:79]
	;; [unrolled: 1-line block ×11, first 2 shown]
	v_cndmask_b32_e32 v0, v3, v57, vcc
	v_cndmask_b32_e64 v31, v31, v32, s[84:85]
	v_cndmask_b32_e64 v30, v30, v32, s[82:83]
	;; [unrolled: 1-line block ×13, first 2 shown]
	v_cndmask_b32_e32 v16, v32, v2, vcc
	v_cndmask_b32_e64 v0, v0, v54, s[8:9]
	v_cndmask_b32_e64 v16, v16, v18, s[6:7]
	;; [unrolled: 1-line block ×17, first 2 shown]
	v_cmp_eq_u32_e64 s[12:13], 14, v81
	v_cndmask_b32_e64 v16, v16, v26, s[62:63]
	v_cndmask_b32_e64 v0, v0, v12, s[66:67]
	;; [unrolled: 1-line block ×3, first 2 shown]
	v_cmp_eq_u32_e64 s[10:11], 15, v81
	v_cndmask_b32_e64 v16, v16, v27, s[64:65]
	v_cndmask_b32_e64 v0, v0, v13, s[70:71]
	;; [unrolled: 1-line block ×5, first 2 shown]
	ds_bpermute_b32 v55, v91, v55
	v_cndmask_b32_e64 v16, v16, v29, s[70:71]
	v_cndmask_b32_e64 v0, v0, v15, s[86:87]
	;; [unrolled: 1-line block ×3, first 2 shown]
	ds_bpermute_b32 v59, v91, v0
	v_cndmask_b32_e64 v16, v16, v31, s[86:87]
	ds_bpermute_b32 v58, v91, v16
	v_cmp_eq_u32_e64 s[68:69], 0, v81
	s_waitcnt lgkmcnt(2)
	v_cndmask_b32_e64 v33, v33, v55, s[14:15]
	v_cmp_eq_u32_e64 s[48:49], 1, v82
	v_cndmask_b32_e64 v0, v17, v55, s[68:69]
	v_cndmask_b32_e64 v34, v34, v55, s[10:11]
	;; [unrolled: 1-line block ×15, first 2 shown]
	s_waitcnt lgkmcnt(1)
	v_cndmask_b32_e64 v55, v15, v59, s[86:87]
	v_cndmask_b32_e64 v15, v0, v33, s[48:49]
	v_cmp_eq_u32_e64 s[52:53], 2, v82
	v_cndmask_b32_e64 v16, v14, v59, s[74:75]
	v_cmp_eq_u32_e64 s[58:59], 3, v82
	v_cndmask_b32_e64 v14, v15, v47, s[52:53]
	v_cndmask_b32_e64 v17, v13, v59, s[70:71]
	;; [unrolled: 1-line block ×3, first 2 shown]
	s_waitcnt lgkmcnt(0)
	v_cndmask_b32_e64 v28, v28, v58, s[66:67]
	v_cndmask_b32_e64 v60, v12, v59, s[66:67]
	v_cmp_eq_u32_e64 s[66:67], 4, v82
	v_cndmask_b32_e64 v27, v27, v58, s[64:65]
	v_cndmask_b32_e64 v61, v11, v59, s[64:65]
	v_cndmask_b32_e64 v12, v13, v45, s[66:67]
	v_cmp_eq_u32_e64 s[64:65], 5, v82
	v_cndmask_b32_e64 v26, v26, v58, s[62:63]
	;; [unrolled: 4-line block ×10, first 2 shown]
	v_cndmask_b32_e64 v69, v1, v59, s[6:7]
	v_cndmask_b32_e64 v4, v4, v36, s[8:9]
	v_cmp_eq_u32_e64 s[6:7], 14, v82
	v_cndmask_b32_e32 v93, v2, v58, vcc
	v_cndmask_b32_e32 v57, v57, v59, vcc
	v_cndmask_b32_e64 v1, v4, v35, s[6:7]
	v_cmp_eq_u32_e32 vcc, 15, v82
	v_cndmask_b32_e64 v29, v29, v58, s[70:71]
	v_cndmask_b32_e64 v30, v30, v58, s[74:75]
	v_cndmask_b32_e32 v1, v1, v34, vcc
	ds_bpermute_b32 v94, v91, v1
	v_cndmask_b32_e64 v1, v32, v58, s[60:61]
	v_cndmask_b32_e64 v2, v1, v93, s[14:15]
	;; [unrolled: 1-line block ×18, first 2 shown]
	s_waitcnt lgkmcnt(0)
	v_cndmask_b32_e32 v15, v34, v94, vcc
	v_cndmask_b32_e64 v13, v36, v94, s[8:9]
	ds_bpermute_b32 v34, v91, v2
	v_cndmask_b32_e64 v36, v32, v57, s[14:15]
	v_cndmask_b32_e64 v36, v36, v69, s[16:17]
	;; [unrolled: 1-line block ×6, first 2 shown]
	s_waitcnt lgkmcnt(0)
	v_cndmask_b32_e64 v31, v31, v34, s[10:11]
	v_cndmask_b32_e64 v30, v30, v34, s[12:13]
	;; [unrolled: 1-line block ×36, first 2 shown]
	ds_bpermute_b32 v36, v91, v36
	v_cndmask_b32_e64 v1, v1, v27, s[40:41]
	v_cndmask_b32_e64 v1, v1, v28, s[36:37]
	;; [unrolled: 1-line block ×4, first 2 shown]
	v_cndmask_b32_e32 v1, v1, v31, vcc
	s_waitcnt lgkmcnt(0)
	v_cndmask_b32_e64 v57, v57, v36, s[14:15]
	v_cndmask_b32_e64 v32, v32, v36, s[68:69]
	;; [unrolled: 1-line block ×4, first 2 shown]
	ds_bpermute_b32 v37, v91, v1
	v_cndmask_b32_e64 v1, v33, v94, s[48:49]
	v_cndmask_b32_e64 v33, v55, v36, s[10:11]
	;; [unrolled: 1-line block ×33, first 2 shown]
	v_cndmask_b32_e32 v16, v16, v33, vcc
	ds_bpermute_b32 v64, v91, v16
	v_cndmask_b32_e64 v3, v46, v94, s[58:59]
	s_waitcnt lgkmcnt(1)
	v_cndmask_b32_e64 v30, v30, v37, s[6:7]
	v_readlane_b32 s61, v102, 25
	v_cmp_eq_u32_e64 s[10:11], 0, v82
	s_waitcnt lgkmcnt(0)
	v_cndmask_b32_e64 v46, v38, v64, s[6:7]
	v_readlane_b32 s6, v102, 27
	v_readlane_b32 s7, v102, 28
	;; [unrolled: 1-line block ×5, first 2 shown]
	s_mov_b32 s5, 0
	s_max_i32 s60, s61, 0
	v_subrev_u32_e32 v92, s97, v92
	v_cndmask_b32_e64 v6, v43, v94, s[62:63]
	v_cndmask_b32_e64 v5, v44, v94, s[64:65]
	;; [unrolled: 1-line block ×5, first 2 shown]
	v_cndmask_b32_e32 v31, v31, v37, vcc
	v_cndmask_b32_e64 v29, v29, v37, s[8:9]
	v_cndmask_b32_e64 v28, v28, v37, s[36:37]
	;; [unrolled: 1-line block ×14, first 2 shown]
	v_cndmask_b32_e32 v47, v33, v64, vcc
	v_cndmask_b32_e64 v45, v39, v64, s[8:9]
	v_cndmask_b32_e64 v44, v40, v64, s[36:37]
	;; [unrolled: 1-line block ×14, first 2 shown]
	v_lshl_add_u64 v[54:55], s[6:7], 0, v[48:49]
	s_mov_b64 s[6:7], 0
	s_mov_b32 s16, 0
	v_readlane_b32 s25, v102, 11
	v_readlane_b32 s27, v102, 13
	;; [unrolled: 1-line block ×10, first 2 shown]
	s_mov_b64 s[20:21], 0x80
	v_readlane_b32 s39, v102, 26
                                        ; implicit-def: $sgpr8_sgpr9
	s_branch .LBB82_29
.LBB82_27:                              ;   in Loop: Header=BB82_29 Depth=2
	s_or_b64 exec, exec, s[12:13]
	s_andn2_b64 s[8:9], s[8:9], exec
	s_and_b64 s[12:13], s[14:15], exec
	s_or_b64 s[8:9], s[8:9], s[12:13]
.LBB82_28:                              ;   in Loop: Header=BB82_29 Depth=2
	s_or_b64 exec, exec, s[10:11]
	s_and_b64 s[10:11], exec, s[8:9]
	s_or_b64 s[6:7], s[10:11], s[6:7]
	s_andn2_b64 exec, exec, s[6:7]
	s_cbranch_execz .LBB82_32
.LBB82_29:                              ;   Parent Loop BB82_7 Depth=1
                                        ; =>  This Inner Loop Header: Depth=2
	s_and_b32 s12, s5, 24
	v_or_b32_e32 v57, s12, v89
	v_add_u32_e32 v58, s60, v57
	v_cmp_gt_u32_e32 vcc, 32, v58
	s_or_b64 s[8:9], s[8:9], exec
	s_and_saveexec_b64 s[10:11], vcc
	s_cbranch_execz .LBB82_28
; %bb.30:                               ;   in Loop: Header=BB82_29 Depth=2
	s_add_i32 s13, s16, 1
	s_set_gpr_idx_on s16, gpr_idx(SRC0)
	v_mov_b32_e32 v58, v0
	s_set_gpr_idx_off
	v_cvt_f16_f32_e32 v60, v58
	s_set_gpr_idx_on s13, gpr_idx(SRC0)
	v_mov_b32_e32 v58, v0
	s_set_gpr_idx_off
	v_cvt_f16_f32_sdwa v61, v58 dst_sel:WORD_1 dst_unused:UNUSED_PAD src0_sel:DWORD
	v_mul_lo_u32 v58, v57, s89
	v_ashrrev_i32_e32 v59, 31, v58
	v_lshl_add_u64 v[58:59], v[58:59], 1, v[54:55]
	v_or_b32_e32 v57, v61, v60
	;;#ASMSTART
	global_atomic_pk_add_f16 v[58:59], v57, off
	
	;;#ASMEND
	s_set_gpr_idx_on s16, gpr_idx(SRC0)
	v_mov_b32_e32 v57, v16
	s_set_gpr_idx_off
	v_cvt_f16_f32_e32 v57, v57
	s_set_gpr_idx_on s13, gpr_idx(SRC0)
	v_mov_b32_e32 v60, v16
	s_set_gpr_idx_off
	v_cvt_f16_f32_sdwa v62, v60 dst_sel:WORD_1 dst_unused:UNUSED_PAD src0_sel:DWORD
	v_lshl_add_u64 v[60:61], v[58:59], 0, 64
	v_lshl_add_u64 v[58:59], v[58:59], 0, s[20:21]
	s_mov_b64 s[14:15], -1
	v_or_b32_e32 v57, v62, v57
	;;#ASMSTART
	global_atomic_pk_add_f16 v[60:61], v57, off
	
	;;#ASMEND
	s_set_gpr_idx_on s16, gpr_idx(SRC0)
	v_mov_b32_e32 v57, v32
	s_set_gpr_idx_off
	v_cvt_f16_f32_e32 v57, v57
	s_set_gpr_idx_on s13, gpr_idx(SRC0)
	v_mov_b32_e32 v60, v32
	s_set_gpr_idx_off
	v_cvt_f16_f32_sdwa v60, v60 dst_sel:WORD_1 dst_unused:UNUSED_PAD src0_sel:DWORD
	s_nop 0
	v_or_b32_e32 v57, v60, v57
	;;#ASMSTART
	global_atomic_pk_add_f16 v[58:59], v57, off
	
	;;#ASMEND
	v_or_b32_e32 v57, s12, v90
	v_add_u32_e32 v58, s60, v57
	v_cmp_gt_u32_e32 vcc, 32, v58
	s_and_saveexec_b64 s[12:13], vcc
	s_cbranch_execz .LBB82_27
; %bb.31:                               ;   in Loop: Header=BB82_29 Depth=2
	s_add_i32 s14, s16, 2
	s_add_i32 s15, s16, 3
	s_set_gpr_idx_on s14, gpr_idx(SRC0)
	v_mov_b32_e32 v58, v0
	s_set_gpr_idx_off
	v_cvt_f16_f32_e32 v60, v58
	s_set_gpr_idx_on s15, gpr_idx(SRC0)
	v_mov_b32_e32 v58, v0
	s_set_gpr_idx_off
	v_cvt_f16_f32_sdwa v61, v58 dst_sel:WORD_1 dst_unused:UNUSED_PAD src0_sel:DWORD
	v_mul_lo_u32 v58, v57, s89
	v_ashrrev_i32_e32 v59, 31, v58
	v_lshl_add_u64 v[58:59], v[58:59], 1, v[54:55]
	v_or_b32_e32 v57, v61, v60
	;;#ASMSTART
	global_atomic_pk_add_f16 v[58:59], v57, off
	
	;;#ASMEND
	s_set_gpr_idx_on s14, gpr_idx(SRC0)
	v_mov_b32_e32 v57, v16
	s_set_gpr_idx_off
	v_cvt_f16_f32_e32 v57, v57
	s_set_gpr_idx_on s15, gpr_idx(SRC0)
	v_mov_b32_e32 v60, v16
	s_set_gpr_idx_off
	v_cvt_f16_f32_sdwa v62, v60 dst_sel:WORD_1 dst_unused:UNUSED_PAD src0_sel:DWORD
	v_lshl_add_u64 v[60:61], v[58:59], 0, 64
	s_add_i32 s16, s16, 4
	s_add_i32 s5, s5, 8
	v_or_b32_e32 v57, v62, v57
	;;#ASMSTART
	global_atomic_pk_add_f16 v[60:61], v57, off
	
	;;#ASMEND
	s_set_gpr_idx_on s14, gpr_idx(SRC0)
	v_mov_b32_e32 v57, v32
	s_set_gpr_idx_off
	v_cvt_f16_f32_e32 v57, v57
	s_set_gpr_idx_on s15, gpr_idx(SRC0)
	v_mov_b32_e32 v60, v32
	s_set_gpr_idx_off
	v_cvt_f16_f32_sdwa v60, v60 dst_sel:WORD_1 dst_unused:UNUSED_PAD src0_sel:DWORD
	s_cmp_eq_u32 s16, 16
	s_cselect_b64 s[14:15], -1, 0
	s_orn2_b64 s[14:15], s[14:15], exec
	v_lshl_add_u64 v[58:59], v[58:59], 0, s[20:21]
	v_or_b32_e32 v57, v60, v57
	;;#ASMSTART
	global_atomic_pk_add_f16 v[58:59], v57, off
	
	;;#ASMEND
	s_branch .LBB82_27
.LBB82_32:                              ;   in Loop: Header=BB82_7 Depth=1
	s_or_b64 exec, exec, s[6:7]
	v_readlane_b32 s16, v102, 2
	v_readlane_b32 s8, v102, 23
	;; [unrolled: 1-line block ×12, first 2 shown]
.LBB82_33:                              ;   in Loop: Header=BB82_7 Depth=1
	s_or_b64 exec, exec, s[8:9]
.LBB82_34:                              ;   in Loop: Header=BB82_7 Depth=1
	s_andn2_saveexec_b64 s[0:1], s[0:1]
	s_cbranch_execz .LBB82_43
; %bb.35:                               ;   in Loop: Header=BB82_7 Depth=1
	s_mul_i32 s12, s97, 3
	v_cmp_gt_i32_e32 vcc, s12, v92
	s_and_saveexec_b64 s[6:7], vcc
	s_cbranch_execz .LBB82_42
; %bb.36:                               ;   in Loop: Header=BB82_7 Depth=1
	s_mul_i32 s4, s4, s91
	s_ashr_i32 s5, s4, 31
	s_add_u32 s4, s18, s4
	s_addc_u32 s5, s19, s5
	s_ashr_i32 s8, s39, 31
	s_add_u32 s4, s4, s39
	s_addc_u32 s5, s5, s8
	v_lshl_add_u64 v[0:1], s[4:5], 0, v[52:53]
	v_lshl_add_u64 v[16:17], v[0:1], 0, v[50:51]
	s_mov_b64 s[4:5], 0
	s_branch .LBB82_38
.LBB82_37:                              ;   in Loop: Header=BB82_38 Depth=2
	s_or_b64 exec, exec, s[8:9]
	v_lshl_or_b32 v20, v18, 12, v85
	;;#ASMSTART
	s_waitcnt vmcnt(3)
	;;#ASMEND
	ds_write2_b32 v20, v12, v13 offset1:32
	ds_write2_b32 v20, v14, v15 offset0:64 offset1:96
	v_add_u32_e32 v12, 0x400, v20
	;;#ASMSTART
	s_waitcnt vmcnt(2)
	;;#ASMEND
	ds_write2_b32 v12, v8, v9 offset1:32
	ds_write2_b32 v12, v10, v11 offset0:64 offset1:96
	v_add_u32_e32 v8, 0x800, v20
	;; [unrolled: 6-line block ×3, first 2 shown]
	v_add_u32_e32 v92, s94, v92
	;;#ASMSTART
	s_waitcnt vmcnt(0)
	;;#ASMEND
	ds_write2_b32 v4, v0, v1 offset1:32
	ds_write2_b32 v4, v2, v3 offset0:64 offset1:96
	v_add_u32_e32 v0, 1, v71
	v_add_u32_e32 v56, s94, v18
	v_cmp_le_i32_e32 vcc, s12, v92
	ds_write_b32 v19, v0 offset:12
	v_add_u32_e32 v0, 2, v71
	s_or_b64 s[4:5], vcc, s[4:5]
	v_cmp_lt_i32_e32 vcc, 8, v56
	s_nop 1
	v_cndmask_b32_e32 v71, v71, v0, vcc
	s_andn2_b64 exec, exec, s[4:5]
	s_cbranch_execz .LBB82_41
.LBB82_38:                              ;   Parent Loop BB82_7 Depth=1
                                        ; =>  This Loop Header: Depth=2
                                        ;       Child Loop BB82_40 Depth 3
	v_cmp_gt_i32_e32 vcc, 9, v56
	s_mov_b32 s8, 0x55555556
	s_nop 0
	v_cndmask_b32_e64 v0, -9, 0, vcc
	v_add_u32_e32 v18, v0, v56
	v_mul_hi_i32 v0, v92, s8
	v_lshrrev_b32_e32 v1, 31, v0
	v_add_u32_e32 v0, v0, v1
	v_lshl_add_u32 v1, v0, 1, v0
	v_sub_u32_e32 v2, v92, v1
	v_lshlrev_b32_e32 v0, 7, v0
	v_ashrrev_i32_e32 v1, 31, v0
	v_mul_lo_u32 v2, s33, v2
	v_lshl_add_u64 v[0:1], v[16:17], 0, v[0:1]
	v_ashrrev_i32_e32 v3, 31, v2
	v_lshl_add_u64 v[0:1], v[0:1], 0, v[2:3]
	v_lshlrev_b32_e32 v19, 2, v18
	;;#ASMSTART
	global_load_dwordx4 v[12:15], v[0:1], off offset:0   sc0 sc1 nt  
	global_load_dwordx4 v[8:11], v[0:1], off offset:32  sc0 sc1 nt  
	global_load_dwordx4 v[4:7], v[0:1], off offset:64  sc0 sc1 nt  
	global_load_dwordx4 v[0:3], v[0:1], off offset:96  sc0 sc1 nt  
	
	;;#ASMEND
	ds_read_b32 v20, v19 offset:49164
	v_add_u32_e32 v19, 0xc000, v19
	s_waitcnt lgkmcnt(0)
	v_cmp_ne_u32_e32 vcc, v20, v71
	s_and_saveexec_b64 s[8:9], vcc
	s_cbranch_execz .LBB82_37
; %bb.39:                               ;   in Loop: Header=BB82_38 Depth=2
	s_mov_b64 s[10:11], 0
.LBB82_40:                              ;   Parent Loop BB82_7 Depth=1
                                        ;     Parent Loop BB82_38 Depth=2
                                        ; =>    This Inner Loop Header: Depth=3
	;;#ASMSTART
	s_sleep 0
	;;#ASMEND
	ds_read_b32 v20, v19 offset:12
	s_waitcnt lgkmcnt(0)
	v_cmp_eq_u32_e32 vcc, v20, v71
	s_or_b64 s[10:11], vcc, s[10:11]
	s_andn2_b64 exec, exec, s[10:11]
	s_cbranch_execnz .LBB82_40
	s_branch .LBB82_37
.LBB82_41:                              ;   in Loop: Header=BB82_7 Depth=1
	s_or_b64 exec, exec, s[4:5]
.LBB82_42:                              ;   in Loop: Header=BB82_7 Depth=1
	s_or_b64 exec, exec, s[6:7]
	v_subrev_u32_e32 v92, s12, v92
.LBB82_43:                              ;   in Loop: Header=BB82_7 Depth=1
	s_or_b64 exec, exec, s[0:1]
.LBB82_44:                              ;   in Loop: Header=BB82_7 Depth=1
	s_andn2_saveexec_b64 s[0:1], s[98:99]
	s_cbranch_execz .LBB82_6
; %bb.45:                               ;   in Loop: Header=BB82_7 Depth=1
	v_cmp_gt_i32_e32 vcc, s97, v92
	s_and_saveexec_b64 s[4:5], vcc
	s_cbranch_execz .LBB82_5
; %bb.46:                               ;   in Loop: Header=BB82_7 Depth=1
	s_mul_i32 s3, s3, s90
	s_ashr_i32 s6, s3, 31
	s_add_u32 s3, s16, s3
	s_addc_u32 s7, s17, s6
	s_ashr_i32 s8, s39, 31
	v_cmp_le_i32_e32 vcc, s61, v86
	s_add_u32 s6, s3, s39
	s_addc_u32 s7, s7, s8
	v_cndmask_b32_e32 v0, 0, v87, vcc
	v_ashrrev_i32_e32 v1, 31, v0
	v_lshl_add_u64 v[0:1], s[6:7], 0, v[0:1]
	v_lshl_add_u64 v[16:17], v[0:1], 0, v[50:51]
	s_mov_b64 s[6:7], 0
	s_branch .LBB82_48
.LBB82_47:                              ;   in Loop: Header=BB82_48 Depth=2
	s_or_b64 exec, exec, s[8:9]
	v_lshl_add_u32 v20, v18, 12, v88
	;;#ASMSTART
	s_waitcnt vmcnt(3)
	;;#ASMEND
	ds_write2_b32 v20, v12, v13 offset1:32
	ds_write2_b32 v20, v14, v15 offset0:64 offset1:96
	v_add_u32_e32 v12, 0x400, v20
	;;#ASMSTART
	s_waitcnt vmcnt(2)
	;;#ASMEND
	ds_write2_b32 v12, v8, v9 offset1:32
	ds_write2_b32 v12, v10, v11 offset0:64 offset1:96
	v_add_u32_e32 v8, 0x800, v20
	;; [unrolled: 6-line block ×3, first 2 shown]
	v_add_u32_e32 v92, s93, v92
	;;#ASMSTART
	s_waitcnt vmcnt(0)
	;;#ASMEND
	ds_write2_b32 v4, v0, v1 offset1:32
	ds_write2_b32 v4, v2, v3 offset0:64 offset1:96
	v_add_u32_e32 v0, 1, v71
	v_add_u32_e32 v56, s93, v18
	v_cmp_le_i32_e32 vcc, s97, v92
	ds_write_b32 v19, v0
	v_add_u32_e32 v0, 2, v71
	s_or_b64 s[6:7], vcc, s[6:7]
	v_cmp_lt_i32_e32 vcc, 2, v56
	s_nop 1
	v_cndmask_b32_e32 v71, v71, v0, vcc
	s_andn2_b64 exec, exec, s[6:7]
	s_cbranch_execz .LBB82_4
.LBB82_48:                              ;   Parent Loop BB82_7 Depth=1
                                        ; =>  This Loop Header: Depth=2
                                        ;       Child Loop BB82_50 Depth 3
	v_cmp_gt_i32_e32 vcc, 3, v56
	s_nop 1
	v_cndmask_b32_e64 v0, -3, 0, vcc
	v_add_u32_e32 v18, v0, v56
	v_lshlrev_b32_e32 v0, 7, v92
	v_ashrrev_i32_e32 v1, 31, v0
	v_lshl_add_u64 v[0:1], v[16:17], 0, v[0:1]
	v_lshlrev_b32_e32 v19, 2, v18
	;;#ASMSTART
	global_load_dwordx4 v[12:15], v[0:1], off offset:0   
	global_load_dwordx4 v[8:11], v[0:1], off offset:32  
	;; [unrolled: 1-line block ×4, first 2 shown]
	
	;;#ASMEND
	ds_read_b32 v20, v19 offset:49152
	v_add_u32_e32 v19, 0xc000, v19
	s_waitcnt lgkmcnt(0)
	v_cmp_ne_u32_e32 vcc, v20, v71
	s_and_saveexec_b64 s[8:9], vcc
	s_cbranch_execz .LBB82_47
; %bb.49:                               ;   in Loop: Header=BB82_48 Depth=2
	s_mov_b64 s[10:11], 0
.LBB82_50:                              ;   Parent Loop BB82_7 Depth=1
                                        ;     Parent Loop BB82_48 Depth=2
                                        ; =>    This Inner Loop Header: Depth=3
	;;#ASMSTART
	s_sleep 0
	;;#ASMEND
	ds_read_b32 v20, v19
	s_waitcnt lgkmcnt(0)
	v_cmp_eq_u32_e32 vcc, v20, v71
	s_or_b64 s[10:11], vcc, s[10:11]
	s_andn2_b64 exec, exec, s[10:11]
	s_cbranch_execnz .LBB82_50
	s_branch .LBB82_47
.LBB82_51:
	s_endpgm
	.section	.rodata,"a",@progbits
	.p2align	6, 0x0
	.amdhsa_kernel _Z19_skinny_gemm_kernelILi1ELi3ELi3ELi32ELi8EEvPKhS1_P6__halfPKfiiiiiiii
		.amdhsa_group_segment_fixed_size 49200
		.amdhsa_private_segment_fixed_size 0
		.amdhsa_kernarg_size 64
		.amdhsa_user_sgpr_count 2
		.amdhsa_user_sgpr_dispatch_ptr 0
		.amdhsa_user_sgpr_queue_ptr 0
		.amdhsa_user_sgpr_kernarg_segment_ptr 1
		.amdhsa_user_sgpr_dispatch_id 0
		.amdhsa_user_sgpr_kernarg_preload_length 0
		.amdhsa_user_sgpr_kernarg_preload_offset 0
		.amdhsa_user_sgpr_private_segment_size 0
		.amdhsa_uses_dynamic_stack 0
		.amdhsa_enable_private_segment 0
		.amdhsa_system_sgpr_workgroup_id_x 1
		.amdhsa_system_sgpr_workgroup_id_y 0
		.amdhsa_system_sgpr_workgroup_id_z 0
		.amdhsa_system_sgpr_workgroup_info 0
		.amdhsa_system_vgpr_workitem_id 0
		.amdhsa_next_free_vgpr 103
		.amdhsa_next_free_sgpr 100
		.amdhsa_accum_offset 104
		.amdhsa_reserve_vcc 1
		.amdhsa_float_round_mode_32 0
		.amdhsa_float_round_mode_16_64 0
		.amdhsa_float_denorm_mode_32 3
		.amdhsa_float_denorm_mode_16_64 3
		.amdhsa_dx10_clamp 1
		.amdhsa_ieee_mode 1
		.amdhsa_fp16_overflow 0
		.amdhsa_tg_split 0
		.amdhsa_exception_fp_ieee_invalid_op 0
		.amdhsa_exception_fp_denorm_src 0
		.amdhsa_exception_fp_ieee_div_zero 0
		.amdhsa_exception_fp_ieee_overflow 0
		.amdhsa_exception_fp_ieee_underflow 0
		.amdhsa_exception_fp_ieee_inexact 0
		.amdhsa_exception_int_div_zero 0
	.end_amdhsa_kernel
	.section	.text._Z19_skinny_gemm_kernelILi1ELi3ELi3ELi32ELi8EEvPKhS1_P6__halfPKfiiiiiiii,"axG",@progbits,_Z19_skinny_gemm_kernelILi1ELi3ELi3ELi32ELi8EEvPKhS1_P6__halfPKfiiiiiiii,comdat
.Lfunc_end82:
	.size	_Z19_skinny_gemm_kernelILi1ELi3ELi3ELi32ELi8EEvPKhS1_P6__halfPKfiiiiiiii, .Lfunc_end82-_Z19_skinny_gemm_kernelILi1ELi3ELi3ELi32ELi8EEvPKhS1_P6__halfPKfiiiiiiii
                                        ; -- End function
	.set _Z19_skinny_gemm_kernelILi1ELi3ELi3ELi32ELi8EEvPKhS1_P6__halfPKfiiiiiiii.num_vgpr, 103
	.set _Z19_skinny_gemm_kernelILi1ELi3ELi3ELi32ELi8EEvPKhS1_P6__halfPKfiiiiiiii.num_agpr, 0
	.set _Z19_skinny_gemm_kernelILi1ELi3ELi3ELi32ELi8EEvPKhS1_P6__halfPKfiiiiiiii.numbered_sgpr, 100
	.set _Z19_skinny_gemm_kernelILi1ELi3ELi3ELi32ELi8EEvPKhS1_P6__halfPKfiiiiiiii.num_named_barrier, 0
	.set _Z19_skinny_gemm_kernelILi1ELi3ELi3ELi32ELi8EEvPKhS1_P6__halfPKfiiiiiiii.private_seg_size, 0
	.set _Z19_skinny_gemm_kernelILi1ELi3ELi3ELi32ELi8EEvPKhS1_P6__halfPKfiiiiiiii.uses_vcc, 1
	.set _Z19_skinny_gemm_kernelILi1ELi3ELi3ELi32ELi8EEvPKhS1_P6__halfPKfiiiiiiii.uses_flat_scratch, 0
	.set _Z19_skinny_gemm_kernelILi1ELi3ELi3ELi32ELi8EEvPKhS1_P6__halfPKfiiiiiiii.has_dyn_sized_stack, 0
	.set _Z19_skinny_gemm_kernelILi1ELi3ELi3ELi32ELi8EEvPKhS1_P6__halfPKfiiiiiiii.has_recursion, 0
	.set _Z19_skinny_gemm_kernelILi1ELi3ELi3ELi32ELi8EEvPKhS1_P6__halfPKfiiiiiiii.has_indirect_call, 0
	.section	.AMDGPU.csdata,"",@progbits
; Kernel info:
; codeLenInByte = 12020
; TotalNumSgprs: 106
; NumVgprs: 103
; NumAgprs: 0
; TotalNumVgprs: 103
; ScratchSize: 0
; MemoryBound: 0
; FloatMode: 240
; IeeeMode: 1
; LDSByteSize: 49200 bytes/workgroup (compile time only)
; SGPRBlocks: 13
; VGPRBlocks: 12
; NumSGPRsForWavesPerEU: 106
; NumVGPRsForWavesPerEU: 103
; AccumOffset: 104
; Occupancy: 4
; WaveLimiterHint : 0
; COMPUTE_PGM_RSRC2:SCRATCH_EN: 0
; COMPUTE_PGM_RSRC2:USER_SGPR: 2
; COMPUTE_PGM_RSRC2:TRAP_HANDLER: 0
; COMPUTE_PGM_RSRC2:TGID_X_EN: 1
; COMPUTE_PGM_RSRC2:TGID_Y_EN: 0
; COMPUTE_PGM_RSRC2:TGID_Z_EN: 0
; COMPUTE_PGM_RSRC2:TIDIG_COMP_CNT: 0
; COMPUTE_PGM_RSRC3_GFX90A:ACCUM_OFFSET: 25
; COMPUTE_PGM_RSRC3_GFX90A:TG_SPLIT: 0
	.section	.text._Z19_skinny_gemm_kernelILi1ELi3ELi4ELi8ELi4EEvPKhS1_P6__halfPKfiiiiiiii,"axG",@progbits,_Z19_skinny_gemm_kernelILi1ELi3ELi4ELi8ELi4EEvPKhS1_P6__halfPKfiiiiiiii,comdat
	.protected	_Z19_skinny_gemm_kernelILi1ELi3ELi4ELi8ELi4EEvPKhS1_P6__halfPKfiiiiiiii ; -- Begin function _Z19_skinny_gemm_kernelILi1ELi3ELi4ELi8ELi4EEvPKhS1_P6__halfPKfiiiiiiii
	.globl	_Z19_skinny_gemm_kernelILi1ELi3ELi4ELi8ELi4EEvPKhS1_P6__halfPKfiiiiiiii
	.p2align	8
	.type	_Z19_skinny_gemm_kernelILi1ELi3ELi4ELi8ELi4EEvPKhS1_P6__halfPKfiiiiiiii,@function
_Z19_skinny_gemm_kernelILi1ELi3ELi4ELi8ELi4EEvPKhS1_P6__halfPKfiiiiiiii: ; @_Z19_skinny_gemm_kernelILi1ELi3ELi4ELi8ELi4EEvPKhS1_P6__halfPKfiiiiiiii
; %bb.0:
	v_cmp_gt_u32_e32 vcc, 16, v0
	v_lshlrev_b32_e32 v1, 2, v0
	s_and_saveexec_b64 s[4:5], vcc
; %bb.1:
	v_mov_b32_e32 v2, 0
	ds_write_b32 v1, v2 offset:57344
; %bb.2:
	s_or_b64 exec, exec, s[4:5]
	s_load_dwordx8 s[12:19], s[0:1], 0x20
	s_waitcnt lgkmcnt(0)
	s_barrier
	s_add_i32 s3, s12, 7
	s_ashr_i32 s5, s3, 31
	s_add_i32 s4, s13, 47
	s_lshr_b32 s5, s5, 29
	s_mul_hi_i32 s4, s4, 0x2aaaaaab
	s_add_i32 s3, s3, s5
	s_ashr_i32 s33, s3, 3
	s_lshr_b32 s3, s4, 31
	s_ashr_i32 s42, s4, 3
	s_add_i32 s42, s42, s3
	s_mul_i32 s3, s42, s33
	s_mul_i32 s3, s3, s16
	s_add_i32 s4, s3, 0x12f
	s_mul_hi_i32 s4, s4, 0x6bca1af3
	s_lshr_b32 s5, s4, 31
	s_ashr_i32 s4, s4, 7
	s_add_i32 s4, s4, s5
	s_add_i32 s5, s2, 1
	s_mul_i32 s5, s4, s5
	v_cvt_f64_i32_e32 v[2:3], s3
	v_cvt_f64_u32_e32 v[4:5], s5
	v_min_f64 v[2:3], v[2:3], v[4:5]
	v_cvt_i32_f64_e32 v17, v[2:3]
	s_mul_i32 s43, s4, s2
	v_cmp_ge_i32_e32 vcc, s43, v17
	s_cbranch_vccnz .LBB83_47
; %bb.3:
	v_lshrrev_b32_e32 v2, 6, v0
	s_add_i32 s4, s18, s17
	s_load_dwordx8 s[20:27], s[0:1], 0x0
	v_cmp_le_i32_e64 s[0:1], s4, v2
	v_mov_b32_e32 v3, s17
	v_cmp_le_i32_e64 s[2:3], s17, v2
	v_mov_b32_e32 v4, s18
	v_cndmask_b32_e64 v4, 0, v4, s[0:1]
	v_cndmask_b32_e64 v3, 0, v3, s[2:3]
	s_abs_i32 s5, s16
	v_add_u32_e32 v3, v3, v4
	v_cvt_f32_u32_e32 v4, s5
	v_sub_u32_e32 v14, v2, v3
	s_ashr_i32 s6, s14, 31
	s_lshr_b32 s6, s6, 24
	v_rcp_iflag_f32_e32 v3, v4
	s_sub_i32 s9, 0, s5
	s_add_i32 s6, s14, s6
	s_ashr_i32 s6, s6, 8
	v_mul_f32_e32 v3, 0x4f7ffffe, v3
	v_cvt_u32_f32_e32 v3, v3
	s_abs_i32 s8, s6
	s_xor_b32 s7, s6, s16
	s_ashr_i32 s7, s7, 31
	v_readfirstlane_b32 s10, v3
	s_mul_i32 s9, s9, s10
	s_mul_hi_u32 s9, s10, s9
	s_add_i32 s10, s10, s9
	s_mul_hi_u32 s9, s8, s10
	s_mul_i32 s10, s9, s5
	s_sub_i32 s8, s8, s10
	s_add_i32 s10, s9, 1
	s_sub_i32 s11, s8, s5
	s_cmp_ge_u32 s8, s5
	s_cselect_b32 s9, s10, s9
	s_cselect_b32 s8, s11, s8
	s_add_i32 s10, s9, 1
	s_cmp_ge_u32 s8, s5
	s_cselect_b32 s5, s10, s9
	s_xor_b32 s5, s5, s7
	s_sub_i32 s44, s5, s7
	s_add_i32 s16, s16, -1
	s_mul_i32 s5, s44, s16
	s_add_i32 s4, s4, s19
	s_sub_i32 s45, s6, s5
	v_cmp_gt_i32_e64 s[4:5], s4, v2
	v_and_b32_e32 v2, 1, v0
	v_lshlrev_b32_e32 v3, 1, v0
	v_and_b32_e32 v3, 0x7c, v3
	v_lshlrev_b32_e32 v4, 8, v2
	v_lshlrev_b32_e32 v5, 4, v0
	s_mov_b32 s7, 0xc000
	s_movk_i32 s6, 0x7c
	v_and_b32_e32 v6, 0x200, v5
	v_or3_b32 v34, v3, v4, s7
	v_lshrrev_b32_e32 v3, 3, v0
	v_cmp_eq_u32_e32 vcc, 0, v2
	v_and_or_b32 v35, v1, s6, v6
	v_lshlrev_b32_e32 v1, 1, v2
	v_and_or_b32 v2, v3, 6, v2
	v_sub_u32_e32 v39, 8, v2
	v_mul_lo_u32 v18, s13, v2
	v_bfe_u32 v2, v0, 2, 4
	v_lshlrev_b32_e32 v4, 8, v0
	v_lshlrev_b32_e32 v6, 6, v0
	v_mul_lo_u32 v24, s15, v2
	v_and_b32_e32 v2, 60, v0
	v_and_b32_e32 v4, 0x200, v4
	;; [unrolled: 1-line block ×3, first 2 shown]
	s_abs_i32 s47, s33
	v_or3_b32 v40, v2, v4, v6
	v_cvt_f32_u32_e32 v6, s47
	v_lshlrev_b32_e32 v4, 7, v0
	v_and_b32_e32 v16, 14, v0
	v_bitop3_b32 v36, v0, 1, v0 bitop3:0xc
	v_sub_u32_e32 v1, v0, v1
	v_bfe_u32 v2, v0, 3, 3
	v_and_b32_e32 v4, 0x200, v4
	v_lshlrev_b32_e32 v0, 5, v0
	v_lshl_or_b32 v4, v2, 2, v4
	v_and_b32_e32 v0, 0x60, v0
	v_or3_b32 v41, v4, v0, s7
	v_rcp_iflag_f32_e32 v0, v6
	s_abs_i32 s48, s42
	v_mul_lo_u32 v43, s14, v2
	v_cvt_f32_u32_e32 v2, s48
	v_mul_f32_e32 v0, 0x4f7ffffe, v0
	v_cvt_u32_f32_e32 v0, v0
	s_sub_i32 s6, 0, s47
	v_rcp_iflag_f32_e32 v2, v2
	v_add_u32_e32 v1, 1, v1
	v_readfirstlane_b32 s7, v0
	s_mul_i32 s6, s6, s7
	v_mul_f32_e32 v0, 0x4f7ffffe, v2
	v_cvt_u32_f32_e32 v0, v0
	s_mul_hi_u32 s6, s7, s6
	s_add_i32 s50, s7, s6
	s_sub_i32 s6, 0, s48
	v_readfirstlane_b32 s7, v0
	v_mbcnt_lo_u32_b32 v0, -1, 0
	v_and_b32_e32 v1, 63, v1
	s_mul_i32 s6, s6, s7
	v_mbcnt_hi_u32_b32 v0, -1, v0
	v_mov_b32_e32 v7, 0xeeee
	v_mov_b32_e32 v8, 0x4444
	;; [unrolled: 1-line block ×3, first 2 shown]
	s_mul_hi_u32 s6, s7, s6
	v_and_or_b32 v0, v0, 64, v1
	v_cndmask_b32_e64 v32, 0, 1, s[0:1]
	s_mov_b32 s29, 0
	v_cndmask_b32_e32 v33, v7, v8, vcc
	v_or_b32_e32 v37, 16, v16
	v_or_b32_e32 v38, 32, v16
	v_ashrrev_i32_e32 v19, 31, v18
	v_and_b32_e32 v22, 48, v5
	v_ashrrev_i32_e32 v25, 31, v24
	v_mov_b32_e32 v23, v21
	s_lshl_b32 s46, s15, 4
	v_bitop3_b32 v42, v3, 7, v3 bitop3:0xc
	v_and_b32_e32 v26, 0x70, v5
	v_mov_b32_e32 v27, v21
	s_lshl_b32 s28, s17, 8
	s_ashr_i32 s49, s33, 31
	s_ashr_i32 s51, s42, 31
	s_add_i32 s52, s7, s6
	s_movk_i32 s53, 0x3000
	s_mov_b32 s54, 0x55555556
	v_lshlrev_b32_e32 v44, 2, v0
	v_mov_b32_e32 v45, v14
	s_branch .LBB83_7
.LBB83_4:                               ;   in Loop: Header=BB83_7 Depth=1
	s_or_b64 exec, exec, s[10:11]
.LBB83_5:                               ;   in Loop: Header=BB83_7 Depth=1
	s_or_b64 exec, exec, s[8:9]
	v_subrev_u32_e32 v45, s55, v45
.LBB83_6:                               ;   in Loop: Header=BB83_7 Depth=1
	s_or_b64 exec, exec, s[6:7]
	s_add_i32 s43, s43, 1
	v_cmp_ge_i32_e32 vcc, s43, v17
	s_cbranch_vccnz .LBB83_47
.LBB83_7:                               ; =>This Loop Header: Depth=1
                                        ;     Child Loop BB83_13 Depth 2
                                        ;       Child Loop BB83_15 Depth 3
                                        ;       Child Loop BB83_18 Depth 3
	;; [unrolled: 1-line block ×4, first 2 shown]
                                        ;     Child Loop BB83_34 Depth 2
                                        ;       Child Loop BB83_36 Depth 3
                                        ;     Child Loop BB83_44 Depth 2
                                        ;       Child Loop BB83_46 Depth 3
	s_abs_i32 s7, s43
	s_mul_hi_u32 s8, s7, s50
	s_mul_i32 s9, s8, s47
	s_ashr_i32 s6, s43, 31
	s_sub_i32 s7, s7, s9
	s_xor_b32 s6, s6, s49
	s_add_i32 s9, s8, 1
	s_sub_i32 s10, s7, s47
	s_cmp_ge_u32 s7, s47
	s_cselect_b32 s8, s9, s8
	s_cselect_b32 s7, s10, s7
	s_add_i32 s9, s8, 1
	s_cmp_ge_u32 s7, s47
	s_cselect_b32 s7, s9, s8
	s_xor_b32 s7, s7, s6
	s_sub_i32 s6, s7, s6
	s_abs_i32 s8, s6
	s_mul_i32 s7, s6, s33
	s_mul_hi_u32 s9, s8, s52
	s_sub_i32 s7, s43, s7
	s_mul_i32 s10, s9, s48
	s_lshl_b32 s56, s7, 3
	s_ashr_i32 s7, s6, 31
	s_sub_i32 s8, s8, s10
	s_xor_b32 s7, s7, s51
	s_add_i32 s10, s9, 1
	s_sub_i32 s11, s8, s48
	s_cmp_ge_u32 s8, s48
	s_cselect_b32 s9, s10, s9
	s_cselect_b32 s8, s11, s8
	s_add_i32 s10, s9, 1
	s_cmp_ge_u32 s8, s48
	s_cselect_b32 s8, s10, s9
	s_xor_b32 s8, s8, s7
	s_sub_i32 s7, s8, s7
	s_mul_i32 s8, s7, s44
	s_lshl_b32 s57, s8, 8
	s_cmp_eq_u32 s7, s16
	s_cselect_b32 s55, s45, s44
	s_sub_i32 s58, s56, s12
	s_add_i32 s58, s58, 8
	s_and_saveexec_b64 s[8:9], s[2:3]
	s_xor_b64 s[30:31], exec, s[8:9]
	s_cbranch_execz .LBB83_40
; %bb.8:                                ;   in Loop: Header=BB83_7 Depth=1
	s_mul_i32 s7, s7, s42
	s_sub_i32 s6, s6, s7
	s_mul_i32 s6, s6, 48
	s_sub_i32 s35, s6, s13
	s_add_i32 s35, s35, 48
	s_max_i32 s7, s35, 0
	s_sub_i32 s34, s6, s7
	s_and_saveexec_b64 s[6:7], s[0:1]
	s_xor_b64 s[36:37], exec, s[6:7]
	s_cbranch_execz .LBB83_30
; %bb.9:                                ;   in Loop: Header=BB83_7 Depth=1
	s_and_saveexec_b64 s[38:39], s[4:5]
	s_cbranch_execz .LBB83_29
; %bb.10:                               ;   in Loop: Header=BB83_7 Depth=1
	s_waitcnt lgkmcnt(0)
	global_load_dword v20, v21, s[26:27]
	v_mov_b32_e32 v11, 0
	v_cmp_gt_i32_e32 vcc, s55, v45
	v_mov_b32_e32 v10, v11
	v_mov_b32_e32 v9, v11
	;; [unrolled: 1-line block ×11, first 2 shown]
	s_and_saveexec_b64 s[6:7], vcc
	s_cbranch_execz .LBB83_26
; %bb.11:                               ;   in Loop: Header=BB83_7 Depth=1
	v_mov_b32_e32 v0, 0
	s_mov_b64 s[8:9], 0
	v_mov_b32_e32 v1, v0
	v_mov_b32_e32 v2, v0
	;; [unrolled: 1-line block ×11, first 2 shown]
	s_branch .LBB83_13
.LBB83_12:                              ;   in Loop: Header=BB83_13 Depth=2
	s_or_b64 exec, exec, s[10:11]
	v_add_u32_e32 v52, 0x2000, v49
	ds_read2_b32 v[50:51], v52 offset1:32
	ds_read2_b32 v[52:53], v52 offset0:64 offset1:96
	v_add_u32_e32 v56, 0x2400, v49
	ds_read2_b32 v[54:55], v56 offset1:32
	ds_read2_b32 v[56:57], v56 offset0:64 offset1:96
	v_add_u32_e32 v45, s19, v45
	v_cmp_le_i32_e32 vcc, s55, v45
	s_waitcnt lgkmcnt(2)
	v_smfmac_f32_16x16x64_fp8_fp8 v[0:3], v[30:31], v[50:53], v33 cbsz:7 abid:1
	v_add_u32_e32 v30, 0x2800, v49
	ds_read2_b32 v[50:51], v30 offset1:32
	ds_read2_b32 v[52:53], v30 offset0:64 offset1:96
	v_add_u32_e32 v30, 0x2c00, v49
	s_waitcnt lgkmcnt(2)
	v_smfmac_f32_16x16x64_fp8_fp8 v[0:3], v[28:29], v[54:57], v33 cbsz:7 abid:1
	ds_read2_b32 v[28:29], v30 offset1:32
	ds_read2_b32 v[30:31], v30 offset0:64 offset1:96
	s_or_b64 s[8:9], vcc, s[8:9]
	ds_write_b32 v48, v47 offset:57368
	s_waitcnt lgkmcnt(3)
	v_smfmac_f32_16x16x64_fp8_fp8 v[0:3], v[14:15], v[50:53], v33 cbsz:7 abid:1
	v_add_u32_e32 v14, s19, v46
	v_add_u32_e32 v15, 2, v32
	v_cmp_lt_i32_e32 vcc, 3, v14
	s_waitcnt lgkmcnt(1)
	v_smfmac_f32_16x16x64_fp8_fp8 v[0:3], v[12:13], v[28:31], v33 cbsz:7 abid:1
	v_cndmask_b32_e32 v32, v32, v15, vcc
	s_andn2_b64 exec, exec, s[8:9]
	s_cbranch_execz .LBB83_25
.LBB83_13:                              ;   Parent Loop BB83_7 Depth=1
                                        ; =>  This Loop Header: Depth=2
                                        ;       Child Loop BB83_15 Depth 3
                                        ;       Child Loop BB83_18 Depth 3
	;; [unrolled: 1-line block ×4, first 2 shown]
	v_cmp_gt_i32_e32 vcc, 4, v14
	s_nop 1
	v_cndmask_b32_e64 v12, -4, 0, vcc
	v_add_u32_e32 v46, v12, v14
	v_lshlrev_b32_e32 v12, 2, v46
	ds_read_b32 v13, v12 offset:57344
	v_add_u32_e32 v48, 0xe000, v12
	s_waitcnt lgkmcnt(0)
	v_cmp_ne_u32_e32 vcc, v13, v32
	s_and_saveexec_b64 s[10:11], vcc
	s_cbranch_execz .LBB83_16
; %bb.14:                               ;   in Loop: Header=BB83_13 Depth=2
	s_mov_b64 s[40:41], 0
.LBB83_15:                              ;   Parent Loop BB83_7 Depth=1
                                        ;     Parent Loop BB83_13 Depth=2
                                        ; =>    This Inner Loop Header: Depth=3
	;;#ASMSTART
	s_sleep 0
	;;#ASMEND
	ds_read_b32 v12, v48
	s_waitcnt lgkmcnt(0)
	v_cmp_eq_u32_e32 vcc, v12, v32
	s_or_b64 s[40:41], vcc, s[40:41]
	s_andn2_b64 exec, exec, s[40:41]
	s_cbranch_execnz .LBB83_15
.LBB83_16:                              ;   in Loop: Header=BB83_13 Depth=2
	s_or_b64 exec, exec, s[10:11]
	v_lshl_add_u32 v12, v46, 11, v34
	ds_read2_b32 v[30:31], v12 offset1:32
	ds_read2_b32 v[28:29], v12 offset0:128 offset1:160
	v_add_u32_e32 v12, 0x400, v12
	v_add_u32_e32 v47, 1, v32
	ds_read2_b32 v[14:15], v12 offset1:32
	ds_read2_b32 v[12:13], v12 offset0:128 offset1:160
	;;#ASMSTART
	s_waitcnt lgkmcnt(0)
	;;#ASMEND
	ds_write_b32 v48, v47
	v_mul_lo_u32 v48, v46, 12
	ds_read_b32 v49, v48 offset:57360
	s_waitcnt lgkmcnt(0)
	v_cmp_ne_u32_e32 vcc, v49, v32
	s_and_saveexec_b64 s[10:11], vcc
	s_cbranch_execz .LBB83_19
; %bb.17:                               ;   in Loop: Header=BB83_13 Depth=2
	s_mov_b64 s[40:41], 0
.LBB83_18:                              ;   Parent Loop BB83_7 Depth=1
                                        ;     Parent Loop BB83_13 Depth=2
                                        ; =>    This Inner Loop Header: Depth=3
	;;#ASMSTART
	s_sleep 0
	;;#ASMEND
	ds_read_b32 v49, v48 offset:57360
	s_waitcnt lgkmcnt(0)
	v_cmp_eq_u32_e32 vcc, v49, v32
	s_or_b64 s[40:41], vcc, s[40:41]
	s_andn2_b64 exec, exec, s[40:41]
	s_cbranch_execnz .LBB83_18
.LBB83_19:                              ;   in Loop: Header=BB83_13 Depth=2
	s_or_b64 exec, exec, s[10:11]
	v_mul_lo_u32 v49, v46, s53
	v_or_b32_e32 v58, v35, v49
	ds_read2_b32 v[50:51], v58 offset1:32
	ds_read2_b32 v[52:53], v58 offset0:64 offset1:96
	v_add_u32_e32 v56, 0x400, v58
	ds_read2_b32 v[54:55], v56 offset1:32
	ds_read2_b32 v[56:57], v56 offset0:64 offset1:96
	s_waitcnt lgkmcnt(2)
	v_smfmac_f32_16x16x64_fp8_fp8 v[8:11], v[30:31], v[50:53], v33 cbsz:7 abid:1
	v_add_u32_e32 v52, 0x800, v58
	ds_read2_b32 v[50:51], v52 offset1:32
	ds_read2_b32 v[52:53], v52 offset0:64 offset1:96
	s_waitcnt lgkmcnt(2)
	v_smfmac_f32_16x16x64_fp8_fp8 v[8:11], v[28:29], v[54:57], v33 cbsz:7 abid:1
	v_add_u32_e32 v56, 0xc00, v58
	ds_read2_b32 v[54:55], v56 offset1:32
	s_waitcnt lgkmcnt(1)
	v_smfmac_f32_16x16x64_fp8_fp8 v[8:11], v[14:15], v[50:53], v33 cbsz:7 abid:1
	ds_read2_b32 v[56:57], v56 offset0:64 offset1:96
	ds_read_b32 v50, v48 offset:57364
	ds_write_b32 v48, v47 offset:57360
	s_waitcnt lgkmcnt(1)
	v_cmp_ne_u32_e32 vcc, v50, v32
	v_smfmac_f32_16x16x64_fp8_fp8 v[8:11], v[12:13], v[54:57], v33 cbsz:7 abid:1
	s_and_saveexec_b64 s[10:11], vcc
	s_cbranch_execz .LBB83_22
; %bb.20:                               ;   in Loop: Header=BB83_13 Depth=2
	s_mov_b64 s[40:41], 0
.LBB83_21:                              ;   Parent Loop BB83_7 Depth=1
                                        ;     Parent Loop BB83_13 Depth=2
                                        ; =>    This Inner Loop Header: Depth=3
	;;#ASMSTART
	s_sleep 0
	;;#ASMEND
	ds_read_b32 v50, v48 offset:57364
	s_waitcnt lgkmcnt(0)
	v_cmp_eq_u32_e32 vcc, v50, v32
	s_or_b64 s[40:41], vcc, s[40:41]
	s_andn2_b64 exec, exec, s[40:41]
	s_cbranch_execnz .LBB83_21
.LBB83_22:                              ;   in Loop: Header=BB83_13 Depth=2
	s_or_b64 exec, exec, s[10:11]
	v_add_u32_e32 v49, v35, v49
	v_add_u32_e32 v52, 0x1000, v49
	ds_read2_b32 v[50:51], v52 offset1:32
	ds_read2_b32 v[52:53], v52 offset0:64 offset1:96
	v_add_u32_e32 v56, 0x1400, v49
	ds_read2_b32 v[54:55], v56 offset1:32
	ds_read2_b32 v[56:57], v56 offset0:64 offset1:96
	s_waitcnt lgkmcnt(2)
	v_smfmac_f32_16x16x64_fp8_fp8 v[4:7], v[30:31], v[50:53], v33 cbsz:7 abid:1
	v_add_u32_e32 v52, 0x1800, v49
	ds_read2_b32 v[50:51], v52 offset1:32
	ds_read2_b32 v[52:53], v52 offset0:64 offset1:96
	s_waitcnt lgkmcnt(2)
	v_smfmac_f32_16x16x64_fp8_fp8 v[4:7], v[28:29], v[54:57], v33 cbsz:7 abid:1
	v_add_u32_e32 v56, 0x1c00, v49
	ds_read2_b32 v[54:55], v56 offset1:32
	s_waitcnt lgkmcnt(1)
	v_smfmac_f32_16x16x64_fp8_fp8 v[4:7], v[14:15], v[50:53], v33 cbsz:7 abid:1
	ds_read2_b32 v[56:57], v56 offset0:64 offset1:96
	ds_read_b32 v50, v48 offset:57368
	ds_write_b32 v48, v47 offset:57364
	s_waitcnt lgkmcnt(1)
	v_cmp_ne_u32_e32 vcc, v50, v32
	v_smfmac_f32_16x16x64_fp8_fp8 v[4:7], v[12:13], v[54:57], v33 cbsz:7 abid:1
	s_and_saveexec_b64 s[10:11], vcc
	s_cbranch_execz .LBB83_12
; %bb.23:                               ;   in Loop: Header=BB83_13 Depth=2
	s_mov_b64 s[40:41], 0
.LBB83_24:                              ;   Parent Loop BB83_7 Depth=1
                                        ;     Parent Loop BB83_13 Depth=2
                                        ; =>    This Inner Loop Header: Depth=3
	;;#ASMSTART
	s_sleep 0
	;;#ASMEND
	ds_read_b32 v50, v48 offset:57368
	s_waitcnt lgkmcnt(0)
	v_cmp_eq_u32_e32 vcc, v50, v32
	s_or_b64 s[40:41], vcc, s[40:41]
	s_andn2_b64 exec, exec, s[40:41]
	s_cbranch_execnz .LBB83_24
	s_branch .LBB83_12
.LBB83_25:                              ;   in Loop: Header=BB83_7 Depth=1
	s_or_b64 exec, exec, s[8:9]
.LBB83_26:                              ;   in Loop: Header=BB83_7 Depth=1
	s_or_b64 exec, exec, s[6:7]
	v_cmp_le_i32_e32 vcc, s35, v16
	v_mov_b32_e32 v28, v9
	v_mov_b32_e32 v29, v10
	;; [unrolled: 1-line block ×3, first 2 shown]
	s_waitcnt vmcnt(0)
	v_cndmask_b32_e32 v12, 0, v20, vcc
	v_pk_add_f32 v[8:9], v[28:29], v[8:9]
	v_cmp_eq_u32_e32 vcc, 1, v36
	v_pk_mul_f32 v[8:9], v[12:13], v[8:9] op_sel_hi:[0,1]
	v_cmp_eq_u32_e64 s[6:7], 2, v36
	v_cndmask_b32_e32 v12, v8, v9, vcc
	v_cmp_le_i32_e64 s[10:11], s35, v37
	v_mov_b32_e32 v28, v5
	v_mov_b32_e32 v29, v6
	v_mov_b32_e32 v5, v7
	v_cndmask_b32_e64 v10, v12, v10, s[6:7]
	v_cndmask_b32_e64 v12, 0, v20, s[10:11]
	v_pk_add_f32 v[4:5], v[28:29], v[4:5]
	v_cmp_eq_u32_e64 s[8:9], 3, v36
	v_pk_mul_f32 v[4:5], v[12:13], v[4:5] op_sel_hi:[0,1]
	v_mov_b32_e32 v28, v1
	v_cndmask_b32_e64 v10, v10, v11, s[8:9]
	v_cndmask_b32_e32 v11, v4, v5, vcc
	v_cmp_le_i32_e32 vcc, s35, v38
	v_mov_b32_e32 v29, v2
	v_mov_b32_e32 v1, v3
	v_cndmask_b32_e32 v12, 0, v20, vcc
	v_pk_add_f32 v[0:1], v[28:29], v[0:1]
	v_cndmask_b32_e64 v6, v11, v6, s[6:7]
	v_pk_mul_f32 v[0:1], v[12:13], v[0:1] op_sel_hi:[0,1]
	v_cmp_ne_u32_e32 vcc, 0, v36
	v_cndmask_b32_e64 v6, v6, v7, s[8:9]
	ds_bpermute_b32 v10, v44, v10
	v_cndmask_b32_e32 v7, v0, v1, vcc
	v_cndmask_b32_e64 v2, v7, v2, s[6:7]
	v_cndmask_b32_e64 v2, v2, v3, s[8:9]
	ds_bpermute_b32 v6, v44, v6
	ds_bpermute_b32 v2, v44, v2
	v_cmp_lt_i32_e32 vcc, s58, v39
	s_and_saveexec_b64 s[8:9], vcc
	s_cbranch_execz .LBB83_28
; %bb.27:                               ;   in Loop: Header=BB83_7 Depth=1
	s_mul_i32 s6, s56, s13
	s_ashr_i32 s7, s6, 31
	s_lshl_b64 s[6:7], s[6:7], 1
	s_add_u32 s10, s24, s6
	s_addc_u32 s11, s25, s7
	s_ashr_i32 s35, s34, 31
	s_lshl_b64 s[6:7], s[34:35], 1
	s_add_u32 s10, s10, s6
	s_addc_u32 s11, s11, s7
	v_cmp_ne_u32_e32 vcc, 0, v36
	v_cmp_eq_u32_e64 s[6:7], 0, v36
	v_lshlrev_b32_e32 v20, 1, v16
	s_waitcnt lgkmcnt(0)
	v_cndmask_b32_e32 v7, v1, v2, vcc
	v_cndmask_b32_e64 v11, v0, v2, s[6:7]
	v_cndmask_b32_e32 v0, v9, v10, vcc
	v_cndmask_b32_e64 v1, v8, v10, s[6:7]
	;; [unrolled: 2-line block ×3, first 2 shown]
	v_cvt_f16_f32_e32 v4, v1
	v_cvt_f16_f32_sdwa v5, v0 dst_sel:WORD_1 dst_unused:UNUSED_PAD src0_sel:DWORD
	v_lshl_add_u64 v[0:1], v[18:19], 1, s[10:11]
	v_lshl_add_u64 v[0:1], v[0:1], 0, v[20:21]
	v_cvt_f16_f32_e32 v6, v11
	v_or_b32_e32 v4, v5, v4
	;;#ASMSTART
	global_atomic_pk_add_f16 v[0:1], v4, off
	
	;;#ASMEND
	v_cvt_f16_f32_e32 v4, v3
	v_cvt_f16_f32_sdwa v5, v2 dst_sel:WORD_1 dst_unused:UNUSED_PAD src0_sel:DWORD
	v_cvt_f16_f32_sdwa v7, v7 dst_sel:WORD_1 dst_unused:UNUSED_PAD src0_sel:DWORD
	v_lshl_add_u64 v[2:3], v[0:1], 0, 32
	v_lshl_add_u64 v[0:1], v[0:1], 0, 64
	v_or_b32_e32 v4, v5, v4
	;;#ASMSTART
	global_atomic_pk_add_f16 v[2:3], v4, off
	
	;;#ASMEND
	v_or_b32_e32 v2, v7, v6
	;;#ASMSTART
	global_atomic_pk_add_f16 v[0:1], v2, off
	
	;;#ASMEND
.LBB83_28:                              ;   in Loop: Header=BB83_7 Depth=1
	s_or_b64 exec, exec, s[8:9]
	v_subrev_u32_e32 v45, s55, v45
.LBB83_29:                              ;   in Loop: Header=BB83_7 Depth=1
	s_or_b64 exec, exec, s[38:39]
.LBB83_30:                              ;   in Loop: Header=BB83_7 Depth=1
	s_andn2_saveexec_b64 s[6:7], s[36:37]
	s_cbranch_execz .LBB83_39
; %bb.31:                               ;   in Loop: Header=BB83_7 Depth=1
	s_mul_i32 s38, s55, 3
	v_cmp_gt_i32_e32 vcc, s38, v45
	s_and_saveexec_b64 s[8:9], vcc
	s_cbranch_execz .LBB83_38
; %bb.32:                               ;   in Loop: Header=BB83_7 Depth=1
	s_mul_i32 s10, s34, s15
	s_ashr_i32 s11, s10, 31
	s_waitcnt lgkmcnt(0)
	s_add_u32 s10, s22, s10
	s_addc_u32 s11, s23, s11
	s_ashr_i32 s34, s57, 31
	s_add_u32 s10, s10, s57
	s_addc_u32 s11, s11, s34
	v_lshl_add_u64 v[0:1], s[10:11], 0, v[24:25]
	v_lshl_add_u64 v[28:29], v[0:1], 0, v[22:23]
	s_mov_b64 s[10:11], 0
	s_branch .LBB83_34
.LBB83_33:                              ;   in Loop: Header=BB83_34 Depth=2
	s_or_b64 exec, exec, s[34:35]
	v_lshl_or_b32 v31, v20, 12, v40
	;;#ASMSTART
	s_waitcnt vmcnt(3)
	;;#ASMEND
	ds_write2_b32 v31, v12, v13 offset1:32
	ds_write2_b32 v31, v14, v15 offset0:64 offset1:96
	v_add_u32_e32 v12, 0x400, v31
	;;#ASMSTART
	s_waitcnt vmcnt(2)
	;;#ASMEND
	ds_write2_b32 v12, v8, v9 offset1:32
	ds_write2_b32 v12, v10, v11 offset0:64 offset1:96
	v_add_u32_e32 v8, 0x800, v31
	;; [unrolled: 6-line block ×3, first 2 shown]
	v_add_u32_e32 v45, s18, v45
	;;#ASMSTART
	s_waitcnt vmcnt(0)
	;;#ASMEND
	ds_write2_b32 v4, v0, v1 offset1:32
	ds_write2_b32 v4, v2, v3 offset0:64 offset1:96
	v_add_u32_e32 v0, 1, v32
	v_add_u32_e32 v14, s18, v20
	v_cmp_le_i32_e32 vcc, s38, v45
	ds_write_b32 v30, v0 offset:16
	v_add_u32_e32 v0, 2, v32
	s_or_b64 s[10:11], vcc, s[10:11]
	v_cmp_lt_i32_e32 vcc, 11, v14
	s_nop 1
	v_cndmask_b32_e32 v32, v32, v0, vcc
	s_andn2_b64 exec, exec, s[10:11]
	s_cbranch_execz .LBB83_37
.LBB83_34:                              ;   Parent Loop BB83_7 Depth=1
                                        ; =>  This Loop Header: Depth=2
                                        ;       Child Loop BB83_36 Depth 3
	v_cmp_gt_i32_e32 vcc, 12, v14
	s_nop 1
	v_cndmask_b32_e64 v0, -12, 0, vcc
	v_add_u32_e32 v20, v0, v14
	v_mul_hi_i32 v0, v45, s54
	v_lshrrev_b32_e32 v1, 31, v0
	v_add_u32_e32 v0, v0, v1
	v_lshl_add_u32 v1, v0, 1, v0
	v_sub_u32_e32 v2, v45, v1
	v_lshlrev_b32_e32 v0, 8, v0
	v_ashrrev_i32_e32 v1, 31, v0
	v_mul_lo_u32 v2, s46, v2
	v_lshl_add_u64 v[0:1], v[28:29], 0, v[0:1]
	v_ashrrev_i32_e32 v3, 31, v2
	v_lshl_add_u64 v[0:1], v[0:1], 0, v[2:3]
	v_lshlrev_b32_e32 v30, 2, v20
	;;#ASMSTART
	global_load_dwordx4 v[12:15], v[0:1], off offset:0    sc0 sc1 nt  
	global_load_dwordx4 v[8:11], v[0:1], off offset:64   sc0 sc1 nt  
	global_load_dwordx4 v[4:7], v[0:1], off offset:128  sc0 sc1 nt  
	global_load_dwordx4 v[0:3], v[0:1], off offset:192  sc0 sc1 nt  
	
	;;#ASMEND
	ds_read_b32 v31, v30 offset:57360
	v_add_u32_e32 v30, 0xe000, v30
	s_waitcnt lgkmcnt(0)
	v_cmp_ne_u32_e32 vcc, v31, v32
	s_and_saveexec_b64 s[34:35], vcc
	s_cbranch_execz .LBB83_33
; %bb.35:                               ;   in Loop: Header=BB83_34 Depth=2
	s_mov_b64 s[36:37], 0
.LBB83_36:                              ;   Parent Loop BB83_7 Depth=1
                                        ;     Parent Loop BB83_34 Depth=2
                                        ; =>    This Inner Loop Header: Depth=3
	;;#ASMSTART
	s_sleep 0
	;;#ASMEND
	ds_read_b32 v31, v30 offset:16
	s_waitcnt lgkmcnt(0)
	v_cmp_eq_u32_e32 vcc, v31, v32
	s_or_b64 s[36:37], vcc, s[36:37]
	s_andn2_b64 exec, exec, s[36:37]
	s_cbranch_execnz .LBB83_36
	s_branch .LBB83_33
.LBB83_37:                              ;   in Loop: Header=BB83_7 Depth=1
	s_or_b64 exec, exec, s[10:11]
.LBB83_38:                              ;   in Loop: Header=BB83_7 Depth=1
	s_or_b64 exec, exec, s[8:9]
	v_subrev_u32_e32 v45, s38, v45
.LBB83_39:                              ;   in Loop: Header=BB83_7 Depth=1
	s_or_b64 exec, exec, s[6:7]
.LBB83_40:                              ;   in Loop: Header=BB83_7 Depth=1
	s_andn2_saveexec_b64 s[6:7], s[30:31]
	s_cbranch_execz .LBB83_6
; %bb.41:                               ;   in Loop: Header=BB83_7 Depth=1
	v_cmp_gt_i32_e32 vcc, s55, v45
	s_and_saveexec_b64 s[8:9], vcc
	s_cbranch_execz .LBB83_5
; %bb.42:                               ;   in Loop: Header=BB83_7 Depth=1
	s_mul_i32 s56, s56, s14
	s_ashr_i32 s10, s56, 31
	s_waitcnt lgkmcnt(0)
	s_add_u32 s11, s20, s56
	s_addc_u32 s30, s21, s10
	s_ashr_i32 s31, s57, 31
	v_cmp_le_i32_e32 vcc, s58, v42
	s_add_u32 s10, s11, s57
	s_addc_u32 s11, s30, s31
	v_cndmask_b32_e32 v0, 0, v43, vcc
	v_ashrrev_i32_e32 v1, 31, v0
	v_lshl_add_u64 v[0:1], s[10:11], 0, v[0:1]
	v_lshlrev_b32_e32 v2, 8, v45
	v_lshl_add_u64 v[0:1], v[0:1], 0, v[26:27]
	v_ashrrev_i32_e32 v3, 31, v2
	v_lshl_add_u64 v[8:9], v[0:1], 0, v[2:3]
	s_mov_b64 s[10:11], 0
	s_branch .LBB83_44
.LBB83_43:                              ;   in Loop: Header=BB83_44 Depth=2
	s_or_b64 exec, exec, s[30:31]
	;;#ASMSTART
	s_waitcnt vmcnt(1)
	v_pack_b32_f16 v12, v4, v5, op_sel:[0,0]
	v_pack_b32_f16 v13, v4, v5, op_sel:[1,1]
	v_pack_b32_f16 v14, v6, v7, op_sel:[0,0]
	v_pack_b32_f16 v15, v6, v7, op_sel:[1,1]
	v_swap_b32 v12, v4
	v_swap_b32 v13, v6
	;; [unrolled: 1-line block ×4, first 2 shown]
	;;#ASMEND
	v_add_u32_e32 v45, s17, v45
	v_lshl_add_u32 v12, v10, 11, v41
	ds_write2_b32 v12, v4, v5 offset1:32
	ds_write2_b32 v12, v6, v7 offset0:64 offset1:96
	;;#ASMSTART
	s_waitcnt vmcnt(0)
	v_pack_b32_f16 v4, v0, v1, op_sel:[0,0]
	v_pack_b32_f16 v5, v0, v1, op_sel:[1,1]
	;; [unrolled: 1-line block ×4, first 2 shown]
	v_swap_b32 v4, v0
	v_swap_b32 v5, v2
	;; [unrolled: 1-line block ×4, first 2 shown]
	;;#ASMEND
	v_add_u32_e32 v14, s17, v10
	v_add_u32_e32 v4, 0x400, v12
	ds_write2_b32 v4, v0, v1 offset1:32
	ds_write2_b32 v4, v2, v3 offset0:64 offset1:96
	v_add_u32_e32 v0, 1, v32
	v_cmp_le_i32_e32 vcc, s55, v45
	ds_write_b32 v11, v0
	v_add_u32_e32 v0, 2, v32
	s_or_b64 s[10:11], vcc, s[10:11]
	v_cmp_lt_i32_e32 vcc, 3, v14
	v_lshl_add_u64 v[8:9], v[8:9], 0, s[28:29]
	s_nop 0
	v_cndmask_b32_e32 v32, v32, v0, vcc
	s_andn2_b64 exec, exec, s[10:11]
	s_cbranch_execz .LBB83_4
.LBB83_44:                              ;   Parent Loop BB83_7 Depth=1
                                        ; =>  This Loop Header: Depth=2
                                        ;       Child Loop BB83_46 Depth 3
	v_cmp_gt_i32_e32 vcc, 4, v14
	s_nop 1
	v_cndmask_b32_e64 v0, -4, 0, vcc
	v_add_u32_e32 v10, v0, v14
	v_lshlrev_b32_e32 v11, 2, v10
	;;#ASMSTART
	global_load_dwordx4 v[4:7], v[8:9], off offset:0  
	global_load_dwordx4 v[0:3], v[8:9], off offset:128
	
	;;#ASMEND
	ds_read_b32 v12, v11 offset:57344
	v_add_u32_e32 v11, 0xe000, v11
	s_waitcnt lgkmcnt(0)
	v_cmp_ne_u32_e32 vcc, v12, v32
	s_and_saveexec_b64 s[30:31], vcc
	s_cbranch_execz .LBB83_43
; %bb.45:                               ;   in Loop: Header=BB83_44 Depth=2
	s_mov_b64 s[34:35], 0
.LBB83_46:                              ;   Parent Loop BB83_7 Depth=1
                                        ;     Parent Loop BB83_44 Depth=2
                                        ; =>    This Inner Loop Header: Depth=3
	;;#ASMSTART
	s_sleep 0
	;;#ASMEND
	ds_read_b32 v12, v11
	s_waitcnt lgkmcnt(0)
	v_cmp_eq_u32_e32 vcc, v12, v32
	s_or_b64 s[34:35], vcc, s[34:35]
	s_andn2_b64 exec, exec, s[34:35]
	s_cbranch_execnz .LBB83_46
	s_branch .LBB83_43
.LBB83_47:
	s_endpgm
	.section	.rodata,"a",@progbits
	.p2align	6, 0x0
	.amdhsa_kernel _Z19_skinny_gemm_kernelILi1ELi3ELi4ELi8ELi4EEvPKhS1_P6__halfPKfiiiiiiii
		.amdhsa_group_segment_fixed_size 57408
		.amdhsa_private_segment_fixed_size 0
		.amdhsa_kernarg_size 64
		.amdhsa_user_sgpr_count 2
		.amdhsa_user_sgpr_dispatch_ptr 0
		.amdhsa_user_sgpr_queue_ptr 0
		.amdhsa_user_sgpr_kernarg_segment_ptr 1
		.amdhsa_user_sgpr_dispatch_id 0
		.amdhsa_user_sgpr_kernarg_preload_length 0
		.amdhsa_user_sgpr_kernarg_preload_offset 0
		.amdhsa_user_sgpr_private_segment_size 0
		.amdhsa_uses_dynamic_stack 0
		.amdhsa_enable_private_segment 0
		.amdhsa_system_sgpr_workgroup_id_x 1
		.amdhsa_system_sgpr_workgroup_id_y 0
		.amdhsa_system_sgpr_workgroup_id_z 0
		.amdhsa_system_sgpr_workgroup_info 0
		.amdhsa_system_vgpr_workitem_id 0
		.amdhsa_next_free_vgpr 59
		.amdhsa_next_free_sgpr 59
		.amdhsa_accum_offset 60
		.amdhsa_reserve_vcc 1
		.amdhsa_float_round_mode_32 0
		.amdhsa_float_round_mode_16_64 0
		.amdhsa_float_denorm_mode_32 3
		.amdhsa_float_denorm_mode_16_64 3
		.amdhsa_dx10_clamp 1
		.amdhsa_ieee_mode 1
		.amdhsa_fp16_overflow 0
		.amdhsa_tg_split 0
		.amdhsa_exception_fp_ieee_invalid_op 0
		.amdhsa_exception_fp_denorm_src 0
		.amdhsa_exception_fp_ieee_div_zero 0
		.amdhsa_exception_fp_ieee_overflow 0
		.amdhsa_exception_fp_ieee_underflow 0
		.amdhsa_exception_fp_ieee_inexact 0
		.amdhsa_exception_int_div_zero 0
	.end_amdhsa_kernel
	.section	.text._Z19_skinny_gemm_kernelILi1ELi3ELi4ELi8ELi4EEvPKhS1_P6__halfPKfiiiiiiii,"axG",@progbits,_Z19_skinny_gemm_kernelILi1ELi3ELi4ELi8ELi4EEvPKhS1_P6__halfPKfiiiiiiii,comdat
.Lfunc_end83:
	.size	_Z19_skinny_gemm_kernelILi1ELi3ELi4ELi8ELi4EEvPKhS1_P6__halfPKfiiiiiiii, .Lfunc_end83-_Z19_skinny_gemm_kernelILi1ELi3ELi4ELi8ELi4EEvPKhS1_P6__halfPKfiiiiiiii
                                        ; -- End function
	.set _Z19_skinny_gemm_kernelILi1ELi3ELi4ELi8ELi4EEvPKhS1_P6__halfPKfiiiiiiii.num_vgpr, 59
	.set _Z19_skinny_gemm_kernelILi1ELi3ELi4ELi8ELi4EEvPKhS1_P6__halfPKfiiiiiiii.num_agpr, 0
	.set _Z19_skinny_gemm_kernelILi1ELi3ELi4ELi8ELi4EEvPKhS1_P6__halfPKfiiiiiiii.numbered_sgpr, 59
	.set _Z19_skinny_gemm_kernelILi1ELi3ELi4ELi8ELi4EEvPKhS1_P6__halfPKfiiiiiiii.num_named_barrier, 0
	.set _Z19_skinny_gemm_kernelILi1ELi3ELi4ELi8ELi4EEvPKhS1_P6__halfPKfiiiiiiii.private_seg_size, 0
	.set _Z19_skinny_gemm_kernelILi1ELi3ELi4ELi8ELi4EEvPKhS1_P6__halfPKfiiiiiiii.uses_vcc, 1
	.set _Z19_skinny_gemm_kernelILi1ELi3ELi4ELi8ELi4EEvPKhS1_P6__halfPKfiiiiiiii.uses_flat_scratch, 0
	.set _Z19_skinny_gemm_kernelILi1ELi3ELi4ELi8ELi4EEvPKhS1_P6__halfPKfiiiiiiii.has_dyn_sized_stack, 0
	.set _Z19_skinny_gemm_kernelILi1ELi3ELi4ELi8ELi4EEvPKhS1_P6__halfPKfiiiiiiii.has_recursion, 0
	.set _Z19_skinny_gemm_kernelILi1ELi3ELi4ELi8ELi4EEvPKhS1_P6__halfPKfiiiiiiii.has_indirect_call, 0
	.section	.AMDGPU.csdata,"",@progbits
; Kernel info:
; codeLenInByte = 3800
; TotalNumSgprs: 65
; NumVgprs: 59
; NumAgprs: 0
; TotalNumVgprs: 59
; ScratchSize: 0
; MemoryBound: 0
; FloatMode: 240
; IeeeMode: 1
; LDSByteSize: 57408 bytes/workgroup (compile time only)
; SGPRBlocks: 8
; VGPRBlocks: 7
; NumSGPRsForWavesPerEU: 65
; NumVGPRsForWavesPerEU: 59
; AccumOffset: 60
; Occupancy: 8
; WaveLimiterHint : 0
; COMPUTE_PGM_RSRC2:SCRATCH_EN: 0
; COMPUTE_PGM_RSRC2:USER_SGPR: 2
; COMPUTE_PGM_RSRC2:TRAP_HANDLER: 0
; COMPUTE_PGM_RSRC2:TGID_X_EN: 1
; COMPUTE_PGM_RSRC2:TGID_Y_EN: 0
; COMPUTE_PGM_RSRC2:TGID_Z_EN: 0
; COMPUTE_PGM_RSRC2:TIDIG_COMP_CNT: 0
; COMPUTE_PGM_RSRC3_GFX90A:ACCUM_OFFSET: 14
; COMPUTE_PGM_RSRC3_GFX90A:TG_SPLIT: 0
	.section	.text._Z19_skinny_gemm_kernelILi1ELi3ELi4ELi16ELi4EEvPKhS1_P6__halfPKfiiiiiiii,"axG",@progbits,_Z19_skinny_gemm_kernelILi1ELi3ELi4ELi16ELi4EEvPKhS1_P6__halfPKfiiiiiiii,comdat
	.protected	_Z19_skinny_gemm_kernelILi1ELi3ELi4ELi16ELi4EEvPKhS1_P6__halfPKfiiiiiiii ; -- Begin function _Z19_skinny_gemm_kernelILi1ELi3ELi4ELi16ELi4EEvPKhS1_P6__halfPKfiiiiiiii
	.globl	_Z19_skinny_gemm_kernelILi1ELi3ELi4ELi16ELi4EEvPKhS1_P6__halfPKfiiiiiiii
	.p2align	8
	.type	_Z19_skinny_gemm_kernelILi1ELi3ELi4ELi16ELi4EEvPKhS1_P6__halfPKfiiiiiiii,@function
_Z19_skinny_gemm_kernelILi1ELi3ELi4ELi16ELi4EEvPKhS1_P6__halfPKfiiiiiiii: ; @_Z19_skinny_gemm_kernelILi1ELi3ELi4ELi16ELi4EEvPKhS1_P6__halfPKfiiiiiiii
; %bb.0:
	v_cmp_gt_u32_e32 vcc, 16, v0
	v_lshlrev_b32_e32 v1, 2, v0
	s_and_saveexec_b64 s[4:5], vcc
; %bb.1:
	v_mov_b32_e32 v2, 0
	ds_write_b32 v1, v2 offset:32768
; %bb.2:
	s_or_b64 exec, exec, s[4:5]
	s_load_dwordx8 s[20:27], s[0:1], 0x20
	s_waitcnt lgkmcnt(0)
	s_barrier
	s_add_i32 s3, s20, 15
	s_ashr_i32 s5, s3, 31
	s_add_i32 s4, s21, 47
	s_lshr_b32 s5, s5, 28
	s_mul_hi_i32 s4, s4, 0x2aaaaaab
	s_add_i32 s3, s3, s5
	s_ashr_i32 s33, s3, 4
	s_lshr_b32 s3, s4, 31
	s_ashr_i32 s48, s4, 3
	s_add_i32 s48, s48, s3
	s_mul_i32 s3, s48, s33
	s_mul_i32 s3, s3, s24
	s_add_i32 s4, s3, 0x12f
	s_mul_hi_i32 s4, s4, 0x6bca1af3
	s_lshr_b32 s5, s4, 31
	s_ashr_i32 s4, s4, 7
	s_add_i32 s4, s4, s5
	s_add_i32 s5, s2, 1
	s_mul_i32 s5, s4, s5
	v_cvt_f64_i32_e32 v[2:3], s3
	v_cvt_f64_u32_e32 v[4:5], s5
	v_min_f64 v[2:3], v[2:3], v[4:5]
	v_cvt_i32_f64_e32 v13, v[2:3]
	s_mul_i32 s49, s4, s2
	v_cmp_ge_i32_e32 vcc, s49, v13
	s_cbranch_vccnz .LBB84_48
; %bb.3:
	v_lshrrev_b32_e32 v2, 6, v0
	s_add_i32 s4, s26, s25
	s_load_dwordx8 s[36:43], s[0:1], 0x0
	v_cmp_le_i32_e64 s[0:1], s4, v2
	v_mov_b32_e32 v3, s25
	v_cmp_le_i32_e64 s[2:3], s25, v2
	v_mov_b32_e32 v4, s26
	v_cndmask_b32_e64 v4, 0, v4, s[0:1]
	v_cndmask_b32_e64 v3, 0, v3, s[2:3]
	s_abs_i32 s5, s24
	v_add_u32_e32 v3, v3, v4
	v_cvt_f32_u32_e32 v4, s5
	v_sub_u32_e32 v20, v2, v3
	s_ashr_i32 s6, s22, 31
	s_lshr_b32 s6, s6, 25
	v_rcp_iflag_f32_e32 v3, v4
	s_sub_i32 s9, 0, s5
	s_add_i32 s6, s22, s6
	s_ashr_i32 s6, s6, 7
	v_mul_f32_e32 v3, 0x4f7ffffe, v3
	v_cvt_u32_f32_e32 v3, v3
	s_abs_i32 s8, s6
	s_xor_b32 s7, s6, s24
	s_ashr_i32 s7, s7, 31
	v_readfirstlane_b32 s10, v3
	s_mul_i32 s9, s9, s10
	s_mul_hi_u32 s9, s10, s9
	s_add_i32 s10, s10, s9
	s_mul_hi_u32 s9, s8, s10
	s_mul_i32 s10, s9, s5
	s_sub_i32 s8, s8, s10
	s_add_i32 s10, s9, 1
	s_sub_i32 s11, s8, s5
	s_cmp_ge_u32 s8, s5
	s_cselect_b32 s9, s10, s9
	s_cselect_b32 s8, s11, s8
	s_add_i32 s10, s9, 1
	s_cmp_ge_u32 s8, s5
	s_cselect_b32 s5, s10, s9
	s_xor_b32 s5, s5, s7
	s_sub_i32 s50, s5, s7
	s_add_i32 s24, s24, -1
	s_mul_i32 s5, s50, s24
	s_add_i32 s4, s4, s27
	s_sub_i32 s51, s6, s5
	v_cmp_gt_i32_e64 s[4:5], s4, v2
	v_lshlrev_b32_e32 v2, 1, v0
	v_lshlrev_b32_e32 v3, 4, v0
	v_and_b32_e32 v1, 60, v1
	v_and_b32_e32 v2, 64, v2
	;; [unrolled: 1-line block ×3, first 2 shown]
	s_abs_i32 s52, s33
	v_or3_b32 v33, v1, v2, v4
	v_and_b32_e32 v1, 1, v0
	v_cvt_f32_u32_e32 v6, s52
	v_lshlrev_b32_e32 v2, 1, v1
	v_lshrrev_b32_e32 v4, 2, v0
	v_and_b32_e32 v12, 14, v0
	v_sub_u32_e32 v2, v0, v2
	v_and_or_b32 v35, v4, 12, v1
	v_bitop3_b32 v36, v0, 1, v0 bitop3:0xc
	v_bitop3_b32 v37, v0, 3, 1 bitop3:0x6c
	v_and_b32_e32 v16, 48, v3
	v_bfe_u32 v1, v0, 2, 4
	v_and_b32_e32 v3, 60, v0
	v_lshlrev_b32_e32 v5, 8, v0
	v_lshlrev_b32_e32 v0, 6, v0
	v_and_b32_e32 v5, 0x200, v5
	v_and_b32_e32 v0, 64, v0
	v_or3_b32 v40, v3, v5, v0
	v_rcp_iflag_f32_e32 v0, v6
	s_abs_i32 s54, s48
	v_mul_lo_u32 v18, s23, v1
	v_mul_lo_u32 v42, s22, v1
	v_cvt_f32_u32_e32 v1, s54
	v_mul_f32_e32 v0, 0x4f7ffffe, v0
	v_cvt_u32_f32_e32 v0, v0
	v_mad_u64_u32 v[14:15], s[6:7], s21, v35, v[12:13]
	v_rcp_iflag_f32_e32 v1, v1
	v_readfirstlane_b32 s7, v0
	s_sub_i32 s6, 0, s52
	s_mul_i32 s6, s6, s7
	v_mul_f32_e32 v0, 0x4f7ffffe, v1
	v_cvt_u32_f32_e32 v0, v0
	s_mul_hi_u32 s6, s7, s6
	v_add_u32_e32 v2, 1, v2
	s_add_i32 s56, s7, s6
	s_sub_i32 s6, 0, s54
	v_readfirstlane_b32 s7, v0
	v_mbcnt_lo_u32_b32 v0, -1, 0
	v_and_b32_e32 v2, 63, v2
	s_mul_i32 s6, s6, s7
	v_mbcnt_hi_u32_b32 v0, -1, v0
	s_mul_hi_u32 s6, s7, s6
	v_and_or_b32 v0, v0, 64, v2
	v_cndmask_b32_e64 v32, 0, 1, s[0:1]
	v_or_b32_e32 v34, 0x6000, v33
	v_or_b32_e32 v38, 16, v12
	;; [unrolled: 1-line block ×3, first 2 shown]
	v_ashrrev_i32_e32 v15, 31, v14
	s_ashr_i32 s29, s21, 31
	s_mov_b32 s28, s21
	v_ashrrev_i32_e32 v19, 31, v18
	v_mov_b32_e32 v17, 0
	s_lshl_b32 s53, s23, 4
	v_bitop3_b32 v41, v4, 15, v4 bitop3:0xc
	v_or_b32_e32 v43, 0x6000, v40
	s_ashr_i32 s55, s33, 31
	s_ashr_i32 s57, s48, 31
	s_add_i32 s58, s7, s6
	s_movk_i32 s59, 0x1800
	s_mov_b32 s60, 0x55555556
	v_lshlrev_b32_e32 v44, 2, v0
	v_mov_b32_e32 v45, v20
	s_branch .LBB84_7
.LBB84_4:                               ;   in Loop: Header=BB84_7 Depth=1
	s_or_b64 exec, exec, s[10:11]
.LBB84_5:                               ;   in Loop: Header=BB84_7 Depth=1
	s_or_b64 exec, exec, s[8:9]
	v_subrev_u32_e32 v45, s61, v45
.LBB84_6:                               ;   in Loop: Header=BB84_7 Depth=1
	s_or_b64 exec, exec, s[6:7]
	s_add_i32 s49, s49, 1
	v_cmp_ge_i32_e32 vcc, s49, v13
	s_cbranch_vccnz .LBB84_48
.LBB84_7:                               ; =>This Loop Header: Depth=1
                                        ;     Child Loop BB84_13 Depth 2
                                        ;       Child Loop BB84_15 Depth 3
                                        ;       Child Loop BB84_18 Depth 3
	;; [unrolled: 1-line block ×4, first 2 shown]
                                        ;     Child Loop BB84_35 Depth 2
                                        ;       Child Loop BB84_37 Depth 3
                                        ;     Child Loop BB84_45 Depth 2
                                        ;       Child Loop BB84_47 Depth 3
	s_abs_i32 s7, s49
	s_mul_hi_u32 s8, s7, s56
	s_mul_i32 s9, s8, s52
	s_ashr_i32 s6, s49, 31
	s_sub_i32 s7, s7, s9
	s_xor_b32 s6, s6, s55
	s_add_i32 s9, s8, 1
	s_sub_i32 s10, s7, s52
	s_cmp_ge_u32 s7, s52
	s_cselect_b32 s8, s9, s8
	s_cselect_b32 s7, s10, s7
	s_add_i32 s9, s8, 1
	s_cmp_ge_u32 s7, s52
	s_cselect_b32 s7, s9, s8
	s_xor_b32 s7, s7, s6
	s_sub_i32 s6, s7, s6
	s_abs_i32 s8, s6
	s_mul_i32 s7, s6, s33
	s_mul_hi_u32 s9, s8, s58
	s_sub_i32 s7, s49, s7
	s_mul_i32 s10, s9, s54
	s_lshl_b32 s62, s7, 4
	s_ashr_i32 s7, s6, 31
	s_sub_i32 s8, s8, s10
	s_xor_b32 s7, s7, s57
	s_add_i32 s10, s9, 1
	s_sub_i32 s11, s8, s54
	s_cmp_ge_u32 s8, s54
	s_cselect_b32 s9, s10, s9
	s_cselect_b32 s8, s11, s8
	s_add_i32 s10, s9, 1
	s_cmp_ge_u32 s8, s54
	s_cselect_b32 s8, s10, s9
	s_xor_b32 s8, s8, s7
	s_sub_i32 s7, s8, s7
	s_mul_i32 s8, s7, s50
	s_lshl_b32 s63, s8, 7
	s_cmp_eq_u32 s7, s24
	s_cselect_b32 s61, s51, s50
	s_sub_i32 s64, s62, s20
	s_add_i32 s64, s64, 16
	s_and_saveexec_b64 s[8:9], s[2:3]
	s_xor_b64 s[30:31], exec, s[8:9]
	s_cbranch_execz .LBB84_41
; %bb.8:                                ;   in Loop: Header=BB84_7 Depth=1
	s_mul_i32 s7, s7, s48
	s_sub_i32 s6, s6, s7
	s_mul_i32 s6, s6, 48
	s_sub_i32 s18, s6, s21
	s_add_i32 s18, s18, 48
	s_max_i32 s7, s18, 0
	s_sub_i32 s34, s6, s7
	s_and_saveexec_b64 s[6:7], s[0:1]
	s_xor_b64 s[44:45], exec, s[6:7]
	s_cbranch_execz .LBB84_31
; %bb.9:                                ;   in Loop: Header=BB84_7 Depth=1
	s_and_saveexec_b64 s[46:47], s[4:5]
	s_cbranch_execz .LBB84_30
; %bb.10:                               ;   in Loop: Header=BB84_7 Depth=1
	s_waitcnt lgkmcnt(0)
	global_load_dword v46, v17, s[42:43]
	v_mov_b32_e32 v11, 0
	v_cmp_gt_i32_e32 vcc, s61, v45
	v_mov_b32_e32 v10, v11
	v_mov_b32_e32 v9, v11
	;; [unrolled: 1-line block ×11, first 2 shown]
	s_and_saveexec_b64 s[6:7], vcc
	s_cbranch_execz .LBB84_26
; %bb.11:                               ;   in Loop: Header=BB84_7 Depth=1
	v_mov_b32_e32 v0, 0
	s_mov_b64 s[8:9], 0
	v_mov_b32_e32 v1, v0
	v_mov_b32_e32 v2, v0
	;; [unrolled: 1-line block ×11, first 2 shown]
	s_branch .LBB84_13
.LBB84_12:                              ;   in Loop: Header=BB84_13 Depth=2
	s_or_b64 exec, exec, s[10:11]
	v_add_u32_e32 v29, 0x1000, v28
	ds_read2_b32 v[30:31], v29 offset1:32
	v_add_u32_e32 v45, s27, v45
	v_cmp_le_i32_e32 vcc, s61, v45
	s_or_b64 s[8:9], vcc, s[8:9]
	s_waitcnt lgkmcnt(0)
	v_mfma_f32_16x16x32_fp8_fp8 v[0:3], v[20:21], v[30:31], v[0:3]
	ds_read2_b32 v[20:21], v29 offset0:128 offset1:160
	v_add_u32_e32 v30, 0x1400, v28
	ds_read2_b32 v[28:29], v30 offset1:32
	s_waitcnt lgkmcnt(1)
	v_mfma_f32_16x16x32_fp8_fp8 v[0:3], v[26:27], v[20:21], v[0:3]
	ds_read2_b32 v[26:27], v30 offset0:128 offset1:160
	v_add_u32_e32 v20, s27, v48
	v_add_u32_e32 v21, 2, v32
	s_waitcnt lgkmcnt(1)
	v_mfma_f32_16x16x32_fp8_fp8 v[0:3], v[24:25], v[28:29], v[0:3]
	v_cmp_lt_i32_e32 vcc, 3, v20
	;;#ASMSTART
	s_waitcnt lgkmcnt(0)
	;;#ASMEND
	ds_write_b32 v47, v49 offset:32792
	s_waitcnt lgkmcnt(1)
	v_mfma_f32_16x16x32_fp8_fp8 v[0:3], v[22:23], v[26:27], v[0:3]
	v_cndmask_b32_e32 v32, v32, v21, vcc
	s_andn2_b64 exec, exec, s[8:9]
	s_cbranch_execz .LBB84_25
.LBB84_13:                              ;   Parent Loop BB84_7 Depth=1
                                        ; =>  This Loop Header: Depth=2
                                        ;       Child Loop BB84_15 Depth 3
                                        ;       Child Loop BB84_18 Depth 3
	;; [unrolled: 1-line block ×4, first 2 shown]
	v_cmp_gt_i32_e32 vcc, 4, v20
	s_nop 1
	v_cndmask_b32_e64 v21, -4, 0, vcc
	v_add_u32_e32 v48, v21, v20
	v_mul_lo_u32 v47, v48, 12
	ds_read_b32 v20, v47 offset:32784
	s_waitcnt lgkmcnt(0)
	v_cmp_ne_u32_e32 vcc, v20, v32
	s_and_saveexec_b64 s[10:11], vcc
	s_cbranch_execz .LBB84_16
; %bb.14:                               ;   in Loop: Header=BB84_13 Depth=2
	s_mov_b64 s[12:13], 0
.LBB84_15:                              ;   Parent Loop BB84_7 Depth=1
                                        ;     Parent Loop BB84_13 Depth=2
                                        ; =>    This Inner Loop Header: Depth=3
	;;#ASMSTART
	s_sleep 0
	;;#ASMEND
	ds_read_b32 v20, v47 offset:32784
	s_waitcnt lgkmcnt(0)
	v_cmp_eq_u32_e32 vcc, v20, v32
	s_or_b64 s[12:13], vcc, s[12:13]
	s_andn2_b64 exec, exec, s[12:13]
	s_cbranch_execnz .LBB84_15
.LBB84_16:                              ;   in Loop: Header=BB84_13 Depth=2
	s_or_b64 exec, exec, s[10:11]
	v_mul_lo_u32 v50, v48, s59
	v_or_b32_e32 v20, v33, v50
	ds_read2_b32 v[24:25], v20 offset1:32
	ds_read2_b32 v[22:23], v20 offset0:128 offset1:160
	v_add_u32_e32 v20, 0x400, v20
	v_add_u32_e32 v49, 1, v32
	ds_read2_b32 v[30:31], v20 offset1:32
	ds_read2_b32 v[28:29], v20 offset0:128 offset1:160
	;;#ASMSTART
	s_waitcnt lgkmcnt(0)
	;;#ASMEND
	ds_write_b32 v47, v49 offset:32784
	v_lshlrev_b32_e32 v20, 2, v48
	ds_read_b32 v21, v20 offset:32768
	v_add_u32_e32 v51, 0x8000, v20
	s_waitcnt lgkmcnt(0)
	v_cmp_ne_u32_e32 vcc, v21, v32
	s_and_saveexec_b64 s[10:11], vcc
	s_cbranch_execz .LBB84_19
; %bb.17:                               ;   in Loop: Header=BB84_13 Depth=2
	s_mov_b64 s[12:13], 0
.LBB84_18:                              ;   Parent Loop BB84_7 Depth=1
                                        ;     Parent Loop BB84_13 Depth=2
                                        ; =>    This Inner Loop Header: Depth=3
	;;#ASMSTART
	s_sleep 0
	;;#ASMEND
	ds_read_b32 v20, v51
	s_waitcnt lgkmcnt(0)
	v_cmp_eq_u32_e32 vcc, v20, v32
	s_or_b64 s[12:13], vcc, s[12:13]
	s_andn2_b64 exec, exec, s[12:13]
	s_cbranch_execnz .LBB84_18
.LBB84_19:                              ;   in Loop: Header=BB84_13 Depth=2
	s_or_b64 exec, exec, s[10:11]
	v_lshl_add_u32 v52, v48, 11, v34
	ds_read2_b32 v[20:21], v52 offset1:32
	ds_read2_b32 v[26:27], v52 offset0:128 offset1:160
	v_add_u32_e32 v52, 0x400, v52
	s_waitcnt lgkmcnt(1)
	v_mfma_f32_16x16x32_fp8_fp8 v[8:11], v[20:21], v[24:25], v[8:11]
	ds_read2_b32 v[24:25], v52 offset1:32
	s_waitcnt lgkmcnt(1)
	v_mfma_f32_16x16x32_fp8_fp8 v[8:11], v[26:27], v[22:23], v[8:11]
	s_waitcnt lgkmcnt(0)
	v_mfma_f32_16x16x32_fp8_fp8 v[8:11], v[24:25], v[30:31], v[8:11]
	ds_read2_b32 v[22:23], v52 offset0:128 offset1:160
	ds_read_b32 v30, v47 offset:32788
	ds_write_b32 v51, v49
	s_waitcnt lgkmcnt(1)
	v_cmp_ne_u32_e32 vcc, v30, v32
	v_mfma_f32_16x16x32_fp8_fp8 v[8:11], v[22:23], v[28:29], v[8:11]
	s_and_saveexec_b64 s[10:11], vcc
	s_cbranch_execz .LBB84_22
; %bb.20:                               ;   in Loop: Header=BB84_13 Depth=2
	s_mov_b64 s[12:13], 0
.LBB84_21:                              ;   Parent Loop BB84_7 Depth=1
                                        ;     Parent Loop BB84_13 Depth=2
                                        ; =>    This Inner Loop Header: Depth=3
	;;#ASMSTART
	s_sleep 0
	;;#ASMEND
	ds_read_b32 v28, v47 offset:32788
	s_waitcnt lgkmcnt(0)
	v_cmp_eq_u32_e32 vcc, v28, v32
	s_or_b64 s[12:13], vcc, s[12:13]
	s_andn2_b64 exec, exec, s[12:13]
	s_cbranch_execnz .LBB84_21
.LBB84_22:                              ;   in Loop: Header=BB84_13 Depth=2
	s_or_b64 exec, exec, s[10:11]
	v_add_u32_e32 v28, v33, v50
	v_add_u32_e32 v29, 0x800, v28
	ds_read2_b32 v[30:31], v29 offset1:32
	s_waitcnt lgkmcnt(0)
	v_mfma_f32_16x16x32_fp8_fp8 v[4:7], v[20:21], v[30:31], v[4:7]
	ds_read2_b32 v[30:31], v29 offset0:128 offset1:160
	v_add_u32_e32 v29, 0xc00, v28
	s_waitcnt lgkmcnt(0)
	v_mfma_f32_16x16x32_fp8_fp8 v[4:7], v[26:27], v[30:31], v[4:7]
	ds_read2_b32 v[30:31], v29 offset1:32
	ds_read2_b32 v[50:51], v29 offset0:128 offset1:160
	;;#ASMSTART
	s_waitcnt lgkmcnt(0)
	;;#ASMEND
	ds_read_b32 v29, v47 offset:32792
	s_waitcnt lgkmcnt(2)
	v_mfma_f32_16x16x32_fp8_fp8 v[4:7], v[24:25], v[30:31], v[4:7]
	ds_write_b32 v47, v49 offset:32788
	s_waitcnt lgkmcnt(1)
	v_cmp_ne_u32_e32 vcc, v29, v32
	v_mfma_f32_16x16x32_fp8_fp8 v[4:7], v[22:23], v[50:51], v[4:7]
	s_and_saveexec_b64 s[10:11], vcc
	s_cbranch_execz .LBB84_12
; %bb.23:                               ;   in Loop: Header=BB84_13 Depth=2
	s_mov_b64 s[12:13], 0
.LBB84_24:                              ;   Parent Loop BB84_7 Depth=1
                                        ;     Parent Loop BB84_13 Depth=2
                                        ; =>    This Inner Loop Header: Depth=3
	;;#ASMSTART
	s_sleep 0
	;;#ASMEND
	ds_read_b32 v29, v47 offset:32792
	s_waitcnt lgkmcnt(0)
	v_cmp_eq_u32_e32 vcc, v29, v32
	s_or_b64 s[12:13], vcc, s[12:13]
	s_andn2_b64 exec, exec, s[12:13]
	s_cbranch_execnz .LBB84_24
	s_branch .LBB84_12
.LBB84_25:                              ;   in Loop: Header=BB84_7 Depth=1
	s_or_b64 exec, exec, s[8:9]
.LBB84_26:                              ;   in Loop: Header=BB84_7 Depth=1
	s_or_b64 exec, exec, s[6:7]
	v_cmp_le_i32_e32 vcc, s18, v12
	v_cmp_eq_u32_e64 s[6:7], 2, v36
	v_cmp_eq_u32_e64 s[8:9], 3, v36
	s_waitcnt vmcnt(0)
	v_cndmask_b32_e32 v22, 0, v46, vcc
	v_pk_mul_f32 v[10:11], v[22:23], v[10:11] op_sel_hi:[0,1]
	v_pk_mul_f32 v[22:23], v[22:23], v[8:9] op_sel_hi:[0,1]
	v_cmp_eq_u32_e32 vcc, 1, v36
	v_cmp_eq_u32_e64 s[10:11], 0, v36
	v_cmp_le_i32_e64 s[14:15], s18, v38
	v_cndmask_b32_e32 v8, v22, v23, vcc
	v_cndmask_b32_e64 v8, v8, v10, s[6:7]
	v_cndmask_b32_e64 v8, v8, v11, s[8:9]
	ds_bpermute_b32 v21, v44, v8
	v_cmp_le_i32_e64 s[18:19], s18, v39
	v_cmp_eq_u32_e64 s[12:13], 1, v37
	v_cmp_eq_u32_e64 s[16:17], 3, v37
	s_waitcnt lgkmcnt(0)
	v_cndmask_b32_e64 v8, v11, v21, s[8:9]
	v_cndmask_b32_e64 v11, v22, v21, s[10:11]
	;; [unrolled: 1-line block ×4, first 2 shown]
	v_cndmask_b32_e32 v10, v23, v21, vcc
	v_pk_mul_f32 v[6:7], v[22:23], v[6:7] op_sel_hi:[0,1]
	v_pk_mul_f32 v[22:23], v[22:23], v[4:5] op_sel_hi:[0,1]
	v_cndmask_b32_e32 v4, v22, v23, vcc
	v_cndmask_b32_e64 v4, v4, v6, s[6:7]
	v_cndmask_b32_e64 v4, v4, v7, s[8:9]
	ds_bpermute_b32 v24, v44, v4
	v_cmp_eq_u32_e64 s[14:15], 2, v37
	v_cndmask_b32_e64 v21, v11, v10, s[12:13]
	s_waitcnt lgkmcnt(0)
	v_cndmask_b32_e64 v5, v7, v24, s[8:9]
	v_cndmask_b32_e64 v6, v6, v24, s[6:7]
	v_cndmask_b32_e32 v23, v23, v24, vcc
	v_cndmask_b32_e64 v24, v22, v24, s[10:11]
	v_cndmask_b32_e64 v22, 0, v46, s[18:19]
	v_pk_mul_f32 v[28:29], v[22:23], v[0:1] op_sel_hi:[0,1]
	v_pk_mul_f32 v[26:27], v[22:23], v[2:3] op_sel_hi:[0,1]
	v_cndmask_b32_e32 v0, v28, v29, vcc
	v_cndmask_b32_e64 v0, v0, v26, s[6:7]
	v_cndmask_b32_e64 v0, v0, v27, s[8:9]
	ds_bpermute_b32 v1, v44, v0
	v_cndmask_b32_e64 v0, v24, v23, s[12:13]
	v_cndmask_b32_e64 v0, v0, v6, s[14:15]
	;; [unrolled: 1-line block ×3, first 2 shown]
	v_cmp_ne_u32_e32 vcc, 0, v36
	ds_bpermute_b32 v7, v44, v0
	s_waitcnt lgkmcnt(1)
	v_cndmask_b32_e64 v2, v27, v1, s[8:9]
	v_cndmask_b32_e64 v3, v26, v1, s[6:7]
	v_cndmask_b32_e32 v0, v29, v1, vcc
	v_cndmask_b32_e64 v1, v28, v1, s[10:11]
	v_cndmask_b32_e64 v4, v21, v9, s[14:15]
	;; [unrolled: 1-line block ×6, first 2 shown]
	ds_bpermute_b32 v4, v44, v4
	ds_bpermute_b32 v21, v44, v21
	s_max_i32 s6, s64, 0
	v_add_u32_e32 v22, s6, v35
	v_cmp_gt_u32_e32 vcc, 16, v22
	s_and_saveexec_b64 s[12:13], vcc
	s_cbranch_execz .LBB84_29
; %bb.27:                               ;   in Loop: Header=BB84_7 Depth=1
	v_cmp_eq_u32_e64 s[8:9], 1, v37
	v_cmp_eq_u32_e64 s[10:11], 0, v37
	v_cmp_eq_u32_e32 vcc, 3, v37
	s_waitcnt lgkmcnt(1)
	v_cndmask_b32_e64 v10, v10, v4, s[8:9]
	v_cndmask_b32_e64 v23, v23, v7, s[8:9]
	s_waitcnt lgkmcnt(0)
	v_cndmask_b32_e64 v25, v0, v21, s[8:9]
	s_mul_i32 s8, s62, s21
	s_ashr_i32 s9, s8, 31
	s_lshl_b64 s[8:9], s[8:9], 1
	v_cndmask_b32_e64 v11, v11, v4, s[10:11]
	v_cndmask_b32_e64 v24, v24, v7, s[10:11]
	;; [unrolled: 1-line block ×3, first 2 shown]
	s_add_u32 s10, s40, s8
	s_addc_u32 s11, s41, s9
	s_ashr_i32 s35, s34, 31
	v_cvt_f16_f32_e32 v11, v11
	v_cvt_f16_f32_sdwa v10, v10 dst_sel:WORD_1 dst_unused:UNUSED_PAD src0_sel:DWORD
	s_lshl_b64 s[8:9], s[34:35], 1
	v_cvt_f16_f32_e32 v24, v24
	v_cvt_f16_f32_sdwa v23, v23 dst_sel:WORD_1 dst_unused:UNUSED_PAD src0_sel:DWORD
	s_add_u32 s8, s10, s8
	v_cvt_f16_f32_e32 v26, v26
	v_cvt_f16_f32_sdwa v25, v25 dst_sel:WORD_1 dst_unused:UNUSED_PAD src0_sel:DWORD
	s_addc_u32 s9, s11, s9
	v_lshl_add_u64 v[0:1], v[14:15], 1, s[8:9]
	v_or_b32_e32 v10, v10, v11
	v_cmp_eq_u32_e64 s[6:7], 2, v37
	;;#ASMSTART
	global_atomic_pk_add_f16 v[0:1], v10, off
	
	;;#ASMEND
	v_lshl_add_u64 v[10:11], v[0:1], 0, 32
	v_or_b32_e32 v23, v23, v24
	v_cmp_gt_u32_e64 s[8:9], 14, v22
	;;#ASMSTART
	global_atomic_pk_add_f16 v[10:11], v23, off
	
	;;#ASMEND
	v_lshl_add_u64 v[10:11], v[0:1], 0, 64
	v_or_b32_e32 v23, v25, v26
	;;#ASMSTART
	global_atomic_pk_add_f16 v[10:11], v23, off
	
	;;#ASMEND
	s_and_b64 exec, exec, s[8:9]
	s_cbranch_execz .LBB84_29
; %bb.28:                               ;   in Loop: Header=BB84_7 Depth=1
	v_cndmask_b32_e32 v8, v8, v4, vcc
	v_cndmask_b32_e64 v4, v9, v4, s[6:7]
	v_cndmask_b32_e32 v5, v5, v7, vcc
	v_cndmask_b32_e64 v6, v6, v7, s[6:7]
	v_cvt_f16_f32_e32 v4, v4
	v_cvt_f16_f32_sdwa v7, v8 dst_sel:WORD_1 dst_unused:UNUSED_PAD src0_sel:DWORD
	v_cndmask_b32_e32 v8, v2, v21, vcc
	v_cndmask_b32_e64 v9, v3, v21, s[6:7]
	v_cvt_f16_f32_sdwa v5, v5 dst_sel:WORD_1 dst_unused:UNUSED_PAD src0_sel:DWORD
	v_or_b32_e32 v2, v7, v4
	v_cvt_f16_f32_e32 v4, v6
	v_cvt_f16_f32_e32 v6, v9
	v_cvt_f16_f32_sdwa v7, v8 dst_sel:WORD_1 dst_unused:UNUSED_PAD src0_sel:DWORD
	v_lshl_add_u64 v[0:1], s[28:29], 2, v[0:1]
	;;#ASMSTART
	global_atomic_pk_add_f16 v[0:1], v2, off
	
	;;#ASMEND
	v_lshl_add_u64 v[2:3], v[0:1], 0, 32
	v_or_b32_e32 v4, v5, v4
	;;#ASMSTART
	global_atomic_pk_add_f16 v[2:3], v4, off
	
	;;#ASMEND
	v_lshl_add_u64 v[0:1], v[0:1], 0, 64
	v_or_b32_e32 v2, v7, v6
	;;#ASMSTART
	global_atomic_pk_add_f16 v[0:1], v2, off
	
	;;#ASMEND
.LBB84_29:                              ;   in Loop: Header=BB84_7 Depth=1
	s_or_b64 exec, exec, s[12:13]
	v_subrev_u32_e32 v45, s61, v45
.LBB84_30:                              ;   in Loop: Header=BB84_7 Depth=1
	s_or_b64 exec, exec, s[46:47]
.LBB84_31:                              ;   in Loop: Header=BB84_7 Depth=1
	s_andn2_saveexec_b64 s[6:7], s[44:45]
	s_cbranch_execz .LBB84_40
; %bb.32:                               ;   in Loop: Header=BB84_7 Depth=1
	s_mul_i32 s16, s61, 3
	v_cmp_gt_i32_e32 vcc, s16, v45
	s_and_saveexec_b64 s[8:9], vcc
	s_cbranch_execz .LBB84_39
; %bb.33:                               ;   in Loop: Header=BB84_7 Depth=1
	s_mul_i32 s10, s34, s23
	s_ashr_i32 s11, s10, 31
	s_waitcnt lgkmcnt(0)
	s_add_u32 s10, s38, s10
	s_addc_u32 s11, s39, s11
	s_ashr_i32 s12, s63, 31
	s_add_u32 s10, s10, s63
	s_addc_u32 s11, s11, s12
	v_lshl_add_u64 v[0:1], s[10:11], 0, v[18:19]
	v_lshl_add_u64 v[8:9], v[0:1], 0, v[16:17]
	s_mov_b64 s[10:11], 0
	s_branch .LBB84_35
.LBB84_34:                              ;   in Loop: Header=BB84_35 Depth=2
	s_or_b64 exec, exec, s[12:13]
	v_lshl_or_b32 v20, v10, 11, v40
	;;#ASMSTART
	s_waitcnt vmcnt(1)
	;;#ASMEND
	ds_write2_b32 v20, v4, v5 offset1:32
	ds_write2_b32 v20, v6, v7 offset0:64 offset1:96
	v_add_u32_e32 v4, 0x400, v20
	v_add_u32_e32 v45, s26, v45
	;;#ASMSTART
	s_waitcnt vmcnt(0)
	;;#ASMEND
	ds_write2_b32 v4, v0, v1 offset1:32
	ds_write2_b32 v4, v2, v3 offset0:64 offset1:96
	v_add_u32_e32 v0, 1, v32
	v_add_u32_e32 v20, s26, v10
	v_cmp_le_i32_e32 vcc, s16, v45
	ds_write_b32 v11, v0 offset:16
	v_add_u32_e32 v0, 2, v32
	s_or_b64 s[10:11], vcc, s[10:11]
	v_cmp_lt_i32_e32 vcc, 11, v20
	s_nop 1
	v_cndmask_b32_e32 v32, v32, v0, vcc
	s_andn2_b64 exec, exec, s[10:11]
	s_cbranch_execz .LBB84_38
.LBB84_35:                              ;   Parent Loop BB84_7 Depth=1
                                        ; =>  This Loop Header: Depth=2
                                        ;       Child Loop BB84_37 Depth 3
	v_cmp_gt_i32_e32 vcc, 12, v20
	s_nop 1
	v_cndmask_b32_e64 v0, -12, 0, vcc
	v_add_u32_e32 v10, v0, v20
	v_mul_hi_i32 v0, v45, s60
	v_lshrrev_b32_e32 v1, 31, v0
	v_add_u32_e32 v0, v0, v1
	v_lshl_add_u32 v1, v0, 1, v0
	v_sub_u32_e32 v2, v45, v1
	v_lshlrev_b32_e32 v0, 7, v0
	v_ashrrev_i32_e32 v1, 31, v0
	v_mul_lo_u32 v2, s53, v2
	v_lshl_add_u64 v[0:1], v[8:9], 0, v[0:1]
	v_ashrrev_i32_e32 v3, 31, v2
	v_lshl_add_u64 v[0:1], v[0:1], 0, v[2:3]
	v_lshlrev_b32_e32 v11, 2, v10
	;;#ASMSTART
	global_load_dwordx4 v[4:7], v[0:1], off offset:0   sc0 sc1 nt  
	global_load_dwordx4 v[0:3], v[0:1], off offset:64  sc0 sc1 nt  
	
	;;#ASMEND
	ds_read_b32 v20, v11 offset:32784
	v_add_u32_e32 v11, 0x8000, v11
	s_waitcnt lgkmcnt(0)
	v_cmp_ne_u32_e32 vcc, v20, v32
	s_and_saveexec_b64 s[12:13], vcc
	s_cbranch_execz .LBB84_34
; %bb.36:                               ;   in Loop: Header=BB84_35 Depth=2
	s_mov_b64 s[14:15], 0
.LBB84_37:                              ;   Parent Loop BB84_7 Depth=1
                                        ;     Parent Loop BB84_35 Depth=2
                                        ; =>    This Inner Loop Header: Depth=3
	;;#ASMSTART
	s_sleep 0
	;;#ASMEND
	ds_read_b32 v20, v11 offset:16
	s_waitcnt lgkmcnt(0)
	v_cmp_eq_u32_e32 vcc, v20, v32
	s_or_b64 s[14:15], vcc, s[14:15]
	s_andn2_b64 exec, exec, s[14:15]
	s_cbranch_execnz .LBB84_37
	s_branch .LBB84_34
.LBB84_38:                              ;   in Loop: Header=BB84_7 Depth=1
	s_or_b64 exec, exec, s[10:11]
.LBB84_39:                              ;   in Loop: Header=BB84_7 Depth=1
	s_or_b64 exec, exec, s[8:9]
	v_subrev_u32_e32 v45, s16, v45
.LBB84_40:                              ;   in Loop: Header=BB84_7 Depth=1
	s_or_b64 exec, exec, s[6:7]
.LBB84_41:                              ;   in Loop: Header=BB84_7 Depth=1
	s_andn2_saveexec_b64 s[6:7], s[30:31]
	s_cbranch_execz .LBB84_6
; %bb.42:                               ;   in Loop: Header=BB84_7 Depth=1
	v_cmp_gt_i32_e32 vcc, s61, v45
	s_and_saveexec_b64 s[8:9], vcc
	s_cbranch_execz .LBB84_5
; %bb.43:                               ;   in Loop: Header=BB84_7 Depth=1
	s_mul_i32 s62, s62, s22
	s_ashr_i32 s10, s62, 31
	s_waitcnt lgkmcnt(0)
	s_add_u32 s11, s36, s62
	s_addc_u32 s12, s37, s10
	s_ashr_i32 s13, s63, 31
	v_cmp_le_i32_e32 vcc, s64, v41
	s_add_u32 s10, s11, s63
	s_addc_u32 s11, s12, s13
	v_cndmask_b32_e32 v0, 0, v42, vcc
	v_ashrrev_i32_e32 v1, 31, v0
	v_lshl_add_u64 v[0:1], s[10:11], 0, v[0:1]
	v_lshl_add_u64 v[8:9], v[0:1], 0, v[16:17]
	s_mov_b64 s[10:11], 0
	s_branch .LBB84_45
.LBB84_44:                              ;   in Loop: Header=BB84_45 Depth=2
	s_or_b64 exec, exec, s[12:13]
	v_lshl_add_u32 v20, v10, 11, v43
	;;#ASMSTART
	s_waitcnt vmcnt(1)
	;;#ASMEND
	ds_write2_b32 v20, v4, v5 offset1:32
	ds_write2_b32 v20, v6, v7 offset0:64 offset1:96
	v_add_u32_e32 v4, 0x400, v20
	v_add_u32_e32 v45, s25, v45
	;;#ASMSTART
	s_waitcnt vmcnt(0)
	;;#ASMEND
	ds_write2_b32 v4, v0, v1 offset1:32
	ds_write2_b32 v4, v2, v3 offset0:64 offset1:96
	v_add_u32_e32 v0, 1, v32
	v_add_u32_e32 v20, s25, v10
	v_cmp_le_i32_e32 vcc, s61, v45
	ds_write_b32 v11, v0
	v_add_u32_e32 v0, 2, v32
	s_or_b64 s[10:11], vcc, s[10:11]
	v_cmp_lt_i32_e32 vcc, 3, v20
	s_nop 1
	v_cndmask_b32_e32 v32, v32, v0, vcc
	s_andn2_b64 exec, exec, s[10:11]
	s_cbranch_execz .LBB84_4
.LBB84_45:                              ;   Parent Loop BB84_7 Depth=1
                                        ; =>  This Loop Header: Depth=2
                                        ;       Child Loop BB84_47 Depth 3
	v_cmp_gt_i32_e32 vcc, 4, v20
	s_nop 1
	v_cndmask_b32_e64 v0, -4, 0, vcc
	v_add_u32_e32 v10, v0, v20
	v_lshlrev_b32_e32 v0, 7, v45
	v_ashrrev_i32_e32 v1, 31, v0
	v_lshl_add_u64 v[0:1], v[8:9], 0, v[0:1]
	v_lshlrev_b32_e32 v11, 2, v10
	;;#ASMSTART
	global_load_dwordx4 v[4:7], v[0:1], off offset:0   
	global_load_dwordx4 v[0:3], v[0:1], off offset:64  
	
	;;#ASMEND
	ds_read_b32 v20, v11 offset:32768
	v_add_u32_e32 v11, 0x8000, v11
	s_waitcnt lgkmcnt(0)
	v_cmp_ne_u32_e32 vcc, v20, v32
	s_and_saveexec_b64 s[12:13], vcc
	s_cbranch_execz .LBB84_44
; %bb.46:                               ;   in Loop: Header=BB84_45 Depth=2
	s_mov_b64 s[14:15], 0
.LBB84_47:                              ;   Parent Loop BB84_7 Depth=1
                                        ;     Parent Loop BB84_45 Depth=2
                                        ; =>    This Inner Loop Header: Depth=3
	;;#ASMSTART
	s_sleep 0
	;;#ASMEND
	ds_read_b32 v20, v11
	s_waitcnt lgkmcnt(0)
	v_cmp_eq_u32_e32 vcc, v20, v32
	s_or_b64 s[14:15], vcc, s[14:15]
	s_andn2_b64 exec, exec, s[14:15]
	s_cbranch_execnz .LBB84_47
	s_branch .LBB84_44
.LBB84_48:
	s_endpgm
	.section	.rodata,"a",@progbits
	.p2align	6, 0x0
	.amdhsa_kernel _Z19_skinny_gemm_kernelILi1ELi3ELi4ELi16ELi4EEvPKhS1_P6__halfPKfiiiiiiii
		.amdhsa_group_segment_fixed_size 32832
		.amdhsa_private_segment_fixed_size 0
		.amdhsa_kernarg_size 64
		.amdhsa_user_sgpr_count 2
		.amdhsa_user_sgpr_dispatch_ptr 0
		.amdhsa_user_sgpr_queue_ptr 0
		.amdhsa_user_sgpr_kernarg_segment_ptr 1
		.amdhsa_user_sgpr_dispatch_id 0
		.amdhsa_user_sgpr_kernarg_preload_length 0
		.amdhsa_user_sgpr_kernarg_preload_offset 0
		.amdhsa_user_sgpr_private_segment_size 0
		.amdhsa_uses_dynamic_stack 0
		.amdhsa_enable_private_segment 0
		.amdhsa_system_sgpr_workgroup_id_x 1
		.amdhsa_system_sgpr_workgroup_id_y 0
		.amdhsa_system_sgpr_workgroup_id_z 0
		.amdhsa_system_sgpr_workgroup_info 0
		.amdhsa_system_vgpr_workitem_id 0
		.amdhsa_next_free_vgpr 53
		.amdhsa_next_free_sgpr 65
		.amdhsa_accum_offset 56
		.amdhsa_reserve_vcc 1
		.amdhsa_float_round_mode_32 0
		.amdhsa_float_round_mode_16_64 0
		.amdhsa_float_denorm_mode_32 3
		.amdhsa_float_denorm_mode_16_64 3
		.amdhsa_dx10_clamp 1
		.amdhsa_ieee_mode 1
		.amdhsa_fp16_overflow 0
		.amdhsa_tg_split 0
		.amdhsa_exception_fp_ieee_invalid_op 0
		.amdhsa_exception_fp_denorm_src 0
		.amdhsa_exception_fp_ieee_div_zero 0
		.amdhsa_exception_fp_ieee_overflow 0
		.amdhsa_exception_fp_ieee_underflow 0
		.amdhsa_exception_fp_ieee_inexact 0
		.amdhsa_exception_int_div_zero 0
	.end_amdhsa_kernel
	.section	.text._Z19_skinny_gemm_kernelILi1ELi3ELi4ELi16ELi4EEvPKhS1_P6__halfPKfiiiiiiii,"axG",@progbits,_Z19_skinny_gemm_kernelILi1ELi3ELi4ELi16ELi4EEvPKhS1_P6__halfPKfiiiiiiii,comdat
.Lfunc_end84:
	.size	_Z19_skinny_gemm_kernelILi1ELi3ELi4ELi16ELi4EEvPKhS1_P6__halfPKfiiiiiiii, .Lfunc_end84-_Z19_skinny_gemm_kernelILi1ELi3ELi4ELi16ELi4EEvPKhS1_P6__halfPKfiiiiiiii
                                        ; -- End function
	.set _Z19_skinny_gemm_kernelILi1ELi3ELi4ELi16ELi4EEvPKhS1_P6__halfPKfiiiiiiii.num_vgpr, 53
	.set _Z19_skinny_gemm_kernelILi1ELi3ELi4ELi16ELi4EEvPKhS1_P6__halfPKfiiiiiiii.num_agpr, 0
	.set _Z19_skinny_gemm_kernelILi1ELi3ELi4ELi16ELi4EEvPKhS1_P6__halfPKfiiiiiiii.numbered_sgpr, 65
	.set _Z19_skinny_gemm_kernelILi1ELi3ELi4ELi16ELi4EEvPKhS1_P6__halfPKfiiiiiiii.num_named_barrier, 0
	.set _Z19_skinny_gemm_kernelILi1ELi3ELi4ELi16ELi4EEvPKhS1_P6__halfPKfiiiiiiii.private_seg_size, 0
	.set _Z19_skinny_gemm_kernelILi1ELi3ELi4ELi16ELi4EEvPKhS1_P6__halfPKfiiiiiiii.uses_vcc, 1
	.set _Z19_skinny_gemm_kernelILi1ELi3ELi4ELi16ELi4EEvPKhS1_P6__halfPKfiiiiiiii.uses_flat_scratch, 0
	.set _Z19_skinny_gemm_kernelILi1ELi3ELi4ELi16ELi4EEvPKhS1_P6__halfPKfiiiiiiii.has_dyn_sized_stack, 0
	.set _Z19_skinny_gemm_kernelILi1ELi3ELi4ELi16ELi4EEvPKhS1_P6__halfPKfiiiiiiii.has_recursion, 0
	.set _Z19_skinny_gemm_kernelILi1ELi3ELi4ELi16ELi4EEvPKhS1_P6__halfPKfiiiiiiii.has_indirect_call, 0
	.section	.AMDGPU.csdata,"",@progbits
; Kernel info:
; codeLenInByte = 3616
; TotalNumSgprs: 71
; NumVgprs: 53
; NumAgprs: 0
; TotalNumVgprs: 53
; ScratchSize: 0
; MemoryBound: 0
; FloatMode: 240
; IeeeMode: 1
; LDSByteSize: 32832 bytes/workgroup (compile time only)
; SGPRBlocks: 8
; VGPRBlocks: 6
; NumSGPRsForWavesPerEU: 71
; NumVGPRsForWavesPerEU: 53
; AccumOffset: 56
; Occupancy: 8
; WaveLimiterHint : 0
; COMPUTE_PGM_RSRC2:SCRATCH_EN: 0
; COMPUTE_PGM_RSRC2:USER_SGPR: 2
; COMPUTE_PGM_RSRC2:TRAP_HANDLER: 0
; COMPUTE_PGM_RSRC2:TGID_X_EN: 1
; COMPUTE_PGM_RSRC2:TGID_Y_EN: 0
; COMPUTE_PGM_RSRC2:TGID_Z_EN: 0
; COMPUTE_PGM_RSRC2:TIDIG_COMP_CNT: 0
; COMPUTE_PGM_RSRC3_GFX90A:ACCUM_OFFSET: 13
; COMPUTE_PGM_RSRC3_GFX90A:TG_SPLIT: 0
	.section	.text._Z19_skinny_gemm_kernelILi1ELi3ELi4ELi32ELi4EEvPKhS1_P6__halfPKfiiiiiiii,"axG",@progbits,_Z19_skinny_gemm_kernelILi1ELi3ELi4ELi32ELi4EEvPKhS1_P6__halfPKfiiiiiiii,comdat
	.protected	_Z19_skinny_gemm_kernelILi1ELi3ELi4ELi32ELi4EEvPKhS1_P6__halfPKfiiiiiiii ; -- Begin function _Z19_skinny_gemm_kernelILi1ELi3ELi4ELi32ELi4EEvPKhS1_P6__halfPKfiiiiiiii
	.globl	_Z19_skinny_gemm_kernelILi1ELi3ELi4ELi32ELi4EEvPKhS1_P6__halfPKfiiiiiiii
	.p2align	8
	.type	_Z19_skinny_gemm_kernelILi1ELi3ELi4ELi32ELi4EEvPKhS1_P6__halfPKfiiiiiiii,@function
_Z19_skinny_gemm_kernelILi1ELi3ELi4ELi32ELi4EEvPKhS1_P6__halfPKfiiiiiiii: ; @_Z19_skinny_gemm_kernelILi1ELi3ELi4ELi32ELi4EEvPKhS1_P6__halfPKfiiiiiiii
; %bb.0:
	v_cmp_gt_u32_e32 vcc, 16, v0
	s_and_saveexec_b64 s[4:5], vcc
; %bb.1:
	v_lshlrev_b32_e32 v1, 2, v0
	v_mov_b32_e32 v2, 0
	ds_write_b32 v1, v2 offset:32768
; %bb.2:
	s_or_b64 exec, exec, s[4:5]
	s_load_dwordx8 s[88:95], s[0:1], 0x20
	s_waitcnt lgkmcnt(0)
	s_barrier
	s_add_i32 s3, s88, 31
	s_ashr_i32 s5, s3, 31
	s_add_i32 s4, s89, 0x5f
	s_lshr_b32 s5, s5, 27
	s_mul_hi_i32 s4, s4, 0x2aaaaaab
	s_add_i32 s3, s3, s5
	s_ashr_i32 s14, s3, 5
	s_lshr_b32 s3, s4, 31
	s_ashr_i32 s4, s4, 4
	s_add_i32 s15, s4, s3
	s_mul_i32 s3, s15, s14
	s_mul_i32 s3, s3, s92
	s_add_i32 s4, s3, 0x12f
	s_mul_hi_i32 s4, s4, 0x6bca1af3
	s_lshr_b32 s5, s4, 31
	s_ashr_i32 s4, s4, 7
	s_add_i32 s4, s4, s5
	s_add_i32 s5, s2, 1
	s_mul_i32 s5, s4, s5
	v_cvt_f64_i32_e32 v[2:3], s3
	v_cvt_f64_u32_e32 v[4:5], s5
	v_min_f64 v[2:3], v[2:3], v[4:5]
	v_cvt_i32_f64_e32 v62, v[2:3]
	s_mul_i32 s2, s4, s2
	v_cmp_ge_i32_e32 vcc, s2, v62
	s_cbranch_vccnz .LBB85_51
; %bb.3:
	s_load_dwordx8 s[16:23], s[0:1], 0x0
	v_lshrrev_b32_e32 v1, 6, v0
	s_add_i32 s0, s94, s93
	v_cmp_le_i32_e64 s[24:25], s0, v1
	v_mov_b32_e32 v2, s93
	v_cmp_le_i32_e64 s[26:27], s93, v1
	v_mov_b32_e32 v3, s94
	v_cndmask_b32_e64 v3, 0, v3, s[24:25]
	v_cndmask_b32_e64 v2, 0, v2, s[26:27]
	s_abs_i32 s1, s92
	v_add_u32_e32 v2, v2, v3
	v_cvt_f32_u32_e32 v3, s1
	v_sub_u32_e32 v56, v1, v2
	s_ashr_i32 s3, s90, 31
	s_lshr_b32 s3, s3, 26
	v_rcp_iflag_f32_e32 v2, v3
	s_sub_i32 s6, 0, s1
	s_add_i32 s3, s90, s3
	s_ashr_i32 s3, s3, 6
	v_mul_f32_e32 v2, 0x4f7ffffe, v2
	v_cvt_u32_f32_e32 v2, v2
	s_abs_i32 s5, s3
	s_xor_b32 s4, s3, s92
	s_ashr_i32 s4, s4, 31
	v_readfirstlane_b32 s7, v2
	s_mul_i32 s6, s6, s7
	s_mul_hi_u32 s6, s7, s6
	s_add_i32 s7, s7, s6
	s_mul_hi_u32 s6, s5, s7
	s_mul_i32 s7, s6, s1
	s_sub_i32 s5, s5, s7
	s_add_i32 s7, s6, 1
	s_sub_i32 s8, s5, s1
	s_cmp_ge_u32 s5, s1
	s_cselect_b32 s6, s7, s6
	s_cselect_b32 s5, s8, s5
	s_add_i32 s7, s6, 1
	s_cmp_ge_u32 s5, s1
	v_lshrrev_b32_e32 v2, 3, v0
	v_lshrrev_b32_e32 v7, 1, v0
	s_cselect_b32 s1, s7, s6
	s_add_i32 s0, s0, s95
	v_and_b32_e32 v64, 31, v0
	v_and_b32_e32 v3, 4, v2
	;; [unrolled: 1-line block ×3, first 2 shown]
	v_lshlrev_b32_e32 v7, 4, v0
	s_add_i32 s29, s92, -1
	v_cmp_gt_i32_e64 s[34:35], s0, v1
	v_lshlrev_b32_e32 v1, 2, v64
	v_lshlrev_b32_e32 v2, 6, v3
	v_and_b32_e32 v7, 0x200, v7
	s_abs_i32 s92, s14
                                        ; implicit-def: $vgpr95 : SGPR spill to VGPR lane
	v_or_b32_e32 v4, 0x6000, v1
	v_or_b32_e32 v66, v1, v2
	v_and_b32_e32 v5, 1, v0
	v_or_b32_e32 v77, v1, v7
	v_cvt_f32_u32_e32 v1, s92
	v_writelane_b32 v95, s14, 0
	v_or_b32_e32 v65, v4, v2
	v_lshlrev_b32_e32 v2, 1, v5
	v_writelane_b32 v95, s15, 1
	v_sub_u32_e32 v2, v0, v2
	s_waitcnt lgkmcnt(0)
	v_writelane_b32 v95, s16, 2
	v_add_u32_e32 v2, 1, v2
	v_and_b32_e32 v6, 63, v2
	v_writelane_b32 v95, s17, 3
	v_bitop3_b32 v67, v0, 1, v0 bitop3:0xc
	v_bitop3_b32 v68, v0, 3, 1 bitop3:0x6c
	;; [unrolled: 1-line block ×8, first 2 shown]
	v_and_b32_e32 v2, 30, v0
	v_bitop3_b32 v78, v0, 31, v0 bitop3:0xc
	v_rcp_iflag_f32_e32 v0, v1
	s_abs_i32 s96, s15
	v_writelane_b32 v95, s18, 4
	v_cvt_f32_u32_e32 v1, s96
	v_writelane_b32 v95, s19, 5
	v_writelane_b32 v95, s20, 6
	;; [unrolled: 1-line block ×3, first 2 shown]
	v_mul_f32_e32 v0, 0x4f7ffffe, v0
	v_writelane_b32 v95, s22, 8
	v_cvt_u32_f32_e32 v0, v0
	v_rcp_iflag_f32_e32 v1, v1
	v_writelane_b32 v95, s23, 9
	v_cndmask_b32_e64 v63, 0, 1, s[24:25]
	s_xor_b32 s1, s1, s4
	v_writelane_b32 v95, s24, 10
	s_sub_i32 s28, s1, s4
	s_mul_i32 s1, s28, s29
	v_writelane_b32 v95, s25, 11
	v_writelane_b32 v95, s26, 12
	s_sub_i32 s30, s3, s1
	v_readfirstlane_b32 s1, v0
	v_mul_f32_e32 v0, 0x4f7ffffe, v1
	v_writelane_b32 v95, s27, 13
	v_cvt_u32_f32_e32 v0, v0
	v_writelane_b32 v95, s28, 14
	s_sub_i32 s0, 0, s92
	v_writelane_b32 v95, s29, 15
	s_mul_i32 s0, s0, s1
	v_writelane_b32 v95, s30, 16
	s_mul_hi_u32 s0, s1, s0
	v_writelane_b32 v95, s34, 17
	s_ashr_i32 s31, s14, 31
	s_add_i32 s36, s1, s0
	s_sub_i32 s0, 0, s96
	v_readfirstlane_b32 s1, v0
	v_mbcnt_lo_u32_b32 v0, -1, 0
	v_writelane_b32 v95, s35, 18
	s_mul_i32 s0, s0, s1
	v_mbcnt_hi_u32_b32 v0, -1, v0
	v_writelane_b32 v95, s31, 19
	v_mov_b32_e32 v49, 0
	v_mul_lo_u32 v52, s91, v64
	v_or_b32_e32 v81, v5, v3
	s_ashr_i32 s37, s15, 31
	s_mul_hi_u32 s0, s1, s0
	v_and_or_b32 v0, v0, 64, v6
	v_writelane_b32 v95, s36, 20
	v_or_b32_e32 v75, 32, v64
	v_or_b32_e32 v76, 64, v64
	v_ashrrev_i32_e32 v53, 31, v52
	v_mov_b32_e32 v51, v49
	s_lshl_b32 s33, s91, 5
	v_mul_lo_u32 v79, s90, v64
	v_or_b32_e32 v80, v4, v7
	v_or_b32_e32 v82, 2, v81
	s_add_i32 s38, s1, s0
	v_lshlrev_b32_e32 v48, 1, v2
	v_lshlrev_b32_e32 v83, 2, v0
	v_mov_b32_e32 v84, v56
	v_writelane_b32 v95, s37, 21
	v_writelane_b32 v95, s38, 22
	s_branch .LBB85_7
.LBB85_4:                               ;   in Loop: Header=BB85_7 Depth=1
	s_or_b64 exec, exec, s[6:7]
.LBB85_5:                               ;   in Loop: Header=BB85_7 Depth=1
	s_or_b64 exec, exec, s[4:5]
	v_subrev_u32_e32 v84, s97, v84
.LBB85_6:                               ;   in Loop: Header=BB85_7 Depth=1
	s_or_b64 exec, exec, s[0:1]
	s_add_i32 s2, s2, 1
	v_cmp_ge_i32_e32 vcc, s2, v62
	s_cbranch_vccnz .LBB85_51
.LBB85_7:                               ; =>This Loop Header: Depth=1
                                        ;     Child Loop BB85_13 Depth 2
                                        ;       Child Loop BB85_15 Depth 3
                                        ;       Child Loop BB85_18 Depth 3
	;; [unrolled: 1-line block ×4, first 2 shown]
                                        ;     Child Loop BB85_29 Depth 2
                                        ;     Child Loop BB85_38 Depth 2
                                        ;       Child Loop BB85_40 Depth 3
                                        ;     Child Loop BB85_48 Depth 2
                                        ;       Child Loop BB85_50 Depth 3
	s_abs_i32 s1, s2
	s_mul_hi_u32 s3, s1, s36
	s_mul_i32 s4, s3, s92
	s_ashr_i32 s0, s2, 31
	s_sub_i32 s1, s1, s4
	s_xor_b32 s0, s0, s31
	s_add_i32 s4, s3, 1
	s_sub_i32 s5, s1, s92
	s_cmp_ge_u32 s1, s92
	s_cselect_b32 s3, s4, s3
	s_cselect_b32 s1, s5, s1
	s_add_i32 s4, s3, 1
	s_cmp_ge_u32 s1, s92
	s_cselect_b32 s1, s4, s3
	s_xor_b32 s1, s1, s0
	s_sub_i32 s0, s1, s0
	s_abs_i32 s4, s0
	s_mul_i32 s1, s0, s14
	s_mul_hi_u32 s5, s4, s38
	s_sub_i32 s1, s2, s1
	s_mul_i32 s6, s5, s96
	s_lshl_b32 s3, s1, 5
	s_ashr_i32 s1, s0, 31
	s_sub_i32 s4, s4, s6
	s_xor_b32 s1, s1, s37
	s_add_i32 s6, s5, 1
	s_sub_i32 s7, s4, s96
	s_cmp_ge_u32 s4, s96
	s_cselect_b32 s5, s6, s5
	s_cselect_b32 s4, s7, s4
	s_add_i32 s6, s5, 1
	s_cmp_ge_u32 s4, s96
	s_cselect_b32 s4, s6, s5
	s_xor_b32 s4, s4, s1
	s_sub_i32 s1, s4, s1
	s_mul_i32 s4, s1, s28
	s_lshl_b32 s39, s4, 6
	s_cmp_eq_u32 s1, s29
	s_cselect_b32 s97, s30, s28
	s_sub_i32 s4, s3, s88
	s_add_i32 s71, s4, 32
	s_and_saveexec_b64 s[4:5], s[26:27]
	s_xor_b64 s[98:99], exec, s[4:5]
	s_cbranch_execz .LBB85_44
; %bb.8:                                ;   in Loop: Header=BB85_7 Depth=1
	s_mul_i32 s1, s1, s15
	s_sub_i32 s0, s0, s1
	s_mulk_i32 s0, 0x60
	s_sub_i32 s70, s0, s89
	s_addk_i32 s70, 0x60
	s_max_i32 s1, s70, 0
	s_sub_i32 s4, s0, s1
	s_and_saveexec_b64 s[0:1], s[24:25]
	s_xor_b64 s[0:1], exec, s[0:1]
	s_cbranch_execz .LBB85_34
; %bb.9:                                ;   in Loop: Header=BB85_7 Depth=1
	s_and_saveexec_b64 s[8:9], s[34:35]
	s_cbranch_execz .LBB85_33
; %bb.10:                               ;   in Loop: Header=BB85_7 Depth=1
	global_load_dword v85, v49, s[22:23]
	v_mov_b32_e32 v47, 0
	v_writelane_b32 v95, s8, 23
	v_cmp_gt_i32_e32 vcc, s97, v84
	v_mov_b32_e32 v46, v47
	v_mov_b32_e32 v45, v47
	;; [unrolled: 1-line block ×47, first 2 shown]
	v_writelane_b32 v95, s9, 24
	s_and_saveexec_b64 s[6:7], vcc
	s_cbranch_execz .LBB85_26
; %bb.11:                               ;   in Loop: Header=BB85_7 Depth=1
	v_mov_b32_e32 v0, 0
	s_mov_b64 s[8:9], 0
	v_mov_b32_e32 v1, v0
	v_mov_b32_e32 v2, v0
	;; [unrolled: 1-line block ×47, first 2 shown]
	s_branch .LBB85_13
.LBB85_12:                              ;   in Loop: Header=BB85_13 Depth=2
	s_or_b64 exec, exec, s[10:11]
	v_add_u32_e32 v92, 0x1000, v89
	ds_read2_b32 v[90:91], v92 offset1:32
	v_add_u32_e32 v84, s95, v84
	s_waitcnt lgkmcnt(0)
	v_mfma_f32_32x32x16_fp8_fp8 v[0:15], v[60:61], v[90:91], v[0:15]
	ds_read2_b32 v[60:61], v92 offset0:128 offset1:160
	s_waitcnt lgkmcnt(0)
	v_mfma_f32_32x32x16_fp8_fp8 v[0:15], v[58:59], v[60:61], v[0:15]
	v_add_u32_e32 v60, 0x1400, v89
	ds_read2_b32 v[58:59], v60 offset1:32
	ds_read2_b32 v[60:61], v60 offset0:128 offset1:160
	ds_write_b32 v87, v88 offset:32788
	s_waitcnt lgkmcnt(2)
	v_mfma_f32_32x32x16_fp8_fp8 v[0:15], v[56:57], v[58:59], v[0:15]
	v_add_u32_e32 v56, s95, v86
	v_add_u32_e32 v57, 2, v63
	v_cmp_lt_i32_e32 vcc, 3, v56
	s_nop 1
	v_cndmask_b32_e32 v63, v63, v57, vcc
	v_cmp_le_i32_e32 vcc, s97, v84
	s_waitcnt lgkmcnt(1)
	v_mfma_f32_32x32x16_fp8_fp8 v[0:15], v[54:55], v[60:61], v[0:15]
	s_or_b64 s[8:9], vcc, s[8:9]
	s_andn2_b64 exec, exec, s[8:9]
	s_cbranch_execz .LBB85_25
.LBB85_13:                              ;   Parent Loop BB85_7 Depth=1
                                        ; =>  This Loop Header: Depth=2
                                        ;       Child Loop BB85_15 Depth 3
                                        ;       Child Loop BB85_18 Depth 3
	;; [unrolled: 1-line block ×4, first 2 shown]
	v_cmp_gt_i32_e32 vcc, 4, v56
	s_nop 1
	v_cndmask_b32_e64 v54, -4, 0, vcc
	v_add_u32_e32 v86, v54, v56
	v_mul_lo_u32 v87, v86, 24
	ds_read_b32 v54, v87 offset:32768
	s_waitcnt lgkmcnt(0)
	v_cmp_ne_u32_e32 vcc, v54, v63
	s_and_saveexec_b64 s[10:11], vcc
	s_cbranch_execz .LBB85_16
; %bb.14:                               ;   in Loop: Header=BB85_13 Depth=2
	s_mov_b64 s[12:13], 0
.LBB85_15:                              ;   Parent Loop BB85_7 Depth=1
                                        ;     Parent Loop BB85_13 Depth=2
                                        ; =>    This Inner Loop Header: Depth=3
	;;#ASMSTART
	s_sleep 0
	;;#ASMEND
	ds_read_b32 v54, v87 offset:32768
	s_waitcnt lgkmcnt(0)
	v_cmp_eq_u32_e32 vcc, v54, v63
	s_or_b64 s[12:13], vcc, s[12:13]
	s_andn2_b64 exec, exec, s[12:13]
	s_cbranch_execnz .LBB85_15
.LBB85_16:                              ;   in Loop: Header=BB85_13 Depth=2
	s_or_b64 exec, exec, s[10:11]
	v_lshl_add_u32 v54, v86, 11, v65
	ds_read2_b32 v[60:61], v54 offset1:32
	ds_read2_b32 v[58:59], v54 offset0:128 offset1:160
	v_add_u32_e32 v54, 0x400, v54
	ds_read2_b32 v[56:57], v54 offset1:32
	ds_read_b32 v89, v87 offset:32772
	ds_read2_b32 v[54:55], v54 offset0:128 offset1:160
	v_add_u32_e32 v88, 1, v63
	ds_write_b32 v87, v88 offset:32768
	s_waitcnt lgkmcnt(2)
	v_cmp_ne_u32_e32 vcc, v89, v63
	s_and_saveexec_b64 s[10:11], vcc
	s_cbranch_execz .LBB85_19
; %bb.17:                               ;   in Loop: Header=BB85_13 Depth=2
	s_mov_b64 s[12:13], 0
.LBB85_18:                              ;   Parent Loop BB85_7 Depth=1
                                        ;     Parent Loop BB85_13 Depth=2
                                        ; =>    This Inner Loop Header: Depth=3
	;;#ASMSTART
	s_sleep 0
	;;#ASMEND
	ds_read_b32 v89, v87 offset:32772
	s_waitcnt lgkmcnt(0)
	v_cmp_eq_u32_e32 vcc, v89, v63
	s_or_b64 s[12:13], vcc, s[12:13]
	s_andn2_b64 exec, exec, s[12:13]
	s_cbranch_execnz .LBB85_18
.LBB85_19:                              ;   in Loop: Header=BB85_13 Depth=2
	s_or_b64 exec, exec, s[10:11]
	s_movk_i32 s5, 0x1800
	v_mul_lo_u32 v89, v86, s5
	v_or_b32_e32 v92, v66, v89
	ds_read2_b32 v[90:91], v92 offset1:32
	ds_write_b32 v87, v88 offset:32772
	s_waitcnt lgkmcnt(1)
	v_mfma_f32_32x32x16_fp8_fp8 v[32:47], v[60:61], v[90:91], v[32:47]
	ds_read2_b32 v[90:91], v92 offset0:128 offset1:160
	v_add_u32_e32 v92, 0x400, v92
	s_waitcnt lgkmcnt(0)
	v_mfma_f32_32x32x16_fp8_fp8 v[32:47], v[58:59], v[90:91], v[32:47]
	ds_read2_b32 v[90:91], v92 offset1:32
	s_waitcnt lgkmcnt(0)
	v_mfma_f32_32x32x16_fp8_fp8 v[32:47], v[56:57], v[90:91], v[32:47]
	ds_read2_b32 v[90:91], v92 offset0:128 offset1:160
	ds_read_b32 v92, v87 offset:32780
	s_waitcnt lgkmcnt(0)
	v_cmp_ne_u32_e32 vcc, v92, v63
	v_mfma_f32_32x32x16_fp8_fp8 v[32:47], v[54:55], v[90:91], v[32:47]
	s_and_saveexec_b64 s[10:11], vcc
	s_cbranch_execz .LBB85_22
; %bb.20:                               ;   in Loop: Header=BB85_13 Depth=2
	s_mov_b64 s[12:13], 0
.LBB85_21:                              ;   Parent Loop BB85_7 Depth=1
                                        ;     Parent Loop BB85_13 Depth=2
                                        ; =>    This Inner Loop Header: Depth=3
	;;#ASMSTART
	s_sleep 0
	;;#ASMEND
	ds_read_b32 v90, v87 offset:32780
	s_waitcnt lgkmcnt(0)
	v_cmp_eq_u32_e32 vcc, v90, v63
	s_or_b64 s[12:13], vcc, s[12:13]
	s_andn2_b64 exec, exec, s[12:13]
	s_cbranch_execnz .LBB85_21
.LBB85_22:                              ;   in Loop: Header=BB85_13 Depth=2
	s_or_b64 exec, exec, s[10:11]
	v_add_u32_e32 v89, v66, v89
	v_add_u32_e32 v92, 0x800, v89
	ds_read2_b32 v[90:91], v92 offset1:32
	ds_write_b32 v87, v88 offset:32780
	s_waitcnt lgkmcnt(1)
	v_mfma_f32_32x32x16_fp8_fp8 v[16:31], v[60:61], v[90:91], v[16:31]
	ds_read2_b32 v[90:91], v92 offset0:128 offset1:160
	v_add_u32_e32 v92, 0xc00, v89
	s_waitcnt lgkmcnt(0)
	v_mfma_f32_32x32x16_fp8_fp8 v[16:31], v[58:59], v[90:91], v[16:31]
	ds_read2_b32 v[90:91], v92 offset1:32
	s_waitcnt lgkmcnt(0)
	v_mfma_f32_32x32x16_fp8_fp8 v[16:31], v[56:57], v[90:91], v[16:31]
	ds_read2_b32 v[90:91], v92 offset0:128 offset1:160
	ds_read_b32 v92, v87 offset:32788
	s_waitcnt lgkmcnt(0)
	v_cmp_ne_u32_e32 vcc, v92, v63
	v_mfma_f32_32x32x16_fp8_fp8 v[16:31], v[54:55], v[90:91], v[16:31]
	s_and_saveexec_b64 s[10:11], vcc
	s_cbranch_execz .LBB85_12
; %bb.23:                               ;   in Loop: Header=BB85_13 Depth=2
	s_mov_b64 s[12:13], 0
.LBB85_24:                              ;   Parent Loop BB85_7 Depth=1
                                        ;     Parent Loop BB85_13 Depth=2
                                        ; =>    This Inner Loop Header: Depth=3
	;;#ASMSTART
	s_sleep 0
	;;#ASMEND
	ds_read_b32 v90, v87 offset:32788
	s_waitcnt lgkmcnt(0)
	v_cmp_eq_u32_e32 vcc, v90, v63
	s_or_b64 s[12:13], vcc, s[12:13]
	s_andn2_b64 exec, exec, s[12:13]
	s_cbranch_execnz .LBB85_24
	s_branch .LBB85_12
.LBB85_25:                              ;   in Loop: Header=BB85_7 Depth=1
	s_or_b64 exec, exec, s[8:9]
.LBB85_26:                              ;   in Loop: Header=BB85_7 Depth=1
	v_writelane_b32 v95, s71, 25
	v_writelane_b32 v95, s39, 26
	s_or_b64 exec, exec, s[6:7]
	v_cmp_le_i32_e32 vcc, s70, v64
	v_cmp_eq_u32_e64 s[60:61], 1, v67
	v_cmp_eq_u32_e64 s[28:29], 2, v67
	s_waitcnt vmcnt(0)
	v_cndmask_b32_e32 v54, 0, v85, vcc
	v_pk_mul_f32 v[32:33], v[54:55], v[32:33] op_sel_hi:[0,1]
	v_pk_mul_f32 v[46:47], v[54:55], v[46:47] op_sel_hi:[0,1]
	;; [unrolled: 1-line block ×8, first 2 shown]
	v_cndmask_b32_e64 v54, v32, v33, s[60:61]
	v_cndmask_b32_e64 v54, v54, v34, s[28:29]
	v_cmp_eq_u32_e64 s[40:41], 3, v67
	v_cmp_eq_u32_e64 s[42:43], 4, v67
	v_cmp_eq_u32_e64 s[44:45], 5, v67
	v_cndmask_b32_e64 v54, v54, v35, s[40:41]
	v_cndmask_b32_e64 v54, v54, v36, s[42:43]
	v_cndmask_b32_e64 v54, v54, v37, s[44:45]
	v_cmp_eq_u32_e64 s[46:47], 6, v67
	v_cmp_eq_u32_e64 s[48:49], 7, v67
	v_cmp_eq_u32_e64 s[50:51], 8, v67
	v_cndmask_b32_e64 v54, v54, v38, s[46:47]
	;; [unrolled: 6-line block ×4, first 2 shown]
	v_cndmask_b32_e64 v54, v54, v45, s[62:63]
	v_cndmask_b32_e64 v54, v54, v46, s[64:65]
	v_cmp_eq_u32_e64 s[66:67], 15, v67
	s_mul_i32 s6, s3, s89
	s_ashr_i32 s7, s6, 31
	v_cndmask_b32_e64 v54, v54, v47, s[66:67]
	ds_bpermute_b32 v54, v83, v54
	s_lshl_b64 s[6:7], s[6:7], 1
	v_cmp_eq_u32_e64 s[36:37], 0, v67
	s_add_u32 s71, s20, s6
	v_cmp_eq_u32_e32 vcc, 1, v68
	s_waitcnt lgkmcnt(0)
	v_cndmask_b32_e64 v47, v47, v54, s[66:67]
	v_cndmask_b32_e64 v46, v46, v54, s[64:65]
	;; [unrolled: 1-line block ×16, first 2 shown]
	s_addc_u32 s72, s21, s7
	v_cndmask_b32_e32 v32, v54, v33, vcc
	v_cmp_eq_u32_e64 s[6:7], 2, v68
	v_cmp_eq_u32_e64 s[8:9], 3, v68
	v_cmp_eq_u32_e64 s[10:11], 4, v68
	v_cndmask_b32_e64 v32, v32, v87, s[6:7]
	v_cndmask_b32_e64 v32, v32, v86, s[8:9]
	v_cndmask_b32_e64 v32, v32, v61, s[10:11]
	v_cmp_eq_u32_e64 s[12:13], 5, v68
	v_cmp_eq_u32_e64 s[14:15], 6, v68
	v_cmp_eq_u32_e64 s[16:17], 7, v68
	v_cndmask_b32_e64 v32, v32, v60, s[12:13]
	v_cndmask_b32_e64 v32, v32, v59, s[14:15]
	v_cndmask_b32_e64 v32, v32, v58, s[16:17]
	;; [unrolled: 6-line block ×4, first 2 shown]
	v_cmp_eq_u32_e64 s[34:35], 14, v68
	v_cmp_eq_u32_e64 s[38:39], 15, v68
	s_ashr_i32 s5, s4, 31
	v_cndmask_b32_e64 v32, v32, v46, s[34:35]
	v_cndmask_b32_e64 v32, v32, v47, s[38:39]
	s_lshl_b64 s[68:69], s[4:5], 1
	ds_bpermute_b32 v55, v83, v32
	s_add_u32 s68, s71, s68
	s_addc_u32 s69, s72, s69
	v_writelane_b32 v95, s68, 27
	v_cmp_eq_u32_e64 s[72:73], 11, v69
	s_waitcnt lgkmcnt(0)
	v_cndmask_b32_e64 v39, v42, v55, s[22:23]
	v_writelane_b32 v95, s69, 28
	v_cmp_le_i32_e64 s[68:69], s70, v75
	v_cndmask_b32_e64 v42, v58, v55, s[16:17]
	v_cndmask_b32_e32 v33, v33, v55, vcc
	v_cndmask_b32_e64 v32, 0, v85, s[68:69]
	v_cmp_le_i32_e64 s[68:69], s70, v76
	v_pk_mul_f32 v[16:17], v[32:33], v[16:17] op_sel_hi:[0,1]
	v_cndmask_b32_e64 v34, v47, v55, s[38:39]
	v_cndmask_b32_e64 v58, 0, v85, s[68:69]
	v_cmp_eq_u32_e64 s[68:69], 0, v68
	v_pk_mul_f32 v[0:1], v[58:59], v[0:1] op_sel_hi:[0,1]
	v_cndmask_b32_e64 v35, v46, v55, s[34:35]
	v_cndmask_b32_e64 v36, v45, v55, s[30:31]
	;; [unrolled: 1-line block ×12, first 2 shown]
	v_pk_mul_f32 v[30:31], v[32:33], v[30:31] op_sel_hi:[0,1]
	v_pk_mul_f32 v[28:29], v[32:33], v[28:29] op_sel_hi:[0,1]
	;; [unrolled: 1-line block ×7, first 2 shown]
	v_cndmask_b32_e64 v32, v16, v17, s[60:61]
	v_pk_mul_f32 v[54:55], v[58:59], v[4:5] op_sel_hi:[0,1]
	v_pk_mul_f32 v[2:3], v[58:59], v[2:3] op_sel_hi:[0,1]
	v_cndmask_b32_e64 v4, v0, v1, s[60:61]
	v_cndmask_b32_e64 v32, v32, v18, s[28:29]
	v_cndmask_b32_e64 v4, v4, v2, s[28:29]
	v_cndmask_b32_e64 v32, v32, v19, s[40:41]
	v_cndmask_b32_e64 v4, v4, v3, s[40:41]
	v_cndmask_b32_e64 v32, v32, v20, s[42:43]
	v_cndmask_b32_e64 v4, v4, v54, s[42:43]
	v_cndmask_b32_e64 v32, v32, v21, s[44:45]
	v_pk_mul_f32 v[6:7], v[58:59], v[6:7] op_sel_hi:[0,1]
	v_cndmask_b32_e64 v4, v4, v55, s[44:45]
	v_cndmask_b32_e64 v32, v32, v22, s[46:47]
	v_cndmask_b32_e64 v4, v4, v6, s[46:47]
	v_cndmask_b32_e64 v32, v32, v23, s[48:49]
	v_pk_mul_f32 v[8:9], v[58:59], v[8:9] op_sel_hi:[0,1]
	v_cndmask_b32_e64 v4, v4, v7, s[48:49]
	v_cndmask_b32_e64 v32, v32, v24, s[50:51]
	v_cndmask_b32_e64 v4, v4, v8, s[50:51]
	v_cndmask_b32_e64 v32, v32, v25, s[52:53]
	;; [unrolled: 5-line block ×5, first 2 shown]
	v_cndmask_b32_e64 v4, v4, v15, s[66:67]
	ds_bpermute_b32 v32, v83, v32
	ds_bpermute_b32 v5, v83, v4
	v_cmp_eq_u32_e64 s[70:71], 10, v69
	v_cmp_eq_u32_e64 s[76:77], 13, v69
	;; [unrolled: 1-line block ×3, first 2 shown]
	s_waitcnt lgkmcnt(1)
	v_cndmask_b32_e64 v4, v17, v32, s[60:61]
	v_cmp_eq_u32_e64 s[60:61], 1, v69
	v_cndmask_b32_e64 v18, v18, v32, s[28:29]
	s_waitcnt lgkmcnt(0)
	v_cndmask_b32_e64 v2, v2, v5, s[28:29]
	v_cmp_ne_u32_e64 s[28:29], 0, v67
	v_cndmask_b32_e64 v17, v57, v33, s[60:61]
	v_cndmask_b32_e64 v31, v31, v32, s[66:67]
	;; [unrolled: 1-line block ×3, first 2 shown]
	v_cmp_eq_u32_e64 s[66:67], 2, v69
	v_cndmask_b32_e64 v1, v1, v5, s[28:29]
	v_cndmask_b32_e64 v16, v16, v32, s[36:37]
	;; [unrolled: 1-line block ×6, first 2 shown]
	v_cmp_eq_u32_e64 s[64:65], 3, v69
	v_cndmask_b32_e64 v29, v29, v32, s[62:63]
	v_cndmask_b32_e64 v13, v13, v5, s[62:63]
	;; [unrolled: 1-line block ×22, first 2 shown]
	v_cndmask_b32_e32 v32, v16, v4, vcc
	v_cndmask_b32_e32 v5, v0, v1, vcc
	v_cndmask_b32_e64 v17, v17, v46, s[64:65]
	v_cmp_eq_u32_e64 s[62:63], 4, v69
	v_cndmask_b32_e64 v32, v32, v18, s[6:7]
	v_cndmask_b32_e64 v5, v5, v2, s[6:7]
	v_cndmask_b32_e64 v17, v17, v45, s[62:63]
	v_cmp_eq_u32_e64 s[58:59], 5, v69
	v_cndmask_b32_e64 v32, v32, v19, s[8:9]
	v_cndmask_b32_e64 v5, v5, v3, s[8:9]
	;; [unrolled: 4-line block ×6, first 2 shown]
	v_cndmask_b32_e64 v17, v17, v40, s[50:51]
	v_cndmask_b32_e64 v32, v32, v24, s[18:19]
	;; [unrolled: 1-line block ×7, first 2 shown]
	v_cmp_eq_u32_e64 s[44:45], 12, v69
	v_cndmask_b32_e64 v32, v32, v26, s[22:23]
	v_cndmask_b32_e64 v5, v5, v10, s[22:23]
	;; [unrolled: 1-line block ×6, first 2 shown]
	v_cmp_eq_u32_e64 s[40:41], 14, v69
	v_cndmask_b32_e64 v32, v32, v28, s[26:27]
	v_cndmask_b32_e64 v5, v5, v12, s[26:27]
	;; [unrolled: 1-line block ×8, first 2 shown]
	ds_bpermute_b32 v17, v83, v17
	v_cndmask_b32_e64 v32, v32, v31, s[38:39]
	v_cndmask_b32_e64 v5, v5, v15, s[38:39]
	ds_bpermute_b32 v32, v83, v32
	ds_bpermute_b32 v5, v83, v5
	v_cmp_eq_u32_e64 s[42:43], 0, v69
	s_waitcnt lgkmcnt(2)
	v_cndmask_b32_e64 v34, v34, v17, s[78:79]
	v_cndmask_b32_e64 v35, v35, v17, s[40:41]
	;; [unrolled: 1-line block ×16, first 2 shown]
	v_cmp_eq_u32_e64 s[28:29], 1, v70
	s_waitcnt lgkmcnt(1)
	v_cndmask_b32_e64 v30, v30, v32, s[34:35]
	s_waitcnt lgkmcnt(0)
	v_cndmask_b32_e64 v14, v14, v5, s[34:35]
	v_cndmask_b32_e64 v57, v17, v33, s[28:29]
	v_cmp_eq_u32_e64 s[34:35], 2, v70
	v_cndmask_b32_e32 v1, v1, v5, vcc
	v_cndmask_b32_e64 v0, v0, v5, s[68:69]
	v_cndmask_b32_e64 v15, v15, v5, s[38:39]
	v_cndmask_b32_e64 v57, v57, v47, s[34:35]
	v_cndmask_b32_e64 v29, v29, v32, s[30:31]
	v_cndmask_b32_e64 v13, v13, v5, s[30:31]
	v_cmp_eq_u32_e64 s[30:31], 3, v70
	v_cndmask_b32_e64 v12, v12, v5, s[26:27]
	v_cndmask_b32_e64 v11, v11, v5, s[24:25]
	;; [unrolled: 1-line block ×11, first 2 shown]
	v_cndmask_b32_e32 v4, v4, v32, vcc
	v_cndmask_b32_e64 v16, v16, v32, s[68:69]
	v_cndmask_b32_e64 v5, v0, v1, s[60:61]
	v_cndmask_b32_e64 v31, v31, v32, s[38:39]
	v_cndmask_b32_e64 v57, v57, v46, s[30:31]
	v_cndmask_b32_e64 v28, v28, v32, s[26:27]
	v_cmp_eq_u32_e64 s[26:27], 4, v70
	v_cndmask_b32_e64 v27, v27, v32, s[24:25]
	v_cndmask_b32_e64 v26, v26, v32, s[22:23]
	;; [unrolled: 1-line block ×13, first 2 shown]
	v_cmp_eq_u32_e64 s[24:25], 5, v70
	v_cndmask_b32_e64 v32, v32, v18, s[66:67]
	v_cndmask_b32_e64 v5, v5, v3, s[64:65]
	v_cndmask_b32_e64 v57, v57, v44, s[24:25]
	v_cmp_eq_u32_e64 s[22:23], 6, v70
	v_cndmask_b32_e64 v32, v32, v19, s[64:65]
	v_cndmask_b32_e64 v5, v5, v54, s[62:63]
	v_cndmask_b32_e64 v57, v57, v43, s[22:23]
	;; [unrolled: 4-line block ×11, first 2 shown]
	v_cndmask_b32_e64 v32, v32, v29, s[76:77]
	v_cndmask_b32_e64 v5, v5, v14, s[40:41]
	ds_bpermute_b32 v57, v83, v57
	v_cndmask_b32_e64 v32, v32, v30, s[40:41]
	v_cndmask_b32_e64 v5, v5, v15, s[78:79]
	;; [unrolled: 1-line block ×3, first 2 shown]
	ds_bpermute_b32 v5, v83, v5
	ds_bpermute_b32 v32, v83, v32
	v_cmp_eq_u32_e64 s[14:15], 0, v70
	s_waitcnt lgkmcnt(2)
	v_cndmask_b32_e64 v33, v33, v57, s[28:29]
	v_cmp_eq_u32_e64 s[10:11], 1, v71
	v_cndmask_b32_e64 v17, v17, v57, s[14:15]
	v_cndmask_b32_e64 v34, v34, v57, s[84:85]
	;; [unrolled: 1-line block ×16, first 2 shown]
	v_cmp_eq_u32_e64 s[12:13], 2, v71
	s_waitcnt lgkmcnt(1)
	v_cndmask_b32_e64 v1, v1, v5, s[60:61]
	v_cndmask_b32_e64 v0, v0, v5, s[42:43]
	;; [unrolled: 1-line block ×6, first 2 shown]
	v_cmp_eq_u32_e64 s[20:21], 3, v71
	v_cndmask_b32_e64 v12, v12, v5, s[44:45]
	v_cndmask_b32_e64 v11, v11, v5, s[72:73]
	;; [unrolled: 1-line block ×11, first 2 shown]
	s_waitcnt lgkmcnt(0)
	v_cndmask_b32_e64 v4, v4, v32, s[60:61]
	v_cndmask_b32_e64 v16, v16, v32, s[42:43]
	;; [unrolled: 1-line block ×8, first 2 shown]
	v_cmp_eq_u32_e64 s[36:37], 4, v71
	v_cndmask_b32_e64 v27, v27, v32, s[72:73]
	v_cndmask_b32_e64 v26, v26, v32, s[70:71]
	;; [unrolled: 1-line block ×13, first 2 shown]
	v_cmp_eq_u32_e64 s[40:41], 5, v71
	v_cndmask_b32_e64 v32, v32, v18, s[34:35]
	v_cndmask_b32_e64 v5, v5, v3, s[30:31]
	v_cndmask_b32_e64 v57, v57, v44, s[40:41]
	v_cmp_eq_u32_e64 s[44:45], 6, v71
	v_cndmask_b32_e64 v32, v32, v19, s[30:31]
	v_cndmask_b32_e64 v5, v5, v54, s[26:27]
	v_cndmask_b32_e64 v57, v57, v43, s[44:45]
	;; [unrolled: 4-line block ×11, first 2 shown]
	v_cndmask_b32_e64 v32, v32, v29, s[8:9]
	v_cndmask_b32_e64 v5, v5, v14, s[80:81]
	ds_bpermute_b32 v57, v83, v57
	v_cndmask_b32_e64 v32, v32, v30, s[80:81]
	v_cndmask_b32_e64 v5, v5, v15, s[84:85]
	;; [unrolled: 1-line block ×3, first 2 shown]
	ds_bpermute_b32 v5, v83, v5
	ds_bpermute_b32 v32, v83, v32
	v_cmp_eq_u32_e64 s[58:59], 0, v71
	s_waitcnt lgkmcnt(2)
	v_cndmask_b32_e64 v33, v33, v57, s[10:11]
	v_cmp_eq_u32_e32 vcc, 1, v72
	v_cndmask_b32_e64 v17, v17, v57, s[58:59]
	v_cndmask_b32_e64 v34, v34, v57, s[86:87]
	;; [unrolled: 1-line block ×15, first 2 shown]
	v_cndmask_b32_e32 v57, v17, v33, vcc
	v_cmp_eq_u32_e64 s[6:7], 2, v72
	s_waitcnt lgkmcnt(1)
	v_cndmask_b32_e64 v1, v1, v5, s[28:29]
	v_cndmask_b32_e64 v0, v0, v5, s[14:15]
	;; [unrolled: 1-line block ×5, first 2 shown]
	s_waitcnt lgkmcnt(0)
	v_cndmask_b32_e64 v29, v29, v32, s[8:9]
	v_cndmask_b32_e64 v13, v13, v5, s[8:9]
	v_cmp_eq_u32_e64 s[8:9], 3, v72
	v_cndmask_b32_e64 v12, v12, v5, s[38:39]
	v_cndmask_b32_e64 v11, v11, v5, s[74:75]
	;; [unrolled: 1-line block ×14, first 2 shown]
	v_cmp_eq_u32_e64 s[38:39], 4, v72
	v_cndmask_b32_e64 v4, v4, v32, s[28:29]
	v_cndmask_b32_e64 v16, v16, v32, s[14:15]
	;; [unrolled: 1-line block ×7, first 2 shown]
	v_cmp_eq_u32_e64 s[42:43], 5, v72
	v_cndmask_b32_e64 v26, v26, v32, s[46:47]
	v_cndmask_b32_e64 v25, v25, v32, s[16:17]
	;; [unrolled: 1-line block ×12, first 2 shown]
	v_cmp_eq_u32_e64 s[46:47], 6, v72
	v_cndmask_b32_e64 v32, v32, v18, s[12:13]
	v_cndmask_b32_e64 v5, v5, v54, s[36:37]
	v_cndmask_b32_e64 v57, v57, v43, s[46:47]
	v_cmp_eq_u32_e64 s[52:53], 7, v72
	v_cndmask_b32_e64 v32, v32, v19, s[20:21]
	v_cndmask_b32_e64 v5, v5, v55, s[40:41]
	v_cndmask_b32_e64 v57, v57, v42, s[52:53]
	v_cmp_eq_u32_e64 s[54:55], 8, v72
	v_cndmask_b32_e64 v32, v32, v20, s[36:37]
	v_cndmask_b32_e64 v5, v5, v6, s[44:45]
	v_cndmask_b32_e64 v57, v57, v41, s[54:55]
	v_cmp_eq_u32_e64 s[56:57], 9, v72
	v_cndmask_b32_e64 v32, v32, v21, s[40:41]
	v_cndmask_b32_e64 v5, v5, v7, s[50:51]
	v_cndmask_b32_e64 v57, v57, v40, s[56:57]
	v_cmp_eq_u32_e64 s[60:61], 10, v72
	v_cndmask_b32_e64 v32, v32, v22, s[44:45]
	v_cndmask_b32_e64 v5, v5, v8, s[68:69]
	v_cndmask_b32_e64 v57, v57, v39, s[60:61]
	v_cmp_eq_u32_e64 s[62:63], 11, v72
	v_cndmask_b32_e64 v32, v32, v23, s[50:51]
	v_cndmask_b32_e64 v5, v5, v9, s[70:71]
	v_cndmask_b32_e64 v57, v57, v38, s[62:63]
	v_cmp_eq_u32_e64 s[66:67], 12, v72
	v_cndmask_b32_e64 v32, v32, v24, s[68:69]
	v_cndmask_b32_e64 v5, v5, v10, s[72:73]
	v_cndmask_b32_e64 v57, v57, v37, s[66:67]
	v_cmp_eq_u32_e64 s[74:75], 13, v72
	v_cndmask_b32_e64 v32, v32, v25, s[70:71]
	v_cndmask_b32_e64 v5, v5, v11, s[76:77]
	v_cndmask_b32_e64 v57, v57, v36, s[74:75]
	v_cmp_eq_u32_e64 s[80:81], 14, v72
	v_cndmask_b32_e64 v32, v32, v26, s[72:73]
	v_cndmask_b32_e64 v5, v5, v12, s[78:79]
	v_cndmask_b32_e64 v57, v57, v35, s[80:81]
	v_cmp_eq_u32_e64 s[84:85], 15, v72
	v_cndmask_b32_e64 v32, v32, v27, s[76:77]
	v_cndmask_b32_e64 v5, v5, v13, s[64:65]
	v_cndmask_b32_e64 v57, v57, v34, s[84:85]
	v_cndmask_b32_e64 v32, v32, v28, s[78:79]
	v_cndmask_b32_e64 v5, v5, v14, s[82:83]
	ds_bpermute_b32 v57, v83, v57
	v_cndmask_b32_e64 v32, v32, v29, s[64:65]
	v_cndmask_b32_e64 v5, v5, v15, s[86:87]
	;; [unrolled: 1-line block ×3, first 2 shown]
	ds_bpermute_b32 v5, v83, v5
	v_cndmask_b32_e64 v32, v32, v31, s[86:87]
	ds_bpermute_b32 v32, v83, v32
	v_cmp_eq_u32_e64 s[48:49], 0, v72
	s_waitcnt lgkmcnt(2)
	v_cndmask_b32_e32 v33, v33, v57, vcc
	v_cmp_eq_u32_e64 s[14:15], 1, v73
	v_cndmask_b32_e64 v17, v17, v57, s[48:49]
	v_cndmask_b32_e64 v34, v34, v57, s[84:85]
	;; [unrolled: 1-line block ×15, first 2 shown]
	s_waitcnt lgkmcnt(1)
	v_cndmask_b32_e64 v15, v15, v5, s[86:87]
	v_cndmask_b32_e64 v57, v17, v33, s[14:15]
	;; [unrolled: 1-line block ×3, first 2 shown]
	v_cmp_eq_u32_e64 s[16:17], 2, v73
	v_cndmask_b32_e64 v13, v13, v5, s[64:65]
	v_cndmask_b32_e64 v12, v12, v5, s[78:79]
	;; [unrolled: 1-line block ×15, first 2 shown]
	v_cmp_eq_u32_e64 s[18:19], 3, v73
	v_cndmask_b32_e32 v0, v5, v1, vcc
	s_waitcnt lgkmcnt(0)
	v_cndmask_b32_e64 v31, v31, v32, s[86:87]
	v_cndmask_b32_e64 v30, v30, v32, s[82:83]
	;; [unrolled: 1-line block ×5, first 2 shown]
	v_cmp_eq_u32_e64 s[22:23], 4, v73
	v_cndmask_b32_e64 v27, v27, v32, s[76:77]
	v_cndmask_b32_e64 v26, v26, v32, s[72:73]
	;; [unrolled: 1-line block ×14, first 2 shown]
	v_cmp_eq_u32_e64 s[24:25], 5, v73
	v_cndmask_b32_e32 v16, v32, v4, vcc
	v_cndmask_b32_e64 v0, v0, v3, s[8:9]
	v_cndmask_b32_e64 v57, v57, v44, s[24:25]
	v_cmp_eq_u32_e64 s[26:27], 6, v73
	v_cndmask_b32_e64 v16, v16, v18, s[6:7]
	v_cndmask_b32_e64 v0, v0, v54, s[38:39]
	v_cndmask_b32_e64 v57, v57, v43, s[26:27]
	v_cmp_eq_u32_e64 s[28:29], 7, v73
	v_cndmask_b32_e64 v16, v16, v19, s[8:9]
	;; [unrolled: 4-line block ×10, first 2 shown]
	v_cndmask_b32_e64 v0, v0, v13, s[74:75]
	v_cndmask_b32_e64 v57, v57, v34, s[64:65]
	;; [unrolled: 1-line block ×4, first 2 shown]
	ds_bpermute_b32 v57, v83, v57
	v_cndmask_b32_e64 v16, v16, v29, s[74:75]
	v_cndmask_b32_e64 v0, v0, v15, s[84:85]
	;; [unrolled: 1-line block ×3, first 2 shown]
	ds_bpermute_b32 v59, v83, v0
	v_cndmask_b32_e64 v16, v16, v31, s[84:85]
	ds_bpermute_b32 v58, v83, v16
	v_cmp_eq_u32_e64 s[68:69], 0, v73
	s_waitcnt lgkmcnt(2)
	v_cndmask_b32_e64 v33, v33, v57, s[14:15]
	v_cmp_eq_u32_e64 s[10:11], 1, v74
	v_cndmask_b32_e64 v0, v17, v57, s[68:69]
	v_cndmask_b32_e64 v34, v34, v57, s[64:65]
	;; [unrolled: 1-line block ×15, first 2 shown]
	s_waitcnt lgkmcnt(1)
	v_cndmask_b32_e64 v57, v15, v59, s[84:85]
	v_cndmask_b32_e64 v15, v0, v33, s[10:11]
	v_cmp_eq_u32_e64 s[12:13], 2, v74
	v_cndmask_b32_e64 v16, v14, v59, s[80:81]
	v_cmp_eq_u32_e64 s[58:59], 3, v74
	v_cndmask_b32_e64 v14, v15, v47, s[12:13]
	v_cndmask_b32_e64 v17, v13, v59, s[74:75]
	;; [unrolled: 1-line block ×3, first 2 shown]
	s_waitcnt lgkmcnt(0)
	v_cndmask_b32_e64 v28, v28, v58, s[66:67]
	v_cndmask_b32_e64 v60, v12, v59, s[66:67]
	v_cmp_eq_u32_e64 s[66:67], 4, v74
	v_cndmask_b32_e64 v27, v27, v58, s[62:63]
	v_cndmask_b32_e64 v61, v11, v59, s[62:63]
	v_cndmask_b32_e64 v12, v13, v45, s[66:67]
	v_cmp_eq_u32_e64 s[62:63], 5, v74
	v_cndmask_b32_e64 v26, v26, v58, s[60:61]
	;; [unrolled: 4-line block ×10, first 2 shown]
	v_cndmask_b32_e64 v91, v2, v59, s[6:7]
	v_cndmask_b32_e64 v3, v6, v36, s[8:9]
	v_cmp_eq_u32_e64 s[6:7], 14, v74
	v_cndmask_b32_e32 v92, v4, v58, vcc
	v_cndmask_b32_e32 v93, v1, v59, vcc
	v_cndmask_b32_e64 v2, v3, v35, s[6:7]
	v_cmp_eq_u32_e32 vcc, 15, v74
	v_cndmask_b32_e64 v29, v29, v58, s[74:75]
	v_cndmask_b32_e64 v30, v30, v58, s[80:81]
	v_cndmask_b32_e32 v1, v2, v34, vcc
	ds_bpermute_b32 v94, v83, v1
	v_cndmask_b32_e64 v1, v32, v58, s[48:49]
	v_cndmask_b32_e64 v2, v1, v92, s[14:15]
	;; [unrolled: 1-line block ×18, first 2 shown]
	s_waitcnt lgkmcnt(0)
	v_cndmask_b32_e32 v15, v34, v94, vcc
	ds_bpermute_b32 v34, v83, v2
	v_cndmask_b32_e64 v13, v36, v94, s[8:9]
	v_cndmask_b32_e64 v36, v32, v93, s[14:15]
	;; [unrolled: 1-line block ×6, first 2 shown]
	s_waitcnt lgkmcnt(0)
	v_cndmask_b32_e64 v31, v31, v34, s[64:65]
	v_cndmask_b32_e64 v30, v30, v34, s[50:51]
	;; [unrolled: 1-line block ×38, first 2 shown]
	ds_bpermute_b32 v36, v83, v36
	v_cndmask_b32_e64 v1, v1, v28, s[38:39]
	v_cndmask_b32_e64 v1, v1, v29, s[8:9]
	;; [unrolled: 1-line block ×3, first 2 shown]
	v_cndmask_b32_e32 v1, v1, v31, vcc
	v_cndmask_b32_e64 v12, v37, v94, s[38:39]
	ds_bpermute_b32 v37, v83, v1
	v_cndmask_b32_e64 v1, v33, v94, s[10:11]
	s_waitcnt lgkmcnt(1)
	v_cndmask_b32_e64 v33, v57, v36, s[64:65]
	v_cndmask_b32_e64 v57, v86, v36, s[34:35]
	;; [unrolled: 1-line block ×35, first 2 shown]
	v_cndmask_b32_e32 v16, v16, v33, vcc
	ds_bpermute_b32 v87, v83, v16
	v_cndmask_b32_e64 v3, v46, v94, s[58:59]
	s_waitcnt lgkmcnt(1)
	v_cndmask_b32_e64 v30, v30, v37, s[6:7]
	v_readlane_b32 s71, v95, 25
	v_cmp_eq_u32_e64 s[48:49], 0, v74
	s_waitcnt lgkmcnt(0)
	v_cndmask_b32_e64 v46, v38, v87, s[6:7]
	v_readlane_b32 s6, v95, 27
	v_readlane_b32 s7, v95, 28
	;; [unrolled: 1-line block ×5, first 2 shown]
	s_mov_b32 s5, 0
	s_max_i32 s70, s71, 0
	v_subrev_u32_e32 v84, s97, v84
	v_cndmask_b32_e64 v6, v43, v94, s[60:61]
	v_cndmask_b32_e64 v5, v44, v94, s[62:63]
	;; [unrolled: 1-line block ×5, first 2 shown]
	v_cndmask_b32_e32 v31, v31, v37, vcc
	v_cndmask_b32_e64 v29, v29, v37, s[8:9]
	v_cndmask_b32_e64 v28, v28, v37, s[38:39]
	;; [unrolled: 1-line block ×14, first 2 shown]
	v_cndmask_b32_e32 v47, v33, v87, vcc
	v_cndmask_b32_e64 v45, v39, v87, s[8:9]
	v_cndmask_b32_e64 v44, v40, v87, s[38:39]
	;; [unrolled: 1-line block ×14, first 2 shown]
	v_lshl_add_u64 v[54:55], s[6:7], 0, v[48:49]
	s_mov_b64 s[6:7], 0
	s_mov_b32 s16, 0
	v_readlane_b32 s25, v95, 11
	v_readlane_b32 s27, v95, 13
	;; [unrolled: 1-line block ×10, first 2 shown]
	s_mov_b64 s[20:21], 0x80
	v_readlane_b32 s39, v95, 26
                                        ; implicit-def: $sgpr8_sgpr9
	s_branch .LBB85_29
.LBB85_27:                              ;   in Loop: Header=BB85_29 Depth=2
	s_or_b64 exec, exec, s[12:13]
	s_andn2_b64 s[8:9], s[8:9], exec
	s_and_b64 s[12:13], s[14:15], exec
	s_or_b64 s[8:9], s[8:9], s[12:13]
.LBB85_28:                              ;   in Loop: Header=BB85_29 Depth=2
	s_or_b64 exec, exec, s[10:11]
	s_and_b64 s[10:11], exec, s[8:9]
	s_or_b64 s[6:7], s[10:11], s[6:7]
	s_andn2_b64 exec, exec, s[6:7]
	s_cbranch_execz .LBB85_32
.LBB85_29:                              ;   Parent Loop BB85_7 Depth=1
                                        ; =>  This Inner Loop Header: Depth=2
	s_and_b32 s12, s5, 24
	v_or_b32_e32 v57, s12, v81
	v_add_u32_e32 v58, s70, v57
	v_cmp_gt_u32_e32 vcc, 32, v58
	s_or_b64 s[8:9], s[8:9], exec
	s_and_saveexec_b64 s[10:11], vcc
	s_cbranch_execz .LBB85_28
; %bb.30:                               ;   in Loop: Header=BB85_29 Depth=2
	s_add_i32 s13, s16, 1
	s_set_gpr_idx_on s16, gpr_idx(SRC0)
	v_mov_b32_e32 v58, v0
	s_set_gpr_idx_off
	v_cvt_f16_f32_e32 v60, v58
	s_set_gpr_idx_on s13, gpr_idx(SRC0)
	v_mov_b32_e32 v58, v0
	s_set_gpr_idx_off
	v_cvt_f16_f32_sdwa v61, v58 dst_sel:WORD_1 dst_unused:UNUSED_PAD src0_sel:DWORD
	v_mul_lo_u32 v58, v57, s89
	v_ashrrev_i32_e32 v59, 31, v58
	v_lshl_add_u64 v[58:59], v[58:59], 1, v[54:55]
	v_or_b32_e32 v57, v61, v60
	;;#ASMSTART
	global_atomic_pk_add_f16 v[58:59], v57, off
	
	;;#ASMEND
	s_set_gpr_idx_on s16, gpr_idx(SRC0)
	v_mov_b32_e32 v57, v16
	s_set_gpr_idx_off
	v_cvt_f16_f32_e32 v57, v57
	s_set_gpr_idx_on s13, gpr_idx(SRC0)
	v_mov_b32_e32 v60, v16
	s_set_gpr_idx_off
	v_cvt_f16_f32_sdwa v85, v60 dst_sel:WORD_1 dst_unused:UNUSED_PAD src0_sel:DWORD
	v_lshl_add_u64 v[60:61], v[58:59], 0, 64
	v_lshl_add_u64 v[58:59], v[58:59], 0, s[20:21]
	s_mov_b64 s[14:15], -1
	v_or_b32_e32 v57, v85, v57
	;;#ASMSTART
	global_atomic_pk_add_f16 v[60:61], v57, off
	
	;;#ASMEND
	s_set_gpr_idx_on s16, gpr_idx(SRC0)
	v_mov_b32_e32 v57, v32
	s_set_gpr_idx_off
	v_cvt_f16_f32_e32 v57, v57
	s_set_gpr_idx_on s13, gpr_idx(SRC0)
	v_mov_b32_e32 v60, v32
	s_set_gpr_idx_off
	v_cvt_f16_f32_sdwa v60, v60 dst_sel:WORD_1 dst_unused:UNUSED_PAD src0_sel:DWORD
	s_nop 0
	v_or_b32_e32 v57, v60, v57
	;;#ASMSTART
	global_atomic_pk_add_f16 v[58:59], v57, off
	
	;;#ASMEND
	v_or_b32_e32 v57, s12, v82
	v_add_u32_e32 v58, s70, v57
	v_cmp_gt_u32_e32 vcc, 32, v58
	s_and_saveexec_b64 s[12:13], vcc
	s_cbranch_execz .LBB85_27
; %bb.31:                               ;   in Loop: Header=BB85_29 Depth=2
	s_add_i32 s14, s16, 2
	s_add_i32 s15, s16, 3
	s_set_gpr_idx_on s14, gpr_idx(SRC0)
	v_mov_b32_e32 v58, v0
	s_set_gpr_idx_off
	v_cvt_f16_f32_e32 v60, v58
	s_set_gpr_idx_on s15, gpr_idx(SRC0)
	v_mov_b32_e32 v58, v0
	s_set_gpr_idx_off
	v_cvt_f16_f32_sdwa v61, v58 dst_sel:WORD_1 dst_unused:UNUSED_PAD src0_sel:DWORD
	v_mul_lo_u32 v58, v57, s89
	v_ashrrev_i32_e32 v59, 31, v58
	v_lshl_add_u64 v[58:59], v[58:59], 1, v[54:55]
	v_or_b32_e32 v57, v61, v60
	;;#ASMSTART
	global_atomic_pk_add_f16 v[58:59], v57, off
	
	;;#ASMEND
	s_set_gpr_idx_on s14, gpr_idx(SRC0)
	v_mov_b32_e32 v57, v16
	s_set_gpr_idx_off
	v_cvt_f16_f32_e32 v57, v57
	s_set_gpr_idx_on s15, gpr_idx(SRC0)
	v_mov_b32_e32 v60, v16
	s_set_gpr_idx_off
	v_cvt_f16_f32_sdwa v85, v60 dst_sel:WORD_1 dst_unused:UNUSED_PAD src0_sel:DWORD
	v_lshl_add_u64 v[60:61], v[58:59], 0, 64
	s_add_i32 s16, s16, 4
	s_add_i32 s5, s5, 8
	v_or_b32_e32 v57, v85, v57
	;;#ASMSTART
	global_atomic_pk_add_f16 v[60:61], v57, off
	
	;;#ASMEND
	s_set_gpr_idx_on s14, gpr_idx(SRC0)
	v_mov_b32_e32 v57, v32
	s_set_gpr_idx_off
	v_cvt_f16_f32_e32 v57, v57
	s_set_gpr_idx_on s15, gpr_idx(SRC0)
	v_mov_b32_e32 v60, v32
	s_set_gpr_idx_off
	v_cvt_f16_f32_sdwa v60, v60 dst_sel:WORD_1 dst_unused:UNUSED_PAD src0_sel:DWORD
	s_cmp_eq_u32 s16, 16
	s_cselect_b64 s[14:15], -1, 0
	s_orn2_b64 s[14:15], s[14:15], exec
	v_lshl_add_u64 v[58:59], v[58:59], 0, s[20:21]
	v_or_b32_e32 v57, v60, v57
	;;#ASMSTART
	global_atomic_pk_add_f16 v[58:59], v57, off
	
	;;#ASMEND
	s_branch .LBB85_27
.LBB85_32:                              ;   in Loop: Header=BB85_7 Depth=1
	s_or_b64 exec, exec, s[6:7]
	v_readlane_b32 s16, v95, 2
	v_readlane_b32 s8, v95, 23
	;; [unrolled: 1-line block ×12, first 2 shown]
.LBB85_33:                              ;   in Loop: Header=BB85_7 Depth=1
	s_or_b64 exec, exec, s[8:9]
.LBB85_34:                              ;   in Loop: Header=BB85_7 Depth=1
	s_andn2_saveexec_b64 s[0:1], s[0:1]
	s_cbranch_execz .LBB85_43
; %bb.35:                               ;   in Loop: Header=BB85_7 Depth=1
	s_mul_i32 s12, s97, 3
	v_cmp_gt_i32_e32 vcc, s12, v84
	s_and_saveexec_b64 s[6:7], vcc
	s_cbranch_execz .LBB85_42
; %bb.36:                               ;   in Loop: Header=BB85_7 Depth=1
	s_mul_i32 s4, s4, s91
	s_ashr_i32 s5, s4, 31
	s_add_u32 s4, s18, s4
	s_addc_u32 s5, s19, s5
	s_ashr_i32 s8, s39, 31
	s_add_u32 s4, s4, s39
	s_addc_u32 s5, s5, s8
	v_lshl_add_u64 v[0:1], s[4:5], 0, v[52:53]
	v_lshl_add_u64 v[8:9], v[0:1], 0, v[50:51]
	s_mov_b64 s[4:5], 0
	s_branch .LBB85_38
.LBB85_37:                              ;   in Loop: Header=BB85_38 Depth=2
	s_or_b64 exec, exec, s[8:9]
	v_lshl_or_b32 v12, v10, 11, v77
	;;#ASMSTART
	s_waitcnt vmcnt(1)
	;;#ASMEND
	ds_write2_b32 v12, v4, v5 offset1:32
	ds_write2_b32 v12, v6, v7 offset0:64 offset1:96
	v_add_u32_e32 v4, 0x400, v12
	v_add_u32_e32 v84, s94, v84
	;;#ASMSTART
	s_waitcnt vmcnt(0)
	;;#ASMEND
	ds_write2_b32 v4, v0, v1 offset1:32
	ds_write2_b32 v4, v2, v3 offset0:64 offset1:96
	v_add_u32_e32 v0, 1, v63
	v_add_u32_e32 v56, s94, v10
	v_cmp_le_i32_e32 vcc, s12, v84
	ds_write_b32 v11, v0 offset:16
	v_add_u32_e32 v0, 2, v63
	s_or_b64 s[4:5], vcc, s[4:5]
	v_cmp_lt_i32_e32 vcc, 11, v56
	s_nop 1
	v_cndmask_b32_e32 v63, v63, v0, vcc
	s_andn2_b64 exec, exec, s[4:5]
	s_cbranch_execz .LBB85_41
.LBB85_38:                              ;   Parent Loop BB85_7 Depth=1
                                        ; =>  This Loop Header: Depth=2
                                        ;       Child Loop BB85_40 Depth 3
	v_cmp_gt_i32_e32 vcc, 12, v56
	s_mov_b32 s8, 0x55555556
	s_nop 0
	v_cndmask_b32_e64 v0, -12, 0, vcc
	v_add_u32_e32 v10, v0, v56
	v_mul_hi_i32 v0, v84, s8
	v_lshrrev_b32_e32 v1, 31, v0
	v_add_u32_e32 v0, v0, v1
	v_lshl_add_u32 v1, v0, 1, v0
	v_sub_u32_e32 v2, v84, v1
	v_lshlrev_b32_e32 v0, 6, v0
	v_ashrrev_i32_e32 v1, 31, v0
	v_mul_lo_u32 v2, s33, v2
	v_lshl_add_u64 v[0:1], v[8:9], 0, v[0:1]
	v_ashrrev_i32_e32 v3, 31, v2
	v_lshl_add_u64 v[0:1], v[0:1], 0, v[2:3]
	v_lshlrev_b32_e32 v11, 2, v10
	;;#ASMSTART
	global_load_dwordx4 v[4:7], v[0:1], off offset:0   sc0 sc1 nt  
	global_load_dwordx4 v[0:3], v[0:1], off offset:32  sc0 sc1 nt  
	
	;;#ASMEND
	ds_read_b32 v12, v11 offset:32784
	v_add_u32_e32 v11, 0x8000, v11
	s_waitcnt lgkmcnt(0)
	v_cmp_ne_u32_e32 vcc, v12, v63
	s_and_saveexec_b64 s[8:9], vcc
	s_cbranch_execz .LBB85_37
; %bb.39:                               ;   in Loop: Header=BB85_38 Depth=2
	s_mov_b64 s[10:11], 0
.LBB85_40:                              ;   Parent Loop BB85_7 Depth=1
                                        ;     Parent Loop BB85_38 Depth=2
                                        ; =>    This Inner Loop Header: Depth=3
	;;#ASMSTART
	s_sleep 0
	;;#ASMEND
	ds_read_b32 v12, v11 offset:16
	s_waitcnt lgkmcnt(0)
	v_cmp_eq_u32_e32 vcc, v12, v63
	s_or_b64 s[10:11], vcc, s[10:11]
	s_andn2_b64 exec, exec, s[10:11]
	s_cbranch_execnz .LBB85_40
	s_branch .LBB85_37
.LBB85_41:                              ;   in Loop: Header=BB85_7 Depth=1
	s_or_b64 exec, exec, s[4:5]
.LBB85_42:                              ;   in Loop: Header=BB85_7 Depth=1
	s_or_b64 exec, exec, s[6:7]
	v_subrev_u32_e32 v84, s12, v84
.LBB85_43:                              ;   in Loop: Header=BB85_7 Depth=1
	s_or_b64 exec, exec, s[0:1]
.LBB85_44:                              ;   in Loop: Header=BB85_7 Depth=1
	s_andn2_saveexec_b64 s[0:1], s[98:99]
	s_cbranch_execz .LBB85_6
; %bb.45:                               ;   in Loop: Header=BB85_7 Depth=1
	v_cmp_gt_i32_e32 vcc, s97, v84
	s_and_saveexec_b64 s[4:5], vcc
	s_cbranch_execz .LBB85_5
; %bb.46:                               ;   in Loop: Header=BB85_7 Depth=1
	s_mul_i32 s3, s3, s90
	s_ashr_i32 s6, s3, 31
	s_add_u32 s3, s16, s3
	s_addc_u32 s7, s17, s6
	s_ashr_i32 s8, s39, 31
	v_cmp_le_i32_e32 vcc, s71, v78
	s_add_u32 s6, s3, s39
	s_addc_u32 s7, s7, s8
	v_cndmask_b32_e32 v0, 0, v79, vcc
	v_ashrrev_i32_e32 v1, 31, v0
	v_lshl_add_u64 v[0:1], s[6:7], 0, v[0:1]
	v_lshl_add_u64 v[8:9], v[0:1], 0, v[50:51]
	s_mov_b64 s[6:7], 0
	s_branch .LBB85_48
.LBB85_47:                              ;   in Loop: Header=BB85_48 Depth=2
	s_or_b64 exec, exec, s[8:9]
	v_lshl_add_u32 v12, v10, 11, v80
	;;#ASMSTART
	s_waitcnt vmcnt(1)
	;;#ASMEND
	ds_write2_b32 v12, v4, v5 offset1:32
	ds_write2_b32 v12, v6, v7 offset0:64 offset1:96
	v_add_u32_e32 v4, 0x400, v12
	v_add_u32_e32 v84, s93, v84
	;;#ASMSTART
	s_waitcnt vmcnt(0)
	;;#ASMEND
	ds_write2_b32 v4, v0, v1 offset1:32
	ds_write2_b32 v4, v2, v3 offset0:64 offset1:96
	v_add_u32_e32 v0, 1, v63
	v_add_u32_e32 v56, s93, v10
	v_cmp_le_i32_e32 vcc, s97, v84
	ds_write_b32 v11, v0
	v_add_u32_e32 v0, 2, v63
	s_or_b64 s[6:7], vcc, s[6:7]
	v_cmp_lt_i32_e32 vcc, 3, v56
	s_nop 1
	v_cndmask_b32_e32 v63, v63, v0, vcc
	s_andn2_b64 exec, exec, s[6:7]
	s_cbranch_execz .LBB85_4
.LBB85_48:                              ;   Parent Loop BB85_7 Depth=1
                                        ; =>  This Loop Header: Depth=2
                                        ;       Child Loop BB85_50 Depth 3
	v_cmp_gt_i32_e32 vcc, 4, v56
	s_nop 1
	v_cndmask_b32_e64 v0, -4, 0, vcc
	v_add_u32_e32 v10, v0, v56
	v_lshlrev_b32_e32 v0, 6, v84
	v_ashrrev_i32_e32 v1, 31, v0
	v_lshl_add_u64 v[0:1], v[8:9], 0, v[0:1]
	v_lshlrev_b32_e32 v11, 2, v10
	;;#ASMSTART
	global_load_dwordx4 v[4:7], v[0:1], off offset:0   
	global_load_dwordx4 v[0:3], v[0:1], off offset:32  
	
	;;#ASMEND
	ds_read_b32 v12, v11 offset:32768
	v_add_u32_e32 v11, 0x8000, v11
	s_waitcnt lgkmcnt(0)
	v_cmp_ne_u32_e32 vcc, v12, v63
	s_and_saveexec_b64 s[8:9], vcc
	s_cbranch_execz .LBB85_47
; %bb.49:                               ;   in Loop: Header=BB85_48 Depth=2
	s_mov_b64 s[10:11], 0
.LBB85_50:                              ;   Parent Loop BB85_7 Depth=1
                                        ;     Parent Loop BB85_48 Depth=2
                                        ; =>    This Inner Loop Header: Depth=3
	;;#ASMSTART
	s_sleep 0
	;;#ASMEND
	ds_read_b32 v12, v11
	s_waitcnt lgkmcnt(0)
	v_cmp_eq_u32_e32 vcc, v12, v63
	s_or_b64 s[10:11], vcc, s[10:11]
	s_andn2_b64 exec, exec, s[10:11]
	s_cbranch_execnz .LBB85_50
	s_branch .LBB85_47
.LBB85_51:
	s_endpgm
	.section	.rodata,"a",@progbits
	.p2align	6, 0x0
	.amdhsa_kernel _Z19_skinny_gemm_kernelILi1ELi3ELi4ELi32ELi4EEvPKhS1_P6__halfPKfiiiiiiii
		.amdhsa_group_segment_fixed_size 32832
		.amdhsa_private_segment_fixed_size 0
		.amdhsa_kernarg_size 64
		.amdhsa_user_sgpr_count 2
		.amdhsa_user_sgpr_dispatch_ptr 0
		.amdhsa_user_sgpr_queue_ptr 0
		.amdhsa_user_sgpr_kernarg_segment_ptr 1
		.amdhsa_user_sgpr_dispatch_id 0
		.amdhsa_user_sgpr_kernarg_preload_length 0
		.amdhsa_user_sgpr_kernarg_preload_offset 0
		.amdhsa_user_sgpr_private_segment_size 0
		.amdhsa_uses_dynamic_stack 0
		.amdhsa_enable_private_segment 0
		.amdhsa_system_sgpr_workgroup_id_x 1
		.amdhsa_system_sgpr_workgroup_id_y 0
		.amdhsa_system_sgpr_workgroup_id_z 0
		.amdhsa_system_sgpr_workgroup_info 0
		.amdhsa_system_vgpr_workitem_id 0
		.amdhsa_next_free_vgpr 96
		.amdhsa_next_free_sgpr 100
		.amdhsa_accum_offset 96
		.amdhsa_reserve_vcc 1
		.amdhsa_float_round_mode_32 0
		.amdhsa_float_round_mode_16_64 0
		.amdhsa_float_denorm_mode_32 3
		.amdhsa_float_denorm_mode_16_64 3
		.amdhsa_dx10_clamp 1
		.amdhsa_ieee_mode 1
		.amdhsa_fp16_overflow 0
		.amdhsa_tg_split 0
		.amdhsa_exception_fp_ieee_invalid_op 0
		.amdhsa_exception_fp_denorm_src 0
		.amdhsa_exception_fp_ieee_div_zero 0
		.amdhsa_exception_fp_ieee_overflow 0
		.amdhsa_exception_fp_ieee_underflow 0
		.amdhsa_exception_fp_ieee_inexact 0
		.amdhsa_exception_int_div_zero 0
	.end_amdhsa_kernel
	.section	.text._Z19_skinny_gemm_kernelILi1ELi3ELi4ELi32ELi4EEvPKhS1_P6__halfPKfiiiiiiii,"axG",@progbits,_Z19_skinny_gemm_kernelILi1ELi3ELi4ELi32ELi4EEvPKhS1_P6__halfPKfiiiiiiii,comdat
.Lfunc_end85:
	.size	_Z19_skinny_gemm_kernelILi1ELi3ELi4ELi32ELi4EEvPKhS1_P6__halfPKfiiiiiiii, .Lfunc_end85-_Z19_skinny_gemm_kernelILi1ELi3ELi4ELi32ELi4EEvPKhS1_P6__halfPKfiiiiiiii
                                        ; -- End function
	.set _Z19_skinny_gemm_kernelILi1ELi3ELi4ELi32ELi4EEvPKhS1_P6__halfPKfiiiiiiii.num_vgpr, 96
	.set _Z19_skinny_gemm_kernelILi1ELi3ELi4ELi32ELi4EEvPKhS1_P6__halfPKfiiiiiiii.num_agpr, 0
	.set _Z19_skinny_gemm_kernelILi1ELi3ELi4ELi32ELi4EEvPKhS1_P6__halfPKfiiiiiiii.numbered_sgpr, 100
	.set _Z19_skinny_gemm_kernelILi1ELi3ELi4ELi32ELi4EEvPKhS1_P6__halfPKfiiiiiiii.num_named_barrier, 0
	.set _Z19_skinny_gemm_kernelILi1ELi3ELi4ELi32ELi4EEvPKhS1_P6__halfPKfiiiiiiii.private_seg_size, 0
	.set _Z19_skinny_gemm_kernelILi1ELi3ELi4ELi32ELi4EEvPKhS1_P6__halfPKfiiiiiiii.uses_vcc, 1
	.set _Z19_skinny_gemm_kernelILi1ELi3ELi4ELi32ELi4EEvPKhS1_P6__halfPKfiiiiiiii.uses_flat_scratch, 0
	.set _Z19_skinny_gemm_kernelILi1ELi3ELi4ELi32ELi4EEvPKhS1_P6__halfPKfiiiiiiii.has_dyn_sized_stack, 0
	.set _Z19_skinny_gemm_kernelILi1ELi3ELi4ELi32ELi4EEvPKhS1_P6__halfPKfiiiiiiii.has_recursion, 0
	.set _Z19_skinny_gemm_kernelILi1ELi3ELi4ELi32ELi4EEvPKhS1_P6__halfPKfiiiiiiii.has_indirect_call, 0
	.section	.AMDGPU.csdata,"",@progbits
; Kernel info:
; codeLenInByte = 11488
; TotalNumSgprs: 106
; NumVgprs: 96
; NumAgprs: 0
; TotalNumVgprs: 96
; ScratchSize: 0
; MemoryBound: 0
; FloatMode: 240
; IeeeMode: 1
; LDSByteSize: 32832 bytes/workgroup (compile time only)
; SGPRBlocks: 13
; VGPRBlocks: 11
; NumSGPRsForWavesPerEU: 106
; NumVGPRsForWavesPerEU: 96
; AccumOffset: 96
; Occupancy: 5
; WaveLimiterHint : 0
; COMPUTE_PGM_RSRC2:SCRATCH_EN: 0
; COMPUTE_PGM_RSRC2:USER_SGPR: 2
; COMPUTE_PGM_RSRC2:TRAP_HANDLER: 0
; COMPUTE_PGM_RSRC2:TGID_X_EN: 1
; COMPUTE_PGM_RSRC2:TGID_Y_EN: 0
; COMPUTE_PGM_RSRC2:TGID_Z_EN: 0
; COMPUTE_PGM_RSRC2:TIDIG_COMP_CNT: 0
; COMPUTE_PGM_RSRC3_GFX90A:ACCUM_OFFSET: 23
; COMPUTE_PGM_RSRC3_GFX90A:TG_SPLIT: 0
	.section	.text._Z19_skinny_gemm_kernelILi1ELi3ELi5ELi16ELi4EEvPKhS1_P6__halfPKfiiiiiiii,"axG",@progbits,_Z19_skinny_gemm_kernelILi1ELi3ELi5ELi16ELi4EEvPKhS1_P6__halfPKfiiiiiiii,comdat
	.protected	_Z19_skinny_gemm_kernelILi1ELi3ELi5ELi16ELi4EEvPKhS1_P6__halfPKfiiiiiiii ; -- Begin function _Z19_skinny_gemm_kernelILi1ELi3ELi5ELi16ELi4EEvPKhS1_P6__halfPKfiiiiiiii
	.globl	_Z19_skinny_gemm_kernelILi1ELi3ELi5ELi16ELi4EEvPKhS1_P6__halfPKfiiiiiiii
	.p2align	8
	.type	_Z19_skinny_gemm_kernelILi1ELi3ELi5ELi16ELi4EEvPKhS1_P6__halfPKfiiiiiiii,@function
_Z19_skinny_gemm_kernelILi1ELi3ELi5ELi16ELi4EEvPKhS1_P6__halfPKfiiiiiiii: ; @_Z19_skinny_gemm_kernelILi1ELi3ELi5ELi16ELi4EEvPKhS1_P6__halfPKfiiiiiiii
; %bb.0:
	v_cmp_gt_u32_e32 vcc, 20, v0
	v_lshlrev_b32_e32 v1, 2, v0
	s_and_saveexec_b64 s[4:5], vcc
; %bb.1:
	v_mov_b32_e32 v2, 0
	ds_write_b32 v1, v2 offset:40960
; %bb.2:
	s_or_b64 exec, exec, s[4:5]
	s_load_dwordx8 s[20:27], s[0:1], 0x20
	s_waitcnt lgkmcnt(0)
	s_barrier
	s_add_i32 s3, s20, 15
	s_ashr_i32 s5, s3, 31
	s_add_i32 s4, s21, 47
	s_lshr_b32 s5, s5, 28
	s_mul_hi_i32 s4, s4, 0x2aaaaaab
	s_add_i32 s3, s3, s5
	s_ashr_i32 s33, s3, 4
	s_lshr_b32 s3, s4, 31
	s_ashr_i32 s48, s4, 3
	s_add_i32 s48, s48, s3
	s_mul_i32 s3, s48, s33
	s_mul_i32 s3, s3, s24
	s_add_i32 s4, s3, 0x12f
	s_mul_hi_i32 s4, s4, 0x6bca1af3
	s_lshr_b32 s5, s4, 31
	s_ashr_i32 s4, s4, 7
	s_add_i32 s4, s4, s5
	s_add_i32 s5, s2, 1
	s_mul_i32 s5, s4, s5
	v_cvt_f64_i32_e32 v[2:3], s3
	v_cvt_f64_u32_e32 v[4:5], s5
	v_min_f64 v[2:3], v[2:3], v[4:5]
	v_cvt_i32_f64_e32 v13, v[2:3]
	s_mul_i32 s49, s4, s2
	v_cmp_ge_i32_e32 vcc, s49, v13
	s_cbranch_vccnz .LBB86_48
; %bb.3:
	v_lshrrev_b32_e32 v2, 6, v0
	s_add_i32 s4, s26, s25
	s_load_dwordx8 s[36:43], s[0:1], 0x0
	v_cmp_le_i32_e64 s[0:1], s4, v2
	v_mov_b32_e32 v3, s25
	v_cmp_le_i32_e64 s[2:3], s25, v2
	v_mov_b32_e32 v4, s26
	v_cndmask_b32_e64 v4, 0, v4, s[0:1]
	v_cndmask_b32_e64 v3, 0, v3, s[2:3]
	s_abs_i32 s5, s24
	v_add_u32_e32 v3, v3, v4
	v_cvt_f32_u32_e32 v4, s5
	v_sub_u32_e32 v20, v2, v3
	s_ashr_i32 s6, s22, 31
	s_lshr_b32 s6, s6, 25
	v_rcp_iflag_f32_e32 v3, v4
	s_sub_i32 s9, 0, s5
	s_add_i32 s6, s22, s6
	s_ashr_i32 s6, s6, 7
	v_mul_f32_e32 v3, 0x4f7ffffe, v3
	v_cvt_u32_f32_e32 v3, v3
	s_abs_i32 s8, s6
	s_xor_b32 s7, s6, s24
	s_ashr_i32 s7, s7, 31
	v_readfirstlane_b32 s10, v3
	s_mul_i32 s9, s9, s10
	s_mul_hi_u32 s9, s10, s9
	s_add_i32 s10, s10, s9
	s_mul_hi_u32 s9, s8, s10
	s_mul_i32 s10, s9, s5
	s_sub_i32 s8, s8, s10
	s_add_i32 s10, s9, 1
	s_sub_i32 s11, s8, s5
	s_cmp_ge_u32 s8, s5
	s_cselect_b32 s9, s10, s9
	s_cselect_b32 s8, s11, s8
	s_add_i32 s10, s9, 1
	s_cmp_ge_u32 s8, s5
	s_cselect_b32 s5, s10, s9
	s_xor_b32 s5, s5, s7
	s_sub_i32 s50, s5, s7
	s_add_i32 s24, s24, -1
	s_mul_i32 s5, s50, s24
	s_add_i32 s4, s4, s27
	s_sub_i32 s51, s6, s5
	v_cmp_gt_i32_e64 s[4:5], s4, v2
	v_lshlrev_b32_e32 v2, 1, v0
	v_lshlrev_b32_e32 v3, 4, v0
	v_and_b32_e32 v1, 60, v1
	v_and_b32_e32 v2, 64, v2
	;; [unrolled: 1-line block ×3, first 2 shown]
	s_abs_i32 s52, s33
	v_or3_b32 v35, v1, v2, v4
	v_and_b32_e32 v1, 1, v0
	v_cvt_f32_u32_e32 v6, s52
	v_lshlrev_b32_e32 v2, 1, v1
	v_lshrrev_b32_e32 v4, 2, v0
	v_and_b32_e32 v12, 14, v0
	v_sub_u32_e32 v2, v0, v2
	v_and_or_b32 v37, v4, 12, v1
	v_bitop3_b32 v38, v0, 1, v0 bitop3:0xc
	v_bitop3_b32 v39, v0, 3, 1 bitop3:0x6c
	v_and_b32_e32 v16, 48, v3
	v_bfe_u32 v1, v0, 2, 4
	v_and_b32_e32 v3, 60, v0
	v_lshlrev_b32_e32 v5, 8, v0
	v_lshlrev_b32_e32 v0, 6, v0
	v_and_b32_e32 v5, 0x200, v5
	v_and_b32_e32 v0, 64, v0
	v_or3_b32 v42, v3, v5, v0
	v_rcp_iflag_f32_e32 v0, v6
	s_abs_i32 s54, s48
	v_mul_lo_u32 v18, s23, v1
	v_mul_lo_u32 v44, s22, v1
	v_cvt_f32_u32_e32 v1, s54
	v_mul_f32_e32 v0, 0x4f7ffffe, v0
	v_cvt_u32_f32_e32 v0, v0
	v_mad_u64_u32 v[14:15], s[6:7], s21, v37, v[12:13]
	v_rcp_iflag_f32_e32 v1, v1
	v_readfirstlane_b32 s7, v0
	s_sub_i32 s6, 0, s52
	s_mul_i32 s6, s6, s7
	v_mul_f32_e32 v0, 0x4f7ffffe, v1
	v_cvt_u32_f32_e32 v0, v0
	s_mul_hi_u32 s6, s7, s6
	v_add_u32_e32 v2, 1, v2
	s_add_i32 s56, s7, s6
	s_sub_i32 s6, 0, s54
	v_readfirstlane_b32 s7, v0
	v_mbcnt_lo_u32_b32 v0, -1, 0
	v_and_b32_e32 v2, 63, v2
	s_mul_i32 s6, s6, s7
	v_mbcnt_hi_u32_b32 v0, -1, v0
	s_mul_hi_u32 s6, s7, s6
	v_and_or_b32 v0, v0, 64, v2
	v_cndmask_b32_e64 v34, 0, 1, s[0:1]
	v_or_b32_e32 v36, 0x7800, v35
	v_or_b32_e32 v40, 16, v12
	;; [unrolled: 1-line block ×3, first 2 shown]
	v_ashrrev_i32_e32 v15, 31, v14
	s_ashr_i32 s29, s21, 31
	s_mov_b32 s28, s21
	v_ashrrev_i32_e32 v19, 31, v18
	v_mov_b32_e32 v17, 0
	s_lshl_b32 s53, s23, 4
	v_bitop3_b32 v43, v4, 15, v4 bitop3:0xc
	v_or_b32_e32 v45, 0x7800, v42
	s_ashr_i32 s55, s33, 31
	s_ashr_i32 s57, s48, 31
	s_add_i32 s58, s7, s6
	s_movk_i32 s59, 0x1800
	s_mov_b32 s60, 0x55555556
	v_lshlrev_b32_e32 v46, 2, v0
	v_mov_b32_e32 v47, v20
	s_branch .LBB86_7
.LBB86_4:                               ;   in Loop: Header=BB86_7 Depth=1
	s_or_b64 exec, exec, s[10:11]
.LBB86_5:                               ;   in Loop: Header=BB86_7 Depth=1
	s_or_b64 exec, exec, s[8:9]
	v_subrev_u32_e32 v47, s61, v47
.LBB86_6:                               ;   in Loop: Header=BB86_7 Depth=1
	s_or_b64 exec, exec, s[6:7]
	s_add_i32 s49, s49, 1
	v_cmp_ge_i32_e32 vcc, s49, v13
	s_cbranch_vccnz .LBB86_48
.LBB86_7:                               ; =>This Loop Header: Depth=1
                                        ;     Child Loop BB86_13 Depth 2
                                        ;       Child Loop BB86_15 Depth 3
                                        ;       Child Loop BB86_18 Depth 3
	;; [unrolled: 1-line block ×4, first 2 shown]
                                        ;     Child Loop BB86_35 Depth 2
                                        ;       Child Loop BB86_37 Depth 3
                                        ;     Child Loop BB86_45 Depth 2
                                        ;       Child Loop BB86_47 Depth 3
	s_abs_i32 s7, s49
	s_mul_hi_u32 s8, s7, s56
	s_mul_i32 s9, s8, s52
	s_ashr_i32 s6, s49, 31
	s_sub_i32 s7, s7, s9
	s_xor_b32 s6, s6, s55
	s_add_i32 s9, s8, 1
	s_sub_i32 s10, s7, s52
	s_cmp_ge_u32 s7, s52
	s_cselect_b32 s8, s9, s8
	s_cselect_b32 s7, s10, s7
	s_add_i32 s9, s8, 1
	s_cmp_ge_u32 s7, s52
	s_cselect_b32 s7, s9, s8
	s_xor_b32 s7, s7, s6
	s_sub_i32 s6, s7, s6
	s_abs_i32 s8, s6
	s_mul_i32 s7, s6, s33
	s_mul_hi_u32 s9, s8, s58
	s_sub_i32 s7, s49, s7
	s_mul_i32 s10, s9, s54
	s_lshl_b32 s62, s7, 4
	s_ashr_i32 s7, s6, 31
	s_sub_i32 s8, s8, s10
	s_xor_b32 s7, s7, s57
	s_add_i32 s10, s9, 1
	s_sub_i32 s11, s8, s54
	s_cmp_ge_u32 s8, s54
	s_cselect_b32 s9, s10, s9
	s_cselect_b32 s8, s11, s8
	s_add_i32 s10, s9, 1
	s_cmp_ge_u32 s8, s54
	s_cselect_b32 s8, s10, s9
	s_xor_b32 s8, s8, s7
	s_sub_i32 s7, s8, s7
	s_mul_i32 s8, s7, s50
	s_lshl_b32 s63, s8, 7
	s_cmp_eq_u32 s7, s24
	s_cselect_b32 s61, s51, s50
	s_sub_i32 s64, s62, s20
	s_add_i32 s64, s64, 16
	s_and_saveexec_b64 s[8:9], s[2:3]
	s_xor_b64 s[30:31], exec, s[8:9]
	s_cbranch_execz .LBB86_41
; %bb.8:                                ;   in Loop: Header=BB86_7 Depth=1
	s_mul_i32 s7, s7, s48
	s_sub_i32 s6, s6, s7
	s_mul_i32 s6, s6, 48
	s_sub_i32 s18, s6, s21
	s_add_i32 s18, s18, 48
	s_max_i32 s7, s18, 0
	s_sub_i32 s34, s6, s7
	s_and_saveexec_b64 s[6:7], s[0:1]
	s_xor_b64 s[44:45], exec, s[6:7]
	s_cbranch_execz .LBB86_31
; %bb.9:                                ;   in Loop: Header=BB86_7 Depth=1
	s_and_saveexec_b64 s[46:47], s[4:5]
	s_cbranch_execz .LBB86_30
; %bb.10:                               ;   in Loop: Header=BB86_7 Depth=1
	s_waitcnt lgkmcnt(0)
	global_load_dword v48, v17, s[42:43]
	v_mov_b32_e32 v11, 0
	v_cmp_gt_i32_e32 vcc, s61, v47
	v_mov_b32_e32 v10, v11
	v_mov_b32_e32 v9, v11
	;; [unrolled: 1-line block ×11, first 2 shown]
	s_and_saveexec_b64 s[6:7], vcc
	s_cbranch_execz .LBB86_26
; %bb.11:                               ;   in Loop: Header=BB86_7 Depth=1
	v_mov_b32_e32 v0, 0
	s_mov_b64 s[8:9], 0
	v_mov_b32_e32 v1, v0
	v_mov_b32_e32 v2, v0
	;; [unrolled: 1-line block ×11, first 2 shown]
	s_branch .LBB86_13
.LBB86_12:                              ;   in Loop: Header=BB86_13 Depth=2
	s_or_b64 exec, exec, s[10:11]
	v_add_u32_e32 v29, 0x1000, v28
	ds_read2_b32 v[30:31], v29 offset1:32
	v_add_u32_e32 v47, s27, v47
	v_cmp_le_i32_e32 vcc, s61, v47
	s_or_b64 s[8:9], vcc, s[8:9]
	s_waitcnt lgkmcnt(0)
	v_mfma_f32_16x16x32_fp8_fp8 v[0:3], v[22:23], v[30:31], v[0:3]
	ds_read2_b32 v[22:23], v29 offset0:128 offset1:160
	v_add_u32_e32 v30, 0x1400, v28
	ds_read2_b32 v[28:29], v30 offset1:32
	s_waitcnt lgkmcnt(1)
	v_mfma_f32_16x16x32_fp8_fp8 v[0:3], v[20:21], v[22:23], v[0:3]
	ds_read2_b32 v[22:23], v30 offset0:128 offset1:160
	v_add_u32_e32 v20, s27, v50
	v_add_u32_e32 v21, 2, v34
	s_waitcnt lgkmcnt(1)
	v_mfma_f32_16x16x32_fp8_fp8 v[0:3], v[26:27], v[28:29], v[0:3]
	v_cmp_lt_i32_e32 vcc, 4, v20
	;;#ASMSTART
	s_waitcnt lgkmcnt(0)
	;;#ASMEND
	ds_write_b32 v49, v51 offset:40988
	s_waitcnt lgkmcnt(1)
	v_mfma_f32_16x16x32_fp8_fp8 v[0:3], v[24:25], v[22:23], v[0:3]
	v_cndmask_b32_e32 v34, v34, v21, vcc
	s_andn2_b64 exec, exec, s[8:9]
	s_cbranch_execz .LBB86_25
.LBB86_13:                              ;   Parent Loop BB86_7 Depth=1
                                        ; =>  This Loop Header: Depth=2
                                        ;       Child Loop BB86_15 Depth 3
                                        ;       Child Loop BB86_18 Depth 3
	;; [unrolled: 1-line block ×4, first 2 shown]
	v_cmp_gt_i32_e32 vcc, 5, v20
	s_nop 1
	v_cndmask_b32_e64 v21, -5, 0, vcc
	v_add_u32_e32 v50, v21, v20
	v_mul_lo_u32 v49, v50, 12
	ds_read_b32 v20, v49 offset:40980
	s_waitcnt lgkmcnt(0)
	v_cmp_ne_u32_e32 vcc, v20, v34
	s_and_saveexec_b64 s[10:11], vcc
	s_cbranch_execz .LBB86_16
; %bb.14:                               ;   in Loop: Header=BB86_13 Depth=2
	s_mov_b64 s[12:13], 0
.LBB86_15:                              ;   Parent Loop BB86_7 Depth=1
                                        ;     Parent Loop BB86_13 Depth=2
                                        ; =>    This Inner Loop Header: Depth=3
	;;#ASMSTART
	s_sleep 0
	;;#ASMEND
	ds_read_b32 v20, v49 offset:40980
	s_waitcnt lgkmcnt(0)
	v_cmp_eq_u32_e32 vcc, v20, v34
	s_or_b64 s[12:13], vcc, s[12:13]
	s_andn2_b64 exec, exec, s[12:13]
	s_cbranch_execnz .LBB86_15
.LBB86_16:                              ;   in Loop: Header=BB86_13 Depth=2
	s_or_b64 exec, exec, s[10:11]
	v_mul_lo_u32 v52, v50, s59
	v_or_b32_e32 v20, v35, v52
	ds_read2_b32 v[24:25], v20 offset1:32
	ds_read2_b32 v[28:29], v20 offset0:128 offset1:160
	v_add_u32_e32 v20, 0x400, v20
	ds_read2_b32 v[32:33], v20 offset1:32
	ds_read2_b32 v[30:31], v20 offset0:128 offset1:160
	v_lshlrev_b32_e32 v20, 2, v50
	;;#ASMSTART
	s_waitcnt lgkmcnt(0)
	;;#ASMEND
	ds_read_b32 v21, v20 offset:40960
	v_add_u32_e32 v51, 1, v34
	v_add_u32_e32 v53, 0xa000, v20
	ds_write_b32 v49, v51 offset:40980
	s_waitcnt lgkmcnt(1)
	v_cmp_ne_u32_e32 vcc, v21, v34
	s_and_saveexec_b64 s[10:11], vcc
	s_cbranch_execz .LBB86_19
; %bb.17:                               ;   in Loop: Header=BB86_13 Depth=2
	s_mov_b64 s[12:13], 0
.LBB86_18:                              ;   Parent Loop BB86_7 Depth=1
                                        ;     Parent Loop BB86_13 Depth=2
                                        ; =>    This Inner Loop Header: Depth=3
	;;#ASMSTART
	s_sleep 0
	;;#ASMEND
	ds_read_b32 v20, v53
	s_waitcnt lgkmcnt(0)
	v_cmp_eq_u32_e32 vcc, v20, v34
	s_or_b64 s[12:13], vcc, s[12:13]
	s_andn2_b64 exec, exec, s[12:13]
	s_cbranch_execnz .LBB86_18
.LBB86_19:                              ;   in Loop: Header=BB86_13 Depth=2
	s_or_b64 exec, exec, s[10:11]
	v_lshl_add_u32 v26, v50, 11, v36
	ds_read2_b32 v[22:23], v26 offset1:32
	ds_read2_b32 v[20:21], v26 offset0:128 offset1:160
	v_add_u32_e32 v54, 0x400, v26
	ds_read2_b32 v[26:27], v54 offset1:32
	ds_write_b32 v53, v51
	s_waitcnt lgkmcnt(3)
	v_mfma_f32_16x16x32_fp8_fp8 v[8:11], v[22:23], v[24:25], v[8:11]
	ds_read2_b32 v[24:25], v54 offset0:128 offset1:160
	s_waitcnt lgkmcnt(3)
	v_mfma_f32_16x16x32_fp8_fp8 v[8:11], v[20:21], v[28:29], v[8:11]
	ds_read_b32 v28, v49 offset:40984
	s_waitcnt lgkmcnt(0)
	v_cmp_ne_u32_e32 vcc, v28, v34
	v_mfma_f32_16x16x32_fp8_fp8 v[8:11], v[26:27], v[32:33], v[8:11]
	v_mfma_f32_16x16x32_fp8_fp8 v[8:11], v[24:25], v[30:31], v[8:11]
	s_and_saveexec_b64 s[10:11], vcc
	s_cbranch_execz .LBB86_22
; %bb.20:                               ;   in Loop: Header=BB86_13 Depth=2
	s_mov_b64 s[12:13], 0
.LBB86_21:                              ;   Parent Loop BB86_7 Depth=1
                                        ;     Parent Loop BB86_13 Depth=2
                                        ; =>    This Inner Loop Header: Depth=3
	;;#ASMSTART
	s_sleep 0
	;;#ASMEND
	ds_read_b32 v28, v49 offset:40984
	s_waitcnt lgkmcnt(0)
	v_cmp_eq_u32_e32 vcc, v28, v34
	s_or_b64 s[12:13], vcc, s[12:13]
	s_andn2_b64 exec, exec, s[12:13]
	s_cbranch_execnz .LBB86_21
.LBB86_22:                              ;   in Loop: Header=BB86_13 Depth=2
	s_or_b64 exec, exec, s[10:11]
	v_add_u32_e32 v28, v35, v52
	v_add_u32_e32 v29, 0x800, v28
	ds_read2_b32 v[30:31], v29 offset1:32
	s_waitcnt lgkmcnt(0)
	v_mfma_f32_16x16x32_fp8_fp8 v[4:7], v[22:23], v[30:31], v[4:7]
	ds_read2_b32 v[30:31], v29 offset0:128 offset1:160
	v_add_u32_e32 v29, 0xc00, v28
	s_waitcnt lgkmcnt(0)
	v_mfma_f32_16x16x32_fp8_fp8 v[4:7], v[20:21], v[30:31], v[4:7]
	ds_read2_b32 v[30:31], v29 offset1:32
	ds_read2_b32 v[32:33], v29 offset0:128 offset1:160
	;;#ASMSTART
	s_waitcnt lgkmcnt(0)
	;;#ASMEND
	ds_read_b32 v29, v49 offset:40988
	s_waitcnt lgkmcnt(2)
	v_mfma_f32_16x16x32_fp8_fp8 v[4:7], v[26:27], v[30:31], v[4:7]
	ds_write_b32 v49, v51 offset:40984
	s_waitcnt lgkmcnt(1)
	v_cmp_ne_u32_e32 vcc, v29, v34
	v_mfma_f32_16x16x32_fp8_fp8 v[4:7], v[24:25], v[32:33], v[4:7]
	s_and_saveexec_b64 s[10:11], vcc
	s_cbranch_execz .LBB86_12
; %bb.23:                               ;   in Loop: Header=BB86_13 Depth=2
	s_mov_b64 s[12:13], 0
.LBB86_24:                              ;   Parent Loop BB86_7 Depth=1
                                        ;     Parent Loop BB86_13 Depth=2
                                        ; =>    This Inner Loop Header: Depth=3
	;;#ASMSTART
	s_sleep 0
	;;#ASMEND
	ds_read_b32 v29, v49 offset:40988
	s_waitcnt lgkmcnt(0)
	v_cmp_eq_u32_e32 vcc, v29, v34
	s_or_b64 s[12:13], vcc, s[12:13]
	s_andn2_b64 exec, exec, s[12:13]
	s_cbranch_execnz .LBB86_24
	s_branch .LBB86_12
.LBB86_25:                              ;   in Loop: Header=BB86_7 Depth=1
	s_or_b64 exec, exec, s[8:9]
.LBB86_26:                              ;   in Loop: Header=BB86_7 Depth=1
	s_or_b64 exec, exec, s[6:7]
	v_cmp_le_i32_e32 vcc, s18, v12
	v_cmp_eq_u32_e64 s[6:7], 2, v38
	v_cmp_eq_u32_e64 s[8:9], 3, v38
	s_waitcnt vmcnt(0)
	v_cndmask_b32_e32 v22, 0, v48, vcc
	v_pk_mul_f32 v[10:11], v[22:23], v[10:11] op_sel_hi:[0,1]
	v_pk_mul_f32 v[22:23], v[22:23], v[8:9] op_sel_hi:[0,1]
	v_cmp_eq_u32_e32 vcc, 1, v38
	v_cmp_eq_u32_e64 s[10:11], 0, v38
	v_cmp_le_i32_e64 s[14:15], s18, v40
	v_cndmask_b32_e32 v8, v22, v23, vcc
	v_cndmask_b32_e64 v8, v8, v10, s[6:7]
	v_cndmask_b32_e64 v8, v8, v11, s[8:9]
	ds_bpermute_b32 v21, v46, v8
	v_cmp_le_i32_e64 s[18:19], s18, v41
	v_cmp_eq_u32_e64 s[12:13], 1, v39
	v_cmp_eq_u32_e64 s[16:17], 3, v39
	s_waitcnt lgkmcnt(0)
	v_cndmask_b32_e64 v8, v11, v21, s[8:9]
	v_cndmask_b32_e64 v11, v22, v21, s[10:11]
	;; [unrolled: 1-line block ×4, first 2 shown]
	v_cndmask_b32_e32 v10, v23, v21, vcc
	v_pk_mul_f32 v[6:7], v[22:23], v[6:7] op_sel_hi:[0,1]
	v_pk_mul_f32 v[22:23], v[22:23], v[4:5] op_sel_hi:[0,1]
	v_cndmask_b32_e32 v4, v22, v23, vcc
	v_cndmask_b32_e64 v4, v4, v6, s[6:7]
	v_cndmask_b32_e64 v4, v4, v7, s[8:9]
	ds_bpermute_b32 v24, v46, v4
	v_cmp_eq_u32_e64 s[14:15], 2, v39
	v_cndmask_b32_e64 v21, v11, v10, s[12:13]
	s_waitcnt lgkmcnt(0)
	v_cndmask_b32_e64 v5, v7, v24, s[8:9]
	v_cndmask_b32_e64 v6, v6, v24, s[6:7]
	v_cndmask_b32_e32 v23, v23, v24, vcc
	v_cndmask_b32_e64 v24, v22, v24, s[10:11]
	v_cndmask_b32_e64 v22, 0, v48, s[18:19]
	v_pk_mul_f32 v[28:29], v[22:23], v[0:1] op_sel_hi:[0,1]
	v_pk_mul_f32 v[26:27], v[22:23], v[2:3] op_sel_hi:[0,1]
	v_cndmask_b32_e32 v0, v28, v29, vcc
	v_cndmask_b32_e64 v0, v0, v26, s[6:7]
	v_cndmask_b32_e64 v0, v0, v27, s[8:9]
	ds_bpermute_b32 v1, v46, v0
	v_cndmask_b32_e64 v0, v24, v23, s[12:13]
	v_cndmask_b32_e64 v0, v0, v6, s[14:15]
	;; [unrolled: 1-line block ×3, first 2 shown]
	v_cmp_ne_u32_e32 vcc, 0, v38
	ds_bpermute_b32 v7, v46, v0
	s_waitcnt lgkmcnt(1)
	v_cndmask_b32_e64 v2, v27, v1, s[8:9]
	v_cndmask_b32_e64 v3, v26, v1, s[6:7]
	v_cndmask_b32_e32 v0, v29, v1, vcc
	v_cndmask_b32_e64 v1, v28, v1, s[10:11]
	v_cndmask_b32_e64 v4, v21, v9, s[14:15]
	;; [unrolled: 1-line block ×6, first 2 shown]
	ds_bpermute_b32 v4, v46, v4
	ds_bpermute_b32 v21, v46, v21
	s_max_i32 s6, s64, 0
	v_add_u32_e32 v22, s6, v37
	v_cmp_gt_u32_e32 vcc, 16, v22
	s_and_saveexec_b64 s[12:13], vcc
	s_cbranch_execz .LBB86_29
; %bb.27:                               ;   in Loop: Header=BB86_7 Depth=1
	v_cmp_eq_u32_e64 s[8:9], 1, v39
	v_cmp_eq_u32_e64 s[10:11], 0, v39
	v_cmp_eq_u32_e32 vcc, 3, v39
	s_waitcnt lgkmcnt(1)
	v_cndmask_b32_e64 v10, v10, v4, s[8:9]
	v_cndmask_b32_e64 v23, v23, v7, s[8:9]
	s_waitcnt lgkmcnt(0)
	v_cndmask_b32_e64 v25, v0, v21, s[8:9]
	s_mul_i32 s8, s62, s21
	s_ashr_i32 s9, s8, 31
	s_lshl_b64 s[8:9], s[8:9], 1
	v_cndmask_b32_e64 v11, v11, v4, s[10:11]
	v_cndmask_b32_e64 v24, v24, v7, s[10:11]
	;; [unrolled: 1-line block ×3, first 2 shown]
	s_add_u32 s10, s40, s8
	s_addc_u32 s11, s41, s9
	s_ashr_i32 s35, s34, 31
	v_cvt_f16_f32_e32 v11, v11
	v_cvt_f16_f32_sdwa v10, v10 dst_sel:WORD_1 dst_unused:UNUSED_PAD src0_sel:DWORD
	s_lshl_b64 s[8:9], s[34:35], 1
	v_cvt_f16_f32_e32 v24, v24
	v_cvt_f16_f32_sdwa v23, v23 dst_sel:WORD_1 dst_unused:UNUSED_PAD src0_sel:DWORD
	s_add_u32 s8, s10, s8
	v_cvt_f16_f32_e32 v26, v26
	v_cvt_f16_f32_sdwa v25, v25 dst_sel:WORD_1 dst_unused:UNUSED_PAD src0_sel:DWORD
	s_addc_u32 s9, s11, s9
	v_lshl_add_u64 v[0:1], v[14:15], 1, s[8:9]
	v_or_b32_e32 v10, v10, v11
	v_cmp_eq_u32_e64 s[6:7], 2, v39
	;;#ASMSTART
	global_atomic_pk_add_f16 v[0:1], v10, off
	
	;;#ASMEND
	v_lshl_add_u64 v[10:11], v[0:1], 0, 32
	v_or_b32_e32 v23, v23, v24
	v_cmp_gt_u32_e64 s[8:9], 14, v22
	;;#ASMSTART
	global_atomic_pk_add_f16 v[10:11], v23, off
	
	;;#ASMEND
	v_lshl_add_u64 v[10:11], v[0:1], 0, 64
	v_or_b32_e32 v23, v25, v26
	;;#ASMSTART
	global_atomic_pk_add_f16 v[10:11], v23, off
	
	;;#ASMEND
	s_and_b64 exec, exec, s[8:9]
	s_cbranch_execz .LBB86_29
; %bb.28:                               ;   in Loop: Header=BB86_7 Depth=1
	v_cndmask_b32_e32 v8, v8, v4, vcc
	v_cndmask_b32_e64 v4, v9, v4, s[6:7]
	v_cndmask_b32_e32 v5, v5, v7, vcc
	v_cndmask_b32_e64 v6, v6, v7, s[6:7]
	v_cvt_f16_f32_e32 v4, v4
	v_cvt_f16_f32_sdwa v7, v8 dst_sel:WORD_1 dst_unused:UNUSED_PAD src0_sel:DWORD
	v_cndmask_b32_e32 v8, v2, v21, vcc
	v_cndmask_b32_e64 v9, v3, v21, s[6:7]
	v_cvt_f16_f32_sdwa v5, v5 dst_sel:WORD_1 dst_unused:UNUSED_PAD src0_sel:DWORD
	v_or_b32_e32 v2, v7, v4
	v_cvt_f16_f32_e32 v4, v6
	v_cvt_f16_f32_e32 v6, v9
	v_cvt_f16_f32_sdwa v7, v8 dst_sel:WORD_1 dst_unused:UNUSED_PAD src0_sel:DWORD
	v_lshl_add_u64 v[0:1], s[28:29], 2, v[0:1]
	;;#ASMSTART
	global_atomic_pk_add_f16 v[0:1], v2, off
	
	;;#ASMEND
	v_lshl_add_u64 v[2:3], v[0:1], 0, 32
	v_or_b32_e32 v4, v5, v4
	;;#ASMSTART
	global_atomic_pk_add_f16 v[2:3], v4, off
	
	;;#ASMEND
	v_lshl_add_u64 v[0:1], v[0:1], 0, 64
	v_or_b32_e32 v2, v7, v6
	;;#ASMSTART
	global_atomic_pk_add_f16 v[0:1], v2, off
	
	;;#ASMEND
.LBB86_29:                              ;   in Loop: Header=BB86_7 Depth=1
	s_or_b64 exec, exec, s[12:13]
	v_subrev_u32_e32 v47, s61, v47
.LBB86_30:                              ;   in Loop: Header=BB86_7 Depth=1
	s_or_b64 exec, exec, s[46:47]
.LBB86_31:                              ;   in Loop: Header=BB86_7 Depth=1
	s_andn2_saveexec_b64 s[6:7], s[44:45]
	s_cbranch_execz .LBB86_40
; %bb.32:                               ;   in Loop: Header=BB86_7 Depth=1
	s_mul_i32 s16, s61, 3
	v_cmp_gt_i32_e32 vcc, s16, v47
	s_and_saveexec_b64 s[8:9], vcc
	s_cbranch_execz .LBB86_39
; %bb.33:                               ;   in Loop: Header=BB86_7 Depth=1
	s_mul_i32 s10, s34, s23
	s_ashr_i32 s11, s10, 31
	s_waitcnt lgkmcnt(0)
	s_add_u32 s10, s38, s10
	s_addc_u32 s11, s39, s11
	s_ashr_i32 s12, s63, 31
	s_add_u32 s10, s10, s63
	s_addc_u32 s11, s11, s12
	v_lshl_add_u64 v[0:1], s[10:11], 0, v[18:19]
	v_lshl_add_u64 v[8:9], v[0:1], 0, v[16:17]
	s_mov_b64 s[10:11], 0
	s_branch .LBB86_35
.LBB86_34:                              ;   in Loop: Header=BB86_35 Depth=2
	s_or_b64 exec, exec, s[12:13]
	v_lshl_or_b32 v20, v10, 11, v42
	;;#ASMSTART
	s_waitcnt vmcnt(1)
	;;#ASMEND
	ds_write2_b32 v20, v4, v5 offset1:32
	ds_write2_b32 v20, v6, v7 offset0:64 offset1:96
	v_add_u32_e32 v4, 0x400, v20
	v_add_u32_e32 v47, s26, v47
	;;#ASMSTART
	s_waitcnt vmcnt(0)
	;;#ASMEND
	ds_write2_b32 v4, v0, v1 offset1:32
	ds_write2_b32 v4, v2, v3 offset0:64 offset1:96
	v_add_u32_e32 v0, 1, v34
	v_add_u32_e32 v20, s26, v10
	v_cmp_le_i32_e32 vcc, s16, v47
	ds_write_b32 v11, v0 offset:20
	v_add_u32_e32 v0, 2, v34
	s_or_b64 s[10:11], vcc, s[10:11]
	v_cmp_lt_i32_e32 vcc, 14, v20
	s_nop 1
	v_cndmask_b32_e32 v34, v34, v0, vcc
	s_andn2_b64 exec, exec, s[10:11]
	s_cbranch_execz .LBB86_38
.LBB86_35:                              ;   Parent Loop BB86_7 Depth=1
                                        ; =>  This Loop Header: Depth=2
                                        ;       Child Loop BB86_37 Depth 3
	v_cmp_gt_i32_e32 vcc, 15, v20
	s_nop 1
	v_cndmask_b32_e64 v0, -15, 0, vcc
	v_add_u32_e32 v10, v0, v20
	v_mul_hi_i32 v0, v47, s60
	v_lshrrev_b32_e32 v1, 31, v0
	v_add_u32_e32 v0, v0, v1
	v_lshl_add_u32 v1, v0, 1, v0
	v_sub_u32_e32 v2, v47, v1
	v_lshlrev_b32_e32 v0, 7, v0
	v_ashrrev_i32_e32 v1, 31, v0
	v_mul_lo_u32 v2, s53, v2
	v_lshl_add_u64 v[0:1], v[8:9], 0, v[0:1]
	v_ashrrev_i32_e32 v3, 31, v2
	v_lshl_add_u64 v[0:1], v[0:1], 0, v[2:3]
	v_lshlrev_b32_e32 v11, 2, v10
	;;#ASMSTART
	global_load_dwordx4 v[4:7], v[0:1], off offset:0   sc0 sc1 nt  
	global_load_dwordx4 v[0:3], v[0:1], off offset:64  sc0 sc1 nt  
	
	;;#ASMEND
	ds_read_b32 v20, v11 offset:40980
	v_add_u32_e32 v11, 0xa000, v11
	s_waitcnt lgkmcnt(0)
	v_cmp_ne_u32_e32 vcc, v20, v34
	s_and_saveexec_b64 s[12:13], vcc
	s_cbranch_execz .LBB86_34
; %bb.36:                               ;   in Loop: Header=BB86_35 Depth=2
	s_mov_b64 s[14:15], 0
.LBB86_37:                              ;   Parent Loop BB86_7 Depth=1
                                        ;     Parent Loop BB86_35 Depth=2
                                        ; =>    This Inner Loop Header: Depth=3
	;;#ASMSTART
	s_sleep 0
	;;#ASMEND
	ds_read_b32 v20, v11 offset:20
	s_waitcnt lgkmcnt(0)
	v_cmp_eq_u32_e32 vcc, v20, v34
	s_or_b64 s[14:15], vcc, s[14:15]
	s_andn2_b64 exec, exec, s[14:15]
	s_cbranch_execnz .LBB86_37
	s_branch .LBB86_34
.LBB86_38:                              ;   in Loop: Header=BB86_7 Depth=1
	s_or_b64 exec, exec, s[10:11]
.LBB86_39:                              ;   in Loop: Header=BB86_7 Depth=1
	s_or_b64 exec, exec, s[8:9]
	v_subrev_u32_e32 v47, s16, v47
.LBB86_40:                              ;   in Loop: Header=BB86_7 Depth=1
	s_or_b64 exec, exec, s[6:7]
.LBB86_41:                              ;   in Loop: Header=BB86_7 Depth=1
	s_andn2_saveexec_b64 s[6:7], s[30:31]
	s_cbranch_execz .LBB86_6
; %bb.42:                               ;   in Loop: Header=BB86_7 Depth=1
	v_cmp_gt_i32_e32 vcc, s61, v47
	s_and_saveexec_b64 s[8:9], vcc
	s_cbranch_execz .LBB86_5
; %bb.43:                               ;   in Loop: Header=BB86_7 Depth=1
	s_mul_i32 s62, s62, s22
	s_ashr_i32 s10, s62, 31
	s_waitcnt lgkmcnt(0)
	s_add_u32 s11, s36, s62
	s_addc_u32 s12, s37, s10
	s_ashr_i32 s13, s63, 31
	v_cmp_le_i32_e32 vcc, s64, v43
	s_add_u32 s10, s11, s63
	s_addc_u32 s11, s12, s13
	v_cndmask_b32_e32 v0, 0, v44, vcc
	v_ashrrev_i32_e32 v1, 31, v0
	v_lshl_add_u64 v[0:1], s[10:11], 0, v[0:1]
	v_lshl_add_u64 v[8:9], v[0:1], 0, v[16:17]
	s_mov_b64 s[10:11], 0
	s_branch .LBB86_45
.LBB86_44:                              ;   in Loop: Header=BB86_45 Depth=2
	s_or_b64 exec, exec, s[12:13]
	v_lshl_add_u32 v20, v10, 11, v45
	;;#ASMSTART
	s_waitcnt vmcnt(1)
	;;#ASMEND
	ds_write2_b32 v20, v4, v5 offset1:32
	ds_write2_b32 v20, v6, v7 offset0:64 offset1:96
	v_add_u32_e32 v4, 0x400, v20
	v_add_u32_e32 v47, s25, v47
	;;#ASMSTART
	s_waitcnt vmcnt(0)
	;;#ASMEND
	ds_write2_b32 v4, v0, v1 offset1:32
	ds_write2_b32 v4, v2, v3 offset0:64 offset1:96
	v_add_u32_e32 v0, 1, v34
	v_add_u32_e32 v20, s25, v10
	v_cmp_le_i32_e32 vcc, s61, v47
	ds_write_b32 v11, v0
	v_add_u32_e32 v0, 2, v34
	s_or_b64 s[10:11], vcc, s[10:11]
	v_cmp_lt_i32_e32 vcc, 4, v20
	s_nop 1
	v_cndmask_b32_e32 v34, v34, v0, vcc
	s_andn2_b64 exec, exec, s[10:11]
	s_cbranch_execz .LBB86_4
.LBB86_45:                              ;   Parent Loop BB86_7 Depth=1
                                        ; =>  This Loop Header: Depth=2
                                        ;       Child Loop BB86_47 Depth 3
	v_cmp_gt_i32_e32 vcc, 5, v20
	s_nop 1
	v_cndmask_b32_e64 v0, -5, 0, vcc
	v_add_u32_e32 v10, v0, v20
	v_lshlrev_b32_e32 v0, 7, v47
	v_ashrrev_i32_e32 v1, 31, v0
	v_lshl_add_u64 v[0:1], v[8:9], 0, v[0:1]
	v_lshlrev_b32_e32 v11, 2, v10
	;;#ASMSTART
	global_load_dwordx4 v[4:7], v[0:1], off offset:0   
	global_load_dwordx4 v[0:3], v[0:1], off offset:64  
	
	;;#ASMEND
	ds_read_b32 v20, v11 offset:40960
	v_add_u32_e32 v11, 0xa000, v11
	s_waitcnt lgkmcnt(0)
	v_cmp_ne_u32_e32 vcc, v20, v34
	s_and_saveexec_b64 s[12:13], vcc
	s_cbranch_execz .LBB86_44
; %bb.46:                               ;   in Loop: Header=BB86_45 Depth=2
	s_mov_b64 s[14:15], 0
.LBB86_47:                              ;   Parent Loop BB86_7 Depth=1
                                        ;     Parent Loop BB86_45 Depth=2
                                        ; =>    This Inner Loop Header: Depth=3
	;;#ASMSTART
	s_sleep 0
	;;#ASMEND
	ds_read_b32 v20, v11
	s_waitcnt lgkmcnt(0)
	v_cmp_eq_u32_e32 vcc, v20, v34
	s_or_b64 s[14:15], vcc, s[14:15]
	s_andn2_b64 exec, exec, s[14:15]
	s_cbranch_execnz .LBB86_47
	s_branch .LBB86_44
.LBB86_48:
	s_endpgm
	.section	.rodata,"a",@progbits
	.p2align	6, 0x0
	.amdhsa_kernel _Z19_skinny_gemm_kernelILi1ELi3ELi5ELi16ELi4EEvPKhS1_P6__halfPKfiiiiiiii
		.amdhsa_group_segment_fixed_size 41040
		.amdhsa_private_segment_fixed_size 0
		.amdhsa_kernarg_size 64
		.amdhsa_user_sgpr_count 2
		.amdhsa_user_sgpr_dispatch_ptr 0
		.amdhsa_user_sgpr_queue_ptr 0
		.amdhsa_user_sgpr_kernarg_segment_ptr 1
		.amdhsa_user_sgpr_dispatch_id 0
		.amdhsa_user_sgpr_kernarg_preload_length 0
		.amdhsa_user_sgpr_kernarg_preload_offset 0
		.amdhsa_user_sgpr_private_segment_size 0
		.amdhsa_uses_dynamic_stack 0
		.amdhsa_enable_private_segment 0
		.amdhsa_system_sgpr_workgroup_id_x 1
		.amdhsa_system_sgpr_workgroup_id_y 0
		.amdhsa_system_sgpr_workgroup_id_z 0
		.amdhsa_system_sgpr_workgroup_info 0
		.amdhsa_system_vgpr_workitem_id 0
		.amdhsa_next_free_vgpr 55
		.amdhsa_next_free_sgpr 65
		.amdhsa_accum_offset 56
		.amdhsa_reserve_vcc 1
		.amdhsa_float_round_mode_32 0
		.amdhsa_float_round_mode_16_64 0
		.amdhsa_float_denorm_mode_32 3
		.amdhsa_float_denorm_mode_16_64 3
		.amdhsa_dx10_clamp 1
		.amdhsa_ieee_mode 1
		.amdhsa_fp16_overflow 0
		.amdhsa_tg_split 0
		.amdhsa_exception_fp_ieee_invalid_op 0
		.amdhsa_exception_fp_denorm_src 0
		.amdhsa_exception_fp_ieee_div_zero 0
		.amdhsa_exception_fp_ieee_overflow 0
		.amdhsa_exception_fp_ieee_underflow 0
		.amdhsa_exception_fp_ieee_inexact 0
		.amdhsa_exception_int_div_zero 0
	.end_amdhsa_kernel
	.section	.text._Z19_skinny_gemm_kernelILi1ELi3ELi5ELi16ELi4EEvPKhS1_P6__halfPKfiiiiiiii,"axG",@progbits,_Z19_skinny_gemm_kernelILi1ELi3ELi5ELi16ELi4EEvPKhS1_P6__halfPKfiiiiiiii,comdat
.Lfunc_end86:
	.size	_Z19_skinny_gemm_kernelILi1ELi3ELi5ELi16ELi4EEvPKhS1_P6__halfPKfiiiiiiii, .Lfunc_end86-_Z19_skinny_gemm_kernelILi1ELi3ELi5ELi16ELi4EEvPKhS1_P6__halfPKfiiiiiiii
                                        ; -- End function
	.set _Z19_skinny_gemm_kernelILi1ELi3ELi5ELi16ELi4EEvPKhS1_P6__halfPKfiiiiiiii.num_vgpr, 55
	.set _Z19_skinny_gemm_kernelILi1ELi3ELi5ELi16ELi4EEvPKhS1_P6__halfPKfiiiiiiii.num_agpr, 0
	.set _Z19_skinny_gemm_kernelILi1ELi3ELi5ELi16ELi4EEvPKhS1_P6__halfPKfiiiiiiii.numbered_sgpr, 65
	.set _Z19_skinny_gemm_kernelILi1ELi3ELi5ELi16ELi4EEvPKhS1_P6__halfPKfiiiiiiii.num_named_barrier, 0
	.set _Z19_skinny_gemm_kernelILi1ELi3ELi5ELi16ELi4EEvPKhS1_P6__halfPKfiiiiiiii.private_seg_size, 0
	.set _Z19_skinny_gemm_kernelILi1ELi3ELi5ELi16ELi4EEvPKhS1_P6__halfPKfiiiiiiii.uses_vcc, 1
	.set _Z19_skinny_gemm_kernelILi1ELi3ELi5ELi16ELi4EEvPKhS1_P6__halfPKfiiiiiiii.uses_flat_scratch, 0
	.set _Z19_skinny_gemm_kernelILi1ELi3ELi5ELi16ELi4EEvPKhS1_P6__halfPKfiiiiiiii.has_dyn_sized_stack, 0
	.set _Z19_skinny_gemm_kernelILi1ELi3ELi5ELi16ELi4EEvPKhS1_P6__halfPKfiiiiiiii.has_recursion, 0
	.set _Z19_skinny_gemm_kernelILi1ELi3ELi5ELi16ELi4EEvPKhS1_P6__halfPKfiiiiiiii.has_indirect_call, 0
	.section	.AMDGPU.csdata,"",@progbits
; Kernel info:
; codeLenInByte = 3612
; TotalNumSgprs: 71
; NumVgprs: 55
; NumAgprs: 0
; TotalNumVgprs: 55
; ScratchSize: 0
; MemoryBound: 0
; FloatMode: 240
; IeeeMode: 1
; LDSByteSize: 41040 bytes/workgroup (compile time only)
; SGPRBlocks: 8
; VGPRBlocks: 6
; NumSGPRsForWavesPerEU: 71
; NumVGPRsForWavesPerEU: 55
; AccumOffset: 56
; Occupancy: 8
; WaveLimiterHint : 0
; COMPUTE_PGM_RSRC2:SCRATCH_EN: 0
; COMPUTE_PGM_RSRC2:USER_SGPR: 2
; COMPUTE_PGM_RSRC2:TRAP_HANDLER: 0
; COMPUTE_PGM_RSRC2:TGID_X_EN: 1
; COMPUTE_PGM_RSRC2:TGID_Y_EN: 0
; COMPUTE_PGM_RSRC2:TGID_Z_EN: 0
; COMPUTE_PGM_RSRC2:TIDIG_COMP_CNT: 0
; COMPUTE_PGM_RSRC3_GFX90A:ACCUM_OFFSET: 13
; COMPUTE_PGM_RSRC3_GFX90A:TG_SPLIT: 0
	.section	.text._Z19_skinny_gemm_kernelILi1ELi3ELi5ELi32ELi4EEvPKhS1_P6__halfPKfiiiiiiii,"axG",@progbits,_Z19_skinny_gemm_kernelILi1ELi3ELi5ELi32ELi4EEvPKhS1_P6__halfPKfiiiiiiii,comdat
	.protected	_Z19_skinny_gemm_kernelILi1ELi3ELi5ELi32ELi4EEvPKhS1_P6__halfPKfiiiiiiii ; -- Begin function _Z19_skinny_gemm_kernelILi1ELi3ELi5ELi32ELi4EEvPKhS1_P6__halfPKfiiiiiiii
	.globl	_Z19_skinny_gemm_kernelILi1ELi3ELi5ELi32ELi4EEvPKhS1_P6__halfPKfiiiiiiii
	.p2align	8
	.type	_Z19_skinny_gemm_kernelILi1ELi3ELi5ELi32ELi4EEvPKhS1_P6__halfPKfiiiiiiii,@function
_Z19_skinny_gemm_kernelILi1ELi3ELi5ELi32ELi4EEvPKhS1_P6__halfPKfiiiiiiii: ; @_Z19_skinny_gemm_kernelILi1ELi3ELi5ELi32ELi4EEvPKhS1_P6__halfPKfiiiiiiii
; %bb.0:
	v_cmp_gt_u32_e32 vcc, 20, v0
	s_and_saveexec_b64 s[4:5], vcc
; %bb.1:
	v_lshlrev_b32_e32 v1, 2, v0
	v_mov_b32_e32 v2, 0
	ds_write_b32 v1, v2 offset:40960
; %bb.2:
	s_or_b64 exec, exec, s[4:5]
	s_load_dwordx8 s[88:95], s[0:1], 0x20
	s_waitcnt lgkmcnt(0)
	s_barrier
	s_add_i32 s3, s88, 31
	s_ashr_i32 s5, s3, 31
	s_add_i32 s4, s89, 0x5f
	s_lshr_b32 s5, s5, 27
	s_mul_hi_i32 s4, s4, 0x2aaaaaab
	s_add_i32 s3, s3, s5
	s_ashr_i32 s14, s3, 5
	s_lshr_b32 s3, s4, 31
	s_ashr_i32 s4, s4, 4
	s_add_i32 s15, s4, s3
	s_mul_i32 s3, s15, s14
	s_mul_i32 s3, s3, s92
	s_add_i32 s4, s3, 0x12f
	s_mul_hi_i32 s4, s4, 0x6bca1af3
	s_lshr_b32 s5, s4, 31
	s_ashr_i32 s4, s4, 7
	s_add_i32 s4, s4, s5
	s_add_i32 s5, s2, 1
	s_mul_i32 s5, s4, s5
	v_cvt_f64_i32_e32 v[2:3], s3
	v_cvt_f64_u32_e32 v[4:5], s5
	v_min_f64 v[2:3], v[2:3], v[4:5]
	v_cvt_i32_f64_e32 v62, v[2:3]
	s_mul_i32 s2, s4, s2
	v_cmp_ge_i32_e32 vcc, s2, v62
	s_cbranch_vccnz .LBB87_51
; %bb.3:
	s_load_dwordx8 s[16:23], s[0:1], 0x0
	v_lshrrev_b32_e32 v1, 6, v0
	s_add_i32 s0, s94, s93
	v_cmp_le_i32_e64 s[24:25], s0, v1
	v_mov_b32_e32 v2, s93
	v_cmp_le_i32_e64 s[26:27], s93, v1
	v_mov_b32_e32 v3, s94
	v_cndmask_b32_e64 v3, 0, v3, s[24:25]
	v_cndmask_b32_e64 v2, 0, v2, s[26:27]
	s_abs_i32 s1, s92
	v_add_u32_e32 v2, v2, v3
	v_cvt_f32_u32_e32 v3, s1
	v_sub_u32_e32 v56, v1, v2
	s_ashr_i32 s3, s90, 31
	s_lshr_b32 s3, s3, 26
	v_rcp_iflag_f32_e32 v2, v3
	s_sub_i32 s6, 0, s1
	s_add_i32 s3, s90, s3
	s_ashr_i32 s3, s3, 6
	v_mul_f32_e32 v2, 0x4f7ffffe, v2
	v_cvt_u32_f32_e32 v2, v2
	s_abs_i32 s5, s3
	s_xor_b32 s4, s3, s92
	s_ashr_i32 s4, s4, 31
	v_readfirstlane_b32 s7, v2
	s_mul_i32 s6, s6, s7
	s_mul_hi_u32 s6, s7, s6
	s_add_i32 s7, s7, s6
	s_mul_hi_u32 s6, s5, s7
	s_mul_i32 s7, s6, s1
	s_sub_i32 s5, s5, s7
	s_add_i32 s7, s6, 1
	s_sub_i32 s8, s5, s1
	s_cmp_ge_u32 s5, s1
	s_cselect_b32 s6, s7, s6
	s_cselect_b32 s5, s8, s5
	s_add_i32 s7, s6, 1
	s_cmp_ge_u32 s5, s1
	v_lshrrev_b32_e32 v2, 3, v0
	v_lshrrev_b32_e32 v7, 1, v0
	s_cselect_b32 s1, s7, s6
	s_add_i32 s0, s0, s95
	v_and_b32_e32 v64, 31, v0
	v_and_b32_e32 v3, 4, v2
	;; [unrolled: 1-line block ×3, first 2 shown]
	v_lshlrev_b32_e32 v7, 4, v0
	s_add_i32 s29, s92, -1
	v_cmp_gt_i32_e64 s[34:35], s0, v1
	v_lshlrev_b32_e32 v1, 2, v64
	v_lshlrev_b32_e32 v2, 6, v3
	v_and_b32_e32 v7, 0x200, v7
	s_abs_i32 s92, s14
                                        ; implicit-def: $vgpr95 : SGPR spill to VGPR lane
	v_or_b32_e32 v4, 0x7800, v1
	v_or_b32_e32 v66, v1, v2
	v_and_b32_e32 v5, 1, v0
	v_or_b32_e32 v77, v1, v7
	v_cvt_f32_u32_e32 v1, s92
	v_writelane_b32 v95, s14, 0
	v_or_b32_e32 v65, v4, v2
	v_lshlrev_b32_e32 v2, 1, v5
	v_writelane_b32 v95, s15, 1
	v_sub_u32_e32 v2, v0, v2
	s_waitcnt lgkmcnt(0)
	v_writelane_b32 v95, s16, 2
	v_add_u32_e32 v2, 1, v2
	v_and_b32_e32 v6, 63, v2
	v_writelane_b32 v95, s17, 3
	v_bitop3_b32 v67, v0, 1, v0 bitop3:0xc
	v_bitop3_b32 v68, v0, 3, 1 bitop3:0x6c
	;; [unrolled: 1-line block ×8, first 2 shown]
	v_and_b32_e32 v2, 30, v0
	v_bitop3_b32 v78, v0, 31, v0 bitop3:0xc
	v_rcp_iflag_f32_e32 v0, v1
	s_abs_i32 s96, s15
	v_writelane_b32 v95, s18, 4
	v_cvt_f32_u32_e32 v1, s96
	v_writelane_b32 v95, s19, 5
	v_writelane_b32 v95, s20, 6
	;; [unrolled: 1-line block ×3, first 2 shown]
	v_mul_f32_e32 v0, 0x4f7ffffe, v0
	v_writelane_b32 v95, s22, 8
	v_cvt_u32_f32_e32 v0, v0
	v_rcp_iflag_f32_e32 v1, v1
	v_writelane_b32 v95, s23, 9
	v_cndmask_b32_e64 v63, 0, 1, s[24:25]
	s_xor_b32 s1, s1, s4
	v_writelane_b32 v95, s24, 10
	s_sub_i32 s28, s1, s4
	s_mul_i32 s1, s28, s29
	v_writelane_b32 v95, s25, 11
	v_writelane_b32 v95, s26, 12
	s_sub_i32 s30, s3, s1
	v_readfirstlane_b32 s1, v0
	v_mul_f32_e32 v0, 0x4f7ffffe, v1
	v_writelane_b32 v95, s27, 13
	v_cvt_u32_f32_e32 v0, v0
	v_writelane_b32 v95, s28, 14
	s_sub_i32 s0, 0, s92
	v_writelane_b32 v95, s29, 15
	s_mul_i32 s0, s0, s1
	v_writelane_b32 v95, s30, 16
	s_mul_hi_u32 s0, s1, s0
	v_writelane_b32 v95, s34, 17
	s_ashr_i32 s31, s14, 31
	s_add_i32 s36, s1, s0
	s_sub_i32 s0, 0, s96
	v_readfirstlane_b32 s1, v0
	v_mbcnt_lo_u32_b32 v0, -1, 0
	v_writelane_b32 v95, s35, 18
	s_mul_i32 s0, s0, s1
	v_mbcnt_hi_u32_b32 v0, -1, v0
	v_writelane_b32 v95, s31, 19
	v_mov_b32_e32 v49, 0
	v_mul_lo_u32 v52, s91, v64
	v_or_b32_e32 v81, v5, v3
	s_ashr_i32 s37, s15, 31
	s_mul_hi_u32 s0, s1, s0
	v_and_or_b32 v0, v0, 64, v6
	v_writelane_b32 v95, s36, 20
	v_or_b32_e32 v75, 32, v64
	v_or_b32_e32 v76, 64, v64
	v_ashrrev_i32_e32 v53, 31, v52
	v_mov_b32_e32 v51, v49
	s_lshl_b32 s33, s91, 5
	v_mul_lo_u32 v79, s90, v64
	v_or_b32_e32 v80, v4, v7
	v_or_b32_e32 v82, 2, v81
	s_add_i32 s38, s1, s0
	v_lshlrev_b32_e32 v48, 1, v2
	v_lshlrev_b32_e32 v83, 2, v0
	v_mov_b32_e32 v84, v56
	v_writelane_b32 v95, s37, 21
	v_writelane_b32 v95, s38, 22
	s_branch .LBB87_7
.LBB87_4:                               ;   in Loop: Header=BB87_7 Depth=1
	s_or_b64 exec, exec, s[6:7]
.LBB87_5:                               ;   in Loop: Header=BB87_7 Depth=1
	s_or_b64 exec, exec, s[4:5]
	v_subrev_u32_e32 v84, s97, v84
.LBB87_6:                               ;   in Loop: Header=BB87_7 Depth=1
	s_or_b64 exec, exec, s[0:1]
	s_add_i32 s2, s2, 1
	v_cmp_ge_i32_e32 vcc, s2, v62
	s_cbranch_vccnz .LBB87_51
.LBB87_7:                               ; =>This Loop Header: Depth=1
                                        ;     Child Loop BB87_13 Depth 2
                                        ;       Child Loop BB87_15 Depth 3
                                        ;       Child Loop BB87_18 Depth 3
	;; [unrolled: 1-line block ×4, first 2 shown]
                                        ;     Child Loop BB87_29 Depth 2
                                        ;     Child Loop BB87_38 Depth 2
                                        ;       Child Loop BB87_40 Depth 3
                                        ;     Child Loop BB87_48 Depth 2
                                        ;       Child Loop BB87_50 Depth 3
	s_abs_i32 s1, s2
	s_mul_hi_u32 s3, s1, s36
	s_mul_i32 s4, s3, s92
	s_ashr_i32 s0, s2, 31
	s_sub_i32 s1, s1, s4
	s_xor_b32 s0, s0, s31
	s_add_i32 s4, s3, 1
	s_sub_i32 s5, s1, s92
	s_cmp_ge_u32 s1, s92
	s_cselect_b32 s3, s4, s3
	s_cselect_b32 s1, s5, s1
	s_add_i32 s4, s3, 1
	s_cmp_ge_u32 s1, s92
	s_cselect_b32 s1, s4, s3
	s_xor_b32 s1, s1, s0
	s_sub_i32 s0, s1, s0
	s_abs_i32 s4, s0
	s_mul_i32 s1, s0, s14
	s_mul_hi_u32 s5, s4, s38
	s_sub_i32 s1, s2, s1
	s_mul_i32 s6, s5, s96
	s_lshl_b32 s3, s1, 5
	s_ashr_i32 s1, s0, 31
	s_sub_i32 s4, s4, s6
	s_xor_b32 s1, s1, s37
	s_add_i32 s6, s5, 1
	s_sub_i32 s7, s4, s96
	s_cmp_ge_u32 s4, s96
	s_cselect_b32 s5, s6, s5
	s_cselect_b32 s4, s7, s4
	s_add_i32 s6, s5, 1
	s_cmp_ge_u32 s4, s96
	s_cselect_b32 s4, s6, s5
	s_xor_b32 s4, s4, s1
	s_sub_i32 s1, s4, s1
	s_mul_i32 s4, s1, s28
	s_lshl_b32 s39, s4, 6
	s_cmp_eq_u32 s1, s29
	s_cselect_b32 s97, s30, s28
	s_sub_i32 s4, s3, s88
	s_add_i32 s71, s4, 32
	s_and_saveexec_b64 s[4:5], s[26:27]
	s_xor_b64 s[98:99], exec, s[4:5]
	s_cbranch_execz .LBB87_44
; %bb.8:                                ;   in Loop: Header=BB87_7 Depth=1
	s_mul_i32 s1, s1, s15
	s_sub_i32 s0, s0, s1
	s_mulk_i32 s0, 0x60
	s_sub_i32 s70, s0, s89
	s_addk_i32 s70, 0x60
	s_max_i32 s1, s70, 0
	s_sub_i32 s4, s0, s1
	s_and_saveexec_b64 s[0:1], s[24:25]
	s_xor_b64 s[0:1], exec, s[0:1]
	s_cbranch_execz .LBB87_34
; %bb.9:                                ;   in Loop: Header=BB87_7 Depth=1
	s_and_saveexec_b64 s[8:9], s[34:35]
	s_cbranch_execz .LBB87_33
; %bb.10:                               ;   in Loop: Header=BB87_7 Depth=1
	global_load_dword v85, v49, s[22:23]
	v_mov_b32_e32 v47, 0
	v_writelane_b32 v95, s8, 23
	v_cmp_gt_i32_e32 vcc, s97, v84
	v_mov_b32_e32 v46, v47
	v_mov_b32_e32 v45, v47
	;; [unrolled: 1-line block ×47, first 2 shown]
	v_writelane_b32 v95, s9, 24
	s_and_saveexec_b64 s[6:7], vcc
	s_cbranch_execz .LBB87_26
; %bb.11:                               ;   in Loop: Header=BB87_7 Depth=1
	v_mov_b32_e32 v0, 0
	s_mov_b64 s[8:9], 0
	v_mov_b32_e32 v1, v0
	v_mov_b32_e32 v2, v0
	;; [unrolled: 1-line block ×47, first 2 shown]
	s_branch .LBB87_13
.LBB87_12:                              ;   in Loop: Header=BB87_13 Depth=2
	s_or_b64 exec, exec, s[10:11]
	v_add_u32_e32 v92, 0x1000, v89
	ds_read2_b32 v[90:91], v92 offset1:32
	v_add_u32_e32 v84, s95, v84
	s_waitcnt lgkmcnt(0)
	v_mfma_f32_32x32x16_fp8_fp8 v[0:15], v[60:61], v[90:91], v[0:15]
	ds_read2_b32 v[60:61], v92 offset0:128 offset1:160
	s_waitcnt lgkmcnt(0)
	v_mfma_f32_32x32x16_fp8_fp8 v[0:15], v[58:59], v[60:61], v[0:15]
	v_add_u32_e32 v60, 0x1400, v89
	ds_read2_b32 v[58:59], v60 offset1:32
	ds_read2_b32 v[60:61], v60 offset0:128 offset1:160
	ds_write_b32 v87, v88 offset:40980
	s_waitcnt lgkmcnt(2)
	v_mfma_f32_32x32x16_fp8_fp8 v[0:15], v[56:57], v[58:59], v[0:15]
	v_add_u32_e32 v56, s95, v86
	v_add_u32_e32 v57, 2, v63
	v_cmp_lt_i32_e32 vcc, 4, v56
	s_nop 1
	v_cndmask_b32_e32 v63, v63, v57, vcc
	v_cmp_le_i32_e32 vcc, s97, v84
	s_waitcnt lgkmcnt(1)
	v_mfma_f32_32x32x16_fp8_fp8 v[0:15], v[54:55], v[60:61], v[0:15]
	s_or_b64 s[8:9], vcc, s[8:9]
	s_andn2_b64 exec, exec, s[8:9]
	s_cbranch_execz .LBB87_25
.LBB87_13:                              ;   Parent Loop BB87_7 Depth=1
                                        ; =>  This Loop Header: Depth=2
                                        ;       Child Loop BB87_15 Depth 3
                                        ;       Child Loop BB87_18 Depth 3
	;; [unrolled: 1-line block ×4, first 2 shown]
	v_cmp_gt_i32_e32 vcc, 5, v56
	s_nop 1
	v_cndmask_b32_e64 v54, -5, 0, vcc
	v_add_u32_e32 v86, v54, v56
	v_mul_lo_u32 v87, v86, 24
	ds_read_b32 v54, v87 offset:40960
	s_waitcnt lgkmcnt(0)
	v_cmp_ne_u32_e32 vcc, v54, v63
	s_and_saveexec_b64 s[10:11], vcc
	s_cbranch_execz .LBB87_16
; %bb.14:                               ;   in Loop: Header=BB87_13 Depth=2
	s_mov_b64 s[12:13], 0
.LBB87_15:                              ;   Parent Loop BB87_7 Depth=1
                                        ;     Parent Loop BB87_13 Depth=2
                                        ; =>    This Inner Loop Header: Depth=3
	;;#ASMSTART
	s_sleep 0
	;;#ASMEND
	ds_read_b32 v54, v87 offset:40960
	s_waitcnt lgkmcnt(0)
	v_cmp_eq_u32_e32 vcc, v54, v63
	s_or_b64 s[12:13], vcc, s[12:13]
	s_andn2_b64 exec, exec, s[12:13]
	s_cbranch_execnz .LBB87_15
.LBB87_16:                              ;   in Loop: Header=BB87_13 Depth=2
	s_or_b64 exec, exec, s[10:11]
	v_lshl_add_u32 v54, v86, 11, v65
	ds_read2_b32 v[60:61], v54 offset1:32
	ds_read2_b32 v[58:59], v54 offset0:128 offset1:160
	v_add_u32_e32 v54, 0x400, v54
	ds_read2_b32 v[56:57], v54 offset1:32
	ds_read_b32 v89, v87 offset:40964
	ds_read2_b32 v[54:55], v54 offset0:128 offset1:160
	v_add_u32_e32 v88, 1, v63
	ds_write_b32 v87, v88 offset:40960
	s_waitcnt lgkmcnt(2)
	v_cmp_ne_u32_e32 vcc, v89, v63
	s_and_saveexec_b64 s[10:11], vcc
	s_cbranch_execz .LBB87_19
; %bb.17:                               ;   in Loop: Header=BB87_13 Depth=2
	s_mov_b64 s[12:13], 0
.LBB87_18:                              ;   Parent Loop BB87_7 Depth=1
                                        ;     Parent Loop BB87_13 Depth=2
                                        ; =>    This Inner Loop Header: Depth=3
	;;#ASMSTART
	s_sleep 0
	;;#ASMEND
	ds_read_b32 v89, v87 offset:40964
	s_waitcnt lgkmcnt(0)
	v_cmp_eq_u32_e32 vcc, v89, v63
	s_or_b64 s[12:13], vcc, s[12:13]
	s_andn2_b64 exec, exec, s[12:13]
	s_cbranch_execnz .LBB87_18
.LBB87_19:                              ;   in Loop: Header=BB87_13 Depth=2
	s_or_b64 exec, exec, s[10:11]
	s_movk_i32 s5, 0x1800
	v_mul_lo_u32 v89, v86, s5
	v_or_b32_e32 v92, v66, v89
	ds_read2_b32 v[90:91], v92 offset1:32
	ds_write_b32 v87, v88 offset:40964
	s_waitcnt lgkmcnt(1)
	v_mfma_f32_32x32x16_fp8_fp8 v[32:47], v[60:61], v[90:91], v[32:47]
	ds_read2_b32 v[90:91], v92 offset0:128 offset1:160
	v_add_u32_e32 v92, 0x400, v92
	s_waitcnt lgkmcnt(0)
	v_mfma_f32_32x32x16_fp8_fp8 v[32:47], v[58:59], v[90:91], v[32:47]
	ds_read2_b32 v[90:91], v92 offset1:32
	s_waitcnt lgkmcnt(0)
	v_mfma_f32_32x32x16_fp8_fp8 v[32:47], v[56:57], v[90:91], v[32:47]
	ds_read2_b32 v[90:91], v92 offset0:128 offset1:160
	ds_read_b32 v92, v87 offset:40972
	s_waitcnt lgkmcnt(0)
	v_cmp_ne_u32_e32 vcc, v92, v63
	v_mfma_f32_32x32x16_fp8_fp8 v[32:47], v[54:55], v[90:91], v[32:47]
	s_and_saveexec_b64 s[10:11], vcc
	s_cbranch_execz .LBB87_22
; %bb.20:                               ;   in Loop: Header=BB87_13 Depth=2
	s_mov_b64 s[12:13], 0
.LBB87_21:                              ;   Parent Loop BB87_7 Depth=1
                                        ;     Parent Loop BB87_13 Depth=2
                                        ; =>    This Inner Loop Header: Depth=3
	;;#ASMSTART
	s_sleep 0
	;;#ASMEND
	ds_read_b32 v90, v87 offset:40972
	s_waitcnt lgkmcnt(0)
	v_cmp_eq_u32_e32 vcc, v90, v63
	s_or_b64 s[12:13], vcc, s[12:13]
	s_andn2_b64 exec, exec, s[12:13]
	s_cbranch_execnz .LBB87_21
.LBB87_22:                              ;   in Loop: Header=BB87_13 Depth=2
	s_or_b64 exec, exec, s[10:11]
	v_add_u32_e32 v89, v66, v89
	v_add_u32_e32 v92, 0x800, v89
	ds_read2_b32 v[90:91], v92 offset1:32
	ds_write_b32 v87, v88 offset:40972
	s_waitcnt lgkmcnt(1)
	v_mfma_f32_32x32x16_fp8_fp8 v[16:31], v[60:61], v[90:91], v[16:31]
	ds_read2_b32 v[90:91], v92 offset0:128 offset1:160
	v_add_u32_e32 v92, 0xc00, v89
	s_waitcnt lgkmcnt(0)
	v_mfma_f32_32x32x16_fp8_fp8 v[16:31], v[58:59], v[90:91], v[16:31]
	ds_read2_b32 v[90:91], v92 offset1:32
	s_waitcnt lgkmcnt(0)
	v_mfma_f32_32x32x16_fp8_fp8 v[16:31], v[56:57], v[90:91], v[16:31]
	ds_read2_b32 v[90:91], v92 offset0:128 offset1:160
	ds_read_b32 v92, v87 offset:40980
	s_waitcnt lgkmcnt(0)
	v_cmp_ne_u32_e32 vcc, v92, v63
	v_mfma_f32_32x32x16_fp8_fp8 v[16:31], v[54:55], v[90:91], v[16:31]
	s_and_saveexec_b64 s[10:11], vcc
	s_cbranch_execz .LBB87_12
; %bb.23:                               ;   in Loop: Header=BB87_13 Depth=2
	s_mov_b64 s[12:13], 0
.LBB87_24:                              ;   Parent Loop BB87_7 Depth=1
                                        ;     Parent Loop BB87_13 Depth=2
                                        ; =>    This Inner Loop Header: Depth=3
	;;#ASMSTART
	s_sleep 0
	;;#ASMEND
	ds_read_b32 v90, v87 offset:40980
	s_waitcnt lgkmcnt(0)
	v_cmp_eq_u32_e32 vcc, v90, v63
	s_or_b64 s[12:13], vcc, s[12:13]
	s_andn2_b64 exec, exec, s[12:13]
	s_cbranch_execnz .LBB87_24
	s_branch .LBB87_12
.LBB87_25:                              ;   in Loop: Header=BB87_7 Depth=1
	s_or_b64 exec, exec, s[8:9]
.LBB87_26:                              ;   in Loop: Header=BB87_7 Depth=1
	v_writelane_b32 v95, s71, 25
	v_writelane_b32 v95, s39, 26
	s_or_b64 exec, exec, s[6:7]
	v_cmp_le_i32_e32 vcc, s70, v64
	v_cmp_eq_u32_e64 s[60:61], 1, v67
	v_cmp_eq_u32_e64 s[28:29], 2, v67
	s_waitcnt vmcnt(0)
	v_cndmask_b32_e32 v54, 0, v85, vcc
	v_pk_mul_f32 v[32:33], v[54:55], v[32:33] op_sel_hi:[0,1]
	v_pk_mul_f32 v[46:47], v[54:55], v[46:47] op_sel_hi:[0,1]
	v_pk_mul_f32 v[44:45], v[54:55], v[44:45] op_sel_hi:[0,1]
	v_pk_mul_f32 v[42:43], v[54:55], v[42:43] op_sel_hi:[0,1]
	v_pk_mul_f32 v[40:41], v[54:55], v[40:41] op_sel_hi:[0,1]
	v_pk_mul_f32 v[38:39], v[54:55], v[38:39] op_sel_hi:[0,1]
	v_pk_mul_f32 v[36:37], v[54:55], v[36:37] op_sel_hi:[0,1]
	v_pk_mul_f32 v[34:35], v[54:55], v[34:35] op_sel_hi:[0,1]
	v_cndmask_b32_e64 v54, v32, v33, s[60:61]
	v_cndmask_b32_e64 v54, v54, v34, s[28:29]
	v_cmp_eq_u32_e64 s[40:41], 3, v67
	v_cmp_eq_u32_e64 s[42:43], 4, v67
	v_cmp_eq_u32_e64 s[44:45], 5, v67
	v_cndmask_b32_e64 v54, v54, v35, s[40:41]
	v_cndmask_b32_e64 v54, v54, v36, s[42:43]
	v_cndmask_b32_e64 v54, v54, v37, s[44:45]
	v_cmp_eq_u32_e64 s[46:47], 6, v67
	v_cmp_eq_u32_e64 s[48:49], 7, v67
	v_cmp_eq_u32_e64 s[50:51], 8, v67
	v_cndmask_b32_e64 v54, v54, v38, s[46:47]
	;; [unrolled: 6-line block ×4, first 2 shown]
	v_cndmask_b32_e64 v54, v54, v45, s[62:63]
	v_cndmask_b32_e64 v54, v54, v46, s[64:65]
	v_cmp_eq_u32_e64 s[66:67], 15, v67
	s_mul_i32 s6, s3, s89
	s_ashr_i32 s7, s6, 31
	v_cndmask_b32_e64 v54, v54, v47, s[66:67]
	ds_bpermute_b32 v54, v83, v54
	s_lshl_b64 s[6:7], s[6:7], 1
	v_cmp_eq_u32_e64 s[36:37], 0, v67
	s_add_u32 s71, s20, s6
	v_cmp_eq_u32_e32 vcc, 1, v68
	s_waitcnt lgkmcnt(0)
	v_cndmask_b32_e64 v47, v47, v54, s[66:67]
	v_cndmask_b32_e64 v46, v46, v54, s[64:65]
	;; [unrolled: 1-line block ×16, first 2 shown]
	s_addc_u32 s72, s21, s7
	v_cndmask_b32_e32 v32, v54, v33, vcc
	v_cmp_eq_u32_e64 s[6:7], 2, v68
	v_cmp_eq_u32_e64 s[8:9], 3, v68
	v_cmp_eq_u32_e64 s[10:11], 4, v68
	v_cndmask_b32_e64 v32, v32, v87, s[6:7]
	v_cndmask_b32_e64 v32, v32, v86, s[8:9]
	v_cndmask_b32_e64 v32, v32, v61, s[10:11]
	v_cmp_eq_u32_e64 s[12:13], 5, v68
	v_cmp_eq_u32_e64 s[14:15], 6, v68
	v_cmp_eq_u32_e64 s[16:17], 7, v68
	v_cndmask_b32_e64 v32, v32, v60, s[12:13]
	v_cndmask_b32_e64 v32, v32, v59, s[14:15]
	v_cndmask_b32_e64 v32, v32, v58, s[16:17]
	;; [unrolled: 6-line block ×4, first 2 shown]
	v_cmp_eq_u32_e64 s[34:35], 14, v68
	v_cmp_eq_u32_e64 s[38:39], 15, v68
	s_ashr_i32 s5, s4, 31
	v_cndmask_b32_e64 v32, v32, v46, s[34:35]
	v_cndmask_b32_e64 v32, v32, v47, s[38:39]
	s_lshl_b64 s[68:69], s[4:5], 1
	ds_bpermute_b32 v55, v83, v32
	s_add_u32 s68, s71, s68
	s_addc_u32 s69, s72, s69
	v_writelane_b32 v95, s68, 27
	v_cmp_eq_u32_e64 s[72:73], 11, v69
	s_waitcnt lgkmcnt(0)
	v_cndmask_b32_e64 v39, v42, v55, s[22:23]
	v_writelane_b32 v95, s69, 28
	v_cmp_le_i32_e64 s[68:69], s70, v75
	v_cndmask_b32_e64 v42, v58, v55, s[16:17]
	v_cndmask_b32_e32 v33, v33, v55, vcc
	v_cndmask_b32_e64 v32, 0, v85, s[68:69]
	v_cmp_le_i32_e64 s[68:69], s70, v76
	v_pk_mul_f32 v[16:17], v[32:33], v[16:17] op_sel_hi:[0,1]
	v_cndmask_b32_e64 v34, v47, v55, s[38:39]
	v_cndmask_b32_e64 v58, 0, v85, s[68:69]
	v_cmp_eq_u32_e64 s[68:69], 0, v68
	v_pk_mul_f32 v[0:1], v[58:59], v[0:1] op_sel_hi:[0,1]
	v_cndmask_b32_e64 v35, v46, v55, s[34:35]
	v_cndmask_b32_e64 v36, v45, v55, s[30:31]
	;; [unrolled: 1-line block ×12, first 2 shown]
	v_pk_mul_f32 v[30:31], v[32:33], v[30:31] op_sel_hi:[0,1]
	v_pk_mul_f32 v[28:29], v[32:33], v[28:29] op_sel_hi:[0,1]
	;; [unrolled: 1-line block ×7, first 2 shown]
	v_cndmask_b32_e64 v32, v16, v17, s[60:61]
	v_pk_mul_f32 v[54:55], v[58:59], v[4:5] op_sel_hi:[0,1]
	v_pk_mul_f32 v[2:3], v[58:59], v[2:3] op_sel_hi:[0,1]
	v_cndmask_b32_e64 v4, v0, v1, s[60:61]
	v_cndmask_b32_e64 v32, v32, v18, s[28:29]
	;; [unrolled: 1-line block ×8, first 2 shown]
	v_pk_mul_f32 v[6:7], v[58:59], v[6:7] op_sel_hi:[0,1]
	v_cndmask_b32_e64 v4, v4, v55, s[44:45]
	v_cndmask_b32_e64 v32, v32, v22, s[46:47]
	v_cndmask_b32_e64 v4, v4, v6, s[46:47]
	v_cndmask_b32_e64 v32, v32, v23, s[48:49]
	v_pk_mul_f32 v[8:9], v[58:59], v[8:9] op_sel_hi:[0,1]
	v_cndmask_b32_e64 v4, v4, v7, s[48:49]
	v_cndmask_b32_e64 v32, v32, v24, s[50:51]
	v_cndmask_b32_e64 v4, v4, v8, s[50:51]
	v_cndmask_b32_e64 v32, v32, v25, s[52:53]
	;; [unrolled: 5-line block ×5, first 2 shown]
	v_cndmask_b32_e64 v4, v4, v15, s[66:67]
	ds_bpermute_b32 v32, v83, v32
	ds_bpermute_b32 v5, v83, v4
	v_cmp_eq_u32_e64 s[70:71], 10, v69
	v_cmp_eq_u32_e64 s[76:77], 13, v69
	v_cmp_eq_u32_e64 s[78:79], 15, v69
	s_waitcnt lgkmcnt(1)
	v_cndmask_b32_e64 v4, v17, v32, s[60:61]
	v_cmp_eq_u32_e64 s[60:61], 1, v69
	v_cndmask_b32_e64 v18, v18, v32, s[28:29]
	s_waitcnt lgkmcnt(0)
	v_cndmask_b32_e64 v2, v2, v5, s[28:29]
	v_cmp_ne_u32_e64 s[28:29], 0, v67
	v_cndmask_b32_e64 v17, v57, v33, s[60:61]
	v_cndmask_b32_e64 v31, v31, v32, s[66:67]
	;; [unrolled: 1-line block ×3, first 2 shown]
	v_cmp_eq_u32_e64 s[66:67], 2, v69
	v_cndmask_b32_e64 v1, v1, v5, s[28:29]
	v_cndmask_b32_e64 v16, v16, v32, s[36:37]
	v_cndmask_b32_e64 v0, v0, v5, s[36:37]
	v_cndmask_b32_e64 v17, v17, v47, s[66:67]
	v_cndmask_b32_e64 v30, v30, v32, s[64:65]
	v_cndmask_b32_e64 v14, v14, v5, s[64:65]
	v_cmp_eq_u32_e64 s[64:65], 3, v69
	v_cndmask_b32_e64 v29, v29, v32, s[62:63]
	v_cndmask_b32_e64 v13, v13, v5, s[62:63]
	;; [unrolled: 1-line block ×22, first 2 shown]
	v_cndmask_b32_e32 v32, v16, v4, vcc
	v_cndmask_b32_e32 v5, v0, v1, vcc
	v_cndmask_b32_e64 v17, v17, v46, s[64:65]
	v_cmp_eq_u32_e64 s[62:63], 4, v69
	v_cndmask_b32_e64 v32, v32, v18, s[6:7]
	v_cndmask_b32_e64 v5, v5, v2, s[6:7]
	v_cndmask_b32_e64 v17, v17, v45, s[62:63]
	v_cmp_eq_u32_e64 s[58:59], 5, v69
	v_cndmask_b32_e64 v32, v32, v19, s[8:9]
	v_cndmask_b32_e64 v5, v5, v3, s[8:9]
	;; [unrolled: 4-line block ×6, first 2 shown]
	v_cndmask_b32_e64 v17, v17, v40, s[50:51]
	v_cndmask_b32_e64 v32, v32, v24, s[18:19]
	v_cndmask_b32_e64 v5, v5, v8, s[18:19]
	v_cndmask_b32_e64 v17, v17, v39, s[70:71]
	v_cndmask_b32_e64 v32, v32, v25, s[20:21]
	v_cndmask_b32_e64 v5, v5, v9, s[20:21]
	v_cndmask_b32_e64 v17, v17, v38, s[72:73]
	v_cmp_eq_u32_e64 s[44:45], 12, v69
	v_cndmask_b32_e64 v32, v32, v26, s[22:23]
	v_cndmask_b32_e64 v5, v5, v10, s[22:23]
	;; [unrolled: 1-line block ×6, first 2 shown]
	v_cmp_eq_u32_e64 s[40:41], 14, v69
	v_cndmask_b32_e64 v32, v32, v28, s[26:27]
	v_cndmask_b32_e64 v5, v5, v12, s[26:27]
	;; [unrolled: 1-line block ×8, first 2 shown]
	ds_bpermute_b32 v17, v83, v17
	v_cndmask_b32_e64 v32, v32, v31, s[38:39]
	v_cndmask_b32_e64 v5, v5, v15, s[38:39]
	ds_bpermute_b32 v32, v83, v32
	ds_bpermute_b32 v5, v83, v5
	v_cmp_eq_u32_e64 s[42:43], 0, v69
	s_waitcnt lgkmcnt(2)
	v_cndmask_b32_e64 v34, v34, v17, s[78:79]
	v_cndmask_b32_e64 v35, v35, v17, s[40:41]
	;; [unrolled: 1-line block ×16, first 2 shown]
	v_cmp_eq_u32_e64 s[28:29], 1, v70
	s_waitcnt lgkmcnt(1)
	v_cndmask_b32_e64 v30, v30, v32, s[34:35]
	s_waitcnt lgkmcnt(0)
	v_cndmask_b32_e64 v14, v14, v5, s[34:35]
	v_cndmask_b32_e64 v57, v17, v33, s[28:29]
	v_cmp_eq_u32_e64 s[34:35], 2, v70
	v_cndmask_b32_e32 v1, v1, v5, vcc
	v_cndmask_b32_e64 v0, v0, v5, s[68:69]
	v_cndmask_b32_e64 v15, v15, v5, s[38:39]
	;; [unrolled: 1-line block ×5, first 2 shown]
	v_cmp_eq_u32_e64 s[30:31], 3, v70
	v_cndmask_b32_e64 v12, v12, v5, s[26:27]
	v_cndmask_b32_e64 v11, v11, v5, s[24:25]
	;; [unrolled: 1-line block ×11, first 2 shown]
	v_cndmask_b32_e32 v4, v4, v32, vcc
	v_cndmask_b32_e64 v16, v16, v32, s[68:69]
	v_cndmask_b32_e64 v5, v0, v1, s[60:61]
	;; [unrolled: 1-line block ×5, first 2 shown]
	v_cmp_eq_u32_e64 s[26:27], 4, v70
	v_cndmask_b32_e64 v27, v27, v32, s[24:25]
	v_cndmask_b32_e64 v26, v26, v32, s[22:23]
	;; [unrolled: 1-line block ×13, first 2 shown]
	v_cmp_eq_u32_e64 s[24:25], 5, v70
	v_cndmask_b32_e64 v32, v32, v18, s[66:67]
	v_cndmask_b32_e64 v5, v5, v3, s[64:65]
	v_cndmask_b32_e64 v57, v57, v44, s[24:25]
	v_cmp_eq_u32_e64 s[22:23], 6, v70
	v_cndmask_b32_e64 v32, v32, v19, s[64:65]
	v_cndmask_b32_e64 v5, v5, v54, s[62:63]
	v_cndmask_b32_e64 v57, v57, v43, s[22:23]
	;; [unrolled: 4-line block ×11, first 2 shown]
	v_cndmask_b32_e64 v32, v32, v29, s[76:77]
	v_cndmask_b32_e64 v5, v5, v14, s[40:41]
	ds_bpermute_b32 v57, v83, v57
	v_cndmask_b32_e64 v32, v32, v30, s[40:41]
	v_cndmask_b32_e64 v5, v5, v15, s[78:79]
	;; [unrolled: 1-line block ×3, first 2 shown]
	ds_bpermute_b32 v5, v83, v5
	ds_bpermute_b32 v32, v83, v32
	v_cmp_eq_u32_e64 s[14:15], 0, v70
	s_waitcnt lgkmcnt(2)
	v_cndmask_b32_e64 v33, v33, v57, s[28:29]
	v_cmp_eq_u32_e64 s[10:11], 1, v71
	v_cndmask_b32_e64 v17, v17, v57, s[14:15]
	v_cndmask_b32_e64 v34, v34, v57, s[84:85]
	;; [unrolled: 1-line block ×16, first 2 shown]
	v_cmp_eq_u32_e64 s[12:13], 2, v71
	s_waitcnt lgkmcnt(1)
	v_cndmask_b32_e64 v1, v1, v5, s[60:61]
	v_cndmask_b32_e64 v0, v0, v5, s[42:43]
	;; [unrolled: 1-line block ×6, first 2 shown]
	v_cmp_eq_u32_e64 s[20:21], 3, v71
	v_cndmask_b32_e64 v12, v12, v5, s[44:45]
	v_cndmask_b32_e64 v11, v11, v5, s[72:73]
	;; [unrolled: 1-line block ×11, first 2 shown]
	s_waitcnt lgkmcnt(0)
	v_cndmask_b32_e64 v4, v4, v32, s[60:61]
	v_cndmask_b32_e64 v16, v16, v32, s[42:43]
	;; [unrolled: 1-line block ×8, first 2 shown]
	v_cmp_eq_u32_e64 s[36:37], 4, v71
	v_cndmask_b32_e64 v27, v27, v32, s[72:73]
	v_cndmask_b32_e64 v26, v26, v32, s[70:71]
	;; [unrolled: 1-line block ×13, first 2 shown]
	v_cmp_eq_u32_e64 s[40:41], 5, v71
	v_cndmask_b32_e64 v32, v32, v18, s[34:35]
	v_cndmask_b32_e64 v5, v5, v3, s[30:31]
	v_cndmask_b32_e64 v57, v57, v44, s[40:41]
	v_cmp_eq_u32_e64 s[44:45], 6, v71
	v_cndmask_b32_e64 v32, v32, v19, s[30:31]
	v_cndmask_b32_e64 v5, v5, v54, s[26:27]
	v_cndmask_b32_e64 v57, v57, v43, s[44:45]
	;; [unrolled: 4-line block ×11, first 2 shown]
	v_cndmask_b32_e64 v32, v32, v29, s[8:9]
	v_cndmask_b32_e64 v5, v5, v14, s[80:81]
	ds_bpermute_b32 v57, v83, v57
	v_cndmask_b32_e64 v32, v32, v30, s[80:81]
	v_cndmask_b32_e64 v5, v5, v15, s[84:85]
	;; [unrolled: 1-line block ×3, first 2 shown]
	ds_bpermute_b32 v5, v83, v5
	ds_bpermute_b32 v32, v83, v32
	v_cmp_eq_u32_e64 s[58:59], 0, v71
	s_waitcnt lgkmcnt(2)
	v_cndmask_b32_e64 v33, v33, v57, s[10:11]
	v_cmp_eq_u32_e32 vcc, 1, v72
	v_cndmask_b32_e64 v17, v17, v57, s[58:59]
	v_cndmask_b32_e64 v34, v34, v57, s[86:87]
	;; [unrolled: 1-line block ×15, first 2 shown]
	v_cndmask_b32_e32 v57, v17, v33, vcc
	v_cmp_eq_u32_e64 s[6:7], 2, v72
	s_waitcnt lgkmcnt(1)
	v_cndmask_b32_e64 v1, v1, v5, s[28:29]
	v_cndmask_b32_e64 v0, v0, v5, s[14:15]
	;; [unrolled: 1-line block ×5, first 2 shown]
	s_waitcnt lgkmcnt(0)
	v_cndmask_b32_e64 v29, v29, v32, s[8:9]
	v_cndmask_b32_e64 v13, v13, v5, s[8:9]
	v_cmp_eq_u32_e64 s[8:9], 3, v72
	v_cndmask_b32_e64 v12, v12, v5, s[38:39]
	v_cndmask_b32_e64 v11, v11, v5, s[74:75]
	;; [unrolled: 1-line block ×14, first 2 shown]
	v_cmp_eq_u32_e64 s[38:39], 4, v72
	v_cndmask_b32_e64 v4, v4, v32, s[28:29]
	v_cndmask_b32_e64 v16, v16, v32, s[14:15]
	;; [unrolled: 1-line block ×7, first 2 shown]
	v_cmp_eq_u32_e64 s[42:43], 5, v72
	v_cndmask_b32_e64 v26, v26, v32, s[46:47]
	v_cndmask_b32_e64 v25, v25, v32, s[16:17]
	;; [unrolled: 1-line block ×12, first 2 shown]
	v_cmp_eq_u32_e64 s[46:47], 6, v72
	v_cndmask_b32_e64 v32, v32, v18, s[12:13]
	v_cndmask_b32_e64 v5, v5, v54, s[36:37]
	v_cndmask_b32_e64 v57, v57, v43, s[46:47]
	v_cmp_eq_u32_e64 s[52:53], 7, v72
	v_cndmask_b32_e64 v32, v32, v19, s[20:21]
	v_cndmask_b32_e64 v5, v5, v55, s[40:41]
	v_cndmask_b32_e64 v57, v57, v42, s[52:53]
	;; [unrolled: 4-line block ×10, first 2 shown]
	v_cndmask_b32_e64 v32, v32, v28, s[78:79]
	v_cndmask_b32_e64 v5, v5, v14, s[82:83]
	ds_bpermute_b32 v57, v83, v57
	v_cndmask_b32_e64 v32, v32, v29, s[64:65]
	v_cndmask_b32_e64 v5, v5, v15, s[86:87]
	;; [unrolled: 1-line block ×3, first 2 shown]
	ds_bpermute_b32 v5, v83, v5
	v_cndmask_b32_e64 v32, v32, v31, s[86:87]
	ds_bpermute_b32 v32, v83, v32
	v_cmp_eq_u32_e64 s[48:49], 0, v72
	s_waitcnt lgkmcnt(2)
	v_cndmask_b32_e32 v33, v33, v57, vcc
	v_cmp_eq_u32_e64 s[14:15], 1, v73
	v_cndmask_b32_e64 v17, v17, v57, s[48:49]
	v_cndmask_b32_e64 v34, v34, v57, s[84:85]
	;; [unrolled: 1-line block ×15, first 2 shown]
	s_waitcnt lgkmcnt(1)
	v_cndmask_b32_e64 v15, v15, v5, s[86:87]
	v_cndmask_b32_e64 v57, v17, v33, s[14:15]
	;; [unrolled: 1-line block ×3, first 2 shown]
	v_cmp_eq_u32_e64 s[16:17], 2, v73
	v_cndmask_b32_e64 v13, v13, v5, s[64:65]
	v_cndmask_b32_e64 v12, v12, v5, s[78:79]
	;; [unrolled: 1-line block ×15, first 2 shown]
	v_cmp_eq_u32_e64 s[18:19], 3, v73
	v_cndmask_b32_e32 v0, v5, v1, vcc
	s_waitcnt lgkmcnt(0)
	v_cndmask_b32_e64 v31, v31, v32, s[86:87]
	v_cndmask_b32_e64 v30, v30, v32, s[82:83]
	v_cndmask_b32_e64 v29, v29, v32, s[64:65]
	v_cndmask_b32_e64 v57, v57, v46, s[18:19]
	v_cndmask_b32_e64 v28, v28, v32, s[78:79]
	v_cmp_eq_u32_e64 s[22:23], 4, v73
	v_cndmask_b32_e64 v27, v27, v32, s[76:77]
	v_cndmask_b32_e64 v26, v26, v32, s[72:73]
	;; [unrolled: 1-line block ×14, first 2 shown]
	v_cmp_eq_u32_e64 s[24:25], 5, v73
	v_cndmask_b32_e32 v16, v32, v4, vcc
	v_cndmask_b32_e64 v0, v0, v3, s[8:9]
	v_cndmask_b32_e64 v57, v57, v44, s[24:25]
	v_cmp_eq_u32_e64 s[26:27], 6, v73
	v_cndmask_b32_e64 v16, v16, v18, s[6:7]
	v_cndmask_b32_e64 v0, v0, v54, s[38:39]
	v_cndmask_b32_e64 v57, v57, v43, s[26:27]
	v_cmp_eq_u32_e64 s[28:29], 7, v73
	v_cndmask_b32_e64 v16, v16, v19, s[8:9]
	;; [unrolled: 4-line block ×10, first 2 shown]
	v_cndmask_b32_e64 v0, v0, v13, s[74:75]
	v_cndmask_b32_e64 v57, v57, v34, s[64:65]
	v_cndmask_b32_e64 v16, v16, v28, s[66:67]
	v_cndmask_b32_e64 v0, v0, v14, s[80:81]
	ds_bpermute_b32 v57, v83, v57
	v_cndmask_b32_e64 v16, v16, v29, s[74:75]
	v_cndmask_b32_e64 v0, v0, v15, s[84:85]
	;; [unrolled: 1-line block ×3, first 2 shown]
	ds_bpermute_b32 v59, v83, v0
	v_cndmask_b32_e64 v16, v16, v31, s[84:85]
	ds_bpermute_b32 v58, v83, v16
	v_cmp_eq_u32_e64 s[68:69], 0, v73
	s_waitcnt lgkmcnt(2)
	v_cndmask_b32_e64 v33, v33, v57, s[14:15]
	v_cmp_eq_u32_e64 s[10:11], 1, v74
	v_cndmask_b32_e64 v0, v17, v57, s[68:69]
	v_cndmask_b32_e64 v34, v34, v57, s[64:65]
	;; [unrolled: 1-line block ×15, first 2 shown]
	s_waitcnt lgkmcnt(1)
	v_cndmask_b32_e64 v57, v15, v59, s[84:85]
	v_cndmask_b32_e64 v15, v0, v33, s[10:11]
	v_cmp_eq_u32_e64 s[12:13], 2, v74
	v_cndmask_b32_e64 v16, v14, v59, s[80:81]
	v_cmp_eq_u32_e64 s[58:59], 3, v74
	v_cndmask_b32_e64 v14, v15, v47, s[12:13]
	v_cndmask_b32_e64 v17, v13, v59, s[74:75]
	;; [unrolled: 1-line block ×3, first 2 shown]
	s_waitcnt lgkmcnt(0)
	v_cndmask_b32_e64 v28, v28, v58, s[66:67]
	v_cndmask_b32_e64 v60, v12, v59, s[66:67]
	v_cmp_eq_u32_e64 s[66:67], 4, v74
	v_cndmask_b32_e64 v27, v27, v58, s[62:63]
	v_cndmask_b32_e64 v61, v11, v59, s[62:63]
	v_cndmask_b32_e64 v12, v13, v45, s[66:67]
	v_cmp_eq_u32_e64 s[62:63], 5, v74
	v_cndmask_b32_e64 v26, v26, v58, s[60:61]
	;; [unrolled: 4-line block ×10, first 2 shown]
	v_cndmask_b32_e64 v91, v2, v59, s[6:7]
	v_cndmask_b32_e64 v3, v6, v36, s[8:9]
	v_cmp_eq_u32_e64 s[6:7], 14, v74
	v_cndmask_b32_e32 v92, v4, v58, vcc
	v_cndmask_b32_e32 v93, v1, v59, vcc
	v_cndmask_b32_e64 v2, v3, v35, s[6:7]
	v_cmp_eq_u32_e32 vcc, 15, v74
	v_cndmask_b32_e64 v29, v29, v58, s[74:75]
	v_cndmask_b32_e64 v30, v30, v58, s[80:81]
	v_cndmask_b32_e32 v1, v2, v34, vcc
	ds_bpermute_b32 v94, v83, v1
	v_cndmask_b32_e64 v1, v32, v58, s[48:49]
	v_cndmask_b32_e64 v2, v1, v92, s[14:15]
	;; [unrolled: 1-line block ×18, first 2 shown]
	s_waitcnt lgkmcnt(0)
	v_cndmask_b32_e32 v15, v34, v94, vcc
	ds_bpermute_b32 v34, v83, v2
	v_cndmask_b32_e64 v13, v36, v94, s[8:9]
	v_cndmask_b32_e64 v36, v32, v93, s[14:15]
	;; [unrolled: 1-line block ×6, first 2 shown]
	s_waitcnt lgkmcnt(0)
	v_cndmask_b32_e64 v31, v31, v34, s[64:65]
	v_cndmask_b32_e64 v30, v30, v34, s[50:51]
	;; [unrolled: 1-line block ×38, first 2 shown]
	ds_bpermute_b32 v36, v83, v36
	v_cndmask_b32_e64 v1, v1, v28, s[38:39]
	v_cndmask_b32_e64 v1, v1, v29, s[8:9]
	;; [unrolled: 1-line block ×3, first 2 shown]
	v_cndmask_b32_e32 v1, v1, v31, vcc
	v_cndmask_b32_e64 v12, v37, v94, s[38:39]
	ds_bpermute_b32 v37, v83, v1
	v_cndmask_b32_e64 v1, v33, v94, s[10:11]
	s_waitcnt lgkmcnt(1)
	v_cndmask_b32_e64 v33, v57, v36, s[64:65]
	v_cndmask_b32_e64 v57, v86, v36, s[34:35]
	;; [unrolled: 1-line block ×35, first 2 shown]
	v_cndmask_b32_e32 v16, v16, v33, vcc
	ds_bpermute_b32 v87, v83, v16
	v_cndmask_b32_e64 v3, v46, v94, s[58:59]
	s_waitcnt lgkmcnt(1)
	v_cndmask_b32_e64 v30, v30, v37, s[6:7]
	v_readlane_b32 s71, v95, 25
	v_cmp_eq_u32_e64 s[48:49], 0, v74
	s_waitcnt lgkmcnt(0)
	v_cndmask_b32_e64 v46, v38, v87, s[6:7]
	v_readlane_b32 s6, v95, 27
	v_readlane_b32 s7, v95, 28
	;; [unrolled: 1-line block ×5, first 2 shown]
	s_mov_b32 s5, 0
	s_max_i32 s70, s71, 0
	v_subrev_u32_e32 v84, s97, v84
	v_cndmask_b32_e64 v6, v43, v94, s[60:61]
	v_cndmask_b32_e64 v5, v44, v94, s[62:63]
	;; [unrolled: 1-line block ×5, first 2 shown]
	v_cndmask_b32_e32 v31, v31, v37, vcc
	v_cndmask_b32_e64 v29, v29, v37, s[8:9]
	v_cndmask_b32_e64 v28, v28, v37, s[38:39]
	;; [unrolled: 1-line block ×14, first 2 shown]
	v_cndmask_b32_e32 v47, v33, v87, vcc
	v_cndmask_b32_e64 v45, v39, v87, s[8:9]
	v_cndmask_b32_e64 v44, v40, v87, s[38:39]
	;; [unrolled: 1-line block ×14, first 2 shown]
	v_lshl_add_u64 v[54:55], s[6:7], 0, v[48:49]
	s_mov_b64 s[6:7], 0
	s_mov_b32 s16, 0
	v_readlane_b32 s25, v95, 11
	v_readlane_b32 s27, v95, 13
	;; [unrolled: 1-line block ×10, first 2 shown]
	s_mov_b64 s[20:21], 0x80
	v_readlane_b32 s39, v95, 26
                                        ; implicit-def: $sgpr8_sgpr9
	s_branch .LBB87_29
.LBB87_27:                              ;   in Loop: Header=BB87_29 Depth=2
	s_or_b64 exec, exec, s[12:13]
	s_andn2_b64 s[8:9], s[8:9], exec
	s_and_b64 s[12:13], s[14:15], exec
	s_or_b64 s[8:9], s[8:9], s[12:13]
.LBB87_28:                              ;   in Loop: Header=BB87_29 Depth=2
	s_or_b64 exec, exec, s[10:11]
	s_and_b64 s[10:11], exec, s[8:9]
	s_or_b64 s[6:7], s[10:11], s[6:7]
	s_andn2_b64 exec, exec, s[6:7]
	s_cbranch_execz .LBB87_32
.LBB87_29:                              ;   Parent Loop BB87_7 Depth=1
                                        ; =>  This Inner Loop Header: Depth=2
	s_and_b32 s12, s5, 24
	v_or_b32_e32 v57, s12, v81
	v_add_u32_e32 v58, s70, v57
	v_cmp_gt_u32_e32 vcc, 32, v58
	s_or_b64 s[8:9], s[8:9], exec
	s_and_saveexec_b64 s[10:11], vcc
	s_cbranch_execz .LBB87_28
; %bb.30:                               ;   in Loop: Header=BB87_29 Depth=2
	s_add_i32 s13, s16, 1
	s_set_gpr_idx_on s16, gpr_idx(SRC0)
	v_mov_b32_e32 v58, v0
	s_set_gpr_idx_off
	v_cvt_f16_f32_e32 v60, v58
	s_set_gpr_idx_on s13, gpr_idx(SRC0)
	v_mov_b32_e32 v58, v0
	s_set_gpr_idx_off
	v_cvt_f16_f32_sdwa v61, v58 dst_sel:WORD_1 dst_unused:UNUSED_PAD src0_sel:DWORD
	v_mul_lo_u32 v58, v57, s89
	v_ashrrev_i32_e32 v59, 31, v58
	v_lshl_add_u64 v[58:59], v[58:59], 1, v[54:55]
	v_or_b32_e32 v57, v61, v60
	;;#ASMSTART
	global_atomic_pk_add_f16 v[58:59], v57, off
	
	;;#ASMEND
	s_set_gpr_idx_on s16, gpr_idx(SRC0)
	v_mov_b32_e32 v57, v16
	s_set_gpr_idx_off
	v_cvt_f16_f32_e32 v57, v57
	s_set_gpr_idx_on s13, gpr_idx(SRC0)
	v_mov_b32_e32 v60, v16
	s_set_gpr_idx_off
	v_cvt_f16_f32_sdwa v85, v60 dst_sel:WORD_1 dst_unused:UNUSED_PAD src0_sel:DWORD
	v_lshl_add_u64 v[60:61], v[58:59], 0, 64
	v_lshl_add_u64 v[58:59], v[58:59], 0, s[20:21]
	s_mov_b64 s[14:15], -1
	v_or_b32_e32 v57, v85, v57
	;;#ASMSTART
	global_atomic_pk_add_f16 v[60:61], v57, off
	
	;;#ASMEND
	s_set_gpr_idx_on s16, gpr_idx(SRC0)
	v_mov_b32_e32 v57, v32
	s_set_gpr_idx_off
	v_cvt_f16_f32_e32 v57, v57
	s_set_gpr_idx_on s13, gpr_idx(SRC0)
	v_mov_b32_e32 v60, v32
	s_set_gpr_idx_off
	v_cvt_f16_f32_sdwa v60, v60 dst_sel:WORD_1 dst_unused:UNUSED_PAD src0_sel:DWORD
	s_nop 0
	v_or_b32_e32 v57, v60, v57
	;;#ASMSTART
	global_atomic_pk_add_f16 v[58:59], v57, off
	
	;;#ASMEND
	v_or_b32_e32 v57, s12, v82
	v_add_u32_e32 v58, s70, v57
	v_cmp_gt_u32_e32 vcc, 32, v58
	s_and_saveexec_b64 s[12:13], vcc
	s_cbranch_execz .LBB87_27
; %bb.31:                               ;   in Loop: Header=BB87_29 Depth=2
	s_add_i32 s14, s16, 2
	s_add_i32 s15, s16, 3
	s_set_gpr_idx_on s14, gpr_idx(SRC0)
	v_mov_b32_e32 v58, v0
	s_set_gpr_idx_off
	v_cvt_f16_f32_e32 v60, v58
	s_set_gpr_idx_on s15, gpr_idx(SRC0)
	v_mov_b32_e32 v58, v0
	s_set_gpr_idx_off
	v_cvt_f16_f32_sdwa v61, v58 dst_sel:WORD_1 dst_unused:UNUSED_PAD src0_sel:DWORD
	v_mul_lo_u32 v58, v57, s89
	v_ashrrev_i32_e32 v59, 31, v58
	v_lshl_add_u64 v[58:59], v[58:59], 1, v[54:55]
	v_or_b32_e32 v57, v61, v60
	;;#ASMSTART
	global_atomic_pk_add_f16 v[58:59], v57, off
	
	;;#ASMEND
	s_set_gpr_idx_on s14, gpr_idx(SRC0)
	v_mov_b32_e32 v57, v16
	s_set_gpr_idx_off
	v_cvt_f16_f32_e32 v57, v57
	s_set_gpr_idx_on s15, gpr_idx(SRC0)
	v_mov_b32_e32 v60, v16
	s_set_gpr_idx_off
	v_cvt_f16_f32_sdwa v85, v60 dst_sel:WORD_1 dst_unused:UNUSED_PAD src0_sel:DWORD
	v_lshl_add_u64 v[60:61], v[58:59], 0, 64
	s_add_i32 s16, s16, 4
	s_add_i32 s5, s5, 8
	v_or_b32_e32 v57, v85, v57
	;;#ASMSTART
	global_atomic_pk_add_f16 v[60:61], v57, off
	
	;;#ASMEND
	s_set_gpr_idx_on s14, gpr_idx(SRC0)
	v_mov_b32_e32 v57, v32
	s_set_gpr_idx_off
	v_cvt_f16_f32_e32 v57, v57
	s_set_gpr_idx_on s15, gpr_idx(SRC0)
	v_mov_b32_e32 v60, v32
	s_set_gpr_idx_off
	v_cvt_f16_f32_sdwa v60, v60 dst_sel:WORD_1 dst_unused:UNUSED_PAD src0_sel:DWORD
	s_cmp_eq_u32 s16, 16
	s_cselect_b64 s[14:15], -1, 0
	s_orn2_b64 s[14:15], s[14:15], exec
	v_lshl_add_u64 v[58:59], v[58:59], 0, s[20:21]
	v_or_b32_e32 v57, v60, v57
	;;#ASMSTART
	global_atomic_pk_add_f16 v[58:59], v57, off
	
	;;#ASMEND
	s_branch .LBB87_27
.LBB87_32:                              ;   in Loop: Header=BB87_7 Depth=1
	s_or_b64 exec, exec, s[6:7]
	v_readlane_b32 s16, v95, 2
	v_readlane_b32 s8, v95, 23
	;; [unrolled: 1-line block ×12, first 2 shown]
.LBB87_33:                              ;   in Loop: Header=BB87_7 Depth=1
	s_or_b64 exec, exec, s[8:9]
.LBB87_34:                              ;   in Loop: Header=BB87_7 Depth=1
	s_andn2_saveexec_b64 s[0:1], s[0:1]
	s_cbranch_execz .LBB87_43
; %bb.35:                               ;   in Loop: Header=BB87_7 Depth=1
	s_mul_i32 s12, s97, 3
	v_cmp_gt_i32_e32 vcc, s12, v84
	s_and_saveexec_b64 s[6:7], vcc
	s_cbranch_execz .LBB87_42
; %bb.36:                               ;   in Loop: Header=BB87_7 Depth=1
	s_mul_i32 s4, s4, s91
	s_ashr_i32 s5, s4, 31
	s_add_u32 s4, s18, s4
	s_addc_u32 s5, s19, s5
	s_ashr_i32 s8, s39, 31
	s_add_u32 s4, s4, s39
	s_addc_u32 s5, s5, s8
	v_lshl_add_u64 v[0:1], s[4:5], 0, v[52:53]
	v_lshl_add_u64 v[8:9], v[0:1], 0, v[50:51]
	s_mov_b64 s[4:5], 0
	s_branch .LBB87_38
.LBB87_37:                              ;   in Loop: Header=BB87_38 Depth=2
	s_or_b64 exec, exec, s[8:9]
	v_lshl_or_b32 v12, v10, 11, v77
	;;#ASMSTART
	s_waitcnt vmcnt(1)
	;;#ASMEND
	ds_write2_b32 v12, v4, v5 offset1:32
	ds_write2_b32 v12, v6, v7 offset0:64 offset1:96
	v_add_u32_e32 v4, 0x400, v12
	v_add_u32_e32 v84, s94, v84
	;;#ASMSTART
	s_waitcnt vmcnt(0)
	;;#ASMEND
	ds_write2_b32 v4, v0, v1 offset1:32
	ds_write2_b32 v4, v2, v3 offset0:64 offset1:96
	v_add_u32_e32 v0, 1, v63
	v_add_u32_e32 v56, s94, v10
	v_cmp_le_i32_e32 vcc, s12, v84
	ds_write_b32 v11, v0 offset:20
	v_add_u32_e32 v0, 2, v63
	s_or_b64 s[4:5], vcc, s[4:5]
	v_cmp_lt_i32_e32 vcc, 14, v56
	s_nop 1
	v_cndmask_b32_e32 v63, v63, v0, vcc
	s_andn2_b64 exec, exec, s[4:5]
	s_cbranch_execz .LBB87_41
.LBB87_38:                              ;   Parent Loop BB87_7 Depth=1
                                        ; =>  This Loop Header: Depth=2
                                        ;       Child Loop BB87_40 Depth 3
	v_cmp_gt_i32_e32 vcc, 15, v56
	s_mov_b32 s8, 0x55555556
	s_nop 0
	v_cndmask_b32_e64 v0, -15, 0, vcc
	v_add_u32_e32 v10, v0, v56
	v_mul_hi_i32 v0, v84, s8
	v_lshrrev_b32_e32 v1, 31, v0
	v_add_u32_e32 v0, v0, v1
	v_lshl_add_u32 v1, v0, 1, v0
	v_sub_u32_e32 v2, v84, v1
	v_lshlrev_b32_e32 v0, 6, v0
	v_ashrrev_i32_e32 v1, 31, v0
	v_mul_lo_u32 v2, s33, v2
	v_lshl_add_u64 v[0:1], v[8:9], 0, v[0:1]
	v_ashrrev_i32_e32 v3, 31, v2
	v_lshl_add_u64 v[0:1], v[0:1], 0, v[2:3]
	v_lshlrev_b32_e32 v11, 2, v10
	;;#ASMSTART
	global_load_dwordx4 v[4:7], v[0:1], off offset:0   sc0 sc1 nt  
	global_load_dwordx4 v[0:3], v[0:1], off offset:32  sc0 sc1 nt  
	
	;;#ASMEND
	ds_read_b32 v12, v11 offset:40980
	v_add_u32_e32 v11, 0xa000, v11
	s_waitcnt lgkmcnt(0)
	v_cmp_ne_u32_e32 vcc, v12, v63
	s_and_saveexec_b64 s[8:9], vcc
	s_cbranch_execz .LBB87_37
; %bb.39:                               ;   in Loop: Header=BB87_38 Depth=2
	s_mov_b64 s[10:11], 0
.LBB87_40:                              ;   Parent Loop BB87_7 Depth=1
                                        ;     Parent Loop BB87_38 Depth=2
                                        ; =>    This Inner Loop Header: Depth=3
	;;#ASMSTART
	s_sleep 0
	;;#ASMEND
	ds_read_b32 v12, v11 offset:20
	s_waitcnt lgkmcnt(0)
	v_cmp_eq_u32_e32 vcc, v12, v63
	s_or_b64 s[10:11], vcc, s[10:11]
	s_andn2_b64 exec, exec, s[10:11]
	s_cbranch_execnz .LBB87_40
	s_branch .LBB87_37
.LBB87_41:                              ;   in Loop: Header=BB87_7 Depth=1
	s_or_b64 exec, exec, s[4:5]
.LBB87_42:                              ;   in Loop: Header=BB87_7 Depth=1
	s_or_b64 exec, exec, s[6:7]
	v_subrev_u32_e32 v84, s12, v84
.LBB87_43:                              ;   in Loop: Header=BB87_7 Depth=1
	s_or_b64 exec, exec, s[0:1]
.LBB87_44:                              ;   in Loop: Header=BB87_7 Depth=1
	s_andn2_saveexec_b64 s[0:1], s[98:99]
	s_cbranch_execz .LBB87_6
; %bb.45:                               ;   in Loop: Header=BB87_7 Depth=1
	v_cmp_gt_i32_e32 vcc, s97, v84
	s_and_saveexec_b64 s[4:5], vcc
	s_cbranch_execz .LBB87_5
; %bb.46:                               ;   in Loop: Header=BB87_7 Depth=1
	s_mul_i32 s3, s3, s90
	s_ashr_i32 s6, s3, 31
	s_add_u32 s3, s16, s3
	s_addc_u32 s7, s17, s6
	s_ashr_i32 s8, s39, 31
	v_cmp_le_i32_e32 vcc, s71, v78
	s_add_u32 s6, s3, s39
	s_addc_u32 s7, s7, s8
	v_cndmask_b32_e32 v0, 0, v79, vcc
	v_ashrrev_i32_e32 v1, 31, v0
	v_lshl_add_u64 v[0:1], s[6:7], 0, v[0:1]
	v_lshl_add_u64 v[8:9], v[0:1], 0, v[50:51]
	s_mov_b64 s[6:7], 0
	s_branch .LBB87_48
.LBB87_47:                              ;   in Loop: Header=BB87_48 Depth=2
	s_or_b64 exec, exec, s[8:9]
	v_lshl_add_u32 v12, v10, 11, v80
	;;#ASMSTART
	s_waitcnt vmcnt(1)
	;;#ASMEND
	ds_write2_b32 v12, v4, v5 offset1:32
	ds_write2_b32 v12, v6, v7 offset0:64 offset1:96
	v_add_u32_e32 v4, 0x400, v12
	v_add_u32_e32 v84, s93, v84
	;;#ASMSTART
	s_waitcnt vmcnt(0)
	;;#ASMEND
	ds_write2_b32 v4, v0, v1 offset1:32
	ds_write2_b32 v4, v2, v3 offset0:64 offset1:96
	v_add_u32_e32 v0, 1, v63
	v_add_u32_e32 v56, s93, v10
	v_cmp_le_i32_e32 vcc, s97, v84
	ds_write_b32 v11, v0
	v_add_u32_e32 v0, 2, v63
	s_or_b64 s[6:7], vcc, s[6:7]
	v_cmp_lt_i32_e32 vcc, 4, v56
	s_nop 1
	v_cndmask_b32_e32 v63, v63, v0, vcc
	s_andn2_b64 exec, exec, s[6:7]
	s_cbranch_execz .LBB87_4
.LBB87_48:                              ;   Parent Loop BB87_7 Depth=1
                                        ; =>  This Loop Header: Depth=2
                                        ;       Child Loop BB87_50 Depth 3
	v_cmp_gt_i32_e32 vcc, 5, v56
	s_nop 1
	v_cndmask_b32_e64 v0, -5, 0, vcc
	v_add_u32_e32 v10, v0, v56
	v_lshlrev_b32_e32 v0, 6, v84
	v_ashrrev_i32_e32 v1, 31, v0
	v_lshl_add_u64 v[0:1], v[8:9], 0, v[0:1]
	v_lshlrev_b32_e32 v11, 2, v10
	;;#ASMSTART
	global_load_dwordx4 v[4:7], v[0:1], off offset:0   
	global_load_dwordx4 v[0:3], v[0:1], off offset:32  
	
	;;#ASMEND
	ds_read_b32 v12, v11 offset:40960
	v_add_u32_e32 v11, 0xa000, v11
	s_waitcnt lgkmcnt(0)
	v_cmp_ne_u32_e32 vcc, v12, v63
	s_and_saveexec_b64 s[8:9], vcc
	s_cbranch_execz .LBB87_47
; %bb.49:                               ;   in Loop: Header=BB87_48 Depth=2
	s_mov_b64 s[10:11], 0
.LBB87_50:                              ;   Parent Loop BB87_7 Depth=1
                                        ;     Parent Loop BB87_48 Depth=2
                                        ; =>    This Inner Loop Header: Depth=3
	;;#ASMSTART
	s_sleep 0
	;;#ASMEND
	ds_read_b32 v12, v11
	s_waitcnt lgkmcnt(0)
	v_cmp_eq_u32_e32 vcc, v12, v63
	s_or_b64 s[10:11], vcc, s[10:11]
	s_andn2_b64 exec, exec, s[10:11]
	s_cbranch_execnz .LBB87_50
	s_branch .LBB87_47
.LBB87_51:
	s_endpgm
	.section	.rodata,"a",@progbits
	.p2align	6, 0x0
	.amdhsa_kernel _Z19_skinny_gemm_kernelILi1ELi3ELi5ELi32ELi4EEvPKhS1_P6__halfPKfiiiiiiii
		.amdhsa_group_segment_fixed_size 41040
		.amdhsa_private_segment_fixed_size 0
		.amdhsa_kernarg_size 64
		.amdhsa_user_sgpr_count 2
		.amdhsa_user_sgpr_dispatch_ptr 0
		.amdhsa_user_sgpr_queue_ptr 0
		.amdhsa_user_sgpr_kernarg_segment_ptr 1
		.amdhsa_user_sgpr_dispatch_id 0
		.amdhsa_user_sgpr_kernarg_preload_length 0
		.amdhsa_user_sgpr_kernarg_preload_offset 0
		.amdhsa_user_sgpr_private_segment_size 0
		.amdhsa_uses_dynamic_stack 0
		.amdhsa_enable_private_segment 0
		.amdhsa_system_sgpr_workgroup_id_x 1
		.amdhsa_system_sgpr_workgroup_id_y 0
		.amdhsa_system_sgpr_workgroup_id_z 0
		.amdhsa_system_sgpr_workgroup_info 0
		.amdhsa_system_vgpr_workitem_id 0
		.amdhsa_next_free_vgpr 96
		.amdhsa_next_free_sgpr 100
		.amdhsa_accum_offset 96
		.amdhsa_reserve_vcc 1
		.amdhsa_float_round_mode_32 0
		.amdhsa_float_round_mode_16_64 0
		.amdhsa_float_denorm_mode_32 3
		.amdhsa_float_denorm_mode_16_64 3
		.amdhsa_dx10_clamp 1
		.amdhsa_ieee_mode 1
		.amdhsa_fp16_overflow 0
		.amdhsa_tg_split 0
		.amdhsa_exception_fp_ieee_invalid_op 0
		.amdhsa_exception_fp_denorm_src 0
		.amdhsa_exception_fp_ieee_div_zero 0
		.amdhsa_exception_fp_ieee_overflow 0
		.amdhsa_exception_fp_ieee_underflow 0
		.amdhsa_exception_fp_ieee_inexact 0
		.amdhsa_exception_int_div_zero 0
	.end_amdhsa_kernel
	.section	.text._Z19_skinny_gemm_kernelILi1ELi3ELi5ELi32ELi4EEvPKhS1_P6__halfPKfiiiiiiii,"axG",@progbits,_Z19_skinny_gemm_kernelILi1ELi3ELi5ELi32ELi4EEvPKhS1_P6__halfPKfiiiiiiii,comdat
.Lfunc_end87:
	.size	_Z19_skinny_gemm_kernelILi1ELi3ELi5ELi32ELi4EEvPKhS1_P6__halfPKfiiiiiiii, .Lfunc_end87-_Z19_skinny_gemm_kernelILi1ELi3ELi5ELi32ELi4EEvPKhS1_P6__halfPKfiiiiiiii
                                        ; -- End function
	.set _Z19_skinny_gemm_kernelILi1ELi3ELi5ELi32ELi4EEvPKhS1_P6__halfPKfiiiiiiii.num_vgpr, 96
	.set _Z19_skinny_gemm_kernelILi1ELi3ELi5ELi32ELi4EEvPKhS1_P6__halfPKfiiiiiiii.num_agpr, 0
	.set _Z19_skinny_gemm_kernelILi1ELi3ELi5ELi32ELi4EEvPKhS1_P6__halfPKfiiiiiiii.numbered_sgpr, 100
	.set _Z19_skinny_gemm_kernelILi1ELi3ELi5ELi32ELi4EEvPKhS1_P6__halfPKfiiiiiiii.num_named_barrier, 0
	.set _Z19_skinny_gemm_kernelILi1ELi3ELi5ELi32ELi4EEvPKhS1_P6__halfPKfiiiiiiii.private_seg_size, 0
	.set _Z19_skinny_gemm_kernelILi1ELi3ELi5ELi32ELi4EEvPKhS1_P6__halfPKfiiiiiiii.uses_vcc, 1
	.set _Z19_skinny_gemm_kernelILi1ELi3ELi5ELi32ELi4EEvPKhS1_P6__halfPKfiiiiiiii.uses_flat_scratch, 0
	.set _Z19_skinny_gemm_kernelILi1ELi3ELi5ELi32ELi4EEvPKhS1_P6__halfPKfiiiiiiii.has_dyn_sized_stack, 0
	.set _Z19_skinny_gemm_kernelILi1ELi3ELi5ELi32ELi4EEvPKhS1_P6__halfPKfiiiiiiii.has_recursion, 0
	.set _Z19_skinny_gemm_kernelILi1ELi3ELi5ELi32ELi4EEvPKhS1_P6__halfPKfiiiiiiii.has_indirect_call, 0
	.section	.AMDGPU.csdata,"",@progbits
; Kernel info:
; codeLenInByte = 11488
; TotalNumSgprs: 106
; NumVgprs: 96
; NumAgprs: 0
; TotalNumVgprs: 96
; ScratchSize: 0
; MemoryBound: 0
; FloatMode: 240
; IeeeMode: 1
; LDSByteSize: 41040 bytes/workgroup (compile time only)
; SGPRBlocks: 13
; VGPRBlocks: 11
; NumSGPRsForWavesPerEU: 106
; NumVGPRsForWavesPerEU: 96
; AccumOffset: 96
; Occupancy: 5
; WaveLimiterHint : 0
; COMPUTE_PGM_RSRC2:SCRATCH_EN: 0
; COMPUTE_PGM_RSRC2:USER_SGPR: 2
; COMPUTE_PGM_RSRC2:TRAP_HANDLER: 0
; COMPUTE_PGM_RSRC2:TGID_X_EN: 1
; COMPUTE_PGM_RSRC2:TGID_Y_EN: 0
; COMPUTE_PGM_RSRC2:TGID_Z_EN: 0
; COMPUTE_PGM_RSRC2:TIDIG_COMP_CNT: 0
; COMPUTE_PGM_RSRC3_GFX90A:ACCUM_OFFSET: 23
; COMPUTE_PGM_RSRC3_GFX90A:TG_SPLIT: 0
	.section	.text._Z19_skinny_gemm_kernelILi1ELi3ELi6ELi16ELi4EEvPKhS1_P6__halfPKfiiiiiiii,"axG",@progbits,_Z19_skinny_gemm_kernelILi1ELi3ELi6ELi16ELi4EEvPKhS1_P6__halfPKfiiiiiiii,comdat
	.protected	_Z19_skinny_gemm_kernelILi1ELi3ELi6ELi16ELi4EEvPKhS1_P6__halfPKfiiiiiiii ; -- Begin function _Z19_skinny_gemm_kernelILi1ELi3ELi6ELi16ELi4EEvPKhS1_P6__halfPKfiiiiiiii
	.globl	_Z19_skinny_gemm_kernelILi1ELi3ELi6ELi16ELi4EEvPKhS1_P6__halfPKfiiiiiiii
	.p2align	8
	.type	_Z19_skinny_gemm_kernelILi1ELi3ELi6ELi16ELi4EEvPKhS1_P6__halfPKfiiiiiiii,@function
_Z19_skinny_gemm_kernelILi1ELi3ELi6ELi16ELi4EEvPKhS1_P6__halfPKfiiiiiiii: ; @_Z19_skinny_gemm_kernelILi1ELi3ELi6ELi16ELi4EEvPKhS1_P6__halfPKfiiiiiiii
; %bb.0:
	v_cmp_gt_u32_e32 vcc, 24, v0
	v_lshlrev_b32_e32 v1, 2, v0
	s_and_saveexec_b64 s[4:5], vcc
; %bb.1:
	v_mov_b32_e32 v2, 0
	ds_write_b32 v1, v2 offset:49152
; %bb.2:
	s_or_b64 exec, exec, s[4:5]
	s_load_dwordx8 s[20:27], s[0:1], 0x20
	s_waitcnt lgkmcnt(0)
	s_barrier
	s_add_i32 s3, s20, 15
	s_ashr_i32 s5, s3, 31
	s_add_i32 s4, s21, 47
	s_lshr_b32 s5, s5, 28
	s_mul_hi_i32 s4, s4, 0x2aaaaaab
	s_add_i32 s3, s3, s5
	s_ashr_i32 s33, s3, 4
	s_lshr_b32 s3, s4, 31
	s_ashr_i32 s48, s4, 3
	s_add_i32 s48, s48, s3
	s_mul_i32 s3, s48, s33
	s_mul_i32 s3, s3, s24
	s_add_i32 s4, s3, 0x12f
	s_mul_hi_i32 s4, s4, 0x6bca1af3
	s_lshr_b32 s5, s4, 31
	s_ashr_i32 s4, s4, 7
	s_add_i32 s4, s4, s5
	s_add_i32 s5, s2, 1
	s_mul_i32 s5, s4, s5
	v_cvt_f64_i32_e32 v[2:3], s3
	v_cvt_f64_u32_e32 v[4:5], s5
	v_min_f64 v[2:3], v[2:3], v[4:5]
	v_cvt_i32_f64_e32 v13, v[2:3]
	s_mul_i32 s49, s4, s2
	v_cmp_ge_i32_e32 vcc, s49, v13
	s_cbranch_vccnz .LBB88_48
; %bb.3:
	v_lshrrev_b32_e32 v2, 6, v0
	s_add_i32 s4, s26, s25
	s_load_dwordx8 s[36:43], s[0:1], 0x0
	v_cmp_le_i32_e64 s[0:1], s4, v2
	v_mov_b32_e32 v3, s25
	v_cmp_le_i32_e64 s[2:3], s25, v2
	v_mov_b32_e32 v4, s26
	v_cndmask_b32_e64 v4, 0, v4, s[0:1]
	v_cndmask_b32_e64 v3, 0, v3, s[2:3]
	s_abs_i32 s5, s24
	v_add_u32_e32 v3, v3, v4
	v_cvt_f32_u32_e32 v4, s5
	v_sub_u32_e32 v20, v2, v3
	s_ashr_i32 s6, s22, 31
	s_lshr_b32 s6, s6, 25
	v_rcp_iflag_f32_e32 v3, v4
	s_sub_i32 s9, 0, s5
	s_add_i32 s6, s22, s6
	s_ashr_i32 s6, s6, 7
	v_mul_f32_e32 v3, 0x4f7ffffe, v3
	v_cvt_u32_f32_e32 v3, v3
	s_abs_i32 s8, s6
	s_xor_b32 s7, s6, s24
	s_ashr_i32 s7, s7, 31
	v_readfirstlane_b32 s10, v3
	s_mul_i32 s9, s9, s10
	s_mul_hi_u32 s9, s10, s9
	s_add_i32 s10, s10, s9
	s_mul_hi_u32 s9, s8, s10
	s_mul_i32 s10, s9, s5
	s_sub_i32 s8, s8, s10
	s_add_i32 s10, s9, 1
	s_sub_i32 s11, s8, s5
	s_cmp_ge_u32 s8, s5
	s_cselect_b32 s9, s10, s9
	s_cselect_b32 s8, s11, s8
	s_add_i32 s10, s9, 1
	s_cmp_ge_u32 s8, s5
	s_cselect_b32 s5, s10, s9
	s_xor_b32 s5, s5, s7
	s_sub_i32 s50, s5, s7
	s_add_i32 s24, s24, -1
	s_mul_i32 s5, s50, s24
	s_add_i32 s4, s4, s27
	s_sub_i32 s51, s6, s5
	v_cmp_gt_i32_e64 s[4:5], s4, v2
	v_lshlrev_b32_e32 v2, 1, v0
	v_lshlrev_b32_e32 v3, 4, v0
	v_and_b32_e32 v1, 60, v1
	v_and_b32_e32 v2, 64, v2
	;; [unrolled: 1-line block ×3, first 2 shown]
	s_abs_i32 s52, s33
	v_or3_b32 v33, v1, v2, v4
	v_and_b32_e32 v1, 1, v0
	v_cvt_f32_u32_e32 v6, s52
	v_lshlrev_b32_e32 v2, 1, v1
	v_lshrrev_b32_e32 v4, 2, v0
	v_and_b32_e32 v12, 14, v0
	v_sub_u32_e32 v2, v0, v2
	v_and_or_b32 v35, v4, 12, v1
	v_bitop3_b32 v36, v0, 1, v0 bitop3:0xc
	v_bitop3_b32 v37, v0, 3, 1 bitop3:0x6c
	v_and_b32_e32 v16, 48, v3
	v_bfe_u32 v1, v0, 2, 4
	v_and_b32_e32 v3, 60, v0
	v_lshlrev_b32_e32 v5, 8, v0
	v_lshlrev_b32_e32 v0, 6, v0
	v_and_b32_e32 v5, 0x200, v5
	v_and_b32_e32 v0, 64, v0
	v_or3_b32 v40, v3, v5, v0
	v_rcp_iflag_f32_e32 v0, v6
	s_abs_i32 s54, s48
	v_mul_lo_u32 v18, s23, v1
	v_mul_lo_u32 v42, s22, v1
	v_cvt_f32_u32_e32 v1, s54
	v_mul_f32_e32 v0, 0x4f7ffffe, v0
	v_cvt_u32_f32_e32 v0, v0
	v_mad_u64_u32 v[14:15], s[6:7], s21, v35, v[12:13]
	v_rcp_iflag_f32_e32 v1, v1
	v_readfirstlane_b32 s7, v0
	s_sub_i32 s6, 0, s52
	s_mul_i32 s6, s6, s7
	v_mul_f32_e32 v0, 0x4f7ffffe, v1
	v_cvt_u32_f32_e32 v0, v0
	s_mul_hi_u32 s6, s7, s6
	v_add_u32_e32 v2, 1, v2
	s_add_i32 s56, s7, s6
	s_sub_i32 s6, 0, s54
	v_readfirstlane_b32 s7, v0
	v_mbcnt_lo_u32_b32 v0, -1, 0
	v_and_b32_e32 v2, 63, v2
	s_mul_i32 s6, s6, s7
	v_mbcnt_hi_u32_b32 v0, -1, v0
	s_mul_hi_u32 s6, s7, s6
	v_and_or_b32 v0, v0, 64, v2
	v_cndmask_b32_e64 v32, 0, 1, s[0:1]
	v_or_b32_e32 v34, 0x9000, v33
	v_or_b32_e32 v38, 16, v12
	;; [unrolled: 1-line block ×3, first 2 shown]
	v_ashrrev_i32_e32 v15, 31, v14
	s_ashr_i32 s29, s21, 31
	s_mov_b32 s28, s21
	v_ashrrev_i32_e32 v19, 31, v18
	v_mov_b32_e32 v17, 0
	s_lshl_b32 s53, s23, 4
	v_bitop3_b32 v41, v4, 15, v4 bitop3:0xc
	v_or_b32_e32 v43, 0x9000, v40
	s_ashr_i32 s55, s33, 31
	s_ashr_i32 s57, s48, 31
	s_add_i32 s58, s7, s6
	s_movk_i32 s59, 0x1800
	s_mov_b32 s60, 0x55555556
	v_lshlrev_b32_e32 v44, 2, v0
	v_not_b32_e32 v45, 17
	v_mov_b32_e32 v46, v20
	s_branch .LBB88_7
.LBB88_4:                               ;   in Loop: Header=BB88_7 Depth=1
	s_or_b64 exec, exec, s[10:11]
.LBB88_5:                               ;   in Loop: Header=BB88_7 Depth=1
	s_or_b64 exec, exec, s[8:9]
	v_subrev_u32_e32 v46, s61, v46
.LBB88_6:                               ;   in Loop: Header=BB88_7 Depth=1
	s_or_b64 exec, exec, s[6:7]
	s_add_i32 s49, s49, 1
	v_cmp_ge_i32_e32 vcc, s49, v13
	s_cbranch_vccnz .LBB88_48
.LBB88_7:                               ; =>This Loop Header: Depth=1
                                        ;     Child Loop BB88_13 Depth 2
                                        ;       Child Loop BB88_15 Depth 3
                                        ;       Child Loop BB88_18 Depth 3
	;; [unrolled: 1-line block ×4, first 2 shown]
                                        ;     Child Loop BB88_35 Depth 2
                                        ;       Child Loop BB88_37 Depth 3
                                        ;     Child Loop BB88_45 Depth 2
                                        ;       Child Loop BB88_47 Depth 3
	s_abs_i32 s7, s49
	s_mul_hi_u32 s8, s7, s56
	s_mul_i32 s9, s8, s52
	s_ashr_i32 s6, s49, 31
	s_sub_i32 s7, s7, s9
	s_xor_b32 s6, s6, s55
	s_add_i32 s9, s8, 1
	s_sub_i32 s10, s7, s52
	s_cmp_ge_u32 s7, s52
	s_cselect_b32 s8, s9, s8
	s_cselect_b32 s7, s10, s7
	s_add_i32 s9, s8, 1
	s_cmp_ge_u32 s7, s52
	s_cselect_b32 s7, s9, s8
	s_xor_b32 s7, s7, s6
	s_sub_i32 s6, s7, s6
	s_abs_i32 s8, s6
	s_mul_i32 s7, s6, s33
	s_mul_hi_u32 s9, s8, s58
	s_sub_i32 s7, s49, s7
	s_mul_i32 s10, s9, s54
	s_lshl_b32 s62, s7, 4
	s_ashr_i32 s7, s6, 31
	s_sub_i32 s8, s8, s10
	s_xor_b32 s7, s7, s57
	s_add_i32 s10, s9, 1
	s_sub_i32 s11, s8, s54
	s_cmp_ge_u32 s8, s54
	s_cselect_b32 s9, s10, s9
	s_cselect_b32 s8, s11, s8
	s_add_i32 s10, s9, 1
	s_cmp_ge_u32 s8, s54
	s_cselect_b32 s8, s10, s9
	s_xor_b32 s8, s8, s7
	s_sub_i32 s7, s8, s7
	s_mul_i32 s8, s7, s50
	s_lshl_b32 s63, s8, 7
	s_cmp_eq_u32 s7, s24
	s_cselect_b32 s61, s51, s50
	s_sub_i32 s64, s62, s20
	s_add_i32 s64, s64, 16
	s_and_saveexec_b64 s[8:9], s[2:3]
	s_xor_b64 s[30:31], exec, s[8:9]
	s_cbranch_execz .LBB88_41
; %bb.8:                                ;   in Loop: Header=BB88_7 Depth=1
	s_mul_i32 s7, s7, s48
	s_sub_i32 s6, s6, s7
	s_mul_i32 s6, s6, 48
	s_sub_i32 s18, s6, s21
	s_add_i32 s18, s18, 48
	s_max_i32 s7, s18, 0
	s_sub_i32 s34, s6, s7
	s_and_saveexec_b64 s[6:7], s[0:1]
	s_xor_b64 s[44:45], exec, s[6:7]
	s_cbranch_execz .LBB88_31
; %bb.9:                                ;   in Loop: Header=BB88_7 Depth=1
	s_and_saveexec_b64 s[46:47], s[4:5]
	s_cbranch_execz .LBB88_30
; %bb.10:                               ;   in Loop: Header=BB88_7 Depth=1
	s_waitcnt lgkmcnt(0)
	global_load_dword v47, v17, s[42:43]
	v_mov_b32_e32 v11, 0
	v_cmp_gt_i32_e32 vcc, s61, v46
	v_mov_b32_e32 v10, v11
	v_mov_b32_e32 v9, v11
	;; [unrolled: 1-line block ×11, first 2 shown]
	s_and_saveexec_b64 s[6:7], vcc
	s_cbranch_execz .LBB88_26
; %bb.11:                               ;   in Loop: Header=BB88_7 Depth=1
	v_mov_b32_e32 v0, 0
	s_mov_b64 s[8:9], 0
	v_mov_b32_e32 v1, v0
	v_mov_b32_e32 v2, v0
	;; [unrolled: 1-line block ×11, first 2 shown]
	s_branch .LBB88_13
.LBB88_12:                              ;   in Loop: Header=BB88_13 Depth=2
	s_or_b64 exec, exec, s[10:11]
	v_add_u32_e32 v29, 0x1000, v28
	ds_read2_b32 v[30:31], v29 offset1:32
	v_add_u32_e32 v46, s27, v46
	v_cmp_le_i32_e32 vcc, s61, v46
	s_or_b64 s[8:9], vcc, s[8:9]
	s_waitcnt lgkmcnt(0)
	v_mfma_f32_16x16x32_fp8_fp8 v[0:3], v[20:21], v[30:31], v[0:3]
	ds_read2_b32 v[20:21], v29 offset0:128 offset1:160
	v_add_u32_e32 v30, 0x1400, v28
	ds_read2_b32 v[28:29], v30 offset1:32
	s_waitcnt lgkmcnt(1)
	v_mfma_f32_16x16x32_fp8_fp8 v[0:3], v[26:27], v[20:21], v[0:3]
	ds_read2_b32 v[26:27], v30 offset0:128 offset1:160
	v_add_u32_e32 v20, s27, v49
	v_add_u32_e32 v21, 2, v32
	s_waitcnt lgkmcnt(1)
	v_mfma_f32_16x16x32_fp8_fp8 v[0:3], v[24:25], v[28:29], v[0:3]
	v_cmp_lt_i32_e32 vcc, 5, v20
	;;#ASMSTART
	s_waitcnt lgkmcnt(0)
	;;#ASMEND
	ds_write_b32 v48, v50 offset:49184
	s_waitcnt lgkmcnt(1)
	v_mfma_f32_16x16x32_fp8_fp8 v[0:3], v[22:23], v[26:27], v[0:3]
	v_cndmask_b32_e32 v32, v32, v21, vcc
	s_andn2_b64 exec, exec, s[8:9]
	s_cbranch_execz .LBB88_25
.LBB88_13:                              ;   Parent Loop BB88_7 Depth=1
                                        ; =>  This Loop Header: Depth=2
                                        ;       Child Loop BB88_15 Depth 3
                                        ;       Child Loop BB88_18 Depth 3
	;; [unrolled: 1-line block ×4, first 2 shown]
	v_cmp_gt_i32_e32 vcc, 6, v20
	s_nop 1
	v_cndmask_b32_e64 v21, -6, 0, vcc
	v_add_u32_e32 v49, v21, v20
	v_mul_lo_u32 v48, v49, 12
	ds_read_b32 v20, v48 offset:49176
	s_waitcnt lgkmcnt(0)
	v_cmp_ne_u32_e32 vcc, v20, v32
	s_and_saveexec_b64 s[10:11], vcc
	s_cbranch_execz .LBB88_16
; %bb.14:                               ;   in Loop: Header=BB88_13 Depth=2
	s_mov_b64 s[12:13], 0
.LBB88_15:                              ;   Parent Loop BB88_7 Depth=1
                                        ;     Parent Loop BB88_13 Depth=2
                                        ; =>    This Inner Loop Header: Depth=3
	;;#ASMSTART
	s_sleep 0
	;;#ASMEND
	ds_read_b32 v20, v48 offset:49176
	s_waitcnt lgkmcnt(0)
	v_cmp_eq_u32_e32 vcc, v20, v32
	s_or_b64 s[12:13], vcc, s[12:13]
	s_andn2_b64 exec, exec, s[12:13]
	s_cbranch_execnz .LBB88_15
.LBB88_16:                              ;   in Loop: Header=BB88_13 Depth=2
	s_or_b64 exec, exec, s[10:11]
	v_mul_lo_u32 v51, v49, s59
	v_or_b32_e32 v20, v33, v51
	ds_read2_b32 v[24:25], v20 offset1:32
	ds_read2_b32 v[22:23], v20 offset0:128 offset1:160
	v_add_u32_e32 v20, 0x400, v20
	v_add_u32_e32 v50, 1, v32
	ds_read2_b32 v[30:31], v20 offset1:32
	ds_read2_b32 v[28:29], v20 offset0:128 offset1:160
	;;#ASMSTART
	s_waitcnt lgkmcnt(0)
	;;#ASMEND
	ds_write_b32 v48, v50 offset:49176
	v_lshlrev_b32_e32 v20, 2, v49
	ds_read_b32 v21, v20 offset:49152
	v_add_u32_e32 v52, 0xc000, v20
	s_waitcnt lgkmcnt(0)
	v_cmp_ne_u32_e32 vcc, v21, v32
	s_and_saveexec_b64 s[10:11], vcc
	s_cbranch_execz .LBB88_19
; %bb.17:                               ;   in Loop: Header=BB88_13 Depth=2
	s_mov_b64 s[12:13], 0
.LBB88_18:                              ;   Parent Loop BB88_7 Depth=1
                                        ;     Parent Loop BB88_13 Depth=2
                                        ; =>    This Inner Loop Header: Depth=3
	;;#ASMSTART
	s_sleep 0
	;;#ASMEND
	ds_read_b32 v20, v52
	s_waitcnt lgkmcnt(0)
	v_cmp_eq_u32_e32 vcc, v20, v32
	s_or_b64 s[12:13], vcc, s[12:13]
	s_andn2_b64 exec, exec, s[12:13]
	s_cbranch_execnz .LBB88_18
.LBB88_19:                              ;   in Loop: Header=BB88_13 Depth=2
	s_or_b64 exec, exec, s[10:11]
	v_lshl_add_u32 v53, v49, 11, v34
	ds_read2_b32 v[20:21], v53 offset1:32
	ds_read2_b32 v[26:27], v53 offset0:128 offset1:160
	v_add_u32_e32 v53, 0x400, v53
	s_waitcnt lgkmcnt(1)
	v_mfma_f32_16x16x32_fp8_fp8 v[8:11], v[20:21], v[24:25], v[8:11]
	ds_read2_b32 v[24:25], v53 offset1:32
	s_waitcnt lgkmcnt(1)
	v_mfma_f32_16x16x32_fp8_fp8 v[8:11], v[26:27], v[22:23], v[8:11]
	s_waitcnt lgkmcnt(0)
	v_mfma_f32_16x16x32_fp8_fp8 v[8:11], v[24:25], v[30:31], v[8:11]
	ds_read2_b32 v[22:23], v53 offset0:128 offset1:160
	ds_read_b32 v30, v48 offset:49180
	ds_write_b32 v52, v50
	s_waitcnt lgkmcnt(1)
	v_cmp_ne_u32_e32 vcc, v30, v32
	v_mfma_f32_16x16x32_fp8_fp8 v[8:11], v[22:23], v[28:29], v[8:11]
	s_and_saveexec_b64 s[10:11], vcc
	s_cbranch_execz .LBB88_22
; %bb.20:                               ;   in Loop: Header=BB88_13 Depth=2
	s_mov_b64 s[12:13], 0
.LBB88_21:                              ;   Parent Loop BB88_7 Depth=1
                                        ;     Parent Loop BB88_13 Depth=2
                                        ; =>    This Inner Loop Header: Depth=3
	;;#ASMSTART
	s_sleep 0
	;;#ASMEND
	ds_read_b32 v28, v48 offset:49180
	s_waitcnt lgkmcnt(0)
	v_cmp_eq_u32_e32 vcc, v28, v32
	s_or_b64 s[12:13], vcc, s[12:13]
	s_andn2_b64 exec, exec, s[12:13]
	s_cbranch_execnz .LBB88_21
.LBB88_22:                              ;   in Loop: Header=BB88_13 Depth=2
	s_or_b64 exec, exec, s[10:11]
	v_add_u32_e32 v28, v33, v51
	v_add_u32_e32 v29, 0x800, v28
	ds_read2_b32 v[30:31], v29 offset1:32
	s_waitcnt lgkmcnt(0)
	v_mfma_f32_16x16x32_fp8_fp8 v[4:7], v[20:21], v[30:31], v[4:7]
	ds_read2_b32 v[30:31], v29 offset0:128 offset1:160
	v_add_u32_e32 v29, 0xc00, v28
	s_waitcnt lgkmcnt(0)
	v_mfma_f32_16x16x32_fp8_fp8 v[4:7], v[26:27], v[30:31], v[4:7]
	ds_read2_b32 v[30:31], v29 offset1:32
	ds_read2_b32 v[52:53], v29 offset0:128 offset1:160
	;;#ASMSTART
	s_waitcnt lgkmcnt(0)
	;;#ASMEND
	ds_read_b32 v29, v48 offset:49184
	s_waitcnt lgkmcnt(2)
	v_mfma_f32_16x16x32_fp8_fp8 v[4:7], v[24:25], v[30:31], v[4:7]
	ds_write_b32 v48, v50 offset:49180
	s_waitcnt lgkmcnt(1)
	v_cmp_ne_u32_e32 vcc, v29, v32
	v_mfma_f32_16x16x32_fp8_fp8 v[4:7], v[22:23], v[52:53], v[4:7]
	s_and_saveexec_b64 s[10:11], vcc
	s_cbranch_execz .LBB88_12
; %bb.23:                               ;   in Loop: Header=BB88_13 Depth=2
	s_mov_b64 s[12:13], 0
.LBB88_24:                              ;   Parent Loop BB88_7 Depth=1
                                        ;     Parent Loop BB88_13 Depth=2
                                        ; =>    This Inner Loop Header: Depth=3
	;;#ASMSTART
	s_sleep 0
	;;#ASMEND
	ds_read_b32 v29, v48 offset:49184
	s_waitcnt lgkmcnt(0)
	v_cmp_eq_u32_e32 vcc, v29, v32
	s_or_b64 s[12:13], vcc, s[12:13]
	s_andn2_b64 exec, exec, s[12:13]
	s_cbranch_execnz .LBB88_24
	s_branch .LBB88_12
.LBB88_25:                              ;   in Loop: Header=BB88_7 Depth=1
	s_or_b64 exec, exec, s[8:9]
.LBB88_26:                              ;   in Loop: Header=BB88_7 Depth=1
	s_or_b64 exec, exec, s[6:7]
	v_cmp_le_i32_e32 vcc, s18, v12
	v_cmp_eq_u32_e64 s[6:7], 2, v36
	v_cmp_eq_u32_e64 s[8:9], 3, v36
	s_waitcnt vmcnt(0)
	v_cndmask_b32_e32 v22, 0, v47, vcc
	v_pk_mul_f32 v[10:11], v[22:23], v[10:11] op_sel_hi:[0,1]
	v_pk_mul_f32 v[22:23], v[22:23], v[8:9] op_sel_hi:[0,1]
	v_cmp_eq_u32_e32 vcc, 1, v36
	v_cmp_eq_u32_e64 s[10:11], 0, v36
	v_cmp_le_i32_e64 s[14:15], s18, v38
	v_cndmask_b32_e32 v8, v22, v23, vcc
	v_cndmask_b32_e64 v8, v8, v10, s[6:7]
	v_cndmask_b32_e64 v8, v8, v11, s[8:9]
	ds_bpermute_b32 v21, v44, v8
	v_cmp_le_i32_e64 s[18:19], s18, v39
	v_cmp_eq_u32_e64 s[12:13], 1, v37
	v_cmp_eq_u32_e64 s[16:17], 3, v37
	s_waitcnt lgkmcnt(0)
	v_cndmask_b32_e64 v8, v11, v21, s[8:9]
	v_cndmask_b32_e64 v11, v22, v21, s[10:11]
	;; [unrolled: 1-line block ×4, first 2 shown]
	v_cndmask_b32_e32 v10, v23, v21, vcc
	v_pk_mul_f32 v[6:7], v[22:23], v[6:7] op_sel_hi:[0,1]
	v_pk_mul_f32 v[22:23], v[22:23], v[4:5] op_sel_hi:[0,1]
	v_cndmask_b32_e32 v4, v22, v23, vcc
	v_cndmask_b32_e64 v4, v4, v6, s[6:7]
	v_cndmask_b32_e64 v4, v4, v7, s[8:9]
	ds_bpermute_b32 v24, v44, v4
	v_cmp_eq_u32_e64 s[14:15], 2, v37
	v_cndmask_b32_e64 v21, v11, v10, s[12:13]
	s_waitcnt lgkmcnt(0)
	v_cndmask_b32_e64 v5, v7, v24, s[8:9]
	v_cndmask_b32_e64 v6, v6, v24, s[6:7]
	v_cndmask_b32_e32 v23, v23, v24, vcc
	v_cndmask_b32_e64 v24, v22, v24, s[10:11]
	v_cndmask_b32_e64 v22, 0, v47, s[18:19]
	v_pk_mul_f32 v[28:29], v[22:23], v[0:1] op_sel_hi:[0,1]
	v_pk_mul_f32 v[26:27], v[22:23], v[2:3] op_sel_hi:[0,1]
	v_cndmask_b32_e32 v0, v28, v29, vcc
	v_cndmask_b32_e64 v0, v0, v26, s[6:7]
	v_cndmask_b32_e64 v0, v0, v27, s[8:9]
	ds_bpermute_b32 v1, v44, v0
	v_cndmask_b32_e64 v0, v24, v23, s[12:13]
	v_cndmask_b32_e64 v0, v0, v6, s[14:15]
	;; [unrolled: 1-line block ×3, first 2 shown]
	v_cmp_ne_u32_e32 vcc, 0, v36
	ds_bpermute_b32 v7, v44, v0
	s_waitcnt lgkmcnt(1)
	v_cndmask_b32_e64 v2, v27, v1, s[8:9]
	v_cndmask_b32_e64 v3, v26, v1, s[6:7]
	v_cndmask_b32_e32 v0, v29, v1, vcc
	v_cndmask_b32_e64 v1, v28, v1, s[10:11]
	v_cndmask_b32_e64 v4, v21, v9, s[14:15]
	;; [unrolled: 1-line block ×6, first 2 shown]
	ds_bpermute_b32 v4, v44, v4
	ds_bpermute_b32 v21, v44, v21
	s_max_i32 s6, s64, 0
	v_add_u32_e32 v22, s6, v35
	v_cmp_gt_u32_e32 vcc, 16, v22
	s_and_saveexec_b64 s[12:13], vcc
	s_cbranch_execz .LBB88_29
; %bb.27:                               ;   in Loop: Header=BB88_7 Depth=1
	v_cmp_eq_u32_e64 s[8:9], 1, v37
	v_cmp_eq_u32_e64 s[10:11], 0, v37
	v_cmp_eq_u32_e32 vcc, 3, v37
	s_waitcnt lgkmcnt(1)
	v_cndmask_b32_e64 v10, v10, v4, s[8:9]
	v_cndmask_b32_e64 v23, v23, v7, s[8:9]
	s_waitcnt lgkmcnt(0)
	v_cndmask_b32_e64 v25, v0, v21, s[8:9]
	s_mul_i32 s8, s62, s21
	s_ashr_i32 s9, s8, 31
	s_lshl_b64 s[8:9], s[8:9], 1
	v_cndmask_b32_e64 v11, v11, v4, s[10:11]
	v_cndmask_b32_e64 v24, v24, v7, s[10:11]
	;; [unrolled: 1-line block ×3, first 2 shown]
	s_add_u32 s10, s40, s8
	s_addc_u32 s11, s41, s9
	s_ashr_i32 s35, s34, 31
	v_cvt_f16_f32_e32 v11, v11
	v_cvt_f16_f32_sdwa v10, v10 dst_sel:WORD_1 dst_unused:UNUSED_PAD src0_sel:DWORD
	s_lshl_b64 s[8:9], s[34:35], 1
	v_cvt_f16_f32_e32 v24, v24
	v_cvt_f16_f32_sdwa v23, v23 dst_sel:WORD_1 dst_unused:UNUSED_PAD src0_sel:DWORD
	s_add_u32 s8, s10, s8
	v_cvt_f16_f32_e32 v26, v26
	v_cvt_f16_f32_sdwa v25, v25 dst_sel:WORD_1 dst_unused:UNUSED_PAD src0_sel:DWORD
	s_addc_u32 s9, s11, s9
	v_lshl_add_u64 v[0:1], v[14:15], 1, s[8:9]
	v_or_b32_e32 v10, v10, v11
	v_cmp_eq_u32_e64 s[6:7], 2, v37
	;;#ASMSTART
	global_atomic_pk_add_f16 v[0:1], v10, off
	
	;;#ASMEND
	v_lshl_add_u64 v[10:11], v[0:1], 0, 32
	v_or_b32_e32 v23, v23, v24
	v_cmp_gt_u32_e64 s[8:9], 14, v22
	;;#ASMSTART
	global_atomic_pk_add_f16 v[10:11], v23, off
	
	;;#ASMEND
	v_lshl_add_u64 v[10:11], v[0:1], 0, 64
	v_or_b32_e32 v23, v25, v26
	;;#ASMSTART
	global_atomic_pk_add_f16 v[10:11], v23, off
	
	;;#ASMEND
	s_and_b64 exec, exec, s[8:9]
	s_cbranch_execz .LBB88_29
; %bb.28:                               ;   in Loop: Header=BB88_7 Depth=1
	v_cndmask_b32_e32 v8, v8, v4, vcc
	v_cndmask_b32_e64 v4, v9, v4, s[6:7]
	v_cndmask_b32_e32 v5, v5, v7, vcc
	v_cndmask_b32_e64 v6, v6, v7, s[6:7]
	v_cvt_f16_f32_e32 v4, v4
	v_cvt_f16_f32_sdwa v7, v8 dst_sel:WORD_1 dst_unused:UNUSED_PAD src0_sel:DWORD
	v_cndmask_b32_e32 v8, v2, v21, vcc
	v_cndmask_b32_e64 v9, v3, v21, s[6:7]
	v_cvt_f16_f32_sdwa v5, v5 dst_sel:WORD_1 dst_unused:UNUSED_PAD src0_sel:DWORD
	v_or_b32_e32 v2, v7, v4
	v_cvt_f16_f32_e32 v4, v6
	v_cvt_f16_f32_e32 v6, v9
	v_cvt_f16_f32_sdwa v7, v8 dst_sel:WORD_1 dst_unused:UNUSED_PAD src0_sel:DWORD
	v_lshl_add_u64 v[0:1], s[28:29], 2, v[0:1]
	;;#ASMSTART
	global_atomic_pk_add_f16 v[0:1], v2, off
	
	;;#ASMEND
	v_lshl_add_u64 v[2:3], v[0:1], 0, 32
	v_or_b32_e32 v4, v5, v4
	;;#ASMSTART
	global_atomic_pk_add_f16 v[2:3], v4, off
	
	;;#ASMEND
	v_lshl_add_u64 v[0:1], v[0:1], 0, 64
	v_or_b32_e32 v2, v7, v6
	;;#ASMSTART
	global_atomic_pk_add_f16 v[0:1], v2, off
	
	;;#ASMEND
.LBB88_29:                              ;   in Loop: Header=BB88_7 Depth=1
	s_or_b64 exec, exec, s[12:13]
	v_subrev_u32_e32 v46, s61, v46
.LBB88_30:                              ;   in Loop: Header=BB88_7 Depth=1
	s_or_b64 exec, exec, s[46:47]
.LBB88_31:                              ;   in Loop: Header=BB88_7 Depth=1
	s_andn2_saveexec_b64 s[6:7], s[44:45]
	s_cbranch_execz .LBB88_40
; %bb.32:                               ;   in Loop: Header=BB88_7 Depth=1
	s_mul_i32 s16, s61, 3
	v_cmp_gt_i32_e32 vcc, s16, v46
	s_and_saveexec_b64 s[8:9], vcc
	s_cbranch_execz .LBB88_39
; %bb.33:                               ;   in Loop: Header=BB88_7 Depth=1
	s_mul_i32 s10, s34, s23
	s_ashr_i32 s11, s10, 31
	s_waitcnt lgkmcnt(0)
	s_add_u32 s10, s38, s10
	s_addc_u32 s11, s39, s11
	s_ashr_i32 s12, s63, 31
	s_add_u32 s10, s10, s63
	s_addc_u32 s11, s11, s12
	v_lshl_add_u64 v[0:1], s[10:11], 0, v[18:19]
	v_lshl_add_u64 v[8:9], v[0:1], 0, v[16:17]
	s_mov_b64 s[10:11], 0
	s_branch .LBB88_35
.LBB88_34:                              ;   in Loop: Header=BB88_35 Depth=2
	s_or_b64 exec, exec, s[12:13]
	v_lshl_or_b32 v20, v10, 11, v40
	;;#ASMSTART
	s_waitcnt vmcnt(1)
	;;#ASMEND
	ds_write2_b32 v20, v4, v5 offset1:32
	ds_write2_b32 v20, v6, v7 offset0:64 offset1:96
	v_add_u32_e32 v4, 0x400, v20
	v_add_u32_e32 v46, s26, v46
	;;#ASMSTART
	s_waitcnt vmcnt(0)
	;;#ASMEND
	ds_write2_b32 v4, v0, v1 offset1:32
	ds_write2_b32 v4, v2, v3 offset0:64 offset1:96
	v_add_u32_e32 v0, 1, v32
	v_add_u32_e32 v20, s26, v10
	v_cmp_le_i32_e32 vcc, s16, v46
	ds_write_b32 v11, v0 offset:24
	v_add_u32_e32 v0, 2, v32
	s_or_b64 s[10:11], vcc, s[10:11]
	v_cmp_lt_i32_e32 vcc, 17, v20
	s_nop 1
	v_cndmask_b32_e32 v32, v32, v0, vcc
	s_andn2_b64 exec, exec, s[10:11]
	s_cbranch_execz .LBB88_38
.LBB88_35:                              ;   Parent Loop BB88_7 Depth=1
                                        ; =>  This Loop Header: Depth=2
                                        ;       Child Loop BB88_37 Depth 3
	v_cmp_gt_i32_e32 vcc, 18, v20
	s_nop 1
	v_cndmask_b32_e64 v0, v45, 0, vcc
	v_add_u32_e32 v10, v0, v20
	v_mul_hi_i32 v0, v46, s60
	v_lshrrev_b32_e32 v1, 31, v0
	v_add_u32_e32 v0, v0, v1
	v_lshl_add_u32 v1, v0, 1, v0
	v_sub_u32_e32 v2, v46, v1
	v_lshlrev_b32_e32 v0, 7, v0
	v_ashrrev_i32_e32 v1, 31, v0
	v_mul_lo_u32 v2, s53, v2
	v_lshl_add_u64 v[0:1], v[8:9], 0, v[0:1]
	v_ashrrev_i32_e32 v3, 31, v2
	v_lshl_add_u64 v[0:1], v[0:1], 0, v[2:3]
	v_lshlrev_b32_e32 v11, 2, v10
	;;#ASMSTART
	global_load_dwordx4 v[4:7], v[0:1], off offset:0   sc0 sc1 nt  
	global_load_dwordx4 v[0:3], v[0:1], off offset:64  sc0 sc1 nt  
	
	;;#ASMEND
	ds_read_b32 v20, v11 offset:49176
	v_add_u32_e32 v11, 0xc000, v11
	s_waitcnt lgkmcnt(0)
	v_cmp_ne_u32_e32 vcc, v20, v32
	s_and_saveexec_b64 s[12:13], vcc
	s_cbranch_execz .LBB88_34
; %bb.36:                               ;   in Loop: Header=BB88_35 Depth=2
	s_mov_b64 s[14:15], 0
.LBB88_37:                              ;   Parent Loop BB88_7 Depth=1
                                        ;     Parent Loop BB88_35 Depth=2
                                        ; =>    This Inner Loop Header: Depth=3
	;;#ASMSTART
	s_sleep 0
	;;#ASMEND
	ds_read_b32 v20, v11 offset:24
	s_waitcnt lgkmcnt(0)
	v_cmp_eq_u32_e32 vcc, v20, v32
	s_or_b64 s[14:15], vcc, s[14:15]
	s_andn2_b64 exec, exec, s[14:15]
	s_cbranch_execnz .LBB88_37
	s_branch .LBB88_34
.LBB88_38:                              ;   in Loop: Header=BB88_7 Depth=1
	s_or_b64 exec, exec, s[10:11]
.LBB88_39:                              ;   in Loop: Header=BB88_7 Depth=1
	s_or_b64 exec, exec, s[8:9]
	v_subrev_u32_e32 v46, s16, v46
.LBB88_40:                              ;   in Loop: Header=BB88_7 Depth=1
	s_or_b64 exec, exec, s[6:7]
.LBB88_41:                              ;   in Loop: Header=BB88_7 Depth=1
	s_andn2_saveexec_b64 s[6:7], s[30:31]
	s_cbranch_execz .LBB88_6
; %bb.42:                               ;   in Loop: Header=BB88_7 Depth=1
	v_cmp_gt_i32_e32 vcc, s61, v46
	s_and_saveexec_b64 s[8:9], vcc
	s_cbranch_execz .LBB88_5
; %bb.43:                               ;   in Loop: Header=BB88_7 Depth=1
	s_mul_i32 s62, s62, s22
	s_ashr_i32 s10, s62, 31
	s_waitcnt lgkmcnt(0)
	s_add_u32 s11, s36, s62
	s_addc_u32 s12, s37, s10
	s_ashr_i32 s13, s63, 31
	v_cmp_le_i32_e32 vcc, s64, v41
	s_add_u32 s10, s11, s63
	s_addc_u32 s11, s12, s13
	v_cndmask_b32_e32 v0, 0, v42, vcc
	v_ashrrev_i32_e32 v1, 31, v0
	v_lshl_add_u64 v[0:1], s[10:11], 0, v[0:1]
	v_lshl_add_u64 v[8:9], v[0:1], 0, v[16:17]
	s_mov_b64 s[10:11], 0
	s_branch .LBB88_45
.LBB88_44:                              ;   in Loop: Header=BB88_45 Depth=2
	s_or_b64 exec, exec, s[12:13]
	v_lshl_add_u32 v20, v10, 11, v43
	;;#ASMSTART
	s_waitcnt vmcnt(1)
	;;#ASMEND
	ds_write2_b32 v20, v4, v5 offset1:32
	ds_write2_b32 v20, v6, v7 offset0:64 offset1:96
	v_add_u32_e32 v4, 0x400, v20
	v_add_u32_e32 v46, s25, v46
	;;#ASMSTART
	s_waitcnt vmcnt(0)
	;;#ASMEND
	ds_write2_b32 v4, v0, v1 offset1:32
	ds_write2_b32 v4, v2, v3 offset0:64 offset1:96
	v_add_u32_e32 v0, 1, v32
	v_add_u32_e32 v20, s25, v10
	v_cmp_le_i32_e32 vcc, s61, v46
	ds_write_b32 v11, v0
	v_add_u32_e32 v0, 2, v32
	s_or_b64 s[10:11], vcc, s[10:11]
	v_cmp_lt_i32_e32 vcc, 5, v20
	s_nop 1
	v_cndmask_b32_e32 v32, v32, v0, vcc
	s_andn2_b64 exec, exec, s[10:11]
	s_cbranch_execz .LBB88_4
.LBB88_45:                              ;   Parent Loop BB88_7 Depth=1
                                        ; =>  This Loop Header: Depth=2
                                        ;       Child Loop BB88_47 Depth 3
	v_cmp_gt_i32_e32 vcc, 6, v20
	s_nop 1
	v_cndmask_b32_e64 v0, -6, 0, vcc
	v_add_u32_e32 v10, v0, v20
	v_lshlrev_b32_e32 v0, 7, v46
	v_ashrrev_i32_e32 v1, 31, v0
	v_lshl_add_u64 v[0:1], v[8:9], 0, v[0:1]
	v_lshlrev_b32_e32 v11, 2, v10
	;;#ASMSTART
	global_load_dwordx4 v[4:7], v[0:1], off offset:0   
	global_load_dwordx4 v[0:3], v[0:1], off offset:64  
	
	;;#ASMEND
	ds_read_b32 v20, v11 offset:49152
	v_add_u32_e32 v11, 0xc000, v11
	s_waitcnt lgkmcnt(0)
	v_cmp_ne_u32_e32 vcc, v20, v32
	s_and_saveexec_b64 s[12:13], vcc
	s_cbranch_execz .LBB88_44
; %bb.46:                               ;   in Loop: Header=BB88_45 Depth=2
	s_mov_b64 s[14:15], 0
.LBB88_47:                              ;   Parent Loop BB88_7 Depth=1
                                        ;     Parent Loop BB88_45 Depth=2
                                        ; =>    This Inner Loop Header: Depth=3
	;;#ASMSTART
	s_sleep 0
	;;#ASMEND
	ds_read_b32 v20, v11
	s_waitcnt lgkmcnt(0)
	v_cmp_eq_u32_e32 vcc, v20, v32
	s_or_b64 s[14:15], vcc, s[14:15]
	s_andn2_b64 exec, exec, s[14:15]
	s_cbranch_execnz .LBB88_47
	s_branch .LBB88_44
.LBB88_48:
	s_endpgm
	.section	.rodata,"a",@progbits
	.p2align	6, 0x0
	.amdhsa_kernel _Z19_skinny_gemm_kernelILi1ELi3ELi6ELi16ELi4EEvPKhS1_P6__halfPKfiiiiiiii
		.amdhsa_group_segment_fixed_size 49248
		.amdhsa_private_segment_fixed_size 0
		.amdhsa_kernarg_size 64
		.amdhsa_user_sgpr_count 2
		.amdhsa_user_sgpr_dispatch_ptr 0
		.amdhsa_user_sgpr_queue_ptr 0
		.amdhsa_user_sgpr_kernarg_segment_ptr 1
		.amdhsa_user_sgpr_dispatch_id 0
		.amdhsa_user_sgpr_kernarg_preload_length 0
		.amdhsa_user_sgpr_kernarg_preload_offset 0
		.amdhsa_user_sgpr_private_segment_size 0
		.amdhsa_uses_dynamic_stack 0
		.amdhsa_enable_private_segment 0
		.amdhsa_system_sgpr_workgroup_id_x 1
		.amdhsa_system_sgpr_workgroup_id_y 0
		.amdhsa_system_sgpr_workgroup_id_z 0
		.amdhsa_system_sgpr_workgroup_info 0
		.amdhsa_system_vgpr_workitem_id 0
		.amdhsa_next_free_vgpr 54
		.amdhsa_next_free_sgpr 65
		.amdhsa_accum_offset 56
		.amdhsa_reserve_vcc 1
		.amdhsa_float_round_mode_32 0
		.amdhsa_float_round_mode_16_64 0
		.amdhsa_float_denorm_mode_32 3
		.amdhsa_float_denorm_mode_16_64 3
		.amdhsa_dx10_clamp 1
		.amdhsa_ieee_mode 1
		.amdhsa_fp16_overflow 0
		.amdhsa_tg_split 0
		.amdhsa_exception_fp_ieee_invalid_op 0
		.amdhsa_exception_fp_denorm_src 0
		.amdhsa_exception_fp_ieee_div_zero 0
		.amdhsa_exception_fp_ieee_overflow 0
		.amdhsa_exception_fp_ieee_underflow 0
		.amdhsa_exception_fp_ieee_inexact 0
		.amdhsa_exception_int_div_zero 0
	.end_amdhsa_kernel
	.section	.text._Z19_skinny_gemm_kernelILi1ELi3ELi6ELi16ELi4EEvPKhS1_P6__halfPKfiiiiiiii,"axG",@progbits,_Z19_skinny_gemm_kernelILi1ELi3ELi6ELi16ELi4EEvPKhS1_P6__halfPKfiiiiiiii,comdat
.Lfunc_end88:
	.size	_Z19_skinny_gemm_kernelILi1ELi3ELi6ELi16ELi4EEvPKhS1_P6__halfPKfiiiiiiii, .Lfunc_end88-_Z19_skinny_gemm_kernelILi1ELi3ELi6ELi16ELi4EEvPKhS1_P6__halfPKfiiiiiiii
                                        ; -- End function
	.set _Z19_skinny_gemm_kernelILi1ELi3ELi6ELi16ELi4EEvPKhS1_P6__halfPKfiiiiiiii.num_vgpr, 54
	.set _Z19_skinny_gemm_kernelILi1ELi3ELi6ELi16ELi4EEvPKhS1_P6__halfPKfiiiiiiii.num_agpr, 0
	.set _Z19_skinny_gemm_kernelILi1ELi3ELi6ELi16ELi4EEvPKhS1_P6__halfPKfiiiiiiii.numbered_sgpr, 65
	.set _Z19_skinny_gemm_kernelILi1ELi3ELi6ELi16ELi4EEvPKhS1_P6__halfPKfiiiiiiii.num_named_barrier, 0
	.set _Z19_skinny_gemm_kernelILi1ELi3ELi6ELi16ELi4EEvPKhS1_P6__halfPKfiiiiiiii.private_seg_size, 0
	.set _Z19_skinny_gemm_kernelILi1ELi3ELi6ELi16ELi4EEvPKhS1_P6__halfPKfiiiiiiii.uses_vcc, 1
	.set _Z19_skinny_gemm_kernelILi1ELi3ELi6ELi16ELi4EEvPKhS1_P6__halfPKfiiiiiiii.uses_flat_scratch, 0
	.set _Z19_skinny_gemm_kernelILi1ELi3ELi6ELi16ELi4EEvPKhS1_P6__halfPKfiiiiiiii.has_dyn_sized_stack, 0
	.set _Z19_skinny_gemm_kernelILi1ELi3ELi6ELi16ELi4EEvPKhS1_P6__halfPKfiiiiiiii.has_recursion, 0
	.set _Z19_skinny_gemm_kernelILi1ELi3ELi6ELi16ELi4EEvPKhS1_P6__halfPKfiiiiiiii.has_indirect_call, 0
	.section	.AMDGPU.csdata,"",@progbits
; Kernel info:
; codeLenInByte = 3620
; TotalNumSgprs: 71
; NumVgprs: 54
; NumAgprs: 0
; TotalNumVgprs: 54
; ScratchSize: 0
; MemoryBound: 0
; FloatMode: 240
; IeeeMode: 1
; LDSByteSize: 49248 bytes/workgroup (compile time only)
; SGPRBlocks: 8
; VGPRBlocks: 6
; NumSGPRsForWavesPerEU: 71
; NumVGPRsForWavesPerEU: 54
; AccumOffset: 56
; Occupancy: 8
; WaveLimiterHint : 0
; COMPUTE_PGM_RSRC2:SCRATCH_EN: 0
; COMPUTE_PGM_RSRC2:USER_SGPR: 2
; COMPUTE_PGM_RSRC2:TRAP_HANDLER: 0
; COMPUTE_PGM_RSRC2:TGID_X_EN: 1
; COMPUTE_PGM_RSRC2:TGID_Y_EN: 0
; COMPUTE_PGM_RSRC2:TGID_Z_EN: 0
; COMPUTE_PGM_RSRC2:TIDIG_COMP_CNT: 0
; COMPUTE_PGM_RSRC3_GFX90A:ACCUM_OFFSET: 13
; COMPUTE_PGM_RSRC3_GFX90A:TG_SPLIT: 0
	.section	.text._Z19_skinny_gemm_kernelILi1ELi3ELi6ELi32ELi4EEvPKhS1_P6__halfPKfiiiiiiii,"axG",@progbits,_Z19_skinny_gemm_kernelILi1ELi3ELi6ELi32ELi4EEvPKhS1_P6__halfPKfiiiiiiii,comdat
	.protected	_Z19_skinny_gemm_kernelILi1ELi3ELi6ELi32ELi4EEvPKhS1_P6__halfPKfiiiiiiii ; -- Begin function _Z19_skinny_gemm_kernelILi1ELi3ELi6ELi32ELi4EEvPKhS1_P6__halfPKfiiiiiiii
	.globl	_Z19_skinny_gemm_kernelILi1ELi3ELi6ELi32ELi4EEvPKhS1_P6__halfPKfiiiiiiii
	.p2align	8
	.type	_Z19_skinny_gemm_kernelILi1ELi3ELi6ELi32ELi4EEvPKhS1_P6__halfPKfiiiiiiii,@function
_Z19_skinny_gemm_kernelILi1ELi3ELi6ELi32ELi4EEvPKhS1_P6__halfPKfiiiiiiii: ; @_Z19_skinny_gemm_kernelILi1ELi3ELi6ELi32ELi4EEvPKhS1_P6__halfPKfiiiiiiii
; %bb.0:
	v_cmp_gt_u32_e32 vcc, 24, v0
	s_and_saveexec_b64 s[4:5], vcc
; %bb.1:
	v_lshlrev_b32_e32 v1, 2, v0
	v_mov_b32_e32 v2, 0
	ds_write_b32 v1, v2 offset:49152
; %bb.2:
	s_or_b64 exec, exec, s[4:5]
	s_load_dwordx8 s[88:95], s[0:1], 0x20
	s_waitcnt lgkmcnt(0)
	s_barrier
	s_add_i32 s3, s88, 31
	s_ashr_i32 s5, s3, 31
	s_add_i32 s4, s89, 0x5f
	s_lshr_b32 s5, s5, 27
	s_mul_hi_i32 s4, s4, 0x2aaaaaab
	s_add_i32 s3, s3, s5
	s_ashr_i32 s14, s3, 5
	s_lshr_b32 s3, s4, 31
	s_ashr_i32 s4, s4, 4
	s_add_i32 s15, s4, s3
	s_mul_i32 s3, s15, s14
	s_mul_i32 s3, s3, s92
	s_add_i32 s4, s3, 0x12f
	s_mul_hi_i32 s4, s4, 0x6bca1af3
	s_lshr_b32 s5, s4, 31
	s_ashr_i32 s4, s4, 7
	s_add_i32 s4, s4, s5
	s_add_i32 s5, s2, 1
	s_mul_i32 s5, s4, s5
	v_cvt_f64_i32_e32 v[2:3], s3
	v_cvt_f64_u32_e32 v[4:5], s5
	v_min_f64 v[2:3], v[2:3], v[4:5]
	v_cvt_i32_f64_e32 v62, v[2:3]
	s_mul_i32 s2, s4, s2
	v_cmp_ge_i32_e32 vcc, s2, v62
	s_cbranch_vccnz .LBB89_51
; %bb.3:
	s_load_dwordx8 s[16:23], s[0:1], 0x0
	v_lshrrev_b32_e32 v1, 6, v0
	s_add_i32 s0, s94, s93
	v_cmp_le_i32_e64 s[24:25], s0, v1
	v_mov_b32_e32 v2, s93
	v_cmp_le_i32_e64 s[26:27], s93, v1
	v_mov_b32_e32 v3, s94
	v_cndmask_b32_e64 v3, 0, v3, s[24:25]
	v_cndmask_b32_e64 v2, 0, v2, s[26:27]
	s_abs_i32 s1, s92
	v_add_u32_e32 v2, v2, v3
	v_cvt_f32_u32_e32 v3, s1
	v_sub_u32_e32 v56, v1, v2
	s_ashr_i32 s3, s90, 31
	s_lshr_b32 s3, s3, 26
	v_rcp_iflag_f32_e32 v2, v3
	s_sub_i32 s6, 0, s1
	s_add_i32 s3, s90, s3
	s_ashr_i32 s3, s3, 6
	v_mul_f32_e32 v2, 0x4f7ffffe, v2
	v_cvt_u32_f32_e32 v2, v2
	s_abs_i32 s5, s3
	s_xor_b32 s4, s3, s92
	s_ashr_i32 s4, s4, 31
	v_readfirstlane_b32 s7, v2
	s_mul_i32 s6, s6, s7
	s_mul_hi_u32 s6, s7, s6
	s_add_i32 s7, s7, s6
	s_mul_hi_u32 s6, s5, s7
	s_mul_i32 s7, s6, s1
	s_sub_i32 s5, s5, s7
	s_add_i32 s7, s6, 1
	s_sub_i32 s8, s5, s1
	s_cmp_ge_u32 s5, s1
	s_cselect_b32 s6, s7, s6
	s_cselect_b32 s5, s8, s5
	s_add_i32 s7, s6, 1
	s_cmp_ge_u32 s5, s1
	v_lshrrev_b32_e32 v2, 3, v0
	v_lshrrev_b32_e32 v7, 1, v0
	s_cselect_b32 s1, s7, s6
	s_add_i32 s0, s0, s95
	v_and_b32_e32 v64, 31, v0
	v_and_b32_e32 v3, 4, v2
	;; [unrolled: 1-line block ×3, first 2 shown]
	v_lshlrev_b32_e32 v7, 4, v0
	s_add_i32 s29, s92, -1
	v_cmp_gt_i32_e64 s[34:35], s0, v1
	v_lshlrev_b32_e32 v1, 2, v64
	v_lshlrev_b32_e32 v2, 6, v3
	v_and_b32_e32 v7, 0x200, v7
	s_abs_i32 s92, s14
                                        ; implicit-def: $vgpr96 : SGPR spill to VGPR lane
	v_or_b32_e32 v4, 0x9000, v1
	v_or_b32_e32 v66, v1, v2
	v_and_b32_e32 v5, 1, v0
	v_or_b32_e32 v77, v1, v7
	v_cvt_f32_u32_e32 v1, s92
	v_writelane_b32 v96, s14, 0
	v_or_b32_e32 v65, v4, v2
	v_lshlrev_b32_e32 v2, 1, v5
	v_writelane_b32 v96, s15, 1
	v_sub_u32_e32 v2, v0, v2
	s_waitcnt lgkmcnt(0)
	v_writelane_b32 v96, s16, 2
	v_add_u32_e32 v2, 1, v2
	v_and_b32_e32 v6, 63, v2
	v_writelane_b32 v96, s17, 3
	v_bitop3_b32 v67, v0, 1, v0 bitop3:0xc
	v_bitop3_b32 v68, v0, 3, 1 bitop3:0x6c
	;; [unrolled: 1-line block ×8, first 2 shown]
	v_and_b32_e32 v2, 30, v0
	v_bitop3_b32 v78, v0, 31, v0 bitop3:0xc
	v_rcp_iflag_f32_e32 v0, v1
	s_abs_i32 s96, s15
	v_writelane_b32 v96, s18, 4
	v_cvt_f32_u32_e32 v1, s96
	v_writelane_b32 v96, s19, 5
	v_writelane_b32 v96, s20, 6
	;; [unrolled: 1-line block ×3, first 2 shown]
	v_mul_f32_e32 v0, 0x4f7ffffe, v0
	v_writelane_b32 v96, s22, 8
	v_cvt_u32_f32_e32 v0, v0
	v_rcp_iflag_f32_e32 v1, v1
	v_writelane_b32 v96, s23, 9
	v_cndmask_b32_e64 v63, 0, 1, s[24:25]
	s_xor_b32 s1, s1, s4
	v_writelane_b32 v96, s24, 10
	s_sub_i32 s28, s1, s4
	s_mul_i32 s1, s28, s29
	v_writelane_b32 v96, s25, 11
	v_writelane_b32 v96, s26, 12
	s_sub_i32 s30, s3, s1
	v_readfirstlane_b32 s1, v0
	v_mul_f32_e32 v0, 0x4f7ffffe, v1
	v_writelane_b32 v96, s27, 13
	v_cvt_u32_f32_e32 v0, v0
	v_writelane_b32 v96, s28, 14
	s_sub_i32 s0, 0, s92
	v_writelane_b32 v96, s29, 15
	s_mul_i32 s0, s0, s1
	v_writelane_b32 v96, s30, 16
	s_mul_hi_u32 s0, s1, s0
	v_writelane_b32 v96, s34, 17
	s_ashr_i32 s31, s14, 31
	s_add_i32 s36, s1, s0
	s_sub_i32 s0, 0, s96
	v_readfirstlane_b32 s1, v0
	v_mbcnt_lo_u32_b32 v0, -1, 0
	v_writelane_b32 v96, s35, 18
	s_mul_i32 s0, s0, s1
	v_mbcnt_hi_u32_b32 v0, -1, v0
	v_writelane_b32 v96, s31, 19
	v_mov_b32_e32 v49, 0
	v_mul_lo_u32 v52, s91, v64
	v_or_b32_e32 v81, v5, v3
	s_ashr_i32 s37, s15, 31
	s_mul_hi_u32 s0, s1, s0
	v_and_or_b32 v0, v0, 64, v6
	v_writelane_b32 v96, s36, 20
	v_or_b32_e32 v75, 32, v64
	v_or_b32_e32 v76, 64, v64
	v_ashrrev_i32_e32 v53, 31, v52
	v_mov_b32_e32 v51, v49
	s_lshl_b32 s33, s91, 5
	v_mul_lo_u32 v79, s90, v64
	v_or_b32_e32 v80, v4, v7
	v_or_b32_e32 v82, 2, v81
	s_add_i32 s38, s1, s0
	v_lshlrev_b32_e32 v48, 1, v2
	v_lshlrev_b32_e32 v83, 2, v0
	v_not_b32_e32 v84, 17
	v_mov_b32_e32 v85, v56
	v_writelane_b32 v96, s37, 21
	v_writelane_b32 v96, s38, 22
	s_branch .LBB89_7
.LBB89_4:                               ;   in Loop: Header=BB89_7 Depth=1
	s_or_b64 exec, exec, s[6:7]
.LBB89_5:                               ;   in Loop: Header=BB89_7 Depth=1
	s_or_b64 exec, exec, s[4:5]
	v_subrev_u32_e32 v85, s97, v85
.LBB89_6:                               ;   in Loop: Header=BB89_7 Depth=1
	s_or_b64 exec, exec, s[0:1]
	s_add_i32 s2, s2, 1
	v_cmp_ge_i32_e32 vcc, s2, v62
	s_cbranch_vccnz .LBB89_51
.LBB89_7:                               ; =>This Loop Header: Depth=1
                                        ;     Child Loop BB89_13 Depth 2
                                        ;       Child Loop BB89_15 Depth 3
                                        ;       Child Loop BB89_18 Depth 3
                                        ;       Child Loop BB89_21 Depth 3
                                        ;       Child Loop BB89_24 Depth 3
                                        ;     Child Loop BB89_29 Depth 2
                                        ;     Child Loop BB89_38 Depth 2
                                        ;       Child Loop BB89_40 Depth 3
                                        ;     Child Loop BB89_48 Depth 2
                                        ;       Child Loop BB89_50 Depth 3
	s_abs_i32 s1, s2
	s_mul_hi_u32 s3, s1, s36
	s_mul_i32 s4, s3, s92
	s_ashr_i32 s0, s2, 31
	s_sub_i32 s1, s1, s4
	s_xor_b32 s0, s0, s31
	s_add_i32 s4, s3, 1
	s_sub_i32 s5, s1, s92
	s_cmp_ge_u32 s1, s92
	s_cselect_b32 s3, s4, s3
	s_cselect_b32 s1, s5, s1
	s_add_i32 s4, s3, 1
	s_cmp_ge_u32 s1, s92
	s_cselect_b32 s1, s4, s3
	s_xor_b32 s1, s1, s0
	s_sub_i32 s0, s1, s0
	s_abs_i32 s4, s0
	s_mul_i32 s1, s0, s14
	s_mul_hi_u32 s5, s4, s38
	s_sub_i32 s1, s2, s1
	s_mul_i32 s6, s5, s96
	s_lshl_b32 s3, s1, 5
	s_ashr_i32 s1, s0, 31
	s_sub_i32 s4, s4, s6
	s_xor_b32 s1, s1, s37
	s_add_i32 s6, s5, 1
	s_sub_i32 s7, s4, s96
	s_cmp_ge_u32 s4, s96
	s_cselect_b32 s5, s6, s5
	s_cselect_b32 s4, s7, s4
	s_add_i32 s6, s5, 1
	s_cmp_ge_u32 s4, s96
	s_cselect_b32 s4, s6, s5
	s_xor_b32 s4, s4, s1
	s_sub_i32 s1, s4, s1
	s_mul_i32 s4, s1, s28
	s_lshl_b32 s39, s4, 6
	s_cmp_eq_u32 s1, s29
	s_cselect_b32 s97, s30, s28
	s_sub_i32 s4, s3, s88
	s_add_i32 s71, s4, 32
	s_and_saveexec_b64 s[4:5], s[26:27]
	s_xor_b64 s[98:99], exec, s[4:5]
	s_cbranch_execz .LBB89_44
; %bb.8:                                ;   in Loop: Header=BB89_7 Depth=1
	s_mul_i32 s1, s1, s15
	s_sub_i32 s0, s0, s1
	s_mulk_i32 s0, 0x60
	s_sub_i32 s70, s0, s89
	s_addk_i32 s70, 0x60
	s_max_i32 s1, s70, 0
	s_sub_i32 s4, s0, s1
	s_and_saveexec_b64 s[0:1], s[24:25]
	s_xor_b64 s[0:1], exec, s[0:1]
	s_cbranch_execz .LBB89_34
; %bb.9:                                ;   in Loop: Header=BB89_7 Depth=1
	s_and_saveexec_b64 s[8:9], s[34:35]
	s_cbranch_execz .LBB89_33
; %bb.10:                               ;   in Loop: Header=BB89_7 Depth=1
	global_load_dword v86, v49, s[22:23]
	v_mov_b32_e32 v47, 0
	v_writelane_b32 v96, s8, 23
	v_cmp_gt_i32_e32 vcc, s97, v85
	v_mov_b32_e32 v46, v47
	v_mov_b32_e32 v45, v47
	;; [unrolled: 1-line block ×47, first 2 shown]
	v_writelane_b32 v96, s9, 24
	s_and_saveexec_b64 s[6:7], vcc
	s_cbranch_execz .LBB89_26
; %bb.11:                               ;   in Loop: Header=BB89_7 Depth=1
	v_mov_b32_e32 v0, 0
	s_mov_b64 s[8:9], 0
	v_mov_b32_e32 v1, v0
	v_mov_b32_e32 v2, v0
	;; [unrolled: 1-line block ×47, first 2 shown]
	s_branch .LBB89_13
.LBB89_12:                              ;   in Loop: Header=BB89_13 Depth=2
	s_or_b64 exec, exec, s[10:11]
	v_add_u32_e32 v91, 0x1000, v90
	ds_read2_b32 v[92:93], v91 offset1:32
	v_add_u32_e32 v85, s95, v85
	s_waitcnt lgkmcnt(0)
	v_mfma_f32_32x32x16_fp8_fp8 v[0:15], v[60:61], v[92:93], v[0:15]
	ds_read2_b32 v[60:61], v91 offset0:128 offset1:160
	s_waitcnt lgkmcnt(0)
	v_mfma_f32_32x32x16_fp8_fp8 v[0:15], v[58:59], v[60:61], v[0:15]
	v_add_u32_e32 v60, 0x1400, v90
	ds_read2_b32 v[58:59], v60 offset1:32
	ds_read2_b32 v[60:61], v60 offset0:128 offset1:160
	ds_write_b32 v88, v89 offset:49172
	s_waitcnt lgkmcnt(2)
	v_mfma_f32_32x32x16_fp8_fp8 v[0:15], v[56:57], v[58:59], v[0:15]
	v_add_u32_e32 v56, s95, v87
	v_add_u32_e32 v57, 2, v63
	v_cmp_lt_i32_e32 vcc, 5, v56
	s_nop 1
	v_cndmask_b32_e32 v63, v63, v57, vcc
	v_cmp_le_i32_e32 vcc, s97, v85
	s_waitcnt lgkmcnt(1)
	v_mfma_f32_32x32x16_fp8_fp8 v[0:15], v[54:55], v[60:61], v[0:15]
	s_or_b64 s[8:9], vcc, s[8:9]
	s_andn2_b64 exec, exec, s[8:9]
	s_cbranch_execz .LBB89_25
.LBB89_13:                              ;   Parent Loop BB89_7 Depth=1
                                        ; =>  This Loop Header: Depth=2
                                        ;       Child Loop BB89_15 Depth 3
                                        ;       Child Loop BB89_18 Depth 3
	;; [unrolled: 1-line block ×4, first 2 shown]
	v_cmp_gt_i32_e32 vcc, 6, v56
	s_nop 1
	v_cndmask_b32_e64 v54, -6, 0, vcc
	v_add_u32_e32 v87, v54, v56
	v_mul_lo_u32 v88, v87, 24
	ds_read_b32 v54, v88 offset:49152
	s_waitcnt lgkmcnt(0)
	v_cmp_ne_u32_e32 vcc, v54, v63
	s_and_saveexec_b64 s[10:11], vcc
	s_cbranch_execz .LBB89_16
; %bb.14:                               ;   in Loop: Header=BB89_13 Depth=2
	s_mov_b64 s[12:13], 0
.LBB89_15:                              ;   Parent Loop BB89_7 Depth=1
                                        ;     Parent Loop BB89_13 Depth=2
                                        ; =>    This Inner Loop Header: Depth=3
	;;#ASMSTART
	s_sleep 0
	;;#ASMEND
	ds_read_b32 v54, v88 offset:49152
	s_waitcnt lgkmcnt(0)
	v_cmp_eq_u32_e32 vcc, v54, v63
	s_or_b64 s[12:13], vcc, s[12:13]
	s_andn2_b64 exec, exec, s[12:13]
	s_cbranch_execnz .LBB89_15
.LBB89_16:                              ;   in Loop: Header=BB89_13 Depth=2
	s_or_b64 exec, exec, s[10:11]
	v_lshl_add_u32 v54, v87, 11, v65
	ds_read2_b32 v[60:61], v54 offset1:32
	ds_read2_b32 v[58:59], v54 offset0:128 offset1:160
	v_add_u32_e32 v54, 0x400, v54
	ds_read2_b32 v[56:57], v54 offset1:32
	ds_read_b32 v90, v88 offset:49156
	ds_read2_b32 v[54:55], v54 offset0:128 offset1:160
	v_add_u32_e32 v89, 1, v63
	ds_write_b32 v88, v89 offset:49152
	s_waitcnt lgkmcnt(2)
	v_cmp_ne_u32_e32 vcc, v90, v63
	s_and_saveexec_b64 s[10:11], vcc
	s_cbranch_execz .LBB89_19
; %bb.17:                               ;   in Loop: Header=BB89_13 Depth=2
	s_mov_b64 s[12:13], 0
.LBB89_18:                              ;   Parent Loop BB89_7 Depth=1
                                        ;     Parent Loop BB89_13 Depth=2
                                        ; =>    This Inner Loop Header: Depth=3
	;;#ASMSTART
	s_sleep 0
	;;#ASMEND
	ds_read_b32 v90, v88 offset:49156
	s_waitcnt lgkmcnt(0)
	v_cmp_eq_u32_e32 vcc, v90, v63
	s_or_b64 s[12:13], vcc, s[12:13]
	s_andn2_b64 exec, exec, s[12:13]
	s_cbranch_execnz .LBB89_18
.LBB89_19:                              ;   in Loop: Header=BB89_13 Depth=2
	s_or_b64 exec, exec, s[10:11]
	s_movk_i32 s5, 0x1800
	v_mul_lo_u32 v90, v87, s5
	v_or_b32_e32 v91, v66, v90
	ds_read2_b32 v[92:93], v91 offset1:32
	ds_write_b32 v88, v89 offset:49156
	s_waitcnt lgkmcnt(1)
	v_mfma_f32_32x32x16_fp8_fp8 v[32:47], v[60:61], v[92:93], v[32:47]
	ds_read2_b32 v[92:93], v91 offset0:128 offset1:160
	v_add_u32_e32 v91, 0x400, v91
	s_waitcnt lgkmcnt(0)
	v_mfma_f32_32x32x16_fp8_fp8 v[32:47], v[58:59], v[92:93], v[32:47]
	ds_read2_b32 v[92:93], v91 offset1:32
	s_waitcnt lgkmcnt(0)
	v_mfma_f32_32x32x16_fp8_fp8 v[32:47], v[56:57], v[92:93], v[32:47]
	ds_read2_b32 v[92:93], v91 offset0:128 offset1:160
	ds_read_b32 v91, v88 offset:49164
	s_waitcnt lgkmcnt(0)
	v_cmp_ne_u32_e32 vcc, v91, v63
	v_mfma_f32_32x32x16_fp8_fp8 v[32:47], v[54:55], v[92:93], v[32:47]
	s_and_saveexec_b64 s[10:11], vcc
	s_cbranch_execz .LBB89_22
; %bb.20:                               ;   in Loop: Header=BB89_13 Depth=2
	s_mov_b64 s[12:13], 0
.LBB89_21:                              ;   Parent Loop BB89_7 Depth=1
                                        ;     Parent Loop BB89_13 Depth=2
                                        ; =>    This Inner Loop Header: Depth=3
	;;#ASMSTART
	s_sleep 0
	;;#ASMEND
	ds_read_b32 v91, v88 offset:49164
	s_waitcnt lgkmcnt(0)
	v_cmp_eq_u32_e32 vcc, v91, v63
	s_or_b64 s[12:13], vcc, s[12:13]
	s_andn2_b64 exec, exec, s[12:13]
	s_cbranch_execnz .LBB89_21
.LBB89_22:                              ;   in Loop: Header=BB89_13 Depth=2
	s_or_b64 exec, exec, s[10:11]
	v_add_u32_e32 v90, v66, v90
	v_add_u32_e32 v91, 0x800, v90
	ds_read2_b32 v[92:93], v91 offset1:32
	ds_write_b32 v88, v89 offset:49164
	s_waitcnt lgkmcnt(1)
	v_mfma_f32_32x32x16_fp8_fp8 v[16:31], v[60:61], v[92:93], v[16:31]
	ds_read2_b32 v[92:93], v91 offset0:128 offset1:160
	v_add_u32_e32 v91, 0xc00, v90
	s_waitcnt lgkmcnt(0)
	v_mfma_f32_32x32x16_fp8_fp8 v[16:31], v[58:59], v[92:93], v[16:31]
	ds_read2_b32 v[92:93], v91 offset1:32
	s_waitcnt lgkmcnt(0)
	v_mfma_f32_32x32x16_fp8_fp8 v[16:31], v[56:57], v[92:93], v[16:31]
	ds_read2_b32 v[92:93], v91 offset0:128 offset1:160
	ds_read_b32 v91, v88 offset:49172
	s_waitcnt lgkmcnt(0)
	v_cmp_ne_u32_e32 vcc, v91, v63
	v_mfma_f32_32x32x16_fp8_fp8 v[16:31], v[54:55], v[92:93], v[16:31]
	s_and_saveexec_b64 s[10:11], vcc
	s_cbranch_execz .LBB89_12
; %bb.23:                               ;   in Loop: Header=BB89_13 Depth=2
	s_mov_b64 s[12:13], 0
.LBB89_24:                              ;   Parent Loop BB89_7 Depth=1
                                        ;     Parent Loop BB89_13 Depth=2
                                        ; =>    This Inner Loop Header: Depth=3
	;;#ASMSTART
	s_sleep 0
	;;#ASMEND
	ds_read_b32 v91, v88 offset:49172
	s_waitcnt lgkmcnt(0)
	v_cmp_eq_u32_e32 vcc, v91, v63
	s_or_b64 s[12:13], vcc, s[12:13]
	s_andn2_b64 exec, exec, s[12:13]
	s_cbranch_execnz .LBB89_24
	s_branch .LBB89_12
.LBB89_25:                              ;   in Loop: Header=BB89_7 Depth=1
	s_or_b64 exec, exec, s[8:9]
.LBB89_26:                              ;   in Loop: Header=BB89_7 Depth=1
	v_writelane_b32 v96, s71, 25
	v_writelane_b32 v96, s39, 26
	s_or_b64 exec, exec, s[6:7]
	v_cmp_le_i32_e32 vcc, s70, v64
	v_cmp_eq_u32_e64 s[60:61], 1, v67
	v_cmp_eq_u32_e64 s[28:29], 2, v67
	s_waitcnt vmcnt(0)
	v_cndmask_b32_e32 v54, 0, v86, vcc
	v_pk_mul_f32 v[32:33], v[54:55], v[32:33] op_sel_hi:[0,1]
	v_pk_mul_f32 v[46:47], v[54:55], v[46:47] op_sel_hi:[0,1]
	;; [unrolled: 1-line block ×8, first 2 shown]
	v_cndmask_b32_e64 v54, v32, v33, s[60:61]
	v_cndmask_b32_e64 v54, v54, v34, s[28:29]
	v_cmp_eq_u32_e64 s[40:41], 3, v67
	v_cmp_eq_u32_e64 s[42:43], 4, v67
	v_cmp_eq_u32_e64 s[44:45], 5, v67
	v_cndmask_b32_e64 v54, v54, v35, s[40:41]
	v_cndmask_b32_e64 v54, v54, v36, s[42:43]
	v_cndmask_b32_e64 v54, v54, v37, s[44:45]
	v_cmp_eq_u32_e64 s[46:47], 6, v67
	v_cmp_eq_u32_e64 s[48:49], 7, v67
	v_cmp_eq_u32_e64 s[50:51], 8, v67
	v_cndmask_b32_e64 v54, v54, v38, s[46:47]
	;; [unrolled: 6-line block ×4, first 2 shown]
	v_cndmask_b32_e64 v54, v54, v45, s[62:63]
	v_cndmask_b32_e64 v54, v54, v46, s[64:65]
	v_cmp_eq_u32_e64 s[66:67], 15, v67
	s_mul_i32 s6, s3, s89
	s_ashr_i32 s7, s6, 31
	v_cndmask_b32_e64 v54, v54, v47, s[66:67]
	ds_bpermute_b32 v54, v83, v54
	s_lshl_b64 s[6:7], s[6:7], 1
	v_cmp_eq_u32_e64 s[36:37], 0, v67
	s_add_u32 s71, s20, s6
	v_cmp_eq_u32_e32 vcc, 1, v68
	s_waitcnt lgkmcnt(0)
	v_cndmask_b32_e64 v47, v47, v54, s[66:67]
	v_cndmask_b32_e64 v46, v46, v54, s[64:65]
	;; [unrolled: 1-line block ×16, first 2 shown]
	s_addc_u32 s72, s21, s7
	v_cndmask_b32_e32 v32, v54, v33, vcc
	v_cmp_eq_u32_e64 s[6:7], 2, v68
	v_cmp_eq_u32_e64 s[8:9], 3, v68
	v_cmp_eq_u32_e64 s[10:11], 4, v68
	v_cndmask_b32_e64 v32, v32, v88, s[6:7]
	v_cndmask_b32_e64 v32, v32, v87, s[8:9]
	v_cndmask_b32_e64 v32, v32, v61, s[10:11]
	v_cmp_eq_u32_e64 s[12:13], 5, v68
	v_cmp_eq_u32_e64 s[14:15], 6, v68
	v_cmp_eq_u32_e64 s[16:17], 7, v68
	v_cndmask_b32_e64 v32, v32, v60, s[12:13]
	v_cndmask_b32_e64 v32, v32, v59, s[14:15]
	v_cndmask_b32_e64 v32, v32, v58, s[16:17]
	;; [unrolled: 6-line block ×4, first 2 shown]
	v_cmp_eq_u32_e64 s[34:35], 14, v68
	v_cmp_eq_u32_e64 s[38:39], 15, v68
	s_ashr_i32 s5, s4, 31
	v_cndmask_b32_e64 v32, v32, v46, s[34:35]
	v_cndmask_b32_e64 v32, v32, v47, s[38:39]
	s_lshl_b64 s[68:69], s[4:5], 1
	ds_bpermute_b32 v55, v83, v32
	s_add_u32 s68, s71, s68
	s_addc_u32 s69, s72, s69
	v_writelane_b32 v96, s68, 27
	v_cmp_eq_u32_e64 s[72:73], 11, v69
	s_waitcnt lgkmcnt(0)
	v_cndmask_b32_e64 v39, v42, v55, s[22:23]
	v_writelane_b32 v96, s69, 28
	v_cmp_le_i32_e64 s[68:69], s70, v75
	v_cndmask_b32_e64 v42, v58, v55, s[16:17]
	v_cndmask_b32_e32 v33, v33, v55, vcc
	v_cndmask_b32_e64 v32, 0, v86, s[68:69]
	v_cmp_le_i32_e64 s[68:69], s70, v76
	v_pk_mul_f32 v[16:17], v[32:33], v[16:17] op_sel_hi:[0,1]
	v_cndmask_b32_e64 v34, v47, v55, s[38:39]
	v_cndmask_b32_e64 v58, 0, v86, s[68:69]
	v_cmp_eq_u32_e64 s[68:69], 0, v68
	v_pk_mul_f32 v[0:1], v[58:59], v[0:1] op_sel_hi:[0,1]
	v_cndmask_b32_e64 v35, v46, v55, s[34:35]
	v_cndmask_b32_e64 v36, v45, v55, s[30:31]
	;; [unrolled: 1-line block ×12, first 2 shown]
	v_pk_mul_f32 v[30:31], v[32:33], v[30:31] op_sel_hi:[0,1]
	v_pk_mul_f32 v[28:29], v[32:33], v[28:29] op_sel_hi:[0,1]
	;; [unrolled: 1-line block ×7, first 2 shown]
	v_cndmask_b32_e64 v32, v16, v17, s[60:61]
	v_pk_mul_f32 v[54:55], v[58:59], v[4:5] op_sel_hi:[0,1]
	v_pk_mul_f32 v[2:3], v[58:59], v[2:3] op_sel_hi:[0,1]
	v_cndmask_b32_e64 v4, v0, v1, s[60:61]
	v_cndmask_b32_e64 v32, v32, v18, s[28:29]
	;; [unrolled: 1-line block ×8, first 2 shown]
	v_pk_mul_f32 v[6:7], v[58:59], v[6:7] op_sel_hi:[0,1]
	v_cndmask_b32_e64 v4, v4, v55, s[44:45]
	v_cndmask_b32_e64 v32, v32, v22, s[46:47]
	v_cndmask_b32_e64 v4, v4, v6, s[46:47]
	v_cndmask_b32_e64 v32, v32, v23, s[48:49]
	v_pk_mul_f32 v[8:9], v[58:59], v[8:9] op_sel_hi:[0,1]
	v_cndmask_b32_e64 v4, v4, v7, s[48:49]
	v_cndmask_b32_e64 v32, v32, v24, s[50:51]
	v_cndmask_b32_e64 v4, v4, v8, s[50:51]
	v_cndmask_b32_e64 v32, v32, v25, s[52:53]
	;; [unrolled: 5-line block ×5, first 2 shown]
	v_cndmask_b32_e64 v4, v4, v15, s[66:67]
	ds_bpermute_b32 v32, v83, v32
	ds_bpermute_b32 v5, v83, v4
	v_cmp_eq_u32_e64 s[70:71], 10, v69
	v_cmp_eq_u32_e64 s[76:77], 13, v69
	;; [unrolled: 1-line block ×3, first 2 shown]
	s_waitcnt lgkmcnt(1)
	v_cndmask_b32_e64 v4, v17, v32, s[60:61]
	v_cmp_eq_u32_e64 s[60:61], 1, v69
	v_cndmask_b32_e64 v18, v18, v32, s[28:29]
	s_waitcnt lgkmcnt(0)
	v_cndmask_b32_e64 v2, v2, v5, s[28:29]
	v_cmp_ne_u32_e64 s[28:29], 0, v67
	v_cndmask_b32_e64 v17, v57, v33, s[60:61]
	v_cndmask_b32_e64 v31, v31, v32, s[66:67]
	;; [unrolled: 1-line block ×3, first 2 shown]
	v_cmp_eq_u32_e64 s[66:67], 2, v69
	v_cndmask_b32_e64 v1, v1, v5, s[28:29]
	v_cndmask_b32_e64 v16, v16, v32, s[36:37]
	;; [unrolled: 1-line block ×6, first 2 shown]
	v_cmp_eq_u32_e64 s[64:65], 3, v69
	v_cndmask_b32_e64 v29, v29, v32, s[62:63]
	v_cndmask_b32_e64 v13, v13, v5, s[62:63]
	;; [unrolled: 1-line block ×22, first 2 shown]
	v_cndmask_b32_e32 v32, v16, v4, vcc
	v_cndmask_b32_e32 v5, v0, v1, vcc
	v_cndmask_b32_e64 v17, v17, v46, s[64:65]
	v_cmp_eq_u32_e64 s[62:63], 4, v69
	v_cndmask_b32_e64 v32, v32, v18, s[6:7]
	v_cndmask_b32_e64 v5, v5, v2, s[6:7]
	v_cndmask_b32_e64 v17, v17, v45, s[62:63]
	v_cmp_eq_u32_e64 s[58:59], 5, v69
	v_cndmask_b32_e64 v32, v32, v19, s[8:9]
	v_cndmask_b32_e64 v5, v5, v3, s[8:9]
	;; [unrolled: 4-line block ×6, first 2 shown]
	v_cndmask_b32_e64 v17, v17, v40, s[50:51]
	v_cndmask_b32_e64 v32, v32, v24, s[18:19]
	;; [unrolled: 1-line block ×7, first 2 shown]
	v_cmp_eq_u32_e64 s[44:45], 12, v69
	v_cndmask_b32_e64 v32, v32, v26, s[22:23]
	v_cndmask_b32_e64 v5, v5, v10, s[22:23]
	;; [unrolled: 1-line block ×6, first 2 shown]
	v_cmp_eq_u32_e64 s[40:41], 14, v69
	v_cndmask_b32_e64 v32, v32, v28, s[26:27]
	v_cndmask_b32_e64 v5, v5, v12, s[26:27]
	;; [unrolled: 1-line block ×8, first 2 shown]
	ds_bpermute_b32 v17, v83, v17
	v_cndmask_b32_e64 v32, v32, v31, s[38:39]
	v_cndmask_b32_e64 v5, v5, v15, s[38:39]
	ds_bpermute_b32 v32, v83, v32
	ds_bpermute_b32 v5, v83, v5
	v_cmp_eq_u32_e64 s[42:43], 0, v69
	s_waitcnt lgkmcnt(2)
	v_cndmask_b32_e64 v34, v34, v17, s[78:79]
	v_cndmask_b32_e64 v35, v35, v17, s[40:41]
	;; [unrolled: 1-line block ×16, first 2 shown]
	v_cmp_eq_u32_e64 s[28:29], 1, v70
	s_waitcnt lgkmcnt(1)
	v_cndmask_b32_e64 v30, v30, v32, s[34:35]
	s_waitcnt lgkmcnt(0)
	v_cndmask_b32_e64 v14, v14, v5, s[34:35]
	v_cndmask_b32_e64 v57, v17, v33, s[28:29]
	v_cmp_eq_u32_e64 s[34:35], 2, v70
	v_cndmask_b32_e32 v1, v1, v5, vcc
	v_cndmask_b32_e64 v0, v0, v5, s[68:69]
	v_cndmask_b32_e64 v15, v15, v5, s[38:39]
	;; [unrolled: 1-line block ×5, first 2 shown]
	v_cmp_eq_u32_e64 s[30:31], 3, v70
	v_cndmask_b32_e64 v12, v12, v5, s[26:27]
	v_cndmask_b32_e64 v11, v11, v5, s[24:25]
	;; [unrolled: 1-line block ×11, first 2 shown]
	v_cndmask_b32_e32 v4, v4, v32, vcc
	v_cndmask_b32_e64 v16, v16, v32, s[68:69]
	v_cndmask_b32_e64 v5, v0, v1, s[60:61]
	;; [unrolled: 1-line block ×5, first 2 shown]
	v_cmp_eq_u32_e64 s[26:27], 4, v70
	v_cndmask_b32_e64 v27, v27, v32, s[24:25]
	v_cndmask_b32_e64 v26, v26, v32, s[22:23]
	;; [unrolled: 1-line block ×13, first 2 shown]
	v_cmp_eq_u32_e64 s[24:25], 5, v70
	v_cndmask_b32_e64 v32, v32, v18, s[66:67]
	v_cndmask_b32_e64 v5, v5, v3, s[64:65]
	v_cndmask_b32_e64 v57, v57, v44, s[24:25]
	v_cmp_eq_u32_e64 s[22:23], 6, v70
	v_cndmask_b32_e64 v32, v32, v19, s[64:65]
	v_cndmask_b32_e64 v5, v5, v54, s[62:63]
	v_cndmask_b32_e64 v57, v57, v43, s[22:23]
	;; [unrolled: 4-line block ×11, first 2 shown]
	v_cndmask_b32_e64 v32, v32, v29, s[76:77]
	v_cndmask_b32_e64 v5, v5, v14, s[40:41]
	ds_bpermute_b32 v57, v83, v57
	v_cndmask_b32_e64 v32, v32, v30, s[40:41]
	v_cndmask_b32_e64 v5, v5, v15, s[78:79]
	v_cndmask_b32_e64 v32, v32, v31, s[78:79]
	ds_bpermute_b32 v5, v83, v5
	ds_bpermute_b32 v32, v83, v32
	v_cmp_eq_u32_e64 s[14:15], 0, v70
	s_waitcnt lgkmcnt(2)
	v_cndmask_b32_e64 v33, v33, v57, s[28:29]
	v_cmp_eq_u32_e64 s[10:11], 1, v71
	v_cndmask_b32_e64 v17, v17, v57, s[14:15]
	v_cndmask_b32_e64 v34, v34, v57, s[84:85]
	;; [unrolled: 1-line block ×16, first 2 shown]
	v_cmp_eq_u32_e64 s[12:13], 2, v71
	s_waitcnt lgkmcnt(1)
	v_cndmask_b32_e64 v1, v1, v5, s[60:61]
	v_cndmask_b32_e64 v0, v0, v5, s[42:43]
	;; [unrolled: 1-line block ×6, first 2 shown]
	v_cmp_eq_u32_e64 s[20:21], 3, v71
	v_cndmask_b32_e64 v12, v12, v5, s[44:45]
	v_cndmask_b32_e64 v11, v11, v5, s[72:73]
	;; [unrolled: 1-line block ×11, first 2 shown]
	s_waitcnt lgkmcnt(0)
	v_cndmask_b32_e64 v4, v4, v32, s[60:61]
	v_cndmask_b32_e64 v16, v16, v32, s[42:43]
	;; [unrolled: 1-line block ×8, first 2 shown]
	v_cmp_eq_u32_e64 s[36:37], 4, v71
	v_cndmask_b32_e64 v27, v27, v32, s[72:73]
	v_cndmask_b32_e64 v26, v26, v32, s[70:71]
	;; [unrolled: 1-line block ×13, first 2 shown]
	v_cmp_eq_u32_e64 s[40:41], 5, v71
	v_cndmask_b32_e64 v32, v32, v18, s[34:35]
	v_cndmask_b32_e64 v5, v5, v3, s[30:31]
	v_cndmask_b32_e64 v57, v57, v44, s[40:41]
	v_cmp_eq_u32_e64 s[44:45], 6, v71
	v_cndmask_b32_e64 v32, v32, v19, s[30:31]
	v_cndmask_b32_e64 v5, v5, v54, s[26:27]
	v_cndmask_b32_e64 v57, v57, v43, s[44:45]
	v_cmp_eq_u32_e64 s[50:51], 7, v71
	v_cndmask_b32_e64 v32, v32, v20, s[26:27]
	v_cndmask_b32_e64 v5, v5, v55, s[24:25]
	v_cndmask_b32_e64 v57, v57, v42, s[50:51]
	v_cmp_eq_u32_e64 s[68:69], 8, v71
	v_cndmask_b32_e64 v32, v32, v21, s[24:25]
	v_cndmask_b32_e64 v5, v5, v6, s[22:23]
	v_cndmask_b32_e64 v57, v57, v41, s[68:69]
	v_cmp_eq_u32_e64 s[70:71], 9, v71
	v_cndmask_b32_e64 v32, v32, v22, s[22:23]
	v_cndmask_b32_e64 v5, v5, v7, s[48:49]
	v_cndmask_b32_e64 v57, v57, v40, s[70:71]
	v_cmp_eq_u32_e64 s[72:73], 10, v71
	v_cndmask_b32_e64 v32, v32, v23, s[48:49]
	v_cndmask_b32_e64 v5, v5, v8, s[18:19]
	v_cndmask_b32_e64 v57, v57, v39, s[72:73]
	v_cmp_eq_u32_e64 s[76:77], 11, v71
	v_cndmask_b32_e64 v32, v32, v24, s[18:19]
	v_cndmask_b32_e64 v5, v5, v9, s[16:17]
	v_cndmask_b32_e64 v57, v57, v38, s[76:77]
	v_cmp_eq_u32_e64 s[78:79], 12, v71
	v_cndmask_b32_e64 v32, v32, v25, s[16:17]
	v_cndmask_b32_e64 v5, v5, v10, s[46:47]
	v_cndmask_b32_e64 v57, v57, v37, s[78:79]
	v_cmp_eq_u32_e64 s[64:65], 13, v71
	v_cndmask_b32_e64 v32, v32, v26, s[46:47]
	v_cndmask_b32_e64 v5, v5, v11, s[74:75]
	v_cndmask_b32_e64 v57, v57, v36, s[64:65]
	v_cmp_eq_u32_e64 s[82:83], 14, v71
	v_cndmask_b32_e64 v32, v32, v27, s[74:75]
	v_cndmask_b32_e64 v5, v5, v12, s[38:39]
	v_cndmask_b32_e64 v57, v57, v35, s[82:83]
	v_cmp_eq_u32_e64 s[86:87], 15, v71
	v_cndmask_b32_e64 v32, v32, v28, s[38:39]
	v_cndmask_b32_e64 v5, v5, v13, s[8:9]
	v_cndmask_b32_e64 v57, v57, v34, s[86:87]
	v_cndmask_b32_e64 v32, v32, v29, s[8:9]
	v_cndmask_b32_e64 v5, v5, v14, s[80:81]
	ds_bpermute_b32 v57, v83, v57
	v_cndmask_b32_e64 v32, v32, v30, s[80:81]
	v_cndmask_b32_e64 v5, v5, v15, s[84:85]
	;; [unrolled: 1-line block ×3, first 2 shown]
	ds_bpermute_b32 v5, v83, v5
	ds_bpermute_b32 v32, v83, v32
	v_cmp_eq_u32_e64 s[58:59], 0, v71
	s_waitcnt lgkmcnt(2)
	v_cndmask_b32_e64 v33, v33, v57, s[10:11]
	v_cmp_eq_u32_e32 vcc, 1, v72
	v_cndmask_b32_e64 v17, v17, v57, s[58:59]
	v_cndmask_b32_e64 v34, v34, v57, s[86:87]
	;; [unrolled: 1-line block ×15, first 2 shown]
	v_cndmask_b32_e32 v57, v17, v33, vcc
	v_cmp_eq_u32_e64 s[6:7], 2, v72
	s_waitcnt lgkmcnt(1)
	v_cndmask_b32_e64 v1, v1, v5, s[28:29]
	v_cndmask_b32_e64 v0, v0, v5, s[14:15]
	v_cndmask_b32_e64 v15, v15, v5, s[84:85]
	v_cndmask_b32_e64 v14, v14, v5, s[80:81]
	v_cndmask_b32_e64 v57, v57, v47, s[6:7]
	s_waitcnt lgkmcnt(0)
	v_cndmask_b32_e64 v29, v29, v32, s[8:9]
	v_cndmask_b32_e64 v13, v13, v5, s[8:9]
	v_cmp_eq_u32_e64 s[8:9], 3, v72
	v_cndmask_b32_e64 v12, v12, v5, s[38:39]
	v_cndmask_b32_e64 v11, v11, v5, s[74:75]
	;; [unrolled: 1-line block ×14, first 2 shown]
	v_cmp_eq_u32_e64 s[38:39], 4, v72
	v_cndmask_b32_e64 v4, v4, v32, s[28:29]
	v_cndmask_b32_e64 v16, v16, v32, s[14:15]
	;; [unrolled: 1-line block ×7, first 2 shown]
	v_cmp_eq_u32_e64 s[42:43], 5, v72
	v_cndmask_b32_e64 v26, v26, v32, s[46:47]
	v_cndmask_b32_e64 v25, v25, v32, s[16:17]
	;; [unrolled: 1-line block ×12, first 2 shown]
	v_cmp_eq_u32_e64 s[46:47], 6, v72
	v_cndmask_b32_e64 v32, v32, v18, s[12:13]
	v_cndmask_b32_e64 v5, v5, v54, s[36:37]
	v_cndmask_b32_e64 v57, v57, v43, s[46:47]
	v_cmp_eq_u32_e64 s[52:53], 7, v72
	v_cndmask_b32_e64 v32, v32, v19, s[20:21]
	v_cndmask_b32_e64 v5, v5, v55, s[40:41]
	v_cndmask_b32_e64 v57, v57, v42, s[52:53]
	;; [unrolled: 4-line block ×10, first 2 shown]
	v_cndmask_b32_e64 v32, v32, v28, s[78:79]
	v_cndmask_b32_e64 v5, v5, v14, s[82:83]
	ds_bpermute_b32 v57, v83, v57
	v_cndmask_b32_e64 v32, v32, v29, s[64:65]
	v_cndmask_b32_e64 v5, v5, v15, s[86:87]
	;; [unrolled: 1-line block ×3, first 2 shown]
	ds_bpermute_b32 v5, v83, v5
	v_cndmask_b32_e64 v32, v32, v31, s[86:87]
	ds_bpermute_b32 v32, v83, v32
	v_cmp_eq_u32_e64 s[48:49], 0, v72
	s_waitcnt lgkmcnt(2)
	v_cndmask_b32_e32 v33, v33, v57, vcc
	v_cmp_eq_u32_e64 s[14:15], 1, v73
	v_cndmask_b32_e64 v17, v17, v57, s[48:49]
	v_cndmask_b32_e64 v34, v34, v57, s[84:85]
	;; [unrolled: 1-line block ×15, first 2 shown]
	s_waitcnt lgkmcnt(1)
	v_cndmask_b32_e64 v15, v15, v5, s[86:87]
	v_cndmask_b32_e64 v57, v17, v33, s[14:15]
	;; [unrolled: 1-line block ×3, first 2 shown]
	v_cmp_eq_u32_e64 s[16:17], 2, v73
	v_cndmask_b32_e64 v13, v13, v5, s[64:65]
	v_cndmask_b32_e64 v12, v12, v5, s[78:79]
	;; [unrolled: 1-line block ×15, first 2 shown]
	v_cmp_eq_u32_e64 s[18:19], 3, v73
	v_cndmask_b32_e32 v0, v5, v1, vcc
	s_waitcnt lgkmcnt(0)
	v_cndmask_b32_e64 v31, v31, v32, s[86:87]
	v_cndmask_b32_e64 v30, v30, v32, s[82:83]
	;; [unrolled: 1-line block ×5, first 2 shown]
	v_cmp_eq_u32_e64 s[22:23], 4, v73
	v_cndmask_b32_e64 v27, v27, v32, s[76:77]
	v_cndmask_b32_e64 v26, v26, v32, s[72:73]
	;; [unrolled: 1-line block ×14, first 2 shown]
	v_cmp_eq_u32_e64 s[24:25], 5, v73
	v_cndmask_b32_e32 v16, v32, v4, vcc
	v_cndmask_b32_e64 v0, v0, v3, s[8:9]
	v_cndmask_b32_e64 v57, v57, v44, s[24:25]
	v_cmp_eq_u32_e64 s[26:27], 6, v73
	v_cndmask_b32_e64 v16, v16, v18, s[6:7]
	v_cndmask_b32_e64 v0, v0, v54, s[38:39]
	v_cndmask_b32_e64 v57, v57, v43, s[26:27]
	v_cmp_eq_u32_e64 s[28:29], 7, v73
	v_cndmask_b32_e64 v16, v16, v19, s[8:9]
	;; [unrolled: 4-line block ×10, first 2 shown]
	v_cndmask_b32_e64 v0, v0, v13, s[74:75]
	v_cndmask_b32_e64 v57, v57, v34, s[64:65]
	;; [unrolled: 1-line block ×4, first 2 shown]
	ds_bpermute_b32 v57, v83, v57
	v_cndmask_b32_e64 v16, v16, v29, s[74:75]
	v_cndmask_b32_e64 v0, v0, v15, s[84:85]
	;; [unrolled: 1-line block ×3, first 2 shown]
	ds_bpermute_b32 v59, v83, v0
	v_cndmask_b32_e64 v16, v16, v31, s[84:85]
	ds_bpermute_b32 v58, v83, v16
	v_cmp_eq_u32_e64 s[68:69], 0, v73
	s_waitcnt lgkmcnt(2)
	v_cndmask_b32_e64 v33, v33, v57, s[14:15]
	v_cmp_eq_u32_e64 s[10:11], 1, v74
	v_cndmask_b32_e64 v0, v17, v57, s[68:69]
	v_cndmask_b32_e64 v34, v34, v57, s[64:65]
	;; [unrolled: 1-line block ×15, first 2 shown]
	s_waitcnt lgkmcnt(1)
	v_cndmask_b32_e64 v57, v15, v59, s[84:85]
	v_cndmask_b32_e64 v15, v0, v33, s[10:11]
	v_cmp_eq_u32_e64 s[12:13], 2, v74
	v_cndmask_b32_e64 v16, v14, v59, s[80:81]
	v_cmp_eq_u32_e64 s[58:59], 3, v74
	v_cndmask_b32_e64 v14, v15, v47, s[12:13]
	v_cndmask_b32_e64 v17, v13, v59, s[74:75]
	v_cndmask_b32_e64 v13, v14, v46, s[58:59]
	s_waitcnt lgkmcnt(0)
	v_cndmask_b32_e64 v28, v28, v58, s[66:67]
	v_cndmask_b32_e64 v60, v12, v59, s[66:67]
	v_cmp_eq_u32_e64 s[66:67], 4, v74
	v_cndmask_b32_e64 v27, v27, v58, s[62:63]
	v_cndmask_b32_e64 v61, v11, v59, s[62:63]
	v_cndmask_b32_e64 v12, v13, v45, s[66:67]
	v_cmp_eq_u32_e64 s[62:63], 5, v74
	v_cndmask_b32_e64 v26, v26, v58, s[60:61]
	;; [unrolled: 4-line block ×10, first 2 shown]
	v_cndmask_b32_e64 v92, v2, v59, s[6:7]
	v_cndmask_b32_e64 v3, v6, v36, s[8:9]
	v_cmp_eq_u32_e64 s[6:7], 14, v74
	v_cndmask_b32_e32 v93, v4, v58, vcc
	v_cndmask_b32_e32 v94, v1, v59, vcc
	v_cndmask_b32_e64 v2, v3, v35, s[6:7]
	v_cmp_eq_u32_e32 vcc, 15, v74
	v_cndmask_b32_e64 v29, v29, v58, s[74:75]
	v_cndmask_b32_e64 v30, v30, v58, s[80:81]
	v_cndmask_b32_e32 v1, v2, v34, vcc
	ds_bpermute_b32 v95, v83, v1
	v_cndmask_b32_e64 v1, v32, v58, s[48:49]
	v_cndmask_b32_e64 v2, v1, v93, s[14:15]
	;; [unrolled: 1-line block ×18, first 2 shown]
	s_waitcnt lgkmcnt(0)
	v_cndmask_b32_e32 v15, v34, v95, vcc
	ds_bpermute_b32 v34, v83, v2
	v_cndmask_b32_e64 v13, v36, v95, s[8:9]
	v_cndmask_b32_e64 v36, v32, v94, s[14:15]
	;; [unrolled: 1-line block ×6, first 2 shown]
	s_waitcnt lgkmcnt(0)
	v_cndmask_b32_e64 v31, v31, v34, s[64:65]
	v_cndmask_b32_e64 v30, v30, v34, s[50:51]
	;; [unrolled: 1-line block ×38, first 2 shown]
	ds_bpermute_b32 v36, v83, v36
	v_cndmask_b32_e64 v1, v1, v28, s[38:39]
	v_cndmask_b32_e64 v1, v1, v29, s[8:9]
	;; [unrolled: 1-line block ×3, first 2 shown]
	v_cndmask_b32_e32 v1, v1, v31, vcc
	v_cndmask_b32_e64 v12, v37, v95, s[38:39]
	ds_bpermute_b32 v37, v83, v1
	v_cndmask_b32_e64 v1, v33, v95, s[10:11]
	s_waitcnt lgkmcnt(1)
	v_cndmask_b32_e64 v33, v57, v36, s[64:65]
	v_cndmask_b32_e64 v57, v87, v36, s[34:35]
	;; [unrolled: 1-line block ×35, first 2 shown]
	v_cndmask_b32_e32 v16, v16, v33, vcc
	ds_bpermute_b32 v88, v83, v16
	v_cndmask_b32_e64 v3, v46, v95, s[58:59]
	s_waitcnt lgkmcnt(1)
	v_cndmask_b32_e64 v30, v30, v37, s[6:7]
	v_readlane_b32 s71, v96, 25
	v_cmp_eq_u32_e64 s[48:49], 0, v74
	s_waitcnt lgkmcnt(0)
	v_cndmask_b32_e64 v46, v38, v88, s[6:7]
	v_readlane_b32 s6, v96, 27
	v_readlane_b32 s7, v96, 28
	;; [unrolled: 1-line block ×5, first 2 shown]
	s_mov_b32 s5, 0
	s_max_i32 s70, s71, 0
	v_subrev_u32_e32 v85, s97, v85
	v_cndmask_b32_e64 v6, v43, v95, s[60:61]
	v_cndmask_b32_e64 v5, v44, v95, s[62:63]
	;; [unrolled: 1-line block ×5, first 2 shown]
	v_cndmask_b32_e32 v31, v31, v37, vcc
	v_cndmask_b32_e64 v29, v29, v37, s[8:9]
	v_cndmask_b32_e64 v28, v28, v37, s[38:39]
	;; [unrolled: 1-line block ×14, first 2 shown]
	v_cndmask_b32_e32 v47, v33, v88, vcc
	v_cndmask_b32_e64 v45, v39, v88, s[8:9]
	v_cndmask_b32_e64 v44, v40, v88, s[38:39]
	;; [unrolled: 1-line block ×14, first 2 shown]
	v_lshl_add_u64 v[54:55], s[6:7], 0, v[48:49]
	s_mov_b64 s[6:7], 0
	s_mov_b32 s16, 0
	v_readlane_b32 s25, v96, 11
	v_readlane_b32 s27, v96, 13
	v_readlane_b32 s28, v96, 14
	v_readlane_b32 s29, v96, 15
	v_readlane_b32 s30, v96, 16
	v_readlane_b32 s35, v96, 18
	v_readlane_b32 s31, v96, 19
	v_readlane_b32 s36, v96, 20
	v_readlane_b32 s37, v96, 21
	v_readlane_b32 s38, v96, 22
	s_mov_b64 s[20:21], 0x80
	v_readlane_b32 s39, v96, 26
                                        ; implicit-def: $sgpr8_sgpr9
	s_branch .LBB89_29
.LBB89_27:                              ;   in Loop: Header=BB89_29 Depth=2
	s_or_b64 exec, exec, s[12:13]
	s_andn2_b64 s[8:9], s[8:9], exec
	s_and_b64 s[12:13], s[14:15], exec
	s_or_b64 s[8:9], s[8:9], s[12:13]
.LBB89_28:                              ;   in Loop: Header=BB89_29 Depth=2
	s_or_b64 exec, exec, s[10:11]
	s_and_b64 s[10:11], exec, s[8:9]
	s_or_b64 s[6:7], s[10:11], s[6:7]
	s_andn2_b64 exec, exec, s[6:7]
	s_cbranch_execz .LBB89_32
.LBB89_29:                              ;   Parent Loop BB89_7 Depth=1
                                        ; =>  This Inner Loop Header: Depth=2
	s_and_b32 s12, s5, 24
	v_or_b32_e32 v57, s12, v81
	v_add_u32_e32 v58, s70, v57
	v_cmp_gt_u32_e32 vcc, 32, v58
	s_or_b64 s[8:9], s[8:9], exec
	s_and_saveexec_b64 s[10:11], vcc
	s_cbranch_execz .LBB89_28
; %bb.30:                               ;   in Loop: Header=BB89_29 Depth=2
	s_add_i32 s13, s16, 1
	s_set_gpr_idx_on s16, gpr_idx(SRC0)
	v_mov_b32_e32 v58, v0
	s_set_gpr_idx_off
	v_cvt_f16_f32_e32 v60, v58
	s_set_gpr_idx_on s13, gpr_idx(SRC0)
	v_mov_b32_e32 v58, v0
	s_set_gpr_idx_off
	v_cvt_f16_f32_sdwa v61, v58 dst_sel:WORD_1 dst_unused:UNUSED_PAD src0_sel:DWORD
	v_mul_lo_u32 v58, v57, s89
	v_ashrrev_i32_e32 v59, 31, v58
	v_lshl_add_u64 v[58:59], v[58:59], 1, v[54:55]
	v_or_b32_e32 v57, v61, v60
	;;#ASMSTART
	global_atomic_pk_add_f16 v[58:59], v57, off
	
	;;#ASMEND
	s_set_gpr_idx_on s16, gpr_idx(SRC0)
	v_mov_b32_e32 v57, v16
	s_set_gpr_idx_off
	v_cvt_f16_f32_e32 v57, v57
	s_set_gpr_idx_on s13, gpr_idx(SRC0)
	v_mov_b32_e32 v60, v16
	s_set_gpr_idx_off
	v_cvt_f16_f32_sdwa v86, v60 dst_sel:WORD_1 dst_unused:UNUSED_PAD src0_sel:DWORD
	v_lshl_add_u64 v[60:61], v[58:59], 0, 64
	v_lshl_add_u64 v[58:59], v[58:59], 0, s[20:21]
	s_mov_b64 s[14:15], -1
	v_or_b32_e32 v57, v86, v57
	;;#ASMSTART
	global_atomic_pk_add_f16 v[60:61], v57, off
	
	;;#ASMEND
	s_set_gpr_idx_on s16, gpr_idx(SRC0)
	v_mov_b32_e32 v57, v32
	s_set_gpr_idx_off
	v_cvt_f16_f32_e32 v57, v57
	s_set_gpr_idx_on s13, gpr_idx(SRC0)
	v_mov_b32_e32 v60, v32
	s_set_gpr_idx_off
	v_cvt_f16_f32_sdwa v60, v60 dst_sel:WORD_1 dst_unused:UNUSED_PAD src0_sel:DWORD
	s_nop 0
	v_or_b32_e32 v57, v60, v57
	;;#ASMSTART
	global_atomic_pk_add_f16 v[58:59], v57, off
	
	;;#ASMEND
	v_or_b32_e32 v57, s12, v82
	v_add_u32_e32 v58, s70, v57
	v_cmp_gt_u32_e32 vcc, 32, v58
	s_and_saveexec_b64 s[12:13], vcc
	s_cbranch_execz .LBB89_27
; %bb.31:                               ;   in Loop: Header=BB89_29 Depth=2
	s_add_i32 s14, s16, 2
	s_add_i32 s15, s16, 3
	s_set_gpr_idx_on s14, gpr_idx(SRC0)
	v_mov_b32_e32 v58, v0
	s_set_gpr_idx_off
	v_cvt_f16_f32_e32 v60, v58
	s_set_gpr_idx_on s15, gpr_idx(SRC0)
	v_mov_b32_e32 v58, v0
	s_set_gpr_idx_off
	v_cvt_f16_f32_sdwa v61, v58 dst_sel:WORD_1 dst_unused:UNUSED_PAD src0_sel:DWORD
	v_mul_lo_u32 v58, v57, s89
	v_ashrrev_i32_e32 v59, 31, v58
	v_lshl_add_u64 v[58:59], v[58:59], 1, v[54:55]
	v_or_b32_e32 v57, v61, v60
	;;#ASMSTART
	global_atomic_pk_add_f16 v[58:59], v57, off
	
	;;#ASMEND
	s_set_gpr_idx_on s14, gpr_idx(SRC0)
	v_mov_b32_e32 v57, v16
	s_set_gpr_idx_off
	v_cvt_f16_f32_e32 v57, v57
	s_set_gpr_idx_on s15, gpr_idx(SRC0)
	v_mov_b32_e32 v60, v16
	s_set_gpr_idx_off
	v_cvt_f16_f32_sdwa v86, v60 dst_sel:WORD_1 dst_unused:UNUSED_PAD src0_sel:DWORD
	v_lshl_add_u64 v[60:61], v[58:59], 0, 64
	s_add_i32 s16, s16, 4
	s_add_i32 s5, s5, 8
	v_or_b32_e32 v57, v86, v57
	;;#ASMSTART
	global_atomic_pk_add_f16 v[60:61], v57, off
	
	;;#ASMEND
	s_set_gpr_idx_on s14, gpr_idx(SRC0)
	v_mov_b32_e32 v57, v32
	s_set_gpr_idx_off
	v_cvt_f16_f32_e32 v57, v57
	s_set_gpr_idx_on s15, gpr_idx(SRC0)
	v_mov_b32_e32 v60, v32
	s_set_gpr_idx_off
	v_cvt_f16_f32_sdwa v60, v60 dst_sel:WORD_1 dst_unused:UNUSED_PAD src0_sel:DWORD
	s_cmp_eq_u32 s16, 16
	s_cselect_b64 s[14:15], -1, 0
	s_orn2_b64 s[14:15], s[14:15], exec
	v_lshl_add_u64 v[58:59], v[58:59], 0, s[20:21]
	v_or_b32_e32 v57, v60, v57
	;;#ASMSTART
	global_atomic_pk_add_f16 v[58:59], v57, off
	
	;;#ASMEND
	s_branch .LBB89_27
.LBB89_32:                              ;   in Loop: Header=BB89_7 Depth=1
	s_or_b64 exec, exec, s[6:7]
	v_readlane_b32 s16, v96, 2
	v_readlane_b32 s8, v96, 23
	;; [unrolled: 1-line block ×12, first 2 shown]
.LBB89_33:                              ;   in Loop: Header=BB89_7 Depth=1
	s_or_b64 exec, exec, s[8:9]
.LBB89_34:                              ;   in Loop: Header=BB89_7 Depth=1
	s_andn2_saveexec_b64 s[0:1], s[0:1]
	s_cbranch_execz .LBB89_43
; %bb.35:                               ;   in Loop: Header=BB89_7 Depth=1
	s_mul_i32 s12, s97, 3
	v_cmp_gt_i32_e32 vcc, s12, v85
	s_and_saveexec_b64 s[6:7], vcc
	s_cbranch_execz .LBB89_42
; %bb.36:                               ;   in Loop: Header=BB89_7 Depth=1
	s_mul_i32 s4, s4, s91
	s_ashr_i32 s5, s4, 31
	s_add_u32 s4, s18, s4
	s_addc_u32 s5, s19, s5
	s_ashr_i32 s8, s39, 31
	s_add_u32 s4, s4, s39
	s_addc_u32 s5, s5, s8
	v_lshl_add_u64 v[0:1], s[4:5], 0, v[52:53]
	v_lshl_add_u64 v[8:9], v[0:1], 0, v[50:51]
	s_mov_b64 s[4:5], 0
	s_branch .LBB89_38
.LBB89_37:                              ;   in Loop: Header=BB89_38 Depth=2
	s_or_b64 exec, exec, s[8:9]
	v_lshl_or_b32 v12, v10, 11, v77
	;;#ASMSTART
	s_waitcnt vmcnt(1)
	;;#ASMEND
	ds_write2_b32 v12, v4, v5 offset1:32
	ds_write2_b32 v12, v6, v7 offset0:64 offset1:96
	v_add_u32_e32 v4, 0x400, v12
	v_add_u32_e32 v85, s94, v85
	;;#ASMSTART
	s_waitcnt vmcnt(0)
	;;#ASMEND
	ds_write2_b32 v4, v0, v1 offset1:32
	ds_write2_b32 v4, v2, v3 offset0:64 offset1:96
	v_add_u32_e32 v0, 1, v63
	v_add_u32_e32 v56, s94, v10
	v_cmp_le_i32_e32 vcc, s12, v85
	ds_write_b32 v11, v0 offset:24
	v_add_u32_e32 v0, 2, v63
	s_or_b64 s[4:5], vcc, s[4:5]
	v_cmp_lt_i32_e32 vcc, 17, v56
	s_nop 1
	v_cndmask_b32_e32 v63, v63, v0, vcc
	s_andn2_b64 exec, exec, s[4:5]
	s_cbranch_execz .LBB89_41
.LBB89_38:                              ;   Parent Loop BB89_7 Depth=1
                                        ; =>  This Loop Header: Depth=2
                                        ;       Child Loop BB89_40 Depth 3
	v_cmp_gt_i32_e32 vcc, 18, v56
	s_mov_b32 s8, 0x55555556
	s_nop 0
	v_cndmask_b32_e64 v0, v84, 0, vcc
	v_add_u32_e32 v10, v0, v56
	v_mul_hi_i32 v0, v85, s8
	v_lshrrev_b32_e32 v1, 31, v0
	v_add_u32_e32 v0, v0, v1
	v_lshl_add_u32 v1, v0, 1, v0
	v_sub_u32_e32 v2, v85, v1
	v_lshlrev_b32_e32 v0, 6, v0
	v_ashrrev_i32_e32 v1, 31, v0
	v_mul_lo_u32 v2, s33, v2
	v_lshl_add_u64 v[0:1], v[8:9], 0, v[0:1]
	v_ashrrev_i32_e32 v3, 31, v2
	v_lshl_add_u64 v[0:1], v[0:1], 0, v[2:3]
	v_lshlrev_b32_e32 v11, 2, v10
	;;#ASMSTART
	global_load_dwordx4 v[4:7], v[0:1], off offset:0   sc0 sc1 nt  
	global_load_dwordx4 v[0:3], v[0:1], off offset:32  sc0 sc1 nt  
	
	;;#ASMEND
	ds_read_b32 v12, v11 offset:49176
	v_add_u32_e32 v11, 0xc000, v11
	s_waitcnt lgkmcnt(0)
	v_cmp_ne_u32_e32 vcc, v12, v63
	s_and_saveexec_b64 s[8:9], vcc
	s_cbranch_execz .LBB89_37
; %bb.39:                               ;   in Loop: Header=BB89_38 Depth=2
	s_mov_b64 s[10:11], 0
.LBB89_40:                              ;   Parent Loop BB89_7 Depth=1
                                        ;     Parent Loop BB89_38 Depth=2
                                        ; =>    This Inner Loop Header: Depth=3
	;;#ASMSTART
	s_sleep 0
	;;#ASMEND
	ds_read_b32 v12, v11 offset:24
	s_waitcnt lgkmcnt(0)
	v_cmp_eq_u32_e32 vcc, v12, v63
	s_or_b64 s[10:11], vcc, s[10:11]
	s_andn2_b64 exec, exec, s[10:11]
	s_cbranch_execnz .LBB89_40
	s_branch .LBB89_37
.LBB89_41:                              ;   in Loop: Header=BB89_7 Depth=1
	s_or_b64 exec, exec, s[4:5]
.LBB89_42:                              ;   in Loop: Header=BB89_7 Depth=1
	s_or_b64 exec, exec, s[6:7]
	v_subrev_u32_e32 v85, s12, v85
.LBB89_43:                              ;   in Loop: Header=BB89_7 Depth=1
	s_or_b64 exec, exec, s[0:1]
.LBB89_44:                              ;   in Loop: Header=BB89_7 Depth=1
	s_andn2_saveexec_b64 s[0:1], s[98:99]
	s_cbranch_execz .LBB89_6
; %bb.45:                               ;   in Loop: Header=BB89_7 Depth=1
	v_cmp_gt_i32_e32 vcc, s97, v85
	s_and_saveexec_b64 s[4:5], vcc
	s_cbranch_execz .LBB89_5
; %bb.46:                               ;   in Loop: Header=BB89_7 Depth=1
	s_mul_i32 s3, s3, s90
	s_ashr_i32 s6, s3, 31
	s_add_u32 s3, s16, s3
	s_addc_u32 s7, s17, s6
	s_ashr_i32 s8, s39, 31
	v_cmp_le_i32_e32 vcc, s71, v78
	s_add_u32 s6, s3, s39
	s_addc_u32 s7, s7, s8
	v_cndmask_b32_e32 v0, 0, v79, vcc
	v_ashrrev_i32_e32 v1, 31, v0
	v_lshl_add_u64 v[0:1], s[6:7], 0, v[0:1]
	v_lshl_add_u64 v[8:9], v[0:1], 0, v[50:51]
	s_mov_b64 s[6:7], 0
	s_branch .LBB89_48
.LBB89_47:                              ;   in Loop: Header=BB89_48 Depth=2
	s_or_b64 exec, exec, s[8:9]
	v_lshl_add_u32 v12, v10, 11, v80
	;;#ASMSTART
	s_waitcnt vmcnt(1)
	;;#ASMEND
	ds_write2_b32 v12, v4, v5 offset1:32
	ds_write2_b32 v12, v6, v7 offset0:64 offset1:96
	v_add_u32_e32 v4, 0x400, v12
	v_add_u32_e32 v85, s93, v85
	;;#ASMSTART
	s_waitcnt vmcnt(0)
	;;#ASMEND
	ds_write2_b32 v4, v0, v1 offset1:32
	ds_write2_b32 v4, v2, v3 offset0:64 offset1:96
	v_add_u32_e32 v0, 1, v63
	v_add_u32_e32 v56, s93, v10
	v_cmp_le_i32_e32 vcc, s97, v85
	ds_write_b32 v11, v0
	v_add_u32_e32 v0, 2, v63
	s_or_b64 s[6:7], vcc, s[6:7]
	v_cmp_lt_i32_e32 vcc, 5, v56
	s_nop 1
	v_cndmask_b32_e32 v63, v63, v0, vcc
	s_andn2_b64 exec, exec, s[6:7]
	s_cbranch_execz .LBB89_4
.LBB89_48:                              ;   Parent Loop BB89_7 Depth=1
                                        ; =>  This Loop Header: Depth=2
                                        ;       Child Loop BB89_50 Depth 3
	v_cmp_gt_i32_e32 vcc, 6, v56
	s_nop 1
	v_cndmask_b32_e64 v0, -6, 0, vcc
	v_add_u32_e32 v10, v0, v56
	v_lshlrev_b32_e32 v0, 6, v85
	v_ashrrev_i32_e32 v1, 31, v0
	v_lshl_add_u64 v[0:1], v[8:9], 0, v[0:1]
	v_lshlrev_b32_e32 v11, 2, v10
	;;#ASMSTART
	global_load_dwordx4 v[4:7], v[0:1], off offset:0   
	global_load_dwordx4 v[0:3], v[0:1], off offset:32  
	
	;;#ASMEND
	ds_read_b32 v12, v11 offset:49152
	v_add_u32_e32 v11, 0xc000, v11
	s_waitcnt lgkmcnt(0)
	v_cmp_ne_u32_e32 vcc, v12, v63
	s_and_saveexec_b64 s[8:9], vcc
	s_cbranch_execz .LBB89_47
; %bb.49:                               ;   in Loop: Header=BB89_48 Depth=2
	s_mov_b64 s[10:11], 0
.LBB89_50:                              ;   Parent Loop BB89_7 Depth=1
                                        ;     Parent Loop BB89_48 Depth=2
                                        ; =>    This Inner Loop Header: Depth=3
	;;#ASMSTART
	s_sleep 0
	;;#ASMEND
	ds_read_b32 v12, v11
	s_waitcnt lgkmcnt(0)
	v_cmp_eq_u32_e32 vcc, v12, v63
	s_or_b64 s[10:11], vcc, s[10:11]
	s_andn2_b64 exec, exec, s[10:11]
	s_cbranch_execnz .LBB89_50
	s_branch .LBB89_47
.LBB89_51:
	s_endpgm
	.section	.rodata,"a",@progbits
	.p2align	6, 0x0
	.amdhsa_kernel _Z19_skinny_gemm_kernelILi1ELi3ELi6ELi32ELi4EEvPKhS1_P6__halfPKfiiiiiiii
		.amdhsa_group_segment_fixed_size 49248
		.amdhsa_private_segment_fixed_size 0
		.amdhsa_kernarg_size 64
		.amdhsa_user_sgpr_count 2
		.amdhsa_user_sgpr_dispatch_ptr 0
		.amdhsa_user_sgpr_queue_ptr 0
		.amdhsa_user_sgpr_kernarg_segment_ptr 1
		.amdhsa_user_sgpr_dispatch_id 0
		.amdhsa_user_sgpr_kernarg_preload_length 0
		.amdhsa_user_sgpr_kernarg_preload_offset 0
		.amdhsa_user_sgpr_private_segment_size 0
		.amdhsa_uses_dynamic_stack 0
		.amdhsa_enable_private_segment 0
		.amdhsa_system_sgpr_workgroup_id_x 1
		.amdhsa_system_sgpr_workgroup_id_y 0
		.amdhsa_system_sgpr_workgroup_id_z 0
		.amdhsa_system_sgpr_workgroup_info 0
		.amdhsa_system_vgpr_workitem_id 0
		.amdhsa_next_free_vgpr 97
		.amdhsa_next_free_sgpr 100
		.amdhsa_accum_offset 100
		.amdhsa_reserve_vcc 1
		.amdhsa_float_round_mode_32 0
		.amdhsa_float_round_mode_16_64 0
		.amdhsa_float_denorm_mode_32 3
		.amdhsa_float_denorm_mode_16_64 3
		.amdhsa_dx10_clamp 1
		.amdhsa_ieee_mode 1
		.amdhsa_fp16_overflow 0
		.amdhsa_tg_split 0
		.amdhsa_exception_fp_ieee_invalid_op 0
		.amdhsa_exception_fp_denorm_src 0
		.amdhsa_exception_fp_ieee_div_zero 0
		.amdhsa_exception_fp_ieee_overflow 0
		.amdhsa_exception_fp_ieee_underflow 0
		.amdhsa_exception_fp_ieee_inexact 0
		.amdhsa_exception_int_div_zero 0
	.end_amdhsa_kernel
	.section	.text._Z19_skinny_gemm_kernelILi1ELi3ELi6ELi32ELi4EEvPKhS1_P6__halfPKfiiiiiiii,"axG",@progbits,_Z19_skinny_gemm_kernelILi1ELi3ELi6ELi32ELi4EEvPKhS1_P6__halfPKfiiiiiiii,comdat
.Lfunc_end89:
	.size	_Z19_skinny_gemm_kernelILi1ELi3ELi6ELi32ELi4EEvPKhS1_P6__halfPKfiiiiiiii, .Lfunc_end89-_Z19_skinny_gemm_kernelILi1ELi3ELi6ELi32ELi4EEvPKhS1_P6__halfPKfiiiiiiii
                                        ; -- End function
	.set _Z19_skinny_gemm_kernelILi1ELi3ELi6ELi32ELi4EEvPKhS1_P6__halfPKfiiiiiiii.num_vgpr, 97
	.set _Z19_skinny_gemm_kernelILi1ELi3ELi6ELi32ELi4EEvPKhS1_P6__halfPKfiiiiiiii.num_agpr, 0
	.set _Z19_skinny_gemm_kernelILi1ELi3ELi6ELi32ELi4EEvPKhS1_P6__halfPKfiiiiiiii.numbered_sgpr, 100
	.set _Z19_skinny_gemm_kernelILi1ELi3ELi6ELi32ELi4EEvPKhS1_P6__halfPKfiiiiiiii.num_named_barrier, 0
	.set _Z19_skinny_gemm_kernelILi1ELi3ELi6ELi32ELi4EEvPKhS1_P6__halfPKfiiiiiiii.private_seg_size, 0
	.set _Z19_skinny_gemm_kernelILi1ELi3ELi6ELi32ELi4EEvPKhS1_P6__halfPKfiiiiiiii.uses_vcc, 1
	.set _Z19_skinny_gemm_kernelILi1ELi3ELi6ELi32ELi4EEvPKhS1_P6__halfPKfiiiiiiii.uses_flat_scratch, 0
	.set _Z19_skinny_gemm_kernelILi1ELi3ELi6ELi32ELi4EEvPKhS1_P6__halfPKfiiiiiiii.has_dyn_sized_stack, 0
	.set _Z19_skinny_gemm_kernelILi1ELi3ELi6ELi32ELi4EEvPKhS1_P6__halfPKfiiiiiiii.has_recursion, 0
	.set _Z19_skinny_gemm_kernelILi1ELi3ELi6ELi32ELi4EEvPKhS1_P6__halfPKfiiiiiiii.has_indirect_call, 0
	.section	.AMDGPU.csdata,"",@progbits
; Kernel info:
; codeLenInByte = 11492
; TotalNumSgprs: 106
; NumVgprs: 97
; NumAgprs: 0
; TotalNumVgprs: 97
; ScratchSize: 0
; MemoryBound: 0
; FloatMode: 240
; IeeeMode: 1
; LDSByteSize: 49248 bytes/workgroup (compile time only)
; SGPRBlocks: 13
; VGPRBlocks: 12
; NumSGPRsForWavesPerEU: 106
; NumVGPRsForWavesPerEU: 97
; AccumOffset: 100
; Occupancy: 4
; WaveLimiterHint : 0
; COMPUTE_PGM_RSRC2:SCRATCH_EN: 0
; COMPUTE_PGM_RSRC2:USER_SGPR: 2
; COMPUTE_PGM_RSRC2:TRAP_HANDLER: 0
; COMPUTE_PGM_RSRC2:TGID_X_EN: 1
; COMPUTE_PGM_RSRC2:TGID_Y_EN: 0
; COMPUTE_PGM_RSRC2:TGID_Z_EN: 0
; COMPUTE_PGM_RSRC2:TIDIG_COMP_CNT: 0
; COMPUTE_PGM_RSRC3_GFX90A:ACCUM_OFFSET: 24
; COMPUTE_PGM_RSRC3_GFX90A:TG_SPLIT: 0
	.section	.text._Z19_skinny_gemm_kernelILi1ELi4ELi1ELi8ELi4EEvPKhS1_P6__halfPKfiiiiiiii,"axG",@progbits,_Z19_skinny_gemm_kernelILi1ELi4ELi1ELi8ELi4EEvPKhS1_P6__halfPKfiiiiiiii,comdat
	.protected	_Z19_skinny_gemm_kernelILi1ELi4ELi1ELi8ELi4EEvPKhS1_P6__halfPKfiiiiiiii ; -- Begin function _Z19_skinny_gemm_kernelILi1ELi4ELi1ELi8ELi4EEvPKhS1_P6__halfPKfiiiiiiii
	.globl	_Z19_skinny_gemm_kernelILi1ELi4ELi1ELi8ELi4EEvPKhS1_P6__halfPKfiiiiiiii
	.p2align	8
	.type	_Z19_skinny_gemm_kernelILi1ELi4ELi1ELi8ELi4EEvPKhS1_P6__halfPKfiiiiiiii,@function
_Z19_skinny_gemm_kernelILi1ELi4ELi1ELi8ELi4EEvPKhS1_P6__halfPKfiiiiiiii: ; @_Z19_skinny_gemm_kernelILi1ELi4ELi1ELi8ELi4EEvPKhS1_P6__halfPKfiiiiiiii
; %bb.0:
	v_cmp_gt_u32_e32 vcc, 5, v0
	v_lshlrev_b32_e32 v1, 2, v0
	s_and_saveexec_b64 s[4:5], vcc
; %bb.1:
	v_mov_b32_e32 v2, 0
	ds_write_b32 v1, v2 offset:18432
; %bb.2:
	s_or_b64 exec, exec, s[4:5]
	s_load_dwordx8 s[12:19], s[0:1], 0x20
	s_waitcnt lgkmcnt(0)
	s_barrier
	s_add_i32 s3, s12, 7
	s_ashr_i32 s5, s3, 31
	s_add_i32 s4, s13, 63
	s_lshr_b32 s5, s5, 29
	s_ashr_i32 s6, s4, 31
	s_add_i32 s3, s3, s5
	s_ashr_i32 s33, s3, 3
	s_lshr_b32 s3, s6, 26
	s_add_i32 s4, s4, s3
	s_ashr_i32 s44, s4, 6
	s_mul_i32 s3, s44, s33
	s_mul_i32 s3, s3, s16
	s_add_i32 s4, s3, 0x12f
	s_mul_hi_i32 s4, s4, 0x6bca1af3
	s_lshr_b32 s5, s4, 31
	s_ashr_i32 s4, s4, 7
	s_add_i32 s4, s4, s5
	s_add_i32 s5, s2, 1
	s_mul_i32 s5, s4, s5
	v_cvt_f64_i32_e32 v[2:3], s3
	v_cvt_f64_u32_e32 v[4:5], s5
	v_min_f64 v[2:3], v[2:3], v[4:5]
	v_cvt_i32_f64_e32 v17, v[2:3]
	s_mul_i32 s45, s4, s2
	v_cmp_ge_i32_e32 vcc, s45, v17
	s_cbranch_vccnz .LBB90_50
; %bb.3:
	v_lshrrev_b32_e32 v2, 6, v0
	s_add_i32 s4, s18, s17
	s_load_dwordx8 s[20:27], s[0:1], 0x0
	v_cmp_le_i32_e64 s[0:1], s4, v2
	v_mov_b32_e32 v3, s17
	v_cmp_le_i32_e64 s[2:3], s17, v2
	v_mov_b32_e32 v4, s18
	v_cndmask_b32_e64 v4, 0, v4, s[0:1]
	v_cndmask_b32_e64 v3, 0, v3, s[2:3]
	s_abs_i32 s5, s16
	v_add_u32_e32 v3, v3, v4
	v_cvt_f32_u32_e32 v4, s5
	v_sub_u32_e32 v30, v2, v3
	s_ashr_i32 s6, s14, 31
	s_lshr_b32 s6, s6, 24
	v_rcp_iflag_f32_e32 v3, v4
	s_sub_i32 s9, 0, s5
	s_add_i32 s6, s14, s6
	s_ashr_i32 s6, s6, 8
	v_mul_f32_e32 v3, 0x4f7ffffe, v3
	v_cvt_u32_f32_e32 v3, v3
	s_abs_i32 s8, s6
	s_xor_b32 s7, s6, s16
	s_ashr_i32 s7, s7, 31
	v_readfirstlane_b32 s10, v3
	s_mul_i32 s9, s9, s10
	s_mul_hi_u32 s9, s10, s9
	s_add_i32 s10, s10, s9
	s_mul_hi_u32 s9, s8, s10
	s_mul_i32 s10, s9, s5
	s_sub_i32 s8, s8, s10
	s_add_i32 s10, s9, 1
	s_sub_i32 s11, s8, s5
	s_cmp_ge_u32 s8, s5
	s_cselect_b32 s9, s10, s9
	s_cselect_b32 s8, s11, s8
	s_add_i32 s10, s9, 1
	s_cmp_ge_u32 s8, s5
	s_cselect_b32 s5, s10, s9
	s_xor_b32 s5, s5, s7
	s_sub_i32 s46, s5, s7
	s_add_i32 s16, s16, -1
	s_mul_i32 s5, s46, s16
	s_add_i32 s4, s4, s19
	s_sub_i32 s47, s6, s5
	v_cmp_gt_i32_e64 s[4:5], s4, v2
	v_and_b32_e32 v2, 1, v0
	v_lshlrev_b32_e32 v3, 1, v0
	v_and_b32_e32 v3, 0x7c, v3
	v_lshlrev_b32_e32 v4, 8, v2
	v_lshlrev_b32_e32 v5, 4, v0
	s_movk_i32 s7, 0x4000
	s_movk_i32 s6, 0x7c
	v_and_b32_e32 v6, 0x200, v5
	v_or3_b32 v38, v3, v4, s7
	v_lshrrev_b32_e32 v3, 3, v0
	v_cmp_eq_u32_e32 vcc, 0, v2
	v_and_or_b32 v39, v1, s6, v6
	v_lshlrev_b32_e32 v1, 1, v2
	v_and_or_b32 v2, v3, 6, v2
	v_sub_u32_e32 v44, 8, v2
	v_mul_lo_u32 v18, s13, v2
	v_bfe_u32 v2, v0, 2, 4
	v_lshlrev_b32_e32 v4, 8, v0
	v_lshlrev_b32_e32 v6, 6, v0
	v_mul_lo_u32 v24, s15, v2
	v_and_b32_e32 v2, 60, v0
	v_and_b32_e32 v4, 0x200, v4
	;; [unrolled: 1-line block ×3, first 2 shown]
	s_abs_i32 s49, s33
	v_or3_b32 v45, v2, v4, v6
	v_cvt_f32_u32_e32 v6, s49
	v_lshlrev_b32_e32 v4, 7, v0
	v_and_b32_e32 v16, 14, v0
	v_bitop3_b32 v40, v0, 1, v0 bitop3:0xc
	v_sub_u32_e32 v1, v0, v1
	v_bfe_u32 v2, v0, 3, 3
	v_and_b32_e32 v4, 0x200, v4
	v_lshlrev_b32_e32 v0, 5, v0
	v_lshl_or_b32 v4, v2, 2, v4
	v_and_b32_e32 v0, 0x60, v0
	v_or3_b32 v46, v4, v0, s7
	v_rcp_iflag_f32_e32 v0, v6
	s_abs_i32 s50, s44
	v_mul_lo_u32 v48, s14, v2
	v_cvt_f32_u32_e32 v2, s50
	v_mul_f32_e32 v0, 0x4f7ffffe, v0
	v_cvt_u32_f32_e32 v0, v0
	s_sub_i32 s6, 0, s49
	v_rcp_iflag_f32_e32 v2, v2
	v_add_u32_e32 v1, 1, v1
	v_readfirstlane_b32 s7, v0
	s_mul_i32 s6, s6, s7
	v_mul_f32_e32 v0, 0x4f7ffffe, v2
	v_cvt_u32_f32_e32 v0, v0
	s_mul_hi_u32 s6, s7, s6
	s_add_i32 s52, s7, s6
	s_sub_i32 s6, 0, s50
	v_readfirstlane_b32 s7, v0
	v_mbcnt_lo_u32_b32 v0, -1, 0
	v_and_b32_e32 v1, 63, v1
	s_mul_i32 s6, s6, s7
	v_mbcnt_hi_u32_b32 v0, -1, v0
	v_mov_b32_e32 v7, 0xeeee
	v_mov_b32_e32 v8, 0x4444
	;; [unrolled: 1-line block ×3, first 2 shown]
	s_mul_hi_u32 s6, s7, s6
	v_and_or_b32 v0, v0, 64, v1
	v_cndmask_b32_e64 v36, 0, 1, s[0:1]
	s_mov_b32 s29, 0
	v_cndmask_b32_e32 v37, v7, v8, vcc
	v_or_b32_e32 v41, 16, v16
	v_or_b32_e32 v42, 32, v16
	;; [unrolled: 1-line block ×3, first 2 shown]
	v_ashrrev_i32_e32 v19, 31, v18
	v_and_b32_e32 v22, 48, v5
	v_ashrrev_i32_e32 v25, 31, v24
	v_mov_b32_e32 v23, v21
	s_lshl_b32 s48, s15, 4
	v_bitop3_b32 v47, v3, 7, v3 bitop3:0xc
	v_and_b32_e32 v26, 0x70, v5
	v_mov_b32_e32 v27, v21
	s_lshl_b32 s28, s17, 8
	s_ashr_i32 s51, s33, 31
	s_ashr_i32 s53, s44, 31
	s_add_i32 s54, s7, s6
	s_mov_b64 s[30:31], 0x60
	v_lshlrev_b32_e32 v49, 2, v0
	v_mov_b32_e32 v50, v30
	s_branch .LBB90_7
.LBB90_4:                               ;   in Loop: Header=BB90_7 Depth=1
	s_or_b64 exec, exec, s[10:11]
.LBB90_5:                               ;   in Loop: Header=BB90_7 Depth=1
	s_or_b64 exec, exec, s[8:9]
	v_subrev_u32_e32 v50, s55, v50
.LBB90_6:                               ;   in Loop: Header=BB90_7 Depth=1
	s_or_b64 exec, exec, s[6:7]
	s_add_i32 s45, s45, 1
	v_cmp_ge_i32_e32 vcc, s45, v17
	s_cbranch_vccnz .LBB90_50
.LBB90_7:                               ; =>This Loop Header: Depth=1
                                        ;     Child Loop BB90_13 Depth 2
                                        ;       Child Loop BB90_15 Depth 3
                                        ;       Child Loop BB90_18 Depth 3
	;; [unrolled: 1-line block ×5, first 2 shown]
                                        ;     Child Loop BB90_37 Depth 2
                                        ;       Child Loop BB90_39 Depth 3
                                        ;     Child Loop BB90_47 Depth 2
                                        ;       Child Loop BB90_49 Depth 3
	s_abs_i32 s7, s45
	s_mul_hi_u32 s8, s7, s52
	s_mul_i32 s9, s8, s49
	s_ashr_i32 s6, s45, 31
	s_sub_i32 s7, s7, s9
	s_xor_b32 s6, s6, s51
	s_add_i32 s9, s8, 1
	s_sub_i32 s10, s7, s49
	s_cmp_ge_u32 s7, s49
	s_cselect_b32 s8, s9, s8
	s_cselect_b32 s7, s10, s7
	s_add_i32 s9, s8, 1
	s_cmp_ge_u32 s7, s49
	s_cselect_b32 s7, s9, s8
	s_xor_b32 s7, s7, s6
	s_sub_i32 s6, s7, s6
	s_abs_i32 s8, s6
	s_mul_i32 s7, s6, s33
	s_mul_hi_u32 s9, s8, s54
	s_sub_i32 s7, s45, s7
	s_mul_i32 s10, s9, s50
	s_lshl_b32 s56, s7, 3
	s_ashr_i32 s7, s6, 31
	s_sub_i32 s8, s8, s10
	s_xor_b32 s7, s7, s53
	s_add_i32 s10, s9, 1
	s_sub_i32 s11, s8, s50
	s_cmp_ge_u32 s8, s50
	s_cselect_b32 s9, s10, s9
	s_cselect_b32 s8, s11, s8
	s_add_i32 s10, s9, 1
	s_cmp_ge_u32 s8, s50
	s_cselect_b32 s8, s10, s9
	s_xor_b32 s8, s8, s7
	s_sub_i32 s7, s8, s7
	s_mul_i32 s8, s7, s46
	s_lshl_b32 s57, s8, 8
	s_cmp_eq_u32 s7, s16
	s_cselect_b32 s55, s47, s46
	s_sub_i32 s58, s56, s12
	s_add_i32 s58, s58, 8
	s_and_saveexec_b64 s[8:9], s[2:3]
	s_xor_b64 s[34:35], exec, s[8:9]
	s_cbranch_execz .LBB90_43
; %bb.8:                                ;   in Loop: Header=BB90_7 Depth=1
	s_mul_i32 s7, s7, s44
	s_sub_i32 s6, s6, s7
	s_lshl_b32 s6, s6, 6
	s_sub_i32 s37, s6, s13
	s_add_i32 s37, s37, 64
	s_max_i32 s7, s37, 0
	s_sub_i32 s36, s6, s7
	s_and_saveexec_b64 s[6:7], s[0:1]
	s_xor_b64 s[38:39], exec, s[6:7]
	s_cbranch_execz .LBB90_33
; %bb.9:                                ;   in Loop: Header=BB90_7 Depth=1
	s_and_saveexec_b64 s[40:41], s[4:5]
	s_cbranch_execz .LBB90_32
; %bb.10:                               ;   in Loop: Header=BB90_7 Depth=1
	s_waitcnt lgkmcnt(0)
	global_load_dword v20, v21, s[26:27]
	v_mov_b32_e32 v15, 0
	v_cmp_gt_i32_e32 vcc, s55, v50
	v_mov_b32_e32 v14, v15
	v_mov_b32_e32 v13, v15
	;; [unrolled: 1-line block ×15, first 2 shown]
	s_and_saveexec_b64 s[6:7], vcc
	s_cbranch_execz .LBB90_29
; %bb.11:                               ;   in Loop: Header=BB90_7 Depth=1
	v_mov_b32_e32 v0, 0
	s_mov_b64 s[8:9], 0
	v_mov_b32_e32 v1, v0
	v_mov_b32_e32 v2, v0
	;; [unrolled: 1-line block ×15, first 2 shown]
	s_branch .LBB90_13
.LBB90_12:                              ;   in Loop: Header=BB90_13 Depth=2
	s_or_b64 exec, exec, s[10:11]
	v_add_u32_e32 v55, 0x3000, v54
	ds_read2_b32 v[56:57], v55 offset1:32
	ds_read2_b32 v[58:59], v55 offset0:64 offset1:96
	v_add_u32_e32 v55, 0x3400, v54
	ds_read2_b32 v[60:61], v55 offset1:32
	ds_read2_b32 v[62:63], v55 offset0:64 offset1:96
	v_add_u32_e32 v50, s19, v50
	v_cmp_le_i32_e32 vcc, s55, v50
	s_waitcnt lgkmcnt(2)
	v_smfmac_f32_16x16x64_fp8_fp8 v[0:3], v[34:35], v[56:59], v37 cbsz:7 abid:1
	v_add_u32_e32 v34, 0x3800, v54
	ds_read2_b32 v[56:57], v34 offset1:32
	ds_read2_b32 v[58:59], v34 offset0:64 offset1:96
	v_add_u32_e32 v34, 0x3c00, v54
	s_waitcnt lgkmcnt(2)
	v_smfmac_f32_16x16x64_fp8_fp8 v[0:3], v[32:33], v[60:63], v37 cbsz:7 abid:1
	ds_read2_b32 v[32:33], v34 offset1:32
	ds_read2_b32 v[34:35], v34 offset0:64 offset1:96
	s_or_b64 s[8:9], vcc, s[8:9]
	ds_write_b32 v53, v52 offset:18448
	s_waitcnt lgkmcnt(3)
	v_smfmac_f32_16x16x64_fp8_fp8 v[0:3], v[30:31], v[56:59], v37 cbsz:7 abid:1
	v_add_u32_e32 v30, s19, v51
	v_add_u32_e32 v31, 2, v36
	v_cmp_lt_i32_e32 vcc, 0, v30
	s_waitcnt lgkmcnt(1)
	v_smfmac_f32_16x16x64_fp8_fp8 v[0:3], v[28:29], v[32:35], v37 cbsz:7 abid:1
	v_cndmask_b32_e32 v36, v36, v31, vcc
	s_andn2_b64 exec, exec, s[8:9]
	s_cbranch_execz .LBB90_28
.LBB90_13:                              ;   Parent Loop BB90_7 Depth=1
                                        ; =>  This Loop Header: Depth=2
                                        ;       Child Loop BB90_15 Depth 3
                                        ;       Child Loop BB90_18 Depth 3
	;; [unrolled: 1-line block ×5, first 2 shown]
	v_cmp_lt_i32_e32 vcc, 0, v30
	s_nop 1
	v_subbrev_co_u32_e32 v51, vcc, 0, v30, vcc
	v_lshlrev_b32_e32 v28, 2, v51
	ds_read_b32 v29, v28 offset:18432
	v_add_u32_e32 v53, 0x4800, v28
	s_waitcnt lgkmcnt(0)
	v_cmp_ne_u32_e32 vcc, v29, v36
	s_and_saveexec_b64 s[10:11], vcc
	s_cbranch_execz .LBB90_16
; %bb.14:                               ;   in Loop: Header=BB90_13 Depth=2
	s_mov_b64 s[42:43], 0
.LBB90_15:                              ;   Parent Loop BB90_7 Depth=1
                                        ;     Parent Loop BB90_13 Depth=2
                                        ; =>    This Inner Loop Header: Depth=3
	;;#ASMSTART
	s_sleep 0
	;;#ASMEND
	ds_read_b32 v28, v53
	s_waitcnt lgkmcnt(0)
	v_cmp_eq_u32_e32 vcc, v28, v36
	s_or_b64 s[42:43], vcc, s[42:43]
	s_andn2_b64 exec, exec, s[42:43]
	s_cbranch_execnz .LBB90_15
.LBB90_16:                              ;   in Loop: Header=BB90_13 Depth=2
	s_or_b64 exec, exec, s[10:11]
	v_lshl_add_u32 v28, v51, 11, v38
	ds_read2_b32 v[34:35], v28 offset1:32
	ds_read2_b32 v[32:33], v28 offset0:128 offset1:160
	v_add_u32_e32 v28, 0x400, v28
	v_add_u32_e32 v52, 1, v36
	ds_read2_b32 v[30:31], v28 offset1:32
	ds_read2_b32 v[28:29], v28 offset0:128 offset1:160
	;;#ASMSTART
	s_waitcnt lgkmcnt(0)
	;;#ASMEND
	ds_write_b32 v53, v52
	v_lshlrev_b32_e32 v53, 4, v51
	ds_read_b32 v54, v53 offset:18436
	s_waitcnt lgkmcnt(0)
	v_cmp_ne_u32_e32 vcc, v54, v36
	s_and_saveexec_b64 s[10:11], vcc
	s_cbranch_execz .LBB90_19
; %bb.17:                               ;   in Loop: Header=BB90_13 Depth=2
	s_mov_b64 s[42:43], 0
.LBB90_18:                              ;   Parent Loop BB90_7 Depth=1
                                        ;     Parent Loop BB90_13 Depth=2
                                        ; =>    This Inner Loop Header: Depth=3
	;;#ASMSTART
	s_sleep 0
	;;#ASMEND
	ds_read_b32 v54, v53 offset:18436
	s_waitcnt lgkmcnt(0)
	v_cmp_eq_u32_e32 vcc, v54, v36
	s_or_b64 s[42:43], vcc, s[42:43]
	s_andn2_b64 exec, exec, s[42:43]
	s_cbranch_execnz .LBB90_18
.LBB90_19:                              ;   in Loop: Header=BB90_13 Depth=2
	s_or_b64 exec, exec, s[10:11]
	v_lshl_or_b32 v54, v51, 14, v39
	ds_read2_b32 v[56:57], v54 offset1:32
	ds_read2_b32 v[58:59], v54 offset0:64 offset1:96
	v_add_u32_e32 v55, 0x400, v54
	ds_read2_b32 v[60:61], v55 offset1:32
	ds_read2_b32 v[62:63], v55 offset0:64 offset1:96
	v_add_u32_e32 v55, 0x800, v54
	s_waitcnt lgkmcnt(2)
	v_smfmac_f32_16x16x64_fp8_fp8 v[12:15], v[34:35], v[56:59], v37 cbsz:7 abid:1
	ds_read2_b32 v[56:57], v55 offset1:32
	ds_read2_b32 v[58:59], v55 offset0:64 offset1:96
	v_add_u32_e32 v55, 0xc00, v54
	s_waitcnt lgkmcnt(2)
	v_smfmac_f32_16x16x64_fp8_fp8 v[12:15], v[32:33], v[60:63], v37 cbsz:7 abid:1
	ds_read2_b32 v[60:61], v55 offset1:32
	ds_read2_b32 v[62:63], v55 offset0:64 offset1:96
	ds_read_b32 v55, v53 offset:18440
	ds_write_b32 v53, v52 offset:18436
	s_waitcnt lgkmcnt(4)
	v_smfmac_f32_16x16x64_fp8_fp8 v[12:15], v[30:31], v[56:59], v37 cbsz:7 abid:1
	s_waitcnt lgkmcnt(1)
	v_cmp_ne_u32_e32 vcc, v55, v36
	v_smfmac_f32_16x16x64_fp8_fp8 v[12:15], v[28:29], v[60:63], v37 cbsz:7 abid:1
	s_and_saveexec_b64 s[10:11], vcc
	s_cbranch_execz .LBB90_22
; %bb.20:                               ;   in Loop: Header=BB90_13 Depth=2
	s_mov_b64 s[42:43], 0
.LBB90_21:                              ;   Parent Loop BB90_7 Depth=1
                                        ;     Parent Loop BB90_13 Depth=2
                                        ; =>    This Inner Loop Header: Depth=3
	;;#ASMSTART
	s_sleep 0
	;;#ASMEND
	ds_read_b32 v55, v53 offset:18440
	s_waitcnt lgkmcnt(0)
	v_cmp_eq_u32_e32 vcc, v55, v36
	s_or_b64 s[42:43], vcc, s[42:43]
	s_andn2_b64 exec, exec, s[42:43]
	s_cbranch_execnz .LBB90_21
.LBB90_22:                              ;   in Loop: Header=BB90_13 Depth=2
	s_or_b64 exec, exec, s[10:11]
	v_add_u32_e32 v55, 0x1000, v54
	ds_read2_b32 v[56:57], v55 offset1:32
	ds_read2_b32 v[58:59], v55 offset0:64 offset1:96
	v_add_u32_e32 v55, 0x1400, v54
	ds_read2_b32 v[60:61], v55 offset1:32
	ds_read2_b32 v[62:63], v55 offset0:64 offset1:96
	v_add_u32_e32 v55, 0x1800, v54
	s_waitcnt lgkmcnt(2)
	v_smfmac_f32_16x16x64_fp8_fp8 v[8:11], v[34:35], v[56:59], v37 cbsz:7 abid:1
	ds_read2_b32 v[56:57], v55 offset1:32
	ds_read2_b32 v[58:59], v55 offset0:64 offset1:96
	v_add_u32_e32 v55, 0x1c00, v54
	s_waitcnt lgkmcnt(2)
	v_smfmac_f32_16x16x64_fp8_fp8 v[8:11], v[32:33], v[60:63], v37 cbsz:7 abid:1
	ds_read2_b32 v[60:61], v55 offset1:32
	ds_read2_b32 v[62:63], v55 offset0:64 offset1:96
	ds_read_b32 v55, v53 offset:18444
	ds_write_b32 v53, v52 offset:18440
	s_waitcnt lgkmcnt(4)
	v_smfmac_f32_16x16x64_fp8_fp8 v[8:11], v[30:31], v[56:59], v37 cbsz:7 abid:1
	s_waitcnt lgkmcnt(1)
	v_cmp_ne_u32_e32 vcc, v55, v36
	v_smfmac_f32_16x16x64_fp8_fp8 v[8:11], v[28:29], v[60:63], v37 cbsz:7 abid:1
	s_and_saveexec_b64 s[10:11], vcc
	s_cbranch_execz .LBB90_25
; %bb.23:                               ;   in Loop: Header=BB90_13 Depth=2
	s_mov_b64 s[42:43], 0
.LBB90_24:                              ;   Parent Loop BB90_7 Depth=1
                                        ;     Parent Loop BB90_13 Depth=2
                                        ; =>    This Inner Loop Header: Depth=3
	;;#ASMSTART
	s_sleep 0
	;;#ASMEND
	ds_read_b32 v55, v53 offset:18444
	s_waitcnt lgkmcnt(0)
	v_cmp_eq_u32_e32 vcc, v55, v36
	s_or_b64 s[42:43], vcc, s[42:43]
	s_andn2_b64 exec, exec, s[42:43]
	s_cbranch_execnz .LBB90_24
.LBB90_25:                              ;   in Loop: Header=BB90_13 Depth=2
	s_or_b64 exec, exec, s[10:11]
	v_add_u32_e32 v55, 0x2000, v54
	ds_read2_b32 v[56:57], v55 offset1:32
	ds_read2_b32 v[58:59], v55 offset0:64 offset1:96
	v_add_u32_e32 v55, 0x2400, v54
	ds_read2_b32 v[60:61], v55 offset1:32
	ds_read2_b32 v[62:63], v55 offset0:64 offset1:96
	v_add_u32_e32 v55, 0x2800, v54
	s_waitcnt lgkmcnt(2)
	v_smfmac_f32_16x16x64_fp8_fp8 v[4:7], v[34:35], v[56:59], v37 cbsz:7 abid:1
	ds_read2_b32 v[56:57], v55 offset1:32
	ds_read2_b32 v[58:59], v55 offset0:64 offset1:96
	v_add_u32_e32 v55, 0x2c00, v54
	s_waitcnt lgkmcnt(2)
	v_smfmac_f32_16x16x64_fp8_fp8 v[4:7], v[32:33], v[60:63], v37 cbsz:7 abid:1
	ds_read2_b32 v[60:61], v55 offset1:32
	ds_read2_b32 v[62:63], v55 offset0:64 offset1:96
	ds_read_b32 v55, v53 offset:18448
	ds_write_b32 v53, v52 offset:18444
	s_waitcnt lgkmcnt(4)
	v_smfmac_f32_16x16x64_fp8_fp8 v[4:7], v[30:31], v[56:59], v37 cbsz:7 abid:1
	s_waitcnt lgkmcnt(1)
	v_cmp_ne_u32_e32 vcc, v55, v36
	v_smfmac_f32_16x16x64_fp8_fp8 v[4:7], v[28:29], v[60:63], v37 cbsz:7 abid:1
	s_and_saveexec_b64 s[10:11], vcc
	s_cbranch_execz .LBB90_12
; %bb.26:                               ;   in Loop: Header=BB90_13 Depth=2
	s_mov_b64 s[42:43], 0
.LBB90_27:                              ;   Parent Loop BB90_7 Depth=1
                                        ;     Parent Loop BB90_13 Depth=2
                                        ; =>    This Inner Loop Header: Depth=3
	;;#ASMSTART
	s_sleep 0
	;;#ASMEND
	ds_read_b32 v55, v53 offset:18448
	s_waitcnt lgkmcnt(0)
	v_cmp_eq_u32_e32 vcc, v55, v36
	s_or_b64 s[42:43], vcc, s[42:43]
	s_andn2_b64 exec, exec, s[42:43]
	s_cbranch_execnz .LBB90_27
	s_branch .LBB90_12
.LBB90_28:                              ;   in Loop: Header=BB90_7 Depth=1
	s_or_b64 exec, exec, s[8:9]
.LBB90_29:                              ;   in Loop: Header=BB90_7 Depth=1
	s_or_b64 exec, exec, s[6:7]
	v_cmp_le_i32_e32 vcc, s37, v16
	v_mov_b32_e32 v32, v13
	v_mov_b32_e32 v33, v14
	;; [unrolled: 1-line block ×3, first 2 shown]
	s_waitcnt vmcnt(0)
	v_cndmask_b32_e32 v28, 0, v20, vcc
	v_pk_add_f32 v[12:13], v[32:33], v[12:13]
	v_cmp_eq_u32_e32 vcc, 1, v40
	v_pk_mul_f32 v[12:13], v[28:29], v[12:13] op_sel_hi:[0,1]
	v_cmp_eq_u32_e64 s[6:7], 2, v40
	v_cndmask_b32_e32 v28, v12, v13, vcc
	v_cmp_le_i32_e64 s[10:11], s37, v41
	v_mov_b32_e32 v32, v9
	v_mov_b32_e32 v33, v10
	;; [unrolled: 1-line block ×3, first 2 shown]
	v_cndmask_b32_e64 v14, v28, v14, s[6:7]
	v_cndmask_b32_e64 v28, 0, v20, s[10:11]
	v_pk_add_f32 v[8:9], v[32:33], v[8:9]
	v_cmp_eq_u32_e64 s[8:9], 3, v40
	v_pk_mul_f32 v[8:9], v[28:29], v[8:9] op_sel_hi:[0,1]
	v_cmp_le_i32_e64 s[10:11], s37, v42
	v_mov_b32_e32 v32, v5
	v_mov_b32_e32 v33, v6
	;; [unrolled: 1-line block ×3, first 2 shown]
	v_cndmask_b32_e64 v14, v14, v15, s[8:9]
	v_cndmask_b32_e32 v15, v8, v9, vcc
	v_cndmask_b32_e64 v28, 0, v20, s[10:11]
	v_pk_add_f32 v[4:5], v[32:33], v[4:5]
	v_cndmask_b32_e64 v10, v15, v10, s[6:7]
	v_pk_mul_f32 v[4:5], v[28:29], v[4:5] op_sel_hi:[0,1]
	v_cndmask_b32_e64 v10, v10, v11, s[8:9]
	v_cndmask_b32_e32 v11, v4, v5, vcc
	v_cmp_le_i32_e32 vcc, s37, v43
	v_mov_b32_e32 v28, v1
	v_mov_b32_e32 v29, v2
	;; [unrolled: 1-line block ×3, first 2 shown]
	v_cndmask_b32_e32 v20, 0, v20, vcc
	v_pk_add_f32 v[0:1], v[28:29], v[0:1]
	v_cndmask_b32_e64 v6, v11, v6, s[6:7]
	v_pk_mul_f32 v[0:1], v[20:21], v[0:1] op_sel_hi:[0,1]
	v_cmp_ne_u32_e32 vcc, 0, v40
	v_cndmask_b32_e64 v6, v6, v7, s[8:9]
	ds_bpermute_b32 v14, v49, v14
	v_cndmask_b32_e32 v7, v0, v1, vcc
	v_cndmask_b32_e64 v2, v7, v2, s[6:7]
	v_cndmask_b32_e64 v2, v2, v3, s[8:9]
	ds_bpermute_b32 v10, v49, v10
	ds_bpermute_b32 v6, v49, v6
	;; [unrolled: 1-line block ×3, first 2 shown]
	v_cmp_lt_i32_e32 vcc, s58, v44
	s_and_saveexec_b64 s[8:9], vcc
	s_cbranch_execz .LBB90_31
; %bb.30:                               ;   in Loop: Header=BB90_7 Depth=1
	s_mul_i32 s6, s56, s13
	s_ashr_i32 s7, s6, 31
	s_lshl_b64 s[6:7], s[6:7], 1
	s_add_u32 s10, s24, s6
	s_addc_u32 s11, s25, s7
	s_ashr_i32 s37, s36, 31
	s_lshl_b64 s[6:7], s[36:37], 1
	s_add_u32 s10, s10, s6
	s_addc_u32 s11, s11, s7
	v_cmp_ne_u32_e32 vcc, 0, v40
	v_cmp_eq_u32_e64 s[6:7], 0, v40
	v_lshlrev_b32_e32 v20, 1, v16
	s_waitcnt lgkmcnt(0)
	v_cndmask_b32_e32 v7, v1, v2, vcc
	v_cndmask_b32_e64 v11, v0, v2, s[6:7]
	v_cndmask_b32_e32 v5, v5, v6, vcc
	v_cndmask_b32_e64 v4, v4, v6, s[6:7]
	;; [unrolled: 2-line block ×4, first 2 shown]
	v_cvt_f16_f32_e32 v8, v8
	v_cvt_f16_f32_sdwa v6, v6 dst_sel:WORD_1 dst_unused:UNUSED_PAD src0_sel:DWORD
	v_cvt_f16_f32_e32 v9, v3
	v_cvt_f16_f32_sdwa v10, v2 dst_sel:WORD_1 dst_unused:UNUSED_PAD src0_sel:DWORD
	v_lshl_add_u64 v[0:1], v[18:19], 1, s[10:11]
	v_lshl_add_u64 v[0:1], v[0:1], 0, v[20:21]
	v_or_b32_e32 v2, v6, v8
	v_or_b32_e32 v6, v10, v9
	;;#ASMSTART
	global_atomic_pk_add_f16 v[0:1], v2, off
	
	;;#ASMEND
	v_lshl_add_u64 v[2:3], v[0:1], 0, 32
	;;#ASMSTART
	global_atomic_pk_add_f16 v[2:3], v6, off
	
	;;#ASMEND
	v_cvt_f16_f32_e32 v4, v4
	v_cvt_f16_f32_sdwa v5, v5 dst_sel:WORD_1 dst_unused:UNUSED_PAD src0_sel:DWORD
	v_cvt_f16_f32_e32 v6, v11
	v_cvt_f16_f32_sdwa v7, v7 dst_sel:WORD_1 dst_unused:UNUSED_PAD src0_sel:DWORD
	v_lshl_add_u64 v[2:3], v[0:1], 0, 64
	v_or_b32_e32 v4, v5, v4
	;;#ASMSTART
	global_atomic_pk_add_f16 v[2:3], v4, off
	
	;;#ASMEND
	v_lshl_add_u64 v[0:1], v[0:1], 0, s[30:31]
	v_or_b32_e32 v2, v7, v6
	;;#ASMSTART
	global_atomic_pk_add_f16 v[0:1], v2, off
	
	;;#ASMEND
.LBB90_31:                              ;   in Loop: Header=BB90_7 Depth=1
	s_or_b64 exec, exec, s[8:9]
	v_subrev_u32_e32 v50, s55, v50
.LBB90_32:                              ;   in Loop: Header=BB90_7 Depth=1
	s_or_b64 exec, exec, s[40:41]
.LBB90_33:                              ;   in Loop: Header=BB90_7 Depth=1
	s_andn2_saveexec_b64 s[6:7], s[38:39]
	s_cbranch_execz .LBB90_42
; %bb.34:                               ;   in Loop: Header=BB90_7 Depth=1
	s_lshl_b32 s40, s55, 2
	v_cmp_gt_i32_e32 vcc, s40, v50
	s_and_saveexec_b64 s[8:9], vcc
	s_cbranch_execz .LBB90_41
; %bb.35:                               ;   in Loop: Header=BB90_7 Depth=1
	s_mul_i32 s10, s36, s15
	s_ashr_i32 s11, s10, 31
	s_waitcnt lgkmcnt(0)
	s_add_u32 s10, s22, s10
	s_addc_u32 s11, s23, s11
	s_ashr_i32 s36, s57, 31
	s_add_u32 s10, s10, s57
	s_addc_u32 s11, s11, s36
	v_lshl_add_u64 v[0:1], s[10:11], 0, v[24:25]
	v_lshl_add_u64 v[28:29], v[0:1], 0, v[22:23]
	s_mov_b64 s[10:11], 0
	s_branch .LBB90_37
.LBB90_36:                              ;   in Loop: Header=BB90_37 Depth=2
	s_or_b64 exec, exec, s[36:37]
	v_lshl_or_b32 v31, v20, 12, v45
	;;#ASMSTART
	s_waitcnt vmcnt(3)
	;;#ASMEND
	ds_write2_b32 v31, v12, v13 offset1:32
	ds_write2_b32 v31, v14, v15 offset0:64 offset1:96
	v_add_u32_e32 v12, 0x400, v31
	;;#ASMSTART
	s_waitcnt vmcnt(2)
	;;#ASMEND
	ds_write2_b32 v12, v8, v9 offset1:32
	ds_write2_b32 v12, v10, v11 offset0:64 offset1:96
	v_add_u32_e32 v8, 0x800, v31
	;; [unrolled: 6-line block ×4, first 2 shown]
	v_add_u32_e32 v50, s18, v50
	ds_write_b32 v30, v0 offset:4
	v_add_u32_e32 v30, s18, v20
	v_cmp_le_i32_e32 vcc, s40, v50
	v_add_u32_e32 v0, 2, v36
	s_or_b64 s[10:11], vcc, s[10:11]
	v_cmp_lt_i32_e32 vcc, 3, v30
	s_nop 1
	v_cndmask_b32_e32 v36, v36, v0, vcc
	s_andn2_b64 exec, exec, s[10:11]
	s_cbranch_execz .LBB90_40
.LBB90_37:                              ;   Parent Loop BB90_7 Depth=1
                                        ; =>  This Loop Header: Depth=2
                                        ;       Child Loop BB90_39 Depth 3
	v_cmp_gt_i32_e32 vcc, 4, v30
	s_nop 1
	v_cndmask_b32_e64 v0, -4, 0, vcc
	v_add_u32_e32 v20, v0, v30
	v_ashrrev_i32_e32 v0, 31, v50
	v_lshrrev_b32_e32 v0, 30, v0
	v_add_u32_e32 v0, v50, v0
	v_and_b32_e32 v1, -4, v0
	v_lshlrev_b32_e32 v0, 6, v0
	v_sub_u32_e32 v2, v50, v1
	v_and_b32_e32 v0, 0xffffff00, v0
	v_ashrrev_i32_e32 v1, 31, v0
	v_mul_lo_u32 v2, s48, v2
	v_lshl_add_u64 v[0:1], v[28:29], 0, v[0:1]
	v_ashrrev_i32_e32 v3, 31, v2
	v_lshl_add_u64 v[0:1], v[0:1], 0, v[2:3]
	v_lshlrev_b32_e32 v30, 2, v20
	;;#ASMSTART
	global_load_dwordx4 v[12:15], v[0:1], off offset:0    sc0 sc1 nt  
	global_load_dwordx4 v[8:11], v[0:1], off offset:64   sc0 sc1 nt  
	global_load_dwordx4 v[4:7], v[0:1], off offset:128  sc0 sc1 nt  
	global_load_dwordx4 v[0:3], v[0:1], off offset:192  sc0 sc1 nt  
	
	;;#ASMEND
	ds_read_b32 v31, v30 offset:18436
	v_add_u32_e32 v30, 0x4800, v30
	s_waitcnt lgkmcnt(0)
	v_cmp_ne_u32_e32 vcc, v31, v36
	s_and_saveexec_b64 s[36:37], vcc
	s_cbranch_execz .LBB90_36
; %bb.38:                               ;   in Loop: Header=BB90_37 Depth=2
	s_mov_b64 s[38:39], 0
.LBB90_39:                              ;   Parent Loop BB90_7 Depth=1
                                        ;     Parent Loop BB90_37 Depth=2
                                        ; =>    This Inner Loop Header: Depth=3
	;;#ASMSTART
	s_sleep 0
	;;#ASMEND
	ds_read_b32 v31, v30 offset:4
	s_waitcnt lgkmcnt(0)
	v_cmp_eq_u32_e32 vcc, v31, v36
	s_or_b64 s[38:39], vcc, s[38:39]
	s_andn2_b64 exec, exec, s[38:39]
	s_cbranch_execnz .LBB90_39
	s_branch .LBB90_36
.LBB90_40:                              ;   in Loop: Header=BB90_7 Depth=1
	s_or_b64 exec, exec, s[10:11]
.LBB90_41:                              ;   in Loop: Header=BB90_7 Depth=1
	s_or_b64 exec, exec, s[8:9]
	v_subrev_u32_e32 v50, s40, v50
.LBB90_42:                              ;   in Loop: Header=BB90_7 Depth=1
	s_or_b64 exec, exec, s[6:7]
.LBB90_43:                              ;   in Loop: Header=BB90_7 Depth=1
	s_andn2_saveexec_b64 s[6:7], s[34:35]
	s_cbranch_execz .LBB90_6
; %bb.44:                               ;   in Loop: Header=BB90_7 Depth=1
	v_cmp_gt_i32_e32 vcc, s55, v50
	s_and_saveexec_b64 s[8:9], vcc
	s_cbranch_execz .LBB90_5
; %bb.45:                               ;   in Loop: Header=BB90_7 Depth=1
	s_mul_i32 s56, s56, s14
	s_ashr_i32 s10, s56, 31
	s_waitcnt lgkmcnt(0)
	s_add_u32 s11, s20, s56
	s_addc_u32 s34, s21, s10
	s_ashr_i32 s35, s57, 31
	v_cmp_le_i32_e32 vcc, s58, v47
	s_add_u32 s10, s11, s57
	s_addc_u32 s11, s34, s35
	v_cndmask_b32_e32 v0, 0, v48, vcc
	v_ashrrev_i32_e32 v1, 31, v0
	v_lshl_add_u64 v[0:1], s[10:11], 0, v[0:1]
	v_lshlrev_b32_e32 v2, 8, v50
	v_lshl_add_u64 v[0:1], v[0:1], 0, v[26:27]
	v_ashrrev_i32_e32 v3, 31, v2
	v_lshl_add_u64 v[8:9], v[0:1], 0, v[2:3]
	s_mov_b64 s[10:11], 0
	s_branch .LBB90_47
.LBB90_46:                              ;   in Loop: Header=BB90_47 Depth=2
	s_or_b64 exec, exec, s[34:35]
	;;#ASMSTART
	s_waitcnt vmcnt(1)
	v_pack_b32_f16 v12, v4, v5, op_sel:[0,0]
	v_pack_b32_f16 v13, v4, v5, op_sel:[1,1]
	v_pack_b32_f16 v14, v6, v7, op_sel:[0,0]
	v_pack_b32_f16 v15, v6, v7, op_sel:[1,1]
	v_swap_b32 v12, v4
	v_swap_b32 v13, v6
	;; [unrolled: 1-line block ×4, first 2 shown]
	;;#ASMEND
	v_add_u32_e32 v50, s17, v50
	v_lshl_add_u32 v12, v10, 11, v46
	ds_write2_b32 v12, v4, v5 offset1:32
	ds_write2_b32 v12, v6, v7 offset0:64 offset1:96
	;;#ASMSTART
	s_waitcnt vmcnt(0)
	v_pack_b32_f16 v4, v0, v1, op_sel:[0,0]
	v_pack_b32_f16 v5, v0, v1, op_sel:[1,1]
	;; [unrolled: 1-line block ×4, first 2 shown]
	v_swap_b32 v4, v0
	v_swap_b32 v5, v2
	;; [unrolled: 1-line block ×4, first 2 shown]
	;;#ASMEND
	v_add_u32_e32 v30, s17, v10
	v_add_u32_e32 v4, 0x400, v12
	ds_write2_b32 v4, v0, v1 offset1:32
	ds_write2_b32 v4, v2, v3 offset0:64 offset1:96
	v_add_u32_e32 v0, 1, v36
	v_cmp_le_i32_e32 vcc, s55, v50
	ds_write_b32 v11, v0
	v_add_u32_e32 v0, 2, v36
	s_or_b64 s[10:11], vcc, s[10:11]
	v_cmp_lt_i32_e32 vcc, 0, v30
	v_lshl_add_u64 v[8:9], v[8:9], 0, s[28:29]
	s_nop 0
	v_cndmask_b32_e32 v36, v36, v0, vcc
	s_andn2_b64 exec, exec, s[10:11]
	s_cbranch_execz .LBB90_4
.LBB90_47:                              ;   Parent Loop BB90_7 Depth=1
                                        ; =>  This Loop Header: Depth=2
                                        ;       Child Loop BB90_49 Depth 3
	v_cmp_lt_i32_e32 vcc, 0, v30
	;;#ASMSTART
	global_load_dwordx4 v[4:7], v[8:9], off offset:0  
	global_load_dwordx4 v[0:3], v[8:9], off offset:128
	
	;;#ASMEND
	s_nop 1
	v_subbrev_co_u32_e32 v10, vcc, 0, v30, vcc
	v_lshlrev_b32_e32 v11, 2, v10
	ds_read_b32 v12, v11 offset:18432
	v_add_u32_e32 v11, 0x4800, v11
	s_waitcnt lgkmcnt(0)
	v_cmp_ne_u32_e32 vcc, v12, v36
	s_and_saveexec_b64 s[34:35], vcc
	s_cbranch_execz .LBB90_46
; %bb.48:                               ;   in Loop: Header=BB90_47 Depth=2
	s_mov_b64 s[36:37], 0
.LBB90_49:                              ;   Parent Loop BB90_7 Depth=1
                                        ;     Parent Loop BB90_47 Depth=2
                                        ; =>    This Inner Loop Header: Depth=3
	;;#ASMSTART
	s_sleep 0
	;;#ASMEND
	ds_read_b32 v12, v11
	s_waitcnt lgkmcnt(0)
	v_cmp_eq_u32_e32 vcc, v12, v36
	s_or_b64 s[36:37], vcc, s[36:37]
	s_andn2_b64 exec, exec, s[36:37]
	s_cbranch_execnz .LBB90_49
	s_branch .LBB90_46
.LBB90_50:
	s_endpgm
	.section	.rodata,"a",@progbits
	.p2align	6, 0x0
	.amdhsa_kernel _Z19_skinny_gemm_kernelILi1ELi4ELi1ELi8ELi4EEvPKhS1_P6__halfPKfiiiiiiii
		.amdhsa_group_segment_fixed_size 18452
		.amdhsa_private_segment_fixed_size 0
		.amdhsa_kernarg_size 64
		.amdhsa_user_sgpr_count 2
		.amdhsa_user_sgpr_dispatch_ptr 0
		.amdhsa_user_sgpr_queue_ptr 0
		.amdhsa_user_sgpr_kernarg_segment_ptr 1
		.amdhsa_user_sgpr_dispatch_id 0
		.amdhsa_user_sgpr_kernarg_preload_length 0
		.amdhsa_user_sgpr_kernarg_preload_offset 0
		.amdhsa_user_sgpr_private_segment_size 0
		.amdhsa_uses_dynamic_stack 0
		.amdhsa_enable_private_segment 0
		.amdhsa_system_sgpr_workgroup_id_x 1
		.amdhsa_system_sgpr_workgroup_id_y 0
		.amdhsa_system_sgpr_workgroup_id_z 0
		.amdhsa_system_sgpr_workgroup_info 0
		.amdhsa_system_vgpr_workitem_id 0
		.amdhsa_next_free_vgpr 64
		.amdhsa_next_free_sgpr 59
		.amdhsa_accum_offset 64
		.amdhsa_reserve_vcc 1
		.amdhsa_float_round_mode_32 0
		.amdhsa_float_round_mode_16_64 0
		.amdhsa_float_denorm_mode_32 3
		.amdhsa_float_denorm_mode_16_64 3
		.amdhsa_dx10_clamp 1
		.amdhsa_ieee_mode 1
		.amdhsa_fp16_overflow 0
		.amdhsa_tg_split 0
		.amdhsa_exception_fp_ieee_invalid_op 0
		.amdhsa_exception_fp_denorm_src 0
		.amdhsa_exception_fp_ieee_div_zero 0
		.amdhsa_exception_fp_ieee_overflow 0
		.amdhsa_exception_fp_ieee_underflow 0
		.amdhsa_exception_fp_ieee_inexact 0
		.amdhsa_exception_int_div_zero 0
	.end_amdhsa_kernel
	.section	.text._Z19_skinny_gemm_kernelILi1ELi4ELi1ELi8ELi4EEvPKhS1_P6__halfPKfiiiiiiii,"axG",@progbits,_Z19_skinny_gemm_kernelILi1ELi4ELi1ELi8ELi4EEvPKhS1_P6__halfPKfiiiiiiii,comdat
.Lfunc_end90:
	.size	_Z19_skinny_gemm_kernelILi1ELi4ELi1ELi8ELi4EEvPKhS1_P6__halfPKfiiiiiiii, .Lfunc_end90-_Z19_skinny_gemm_kernelILi1ELi4ELi1ELi8ELi4EEvPKhS1_P6__halfPKfiiiiiiii
                                        ; -- End function
	.set _Z19_skinny_gemm_kernelILi1ELi4ELi1ELi8ELi4EEvPKhS1_P6__halfPKfiiiiiiii.num_vgpr, 64
	.set _Z19_skinny_gemm_kernelILi1ELi4ELi1ELi8ELi4EEvPKhS1_P6__halfPKfiiiiiiii.num_agpr, 0
	.set _Z19_skinny_gemm_kernelILi1ELi4ELi1ELi8ELi4EEvPKhS1_P6__halfPKfiiiiiiii.numbered_sgpr, 59
	.set _Z19_skinny_gemm_kernelILi1ELi4ELi1ELi8ELi4EEvPKhS1_P6__halfPKfiiiiiiii.num_named_barrier, 0
	.set _Z19_skinny_gemm_kernelILi1ELi4ELi1ELi8ELi4EEvPKhS1_P6__halfPKfiiiiiiii.private_seg_size, 0
	.set _Z19_skinny_gemm_kernelILi1ELi4ELi1ELi8ELi4EEvPKhS1_P6__halfPKfiiiiiiii.uses_vcc, 1
	.set _Z19_skinny_gemm_kernelILi1ELi4ELi1ELi8ELi4EEvPKhS1_P6__halfPKfiiiiiiii.uses_flat_scratch, 0
	.set _Z19_skinny_gemm_kernelILi1ELi4ELi1ELi8ELi4EEvPKhS1_P6__halfPKfiiiiiiii.has_dyn_sized_stack, 0
	.set _Z19_skinny_gemm_kernelILi1ELi4ELi1ELi8ELi4EEvPKhS1_P6__halfPKfiiiiiiii.has_recursion, 0
	.set _Z19_skinny_gemm_kernelILi1ELi4ELi1ELi8ELi4EEvPKhS1_P6__halfPKfiiiiiiii.has_indirect_call, 0
	.section	.AMDGPU.csdata,"",@progbits
; Kernel info:
; codeLenInByte = 4144
; TotalNumSgprs: 65
; NumVgprs: 64
; NumAgprs: 0
; TotalNumVgprs: 64
; ScratchSize: 0
; MemoryBound: 0
; FloatMode: 240
; IeeeMode: 1
; LDSByteSize: 18452 bytes/workgroup (compile time only)
; SGPRBlocks: 8
; VGPRBlocks: 7
; NumSGPRsForWavesPerEU: 65
; NumVGPRsForWavesPerEU: 64
; AccumOffset: 64
; Occupancy: 8
; WaveLimiterHint : 0
; COMPUTE_PGM_RSRC2:SCRATCH_EN: 0
; COMPUTE_PGM_RSRC2:USER_SGPR: 2
; COMPUTE_PGM_RSRC2:TRAP_HANDLER: 0
; COMPUTE_PGM_RSRC2:TGID_X_EN: 1
; COMPUTE_PGM_RSRC2:TGID_Y_EN: 0
; COMPUTE_PGM_RSRC2:TGID_Z_EN: 0
; COMPUTE_PGM_RSRC2:TIDIG_COMP_CNT: 0
; COMPUTE_PGM_RSRC3_GFX90A:ACCUM_OFFSET: 15
; COMPUTE_PGM_RSRC3_GFX90A:TG_SPLIT: 0
	.section	.text._Z19_skinny_gemm_kernelILi1ELi4ELi1ELi8ELi8EEvPKhS1_P6__halfPKfiiiiiiii,"axG",@progbits,_Z19_skinny_gemm_kernelILi1ELi4ELi1ELi8ELi8EEvPKhS1_P6__halfPKfiiiiiiii,comdat
	.protected	_Z19_skinny_gemm_kernelILi1ELi4ELi1ELi8ELi8EEvPKhS1_P6__halfPKfiiiiiiii ; -- Begin function _Z19_skinny_gemm_kernelILi1ELi4ELi1ELi8ELi8EEvPKhS1_P6__halfPKfiiiiiiii
	.globl	_Z19_skinny_gemm_kernelILi1ELi4ELi1ELi8ELi8EEvPKhS1_P6__halfPKfiiiiiiii
	.p2align	8
	.type	_Z19_skinny_gemm_kernelILi1ELi4ELi1ELi8ELi8EEvPKhS1_P6__halfPKfiiiiiiii,@function
_Z19_skinny_gemm_kernelILi1ELi4ELi1ELi8ELi8EEvPKhS1_P6__halfPKfiiiiiiii: ; @_Z19_skinny_gemm_kernelILi1ELi4ELi1ELi8ELi8EEvPKhS1_P6__halfPKfiiiiiiii
; %bb.0:
	v_cmp_gt_u32_e32 vcc, 5, v0
	v_lshlrev_b32_e32 v1, 2, v0
	s_and_saveexec_b64 s[4:5], vcc
; %bb.1:
	v_mov_b32_e32 v2, 0
	ds_write_b32 v1, v2 offset:36864
; %bb.2:
	s_or_b64 exec, exec, s[4:5]
	s_load_dwordx8 s[12:19], s[0:1], 0x20
	s_waitcnt lgkmcnt(0)
	s_barrier
	s_add_i32 s3, s12, 7
	s_ashr_i32 s5, s3, 31
	s_add_i32 s4, s13, 63
	s_lshr_b32 s5, s5, 29
	s_ashr_i32 s6, s4, 31
	s_add_i32 s3, s3, s5
	s_ashr_i32 s15, s3, 3
	s_lshr_b32 s3, s6, 26
	s_add_i32 s4, s4, s3
	s_ashr_i32 s33, s4, 6
	s_mul_i32 s3, s33, s15
	s_mul_i32 s3, s3, s16
	s_add_i32 s4, s3, 0x12f
	s_mul_hi_i32 s4, s4, 0x6bca1af3
	s_lshr_b32 s5, s4, 31
	s_ashr_i32 s4, s4, 7
	s_add_i32 s4, s4, s5
	s_add_i32 s5, s2, 1
	s_mul_i32 s5, s4, s5
	v_cvt_f64_i32_e32 v[2:3], s3
	v_cvt_f64_u32_e32 v[4:5], s5
	v_min_f64 v[2:3], v[2:3], v[4:5]
	v_cvt_i32_f64_e32 v17, v[2:3]
	s_mul_i32 s40, s4, s2
	v_cmp_ge_i32_e32 vcc, s40, v17
	s_cbranch_vccnz .LBB91_50
; %bb.3:
	v_lshrrev_b32_e32 v2, 6, v0
	s_add_i32 s4, s18, s17
	s_load_dwordx2 s[24:25], s[0:1], 0x0
	s_load_dwordx4 s[20:23], s[0:1], 0x10
	v_cmp_le_i32_e64 s[0:1], s4, v2
	v_mov_b32_e32 v3, s17
	v_cmp_le_i32_e64 s[2:3], s17, v2
	v_mov_b32_e32 v4, s18
	v_cndmask_b32_e64 v4, 0, v4, s[0:1]
	v_cndmask_b32_e64 v3, 0, v3, s[2:3]
	s_abs_i32 s5, s16
	v_add_u32_e32 v3, v3, v4
	v_cvt_f32_u32_e32 v4, s5
	v_sub_u32_e32 v26, v2, v3
	s_ashr_i32 s6, s14, 31
	s_lshr_b32 s6, s6, 23
	v_rcp_iflag_f32_e32 v3, v4
	s_sub_i32 s9, 0, s5
	s_add_i32 s6, s14, s6
	s_ashr_i32 s6, s6, 9
	v_mul_f32_e32 v3, 0x4f7ffffe, v3
	v_cvt_u32_f32_e32 v3, v3
	s_abs_i32 s8, s6
	s_xor_b32 s7, s6, s16
	s_ashr_i32 s7, s7, 31
	v_readfirstlane_b32 s10, v3
	s_mul_i32 s9, s9, s10
	s_mul_hi_u32 s9, s10, s9
	s_add_i32 s10, s10, s9
	s_mul_hi_u32 s9, s8, s10
	s_mul_i32 s10, s9, s5
	s_sub_i32 s8, s8, s10
	s_add_i32 s10, s9, 1
	s_sub_i32 s11, s8, s5
	s_cmp_ge_u32 s8, s5
	s_cselect_b32 s9, s10, s9
	s_cselect_b32 s8, s11, s8
	s_add_i32 s10, s9, 1
	s_cmp_ge_u32 s8, s5
	s_cselect_b32 s5, s10, s9
	s_xor_b32 s5, s5, s7
	s_sub_i32 s41, s5, s7
	s_add_i32 s16, s16, -1
	s_mul_i32 s5, s41, s16
	s_add_i32 s4, s4, s19
	s_sub_i32 s42, s6, s5
	v_cmp_gt_i32_e64 s[4:5], s4, v2
	v_and_b32_e32 v2, 1, v0
	v_lshlrev_b32_e32 v3, 1, v0
	v_and_b32_e32 v3, 0x7c, v3
	v_lshlrev_b32_e32 v4, 8, v2
	v_lshlrev_b32_e32 v5, 4, v0
	s_mov_b32 s7, 0x8000
	s_movk_i32 s6, 0x7c
	v_and_b32_e32 v6, 0x200, v5
	v_or3_b32 v42, v3, v4, s7
	v_lshrrev_b32_e32 v3, 3, v0
	v_cmp_eq_u32_e32 vcc, 0, v2
	v_and_or_b32 v43, v1, s6, v6
	v_lshlrev_b32_e32 v1, 1, v2
	v_and_or_b32 v2, v3, 6, v2
	v_lshlrev_b32_e32 v4, 7, v0
	v_and_b32_e32 v16, 14, v0
	v_bitop3_b32 v44, v0, 1, v0 bitop3:0xc
	v_sub_u32_e32 v1, v0, v1
	v_sub_u32_e32 v45, 8, v2
	v_mul_lo_u32 v18, s13, v2
	v_bfe_u32 v2, v0, 3, 3
	v_and_b32_e32 v4, 0x200, v4
	v_lshlrev_b32_e32 v0, 5, v0
	v_lshl_or_b32 v4, v2, 2, v4
	v_and_b32_e32 v0, 0x60, v0
	s_abs_i32 s43, s15
	v_or3_b32 v46, v4, v0, s7
	v_cvt_f32_u32_e32 v0, s43
	s_abs_i32 s45, s33
	v_mul_lo_u32 v48, s14, v2
	v_cvt_f32_u32_e32 v2, s45
	v_rcp_iflag_f32_e32 v0, v0
	s_sub_i32 s6, 0, s43
	v_add_u32_e32 v1, 1, v1
	v_rcp_iflag_f32_e32 v2, v2
	v_mul_f32_e32 v0, 0x4f7ffffe, v0
	v_cvt_u32_f32_e32 v0, v0
	v_and_b32_e32 v1, 63, v1
	v_mov_b32_e32 v7, 0xeeee
	v_mov_b32_e32 v8, 0x4444
	v_readfirstlane_b32 s7, v0
	v_mul_f32_e32 v0, 0x4f7ffffe, v2
	v_cvt_u32_f32_e32 v0, v0
	s_mul_i32 s6, s6, s7
	s_mul_hi_u32 s6, s7, s6
	s_add_i32 s47, s7, s6
	s_sub_i32 s6, 0, s45
	v_readfirstlane_b32 s7, v0
	v_mbcnt_lo_u32_b32 v0, -1, 0
	s_mul_i32 s6, s6, s7
	v_mbcnt_hi_u32_b32 v0, -1, v0
	v_mov_b32_e32 v21, 0
	s_mul_hi_u32 s6, s7, s6
	v_and_or_b32 v0, v0, 64, v1
	v_cndmask_b32_e64 v40, 0, 1, s[0:1]
	s_mov_b32 s27, 0
	v_cndmask_b32_e32 v41, v7, v8, vcc
	v_ashrrev_i32_e32 v19, 31, v18
	s_lshl_b32 s44, s41, 9
	v_bitop3_b32 v47, v3, 7, v3 bitop3:0xc
	v_and_b32_e32 v22, 0x70, v5
	v_mov_b32_e32 v23, v21
	s_lshl_b32 s26, s17, 9
	s_ashr_i32 s46, s15, 31
	s_ashr_i32 s48, s33, 31
	s_add_i32 s49, s7, s6
	s_mov_b64 s[28:29], 0x60
	v_lshlrev_b32_e32 v49, 2, v0
	v_mov_b32_e32 v50, v26
	s_branch .LBB91_7
.LBB91_4:                               ;   in Loop: Header=BB91_7 Depth=1
	s_or_b64 exec, exec, s[10:11]
.LBB91_5:                               ;   in Loop: Header=BB91_7 Depth=1
	s_or_b64 exec, exec, s[8:9]
	v_subrev_u32_e32 v50, s50, v50
.LBB91_6:                               ;   in Loop: Header=BB91_7 Depth=1
	s_or_b64 exec, exec, s[6:7]
	s_add_i32 s40, s40, 1
	v_cmp_ge_i32_e32 vcc, s40, v17
	s_cbranch_vccnz .LBB91_50
.LBB91_7:                               ; =>This Loop Header: Depth=1
                                        ;     Child Loop BB91_13 Depth 2
                                        ;       Child Loop BB91_15 Depth 3
                                        ;       Child Loop BB91_18 Depth 3
	;; [unrolled: 1-line block ×5, first 2 shown]
                                        ;     Child Loop BB91_37 Depth 2
                                        ;       Child Loop BB91_39 Depth 3
                                        ;     Child Loop BB91_47 Depth 2
                                        ;       Child Loop BB91_49 Depth 3
	s_abs_i32 s7, s40
	s_mul_hi_u32 s8, s7, s47
	s_mul_i32 s9, s8, s43
	s_ashr_i32 s6, s40, 31
	s_sub_i32 s7, s7, s9
	s_xor_b32 s6, s6, s46
	s_add_i32 s9, s8, 1
	s_sub_i32 s10, s7, s43
	s_cmp_ge_u32 s7, s43
	s_cselect_b32 s8, s9, s8
	s_cselect_b32 s7, s10, s7
	s_add_i32 s9, s8, 1
	s_cmp_ge_u32 s7, s43
	s_cselect_b32 s7, s9, s8
	s_xor_b32 s7, s7, s6
	s_sub_i32 s54, s7, s6
	s_abs_i32 s7, s54
	s_mul_i32 s6, s54, s15
	s_mul_hi_u32 s8, s7, s49
	s_sub_i32 s6, s40, s6
	s_mul_i32 s9, s8, s45
	s_lshl_b32 s51, s6, 3
	s_ashr_i32 s6, s54, 31
	s_sub_i32 s7, s7, s9
	s_xor_b32 s6, s6, s48
	s_add_i32 s9, s8, 1
	s_sub_i32 s10, s7, s45
	s_cmp_ge_u32 s7, s45
	s_cselect_b32 s8, s9, s8
	s_cselect_b32 s7, s10, s7
	s_add_i32 s9, s8, 1
	s_cmp_ge_u32 s7, s45
	s_cselect_b32 s7, s9, s8
	s_xor_b32 s7, s7, s6
	s_sub_i32 s53, s7, s6
	s_cmp_eq_u32 s53, s16
	s_cselect_b32 s50, s42, s41
	s_sub_i32 s52, s51, s12
	s_add_i32 s52, s52, 8
	s_and_saveexec_b64 s[6:7], s[2:3]
	s_xor_b64 s[30:31], exec, s[6:7]
	s_cbranch_execz .LBB91_43
; %bb.8:                                ;   in Loop: Header=BB91_7 Depth=1
	s_and_saveexec_b64 s[6:7], s[0:1]
	s_xor_b64 s[34:35], exec, s[6:7]
	s_cbranch_execz .LBB91_33
; %bb.9:                                ;   in Loop: Header=BB91_7 Depth=1
	s_and_saveexec_b64 s[36:37], s[4:5]
	s_cbranch_execz .LBB91_32
; %bb.10:                               ;   in Loop: Header=BB91_7 Depth=1
	s_waitcnt lgkmcnt(0)
	global_load_dword v20, v21, s[22:23]
	v_mov_b32_e32 v15, 0
	v_cmp_gt_i32_e32 vcc, s50, v50
	v_mov_b32_e32 v14, v15
	v_mov_b32_e32 v13, v15
	;; [unrolled: 1-line block ×15, first 2 shown]
	s_and_saveexec_b64 s[6:7], vcc
	s_cbranch_execz .LBB91_29
; %bb.11:                               ;   in Loop: Header=BB91_7 Depth=1
	v_mov_b32_e32 v0, 0
	s_mov_b64 s[8:9], 0
	v_mov_b32_e32 v1, v0
	v_mov_b32_e32 v2, v0
	;; [unrolled: 1-line block ×15, first 2 shown]
	s_branch .LBB91_13
.LBB91_12:                              ;   in Loop: Header=BB91_13 Depth=2
	s_or_b64 exec, exec, s[10:11]
	v_add_u32_e32 v55, 0x6000, v54
	ds_read2_b32 v[56:57], v55 offset1:32
	ds_read2_b32 v[58:59], v55 offset0:64 offset1:96
	v_add_u32_e32 v55, 0x6400, v54
	ds_read2_b32 v[60:61], v55 offset1:32
	ds_read2_b32 v[62:63], v55 offset0:64 offset1:96
	v_add_u32_e32 v50, s19, v50
	v_cmp_le_i32_e32 vcc, s50, v50
	s_waitcnt lgkmcnt(2)
	v_smfmac_f32_16x16x64_fp8_fp8 v[0:3], v[38:39], v[56:59], v41 cbsz:7 abid:1
	v_add_u32_e32 v38, 0x6800, v54
	ds_read2_b32 v[56:57], v38 offset1:32
	ds_read2_b32 v[58:59], v38 offset0:64 offset1:96
	v_add_u32_e32 v38, 0x6c00, v54
	s_waitcnt lgkmcnt(2)
	v_smfmac_f32_16x16x64_fp8_fp8 v[0:3], v[36:37], v[60:63], v41 cbsz:7 abid:1
	ds_read2_b32 v[36:37], v38 offset1:32
	ds_read2_b32 v[38:39], v38 offset0:64 offset1:96
	s_or_b64 s[8:9], vcc, s[8:9]
	s_waitcnt lgkmcnt(2)
	v_smfmac_f32_16x16x64_fp8_fp8 v[0:3], v[34:35], v[56:59], v41 cbsz:7 abid:1
	v_add_u32_e32 v34, 0x7000, v54
	ds_read2_b32 v[56:57], v34 offset1:32
	ds_read2_b32 v[58:59], v34 offset0:64 offset1:96
	v_add_u32_e32 v34, 0x7400, v54
	s_waitcnt lgkmcnt(2)
	v_smfmac_f32_16x16x64_fp8_fp8 v[0:3], v[32:33], v[36:39], v41 cbsz:7 abid:1
	ds_read2_b32 v[32:33], v34 offset1:32
	ds_read2_b32 v[34:35], v34 offset0:64 offset1:96
	s_waitcnt lgkmcnt(2)
	v_smfmac_f32_16x16x64_fp8_fp8 v[0:3], v[30:31], v[56:59], v41 cbsz:7 abid:1
	v_add_u32_e32 v30, 0x7800, v54
	ds_read2_b32 v[36:37], v30 offset1:32
	ds_read2_b32 v[38:39], v30 offset0:64 offset1:96
	v_add_u32_e32 v30, 0x7c00, v54
	s_waitcnt lgkmcnt(2)
	v_smfmac_f32_16x16x64_fp8_fp8 v[0:3], v[28:29], v[32:35], v41 cbsz:7 abid:1
	ds_read2_b32 v[28:29], v30 offset1:32
	ds_read2_b32 v[30:31], v30 offset0:64 offset1:96
	ds_write_b32 v53, v52 offset:36880
	s_waitcnt lgkmcnt(3)
	v_smfmac_f32_16x16x64_fp8_fp8 v[0:3], v[26:27], v[36:39], v41 cbsz:7 abid:1
	v_add_u32_e32 v26, s19, v51
	v_add_u32_e32 v27, 2, v40
	v_cmp_lt_i32_e32 vcc, 0, v26
	s_waitcnt lgkmcnt(1)
	v_smfmac_f32_16x16x64_fp8_fp8 v[0:3], v[24:25], v[28:31], v41 cbsz:7 abid:1
	v_cndmask_b32_e32 v40, v40, v27, vcc
	s_andn2_b64 exec, exec, s[8:9]
	s_cbranch_execz .LBB91_28
.LBB91_13:                              ;   Parent Loop BB91_7 Depth=1
                                        ; =>  This Loop Header: Depth=2
                                        ;       Child Loop BB91_15 Depth 3
                                        ;       Child Loop BB91_18 Depth 3
	;; [unrolled: 1-line block ×5, first 2 shown]
	v_cmp_lt_i32_e32 vcc, 0, v26
	s_nop 1
	v_subbrev_co_u32_e32 v51, vcc, 0, v26, vcc
	v_lshlrev_b32_e32 v24, 2, v51
	ds_read_b32 v25, v24 offset:36864
	v_add_u32_e32 v53, 0x9000, v24
	s_waitcnt lgkmcnt(0)
	v_cmp_ne_u32_e32 vcc, v25, v40
	s_and_saveexec_b64 s[10:11], vcc
	s_cbranch_execz .LBB91_16
; %bb.14:                               ;   in Loop: Header=BB91_13 Depth=2
	s_mov_b64 s[38:39], 0
.LBB91_15:                              ;   Parent Loop BB91_7 Depth=1
                                        ;     Parent Loop BB91_13 Depth=2
                                        ; =>    This Inner Loop Header: Depth=3
	;;#ASMSTART
	s_sleep 0
	;;#ASMEND
	ds_read_b32 v24, v53
	s_waitcnt lgkmcnt(0)
	v_cmp_eq_u32_e32 vcc, v24, v40
	s_or_b64 s[38:39], vcc, s[38:39]
	s_andn2_b64 exec, exec, s[38:39]
	s_cbranch_execnz .LBB91_15
.LBB91_16:                              ;   in Loop: Header=BB91_13 Depth=2
	s_or_b64 exec, exec, s[10:11]
	v_lshl_add_u32 v24, v51, 12, v42
	v_add_u32_e32 v25, 0x400, v24
	ds_read2_b32 v[38:39], v24 offset1:32
	ds_read2_b32 v[36:37], v24 offset0:128 offset1:160
	ds_read2_b32 v[34:35], v25 offset1:32
	ds_read2_b32 v[32:33], v25 offset0:128 offset1:160
	v_add_u32_e32 v25, 0x800, v24
	v_add_u32_e32 v24, 0xc00, v24
	;; [unrolled: 1-line block ×3, first 2 shown]
	ds_read2_b32 v[30:31], v25 offset1:32
	ds_read2_b32 v[28:29], v25 offset0:128 offset1:160
	ds_read2_b32 v[26:27], v24 offset1:32
	ds_read2_b32 v[24:25], v24 offset0:128 offset1:160
	;;#ASMSTART
	s_waitcnt lgkmcnt(0)
	;;#ASMEND
	ds_write_b32 v53, v52
	v_lshlrev_b32_e32 v53, 4, v51
	ds_read_b32 v54, v53 offset:36868
	s_waitcnt lgkmcnt(0)
	v_cmp_ne_u32_e32 vcc, v54, v40
	s_and_saveexec_b64 s[10:11], vcc
	s_cbranch_execz .LBB91_19
; %bb.17:                               ;   in Loop: Header=BB91_13 Depth=2
	s_mov_b64 s[38:39], 0
.LBB91_18:                              ;   Parent Loop BB91_7 Depth=1
                                        ;     Parent Loop BB91_13 Depth=2
                                        ; =>    This Inner Loop Header: Depth=3
	;;#ASMSTART
	s_sleep 0
	;;#ASMEND
	ds_read_b32 v54, v53 offset:36868
	s_waitcnt lgkmcnt(0)
	v_cmp_eq_u32_e32 vcc, v54, v40
	s_or_b64 s[38:39], vcc, s[38:39]
	s_andn2_b64 exec, exec, s[38:39]
	s_cbranch_execnz .LBB91_18
.LBB91_19:                              ;   in Loop: Header=BB91_13 Depth=2
	s_or_b64 exec, exec, s[10:11]
	v_lshl_or_b32 v54, v51, 15, v43
	ds_read2_b32 v[56:57], v54 offset1:32
	ds_read2_b32 v[58:59], v54 offset0:64 offset1:96
	v_add_u32_e32 v55, 0x400, v54
	ds_read2_b32 v[60:61], v55 offset1:32
	ds_read2_b32 v[62:63], v55 offset0:64 offset1:96
	v_add_u32_e32 v55, 0x800, v54
	s_waitcnt lgkmcnt(2)
	v_smfmac_f32_16x16x64_fp8_fp8 v[12:15], v[38:39], v[56:59], v41 cbsz:7 abid:1
	ds_read2_b32 v[56:57], v55 offset1:32
	ds_read2_b32 v[58:59], v55 offset0:64 offset1:96
	v_add_u32_e32 v55, 0xc00, v54
	s_waitcnt lgkmcnt(2)
	v_smfmac_f32_16x16x64_fp8_fp8 v[12:15], v[36:37], v[60:63], v41 cbsz:7 abid:1
	;; [unrolled: 5-line block ×6, first 2 shown]
	ds_read2_b32 v[60:61], v55 offset1:32
	ds_read2_b32 v[62:63], v55 offset0:64 offset1:96
	ds_read_b32 v55, v53 offset:36872
	ds_write_b32 v53, v52 offset:36868
	s_waitcnt lgkmcnt(4)
	v_smfmac_f32_16x16x64_fp8_fp8 v[12:15], v[26:27], v[56:59], v41 cbsz:7 abid:1
	s_waitcnt lgkmcnt(1)
	v_cmp_ne_u32_e32 vcc, v55, v40
	v_smfmac_f32_16x16x64_fp8_fp8 v[12:15], v[24:25], v[60:63], v41 cbsz:7 abid:1
	s_and_saveexec_b64 s[10:11], vcc
	s_cbranch_execz .LBB91_22
; %bb.20:                               ;   in Loop: Header=BB91_13 Depth=2
	s_mov_b64 s[38:39], 0
.LBB91_21:                              ;   Parent Loop BB91_7 Depth=1
                                        ;     Parent Loop BB91_13 Depth=2
                                        ; =>    This Inner Loop Header: Depth=3
	;;#ASMSTART
	s_sleep 0
	;;#ASMEND
	ds_read_b32 v55, v53 offset:36872
	s_waitcnt lgkmcnt(0)
	v_cmp_eq_u32_e32 vcc, v55, v40
	s_or_b64 s[38:39], vcc, s[38:39]
	s_andn2_b64 exec, exec, s[38:39]
	s_cbranch_execnz .LBB91_21
.LBB91_22:                              ;   in Loop: Header=BB91_13 Depth=2
	s_or_b64 exec, exec, s[10:11]
	v_add_u32_e32 v55, 0x2000, v54
	ds_read2_b32 v[56:57], v55 offset1:32
	ds_read2_b32 v[58:59], v55 offset0:64 offset1:96
	v_add_u32_e32 v55, 0x2400, v54
	ds_read2_b32 v[60:61], v55 offset1:32
	ds_read2_b32 v[62:63], v55 offset0:64 offset1:96
	v_add_u32_e32 v55, 0x2800, v54
	s_waitcnt lgkmcnt(2)
	v_smfmac_f32_16x16x64_fp8_fp8 v[8:11], v[38:39], v[56:59], v41 cbsz:7 abid:1
	ds_read2_b32 v[56:57], v55 offset1:32
	ds_read2_b32 v[58:59], v55 offset0:64 offset1:96
	v_add_u32_e32 v55, 0x2c00, v54
	s_waitcnt lgkmcnt(2)
	v_smfmac_f32_16x16x64_fp8_fp8 v[8:11], v[36:37], v[60:63], v41 cbsz:7 abid:1
	;; [unrolled: 5-line block ×6, first 2 shown]
	ds_read2_b32 v[60:61], v55 offset1:32
	ds_read2_b32 v[62:63], v55 offset0:64 offset1:96
	ds_read_b32 v55, v53 offset:36876
	ds_write_b32 v53, v52 offset:36872
	s_waitcnt lgkmcnt(4)
	v_smfmac_f32_16x16x64_fp8_fp8 v[8:11], v[26:27], v[56:59], v41 cbsz:7 abid:1
	s_waitcnt lgkmcnt(1)
	v_cmp_ne_u32_e32 vcc, v55, v40
	v_smfmac_f32_16x16x64_fp8_fp8 v[8:11], v[24:25], v[60:63], v41 cbsz:7 abid:1
	s_and_saveexec_b64 s[10:11], vcc
	s_cbranch_execz .LBB91_25
; %bb.23:                               ;   in Loop: Header=BB91_13 Depth=2
	s_mov_b64 s[38:39], 0
.LBB91_24:                              ;   Parent Loop BB91_7 Depth=1
                                        ;     Parent Loop BB91_13 Depth=2
                                        ; =>    This Inner Loop Header: Depth=3
	;;#ASMSTART
	s_sleep 0
	;;#ASMEND
	ds_read_b32 v55, v53 offset:36876
	s_waitcnt lgkmcnt(0)
	v_cmp_eq_u32_e32 vcc, v55, v40
	s_or_b64 s[38:39], vcc, s[38:39]
	s_andn2_b64 exec, exec, s[38:39]
	s_cbranch_execnz .LBB91_24
.LBB91_25:                              ;   in Loop: Header=BB91_13 Depth=2
	s_or_b64 exec, exec, s[10:11]
	v_add_u32_e32 v55, 0x4000, v54
	ds_read2_b32 v[56:57], v55 offset1:32
	ds_read2_b32 v[58:59], v55 offset0:64 offset1:96
	v_add_u32_e32 v55, 0x4400, v54
	ds_read2_b32 v[60:61], v55 offset1:32
	ds_read2_b32 v[62:63], v55 offset0:64 offset1:96
	v_add_u32_e32 v55, 0x4800, v54
	s_waitcnt lgkmcnt(2)
	v_smfmac_f32_16x16x64_fp8_fp8 v[4:7], v[38:39], v[56:59], v41 cbsz:7 abid:1
	ds_read2_b32 v[56:57], v55 offset1:32
	ds_read2_b32 v[58:59], v55 offset0:64 offset1:96
	v_add_u32_e32 v55, 0x4c00, v54
	s_waitcnt lgkmcnt(2)
	v_smfmac_f32_16x16x64_fp8_fp8 v[4:7], v[36:37], v[60:63], v41 cbsz:7 abid:1
	;; [unrolled: 5-line block ×6, first 2 shown]
	ds_read2_b32 v[60:61], v55 offset1:32
	ds_read2_b32 v[62:63], v55 offset0:64 offset1:96
	ds_read_b32 v55, v53 offset:36880
	ds_write_b32 v53, v52 offset:36876
	s_waitcnt lgkmcnt(4)
	v_smfmac_f32_16x16x64_fp8_fp8 v[4:7], v[26:27], v[56:59], v41 cbsz:7 abid:1
	s_waitcnt lgkmcnt(1)
	v_cmp_ne_u32_e32 vcc, v55, v40
	v_smfmac_f32_16x16x64_fp8_fp8 v[4:7], v[24:25], v[60:63], v41 cbsz:7 abid:1
	s_and_saveexec_b64 s[10:11], vcc
	s_cbranch_execz .LBB91_12
; %bb.26:                               ;   in Loop: Header=BB91_13 Depth=2
	s_mov_b64 s[38:39], 0
.LBB91_27:                              ;   Parent Loop BB91_7 Depth=1
                                        ;     Parent Loop BB91_13 Depth=2
                                        ; =>    This Inner Loop Header: Depth=3
	;;#ASMSTART
	s_sleep 0
	;;#ASMEND
	ds_read_b32 v55, v53 offset:36880
	s_waitcnt lgkmcnt(0)
	v_cmp_eq_u32_e32 vcc, v55, v40
	s_or_b64 s[38:39], vcc, s[38:39]
	s_andn2_b64 exec, exec, s[38:39]
	s_cbranch_execnz .LBB91_27
	s_branch .LBB91_12
.LBB91_28:                              ;   in Loop: Header=BB91_7 Depth=1
	s_or_b64 exec, exec, s[8:9]
.LBB91_29:                              ;   in Loop: Header=BB91_7 Depth=1
	s_or_b64 exec, exec, s[6:7]
	s_mul_i32 s6, s53, s33
	s_sub_i32 s6, s54, s6
	s_lshl_b32 s38, s6, 6
	s_sub_i32 s39, s38, s13
	s_add_i32 s39, s39, 64
	v_cmp_le_i32_e32 vcc, s39, v16
	v_mov_b32_e32 v28, v13
	v_mov_b32_e32 v29, v14
	;; [unrolled: 1-line block ×3, first 2 shown]
	s_waitcnt vmcnt(0)
	v_cndmask_b32_e32 v24, 0, v20, vcc
	v_pk_add_f32 v[12:13], v[28:29], v[12:13]
	v_cmp_eq_u32_e32 vcc, 1, v44
	v_pk_mul_f32 v[12:13], v[24:25], v[12:13] op_sel_hi:[0,1]
	v_cmp_eq_u32_e64 s[6:7], 2, v44
	v_cndmask_b32_e32 v24, v12, v13, vcc
	v_cmp_eq_u32_e64 s[8:9], 3, v44
	v_cndmask_b32_e64 v14, v24, v14, s[6:7]
	v_mov_b32_e32 v28, v9
	v_cndmask_b32_e64 v14, v14, v15, s[8:9]
	v_or_b32_e32 v15, 16, v16
	v_cmp_le_i32_e64 s[10:11], s39, v15
	v_mov_b32_e32 v29, v10
	v_mov_b32_e32 v9, v11
	v_cndmask_b32_e64 v24, 0, v20, s[10:11]
	v_pk_add_f32 v[8:9], v[28:29], v[8:9]
	v_mov_b32_e32 v28, v5
	v_pk_mul_f32 v[8:9], v[24:25], v[8:9] op_sel_hi:[0,1]
	v_cndmask_b32_e32 v15, v8, v9, vcc
	v_cndmask_b32_e64 v10, v15, v10, s[6:7]
	v_cndmask_b32_e64 v10, v10, v11, s[8:9]
	v_or_b32_e32 v11, 32, v16
	v_cmp_le_i32_e64 s[10:11], s39, v11
	v_mov_b32_e32 v29, v6
	v_mov_b32_e32 v5, v7
	v_cndmask_b32_e64 v24, 0, v20, s[10:11]
	v_pk_add_f32 v[4:5], v[28:29], v[4:5]
	ds_bpermute_b32 v14, v49, v14
	v_pk_mul_f32 v[4:5], v[24:25], v[4:5] op_sel_hi:[0,1]
	v_cndmask_b32_e32 v11, v4, v5, vcc
	v_cndmask_b32_e64 v6, v11, v6, s[6:7]
	v_cndmask_b32_e64 v6, v6, v7, s[8:9]
	v_or_b32_e32 v7, 48, v16
	v_cmp_le_i32_e32 vcc, s39, v7
	v_mov_b32_e32 v24, v1
	v_mov_b32_e32 v25, v2
	;; [unrolled: 1-line block ×3, first 2 shown]
	v_cndmask_b32_e32 v20, 0, v20, vcc
	v_pk_add_f32 v[0:1], v[24:25], v[0:1]
	v_cmp_ne_u32_e32 vcc, 0, v44
	v_pk_mul_f32 v[0:1], v[20:21], v[0:1] op_sel_hi:[0,1]
	ds_bpermute_b32 v10, v49, v10
	v_cndmask_b32_e32 v7, v0, v1, vcc
	v_cndmask_b32_e64 v2, v7, v2, s[6:7]
	v_cndmask_b32_e64 v2, v2, v3, s[8:9]
	ds_bpermute_b32 v6, v49, v6
	ds_bpermute_b32 v2, v49, v2
	v_cmp_lt_i32_e32 vcc, s52, v45
	s_and_saveexec_b64 s[8:9], vcc
	s_cbranch_execz .LBB91_31
; %bb.30:                               ;   in Loop: Header=BB91_7 Depth=1
	s_mul_i32 s10, s51, s13
	s_max_i32 s6, s39, 0
	s_ashr_i32 s11, s10, 31
	s_sub_i32 s6, s38, s6
	s_lshl_b64 s[10:11], s[10:11], 1
	s_add_u32 s10, s20, s10
	s_addc_u32 s11, s21, s11
	s_ashr_i32 s7, s6, 31
	s_lshl_b64 s[6:7], s[6:7], 1
	s_add_u32 s10, s10, s6
	s_addc_u32 s11, s11, s7
	v_cmp_ne_u32_e32 vcc, 0, v44
	v_cmp_eq_u32_e64 s[6:7], 0, v44
	v_lshlrev_b32_e32 v20, 1, v16
	s_waitcnt lgkmcnt(0)
	v_cndmask_b32_e32 v7, v1, v2, vcc
	v_cndmask_b32_e64 v11, v0, v2, s[6:7]
	v_cndmask_b32_e32 v5, v5, v6, vcc
	v_cndmask_b32_e64 v4, v4, v6, s[6:7]
	;; [unrolled: 2-line block ×4, first 2 shown]
	v_cvt_f16_f32_e32 v8, v8
	v_cvt_f16_f32_sdwa v6, v6 dst_sel:WORD_1 dst_unused:UNUSED_PAD src0_sel:DWORD
	v_cvt_f16_f32_e32 v9, v3
	v_cvt_f16_f32_sdwa v10, v2 dst_sel:WORD_1 dst_unused:UNUSED_PAD src0_sel:DWORD
	v_lshl_add_u64 v[0:1], v[18:19], 1, s[10:11]
	v_lshl_add_u64 v[0:1], v[0:1], 0, v[20:21]
	v_or_b32_e32 v2, v6, v8
	v_or_b32_e32 v6, v10, v9
	;;#ASMSTART
	global_atomic_pk_add_f16 v[0:1], v2, off
	
	;;#ASMEND
	v_lshl_add_u64 v[2:3], v[0:1], 0, 32
	;;#ASMSTART
	global_atomic_pk_add_f16 v[2:3], v6, off
	
	;;#ASMEND
	v_cvt_f16_f32_e32 v4, v4
	v_cvt_f16_f32_sdwa v5, v5 dst_sel:WORD_1 dst_unused:UNUSED_PAD src0_sel:DWORD
	v_cvt_f16_f32_e32 v6, v11
	v_cvt_f16_f32_sdwa v7, v7 dst_sel:WORD_1 dst_unused:UNUSED_PAD src0_sel:DWORD
	v_lshl_add_u64 v[2:3], v[0:1], 0, 64
	v_or_b32_e32 v4, v5, v4
	;;#ASMSTART
	global_atomic_pk_add_f16 v[2:3], v4, off
	
	;;#ASMEND
	v_lshl_add_u64 v[0:1], v[0:1], 0, s[28:29]
	v_or_b32_e32 v2, v7, v6
	;;#ASMSTART
	global_atomic_pk_add_f16 v[0:1], v2, off
	
	;;#ASMEND
.LBB91_31:                              ;   in Loop: Header=BB91_7 Depth=1
	s_or_b64 exec, exec, s[8:9]
	v_subrev_u32_e32 v50, s50, v50
.LBB91_32:                              ;   in Loop: Header=BB91_7 Depth=1
	s_or_b64 exec, exec, s[36:37]
.LBB91_33:                              ;   in Loop: Header=BB91_7 Depth=1
	s_andn2_saveexec_b64 s[6:7], s[34:35]
	s_cbranch_execz .LBB91_42
; %bb.34:                               ;   in Loop: Header=BB91_7 Depth=1
	s_lshl_b32 s38, s50, 2
	v_cmp_gt_i32_e32 vcc, s38, v50
	s_and_saveexec_b64 s[8:9], vcc
	s_cbranch_execz .LBB91_41
; %bb.35:                               ;   in Loop: Header=BB91_7 Depth=1
	s_mov_b64 s[10:11], 0
	s_branch .LBB91_37
.LBB91_36:                              ;   in Loop: Header=BB91_37 Depth=2
	s_or_b64 exec, exec, s[34:35]
	v_add_u32_e32 v50, s18, v50
	v_add_u32_e32 v26, s18, v0
	v_cmp_le_i32_e32 vcc, s38, v50
	v_add_u32_e32 v0, 2, v40
	s_or_b64 s[10:11], vcc, s[10:11]
	v_cmp_lt_i32_e32 vcc, 3, v26
	v_add_u32_e32 v2, 1, v40
	;;#ASMSTART
	s_waitcnt vmcnt(3)
	;;#ASMEND
	;;#ASMSTART
	s_waitcnt vmcnt(2)
	;;#ASMEND
	;; [unrolled: 3-line block ×4, first 2 shown]
	s_nop 0
	v_cndmask_b32_e32 v40, v40, v0, vcc
	ds_write_b32 v1, v2 offset:4
	s_andn2_b64 exec, exec, s[10:11]
	s_cbranch_execz .LBB91_40
.LBB91_37:                              ;   Parent Loop BB91_7 Depth=1
                                        ; =>  This Loop Header: Depth=2
                                        ;       Child Loop BB91_39 Depth 3
	v_cmp_gt_i32_e32 vcc, 4, v26
	s_nop 1
	v_cndmask_b32_e64 v0, -4, 0, vcc
	v_add_u32_e32 v0, v0, v26
	v_lshlrev_b32_e32 v1, 2, v0
	s_waitcnt lgkmcnt(0)
	ds_read_b32 v2, v1 offset:36868
	v_add_u32_e32 v1, 0x9000, v1
	s_waitcnt lgkmcnt(0)
	v_cmp_ne_u32_e32 vcc, v2, v40
	s_and_saveexec_b64 s[34:35], vcc
	s_cbranch_execz .LBB91_36
; %bb.38:                               ;   in Loop: Header=BB91_37 Depth=2
	s_mov_b64 s[36:37], 0
.LBB91_39:                              ;   Parent Loop BB91_7 Depth=1
                                        ;     Parent Loop BB91_37 Depth=2
                                        ; =>    This Inner Loop Header: Depth=3
	;;#ASMSTART
	s_sleep 0
	;;#ASMEND
	ds_read_b32 v2, v1 offset:4
	s_waitcnt lgkmcnt(0)
	v_cmp_eq_u32_e32 vcc, v2, v40
	s_or_b64 s[36:37], vcc, s[36:37]
	s_andn2_b64 exec, exec, s[36:37]
	s_cbranch_execnz .LBB91_39
	s_branch .LBB91_36
.LBB91_40:                              ;   in Loop: Header=BB91_7 Depth=1
	s_or_b64 exec, exec, s[10:11]
.LBB91_41:                              ;   in Loop: Header=BB91_7 Depth=1
	s_or_b64 exec, exec, s[8:9]
	v_subrev_u32_e32 v50, s38, v50
.LBB91_42:                              ;   in Loop: Header=BB91_7 Depth=1
	s_or_b64 exec, exec, s[6:7]
.LBB91_43:                              ;   in Loop: Header=BB91_7 Depth=1
	s_andn2_saveexec_b64 s[6:7], s[30:31]
	s_cbranch_execz .LBB91_6
; %bb.44:                               ;   in Loop: Header=BB91_7 Depth=1
	v_cmp_gt_i32_e32 vcc, s50, v50
	s_and_saveexec_b64 s[8:9], vcc
	s_cbranch_execz .LBB91_5
; %bb.45:                               ;   in Loop: Header=BB91_7 Depth=1
	s_mul_i32 s51, s51, s14
	s_ashr_i32 s10, s51, 31
	s_waitcnt lgkmcnt(0)
	s_add_u32 s11, s24, s51
	s_mul_i32 s53, s53, s44
	s_addc_u32 s30, s25, s10
	s_ashr_i32 s31, s53, 31
	v_cmp_le_i32_e32 vcc, s52, v47
	s_add_u32 s10, s11, s53
	s_addc_u32 s11, s30, s31
	v_cndmask_b32_e32 v0, 0, v48, vcc
	v_ashrrev_i32_e32 v1, 31, v0
	v_lshl_add_u64 v[0:1], s[10:11], 0, v[0:1]
	v_lshlrev_b32_e32 v2, 9, v50
	v_lshl_add_u64 v[0:1], v[0:1], 0, v[22:23]
	v_ashrrev_i32_e32 v3, 31, v2
	v_lshl_add_u64 v[8:9], v[0:1], 0, v[2:3]
	s_mov_b64 s[10:11], 0
	s_branch .LBB91_47
.LBB91_46:                              ;   in Loop: Header=BB91_47 Depth=2
	s_or_b64 exec, exec, s[30:31]
	;;#ASMSTART
	s_waitcnt vmcnt(1)
	v_pack_b32_f16 v12, v4, v5, op_sel:[0,0]
	v_pack_b32_f16 v13, v4, v5, op_sel:[1,1]
	;; [unrolled: 1-line block ×4, first 2 shown]
	v_swap_b32 v12, v4
	v_swap_b32 v13, v6
	;; [unrolled: 1-line block ×4, first 2 shown]
	;;#ASMEND
	v_add_u32_e32 v50, s17, v50
	v_lshl_add_u32 v12, v10, 12, v46
	ds_write2_b32 v12, v4, v5 offset1:32
	ds_write2_b32 v12, v6, v7 offset0:64 offset1:96
	;;#ASMSTART
	s_waitcnt vmcnt(0)
	v_pack_b32_f16 v4, v0, v1, op_sel:[0,0]
	v_pack_b32_f16 v5, v0, v1, op_sel:[1,1]
	;; [unrolled: 1-line block ×4, first 2 shown]
	v_swap_b32 v4, v0
	v_swap_b32 v5, v2
	;; [unrolled: 1-line block ×4, first 2 shown]
	;;#ASMEND
	v_add_u32_e32 v26, s17, v10
	v_add_u32_e32 v4, 0x400, v12
	ds_write2_b32 v4, v0, v1 offset1:32
	ds_write2_b32 v4, v2, v3 offset0:64 offset1:96
	v_add_u32_e32 v0, 1, v40
	v_cmp_le_i32_e32 vcc, s50, v50
	ds_write_b32 v11, v0
	v_add_u32_e32 v0, 2, v40
	s_or_b64 s[10:11], vcc, s[10:11]
	v_cmp_lt_i32_e32 vcc, 0, v26
	v_lshl_add_u64 v[8:9], v[8:9], 0, s[26:27]
	s_nop 0
	v_cndmask_b32_e32 v40, v40, v0, vcc
	s_andn2_b64 exec, exec, s[10:11]
	s_cbranch_execz .LBB91_4
.LBB91_47:                              ;   Parent Loop BB91_7 Depth=1
                                        ; =>  This Loop Header: Depth=2
                                        ;       Child Loop BB91_49 Depth 3
	v_cmp_lt_i32_e32 vcc, 0, v26
	;;#ASMSTART
	global_load_dwordx4 v[4:7], v[8:9], off offset:0  
	global_load_dwordx4 v[0:3], v[8:9], off offset:128
	
	;;#ASMEND
	s_nop 1
	v_subbrev_co_u32_e32 v10, vcc, 0, v26, vcc
	v_lshlrev_b32_e32 v11, 2, v10
	ds_read_b32 v12, v11 offset:36864
	v_add_u32_e32 v11, 0x9000, v11
	s_waitcnt lgkmcnt(0)
	v_cmp_ne_u32_e32 vcc, v12, v40
	s_and_saveexec_b64 s[30:31], vcc
	s_cbranch_execz .LBB91_46
; %bb.48:                               ;   in Loop: Header=BB91_47 Depth=2
	s_mov_b64 s[34:35], 0
.LBB91_49:                              ;   Parent Loop BB91_7 Depth=1
                                        ;     Parent Loop BB91_47 Depth=2
                                        ; =>    This Inner Loop Header: Depth=3
	;;#ASMSTART
	s_sleep 0
	;;#ASMEND
	ds_read_b32 v12, v11
	s_waitcnt lgkmcnt(0)
	v_cmp_eq_u32_e32 vcc, v12, v40
	s_or_b64 s[34:35], vcc, s[34:35]
	s_andn2_b64 exec, exec, s[34:35]
	s_cbranch_execnz .LBB91_49
	s_branch .LBB91_46
.LBB91_50:
	s_endpgm
	.section	.rodata,"a",@progbits
	.p2align	6, 0x0
	.amdhsa_kernel _Z19_skinny_gemm_kernelILi1ELi4ELi1ELi8ELi8EEvPKhS1_P6__halfPKfiiiiiiii
		.amdhsa_group_segment_fixed_size 36884
		.amdhsa_private_segment_fixed_size 0
		.amdhsa_kernarg_size 64
		.amdhsa_user_sgpr_count 2
		.amdhsa_user_sgpr_dispatch_ptr 0
		.amdhsa_user_sgpr_queue_ptr 0
		.amdhsa_user_sgpr_kernarg_segment_ptr 1
		.amdhsa_user_sgpr_dispatch_id 0
		.amdhsa_user_sgpr_kernarg_preload_length 0
		.amdhsa_user_sgpr_kernarg_preload_offset 0
		.amdhsa_user_sgpr_private_segment_size 0
		.amdhsa_uses_dynamic_stack 0
		.amdhsa_enable_private_segment 0
		.amdhsa_system_sgpr_workgroup_id_x 1
		.amdhsa_system_sgpr_workgroup_id_y 0
		.amdhsa_system_sgpr_workgroup_id_z 0
		.amdhsa_system_sgpr_workgroup_info 0
		.amdhsa_system_vgpr_workitem_id 0
		.amdhsa_next_free_vgpr 64
		.amdhsa_next_free_sgpr 55
		.amdhsa_accum_offset 64
		.amdhsa_reserve_vcc 1
		.amdhsa_float_round_mode_32 0
		.amdhsa_float_round_mode_16_64 0
		.amdhsa_float_denorm_mode_32 3
		.amdhsa_float_denorm_mode_16_64 3
		.amdhsa_dx10_clamp 1
		.amdhsa_ieee_mode 1
		.amdhsa_fp16_overflow 0
		.amdhsa_tg_split 0
		.amdhsa_exception_fp_ieee_invalid_op 0
		.amdhsa_exception_fp_denorm_src 0
		.amdhsa_exception_fp_ieee_div_zero 0
		.amdhsa_exception_fp_ieee_overflow 0
		.amdhsa_exception_fp_ieee_underflow 0
		.amdhsa_exception_fp_ieee_inexact 0
		.amdhsa_exception_int_div_zero 0
	.end_amdhsa_kernel
	.section	.text._Z19_skinny_gemm_kernelILi1ELi4ELi1ELi8ELi8EEvPKhS1_P6__halfPKfiiiiiiii,"axG",@progbits,_Z19_skinny_gemm_kernelILi1ELi4ELi1ELi8ELi8EEvPKhS1_P6__halfPKfiiiiiiii,comdat
.Lfunc_end91:
	.size	_Z19_skinny_gemm_kernelILi1ELi4ELi1ELi8ELi8EEvPKhS1_P6__halfPKfiiiiiiii, .Lfunc_end91-_Z19_skinny_gemm_kernelILi1ELi4ELi1ELi8ELi8EEvPKhS1_P6__halfPKfiiiiiiii
                                        ; -- End function
	.set _Z19_skinny_gemm_kernelILi1ELi4ELi1ELi8ELi8EEvPKhS1_P6__halfPKfiiiiiiii.num_vgpr, 64
	.set _Z19_skinny_gemm_kernelILi1ELi4ELi1ELi8ELi8EEvPKhS1_P6__halfPKfiiiiiiii.num_agpr, 0
	.set _Z19_skinny_gemm_kernelILi1ELi4ELi1ELi8ELi8EEvPKhS1_P6__halfPKfiiiiiiii.numbered_sgpr, 55
	.set _Z19_skinny_gemm_kernelILi1ELi4ELi1ELi8ELi8EEvPKhS1_P6__halfPKfiiiiiiii.num_named_barrier, 0
	.set _Z19_skinny_gemm_kernelILi1ELi4ELi1ELi8ELi8EEvPKhS1_P6__halfPKfiiiiiiii.private_seg_size, 0
	.set _Z19_skinny_gemm_kernelILi1ELi4ELi1ELi8ELi8EEvPKhS1_P6__halfPKfiiiiiiii.uses_vcc, 1
	.set _Z19_skinny_gemm_kernelILi1ELi4ELi1ELi8ELi8EEvPKhS1_P6__halfPKfiiiiiiii.uses_flat_scratch, 0
	.set _Z19_skinny_gemm_kernelILi1ELi4ELi1ELi8ELi8EEvPKhS1_P6__halfPKfiiiiiiii.has_dyn_sized_stack, 0
	.set _Z19_skinny_gemm_kernelILi1ELi4ELi1ELi8ELi8EEvPKhS1_P6__halfPKfiiiiiiii.has_recursion, 0
	.set _Z19_skinny_gemm_kernelILi1ELi4ELi1ELi8ELi8EEvPKhS1_P6__halfPKfiiiiiiii.has_indirect_call, 0
	.section	.AMDGPU.csdata,"",@progbits
; Kernel info:
; codeLenInByte = 4448
; TotalNumSgprs: 61
; NumVgprs: 64
; NumAgprs: 0
; TotalNumVgprs: 64
; ScratchSize: 0
; MemoryBound: 0
; FloatMode: 240
; IeeeMode: 1
; LDSByteSize: 36884 bytes/workgroup (compile time only)
; SGPRBlocks: 7
; VGPRBlocks: 7
; NumSGPRsForWavesPerEU: 61
; NumVGPRsForWavesPerEU: 64
; AccumOffset: 64
; Occupancy: 8
; WaveLimiterHint : 0
; COMPUTE_PGM_RSRC2:SCRATCH_EN: 0
; COMPUTE_PGM_RSRC2:USER_SGPR: 2
; COMPUTE_PGM_RSRC2:TRAP_HANDLER: 0
; COMPUTE_PGM_RSRC2:TGID_X_EN: 1
; COMPUTE_PGM_RSRC2:TGID_Y_EN: 0
; COMPUTE_PGM_RSRC2:TGID_Z_EN: 0
; COMPUTE_PGM_RSRC2:TIDIG_COMP_CNT: 0
; COMPUTE_PGM_RSRC3_GFX90A:ACCUM_OFFSET: 15
; COMPUTE_PGM_RSRC3_GFX90A:TG_SPLIT: 0
	.section	.text._Z19_skinny_gemm_kernelILi1ELi4ELi1ELi16ELi4EEvPKhS1_P6__halfPKfiiiiiiii,"axG",@progbits,_Z19_skinny_gemm_kernelILi1ELi4ELi1ELi16ELi4EEvPKhS1_P6__halfPKfiiiiiiii,comdat
	.protected	_Z19_skinny_gemm_kernelILi1ELi4ELi1ELi16ELi4EEvPKhS1_P6__halfPKfiiiiiiii ; -- Begin function _Z19_skinny_gemm_kernelILi1ELi4ELi1ELi16ELi4EEvPKhS1_P6__halfPKfiiiiiiii
	.globl	_Z19_skinny_gemm_kernelILi1ELi4ELi1ELi16ELi4EEvPKhS1_P6__halfPKfiiiiiiii
	.p2align	8
	.type	_Z19_skinny_gemm_kernelILi1ELi4ELi1ELi16ELi4EEvPKhS1_P6__halfPKfiiiiiiii,@function
_Z19_skinny_gemm_kernelILi1ELi4ELi1ELi16ELi4EEvPKhS1_P6__halfPKfiiiiiiii: ; @_Z19_skinny_gemm_kernelILi1ELi4ELi1ELi16ELi4EEvPKhS1_P6__halfPKfiiiiiiii
; %bb.0:
	v_cmp_gt_u32_e32 vcc, 5, v0
	v_lshlrev_b32_e32 v1, 2, v0
	s_and_saveexec_b64 s[4:5], vcc
; %bb.1:
	v_mov_b32_e32 v2, 0
	ds_write_b32 v1, v2 offset:10240
; %bb.2:
	s_or_b64 exec, exec, s[4:5]
	s_load_dwordx8 s[20:27], s[0:1], 0x20
	s_waitcnt lgkmcnt(0)
	s_barrier
	s_add_i32 s3, s20, 15
	s_ashr_i32 s5, s3, 31
	s_add_i32 s4, s21, 63
	s_lshr_b32 s5, s5, 28
	s_ashr_i32 s6, s4, 31
	s_add_i32 s3, s3, s5
	s_ashr_i32 s33, s3, 4
	s_lshr_b32 s3, s6, 26
	s_add_i32 s4, s4, s3
	s_ashr_i32 s50, s4, 6
	s_mul_i32 s3, s50, s33
	s_mul_i32 s3, s3, s24
	s_add_i32 s4, s3, 0x12f
	s_mul_hi_i32 s4, s4, 0x6bca1af3
	s_lshr_b32 s5, s4, 31
	s_ashr_i32 s4, s4, 7
	s_add_i32 s4, s4, s5
	s_add_i32 s5, s2, 1
	s_mul_i32 s5, s4, s5
	v_cvt_f64_i32_e32 v[2:3], s3
	v_cvt_f64_u32_e32 v[4:5], s5
	v_min_f64 v[2:3], v[2:3], v[4:5]
	v_cvt_i32_f64_e32 v17, v[2:3]
	s_mul_i32 s51, s4, s2
	v_cmp_ge_i32_e32 vcc, s51, v17
	s_cbranch_vccnz .LBB92_51
; %bb.3:
	v_lshrrev_b32_e32 v2, 6, v0
	s_add_i32 s4, s26, s25
	s_load_dwordx8 s[36:43], s[0:1], 0x0
	v_cmp_le_i32_e64 s[0:1], s4, v2
	v_mov_b32_e32 v3, s25
	v_cmp_le_i32_e64 s[2:3], s25, v2
	v_mov_b32_e32 v4, s26
	v_cndmask_b32_e64 v4, 0, v4, s[0:1]
	v_cndmask_b32_e64 v3, 0, v3, s[2:3]
	s_abs_i32 s5, s24
	v_add_u32_e32 v3, v3, v4
	v_cvt_f32_u32_e32 v4, s5
	v_sub_u32_e32 v24, v2, v3
	s_ashr_i32 s6, s22, 31
	s_lshr_b32 s6, s6, 25
	v_rcp_iflag_f32_e32 v3, v4
	s_sub_i32 s9, 0, s5
	s_add_i32 s6, s22, s6
	s_ashr_i32 s6, s6, 7
	v_mul_f32_e32 v3, 0x4f7ffffe, v3
	v_cvt_u32_f32_e32 v3, v3
	s_abs_i32 s8, s6
	s_xor_b32 s7, s6, s24
	s_ashr_i32 s7, s7, 31
	v_readfirstlane_b32 s10, v3
	s_mul_i32 s9, s9, s10
	s_mul_hi_u32 s9, s10, s9
	s_add_i32 s10, s10, s9
	s_mul_hi_u32 s9, s8, s10
	s_mul_i32 s10, s9, s5
	s_sub_i32 s8, s8, s10
	s_add_i32 s10, s9, 1
	s_sub_i32 s11, s8, s5
	s_cmp_ge_u32 s8, s5
	s_cselect_b32 s9, s10, s9
	s_cselect_b32 s8, s11, s8
	s_add_i32 s10, s9, 1
	s_cmp_ge_u32 s8, s5
	s_cselect_b32 s5, s10, s9
	s_xor_b32 s5, s5, s7
	s_sub_i32 s52, s5, s7
	s_add_i32 s24, s24, -1
	s_mul_i32 s5, s52, s24
	s_add_i32 s4, s4, s27
	s_sub_i32 s53, s6, s5
	v_cmp_gt_i32_e64 s[4:5], s4, v2
	v_lshlrev_b32_e32 v2, 1, v0
	v_lshlrev_b32_e32 v3, 4, v0
	v_and_b32_e32 v1, 60, v1
	v_and_b32_e32 v2, 64, v2
	;; [unrolled: 1-line block ×3, first 2 shown]
	s_abs_i32 s54, s33
	v_or3_b32 v39, v1, v2, v4
	v_and_b32_e32 v1, 1, v0
	v_cvt_f32_u32_e32 v6, s54
	v_lshlrev_b32_e32 v2, 1, v1
	v_lshrrev_b32_e32 v4, 2, v0
	v_and_b32_e32 v16, 14, v0
	v_sub_u32_e32 v2, v0, v2
	v_and_or_b32 v41, v4, 12, v1
	v_bitop3_b32 v42, v0, 1, v0 bitop3:0xc
	v_bitop3_b32 v43, v0, 3, 1 bitop3:0x6c
	v_and_b32_e32 v20, 48, v3
	v_bfe_u32 v1, v0, 2, 4
	v_and_b32_e32 v3, 60, v0
	v_lshlrev_b32_e32 v5, 8, v0
	v_lshlrev_b32_e32 v0, 6, v0
	v_and_b32_e32 v5, 0x200, v5
	v_and_b32_e32 v0, 64, v0
	v_or3_b32 v47, v3, v5, v0
	v_rcp_iflag_f32_e32 v0, v6
	s_abs_i32 s56, s50
	v_mul_lo_u32 v22, s23, v1
	v_mul_lo_u32 v49, s22, v1
	v_cvt_f32_u32_e32 v1, s56
	v_mul_f32_e32 v0, 0x4f7ffffe, v0
	v_cvt_u32_f32_e32 v0, v0
	v_mad_u64_u32 v[18:19], s[6:7], s21, v41, v[16:17]
	v_rcp_iflag_f32_e32 v1, v1
	v_readfirstlane_b32 s7, v0
	s_sub_i32 s6, 0, s54
	s_mul_i32 s6, s6, s7
	v_mul_f32_e32 v0, 0x4f7ffffe, v1
	v_cvt_u32_f32_e32 v0, v0
	s_mul_hi_u32 s6, s7, s6
	v_add_u32_e32 v2, 1, v2
	s_add_i32 s58, s7, s6
	s_sub_i32 s6, 0, s56
	v_readfirstlane_b32 s7, v0
	v_mbcnt_lo_u32_b32 v0, -1, 0
	v_and_b32_e32 v2, 63, v2
	s_mul_i32 s6, s6, s7
	v_mbcnt_hi_u32_b32 v0, -1, v0
	s_mul_hi_u32 s6, s7, s6
	v_and_or_b32 v0, v0, 64, v2
	v_cndmask_b32_e64 v38, 0, 1, s[0:1]
	v_or_b32_e32 v40, 0x2000, v39
	v_or_b32_e32 v44, 16, v16
	;; [unrolled: 1-line block ×4, first 2 shown]
	v_ashrrev_i32_e32 v19, 31, v18
	s_ashr_i32 s29, s21, 31
	s_mov_b32 s28, s21
	v_ashrrev_i32_e32 v23, 31, v22
	v_mov_b32_e32 v21, 0
	s_lshl_b32 s55, s23, 4
	v_bitop3_b32 v48, v4, 15, v4 bitop3:0xc
	v_or_b32_e32 v50, 0x2000, v47
	s_ashr_i32 s57, s33, 31
	s_ashr_i32 s59, s50, 31
	s_add_i32 s60, s7, s6
	s_mov_b64 s[30:31], 0x60
	v_lshlrev_b32_e32 v51, 2, v0
	v_mov_b32_e32 v52, v24
	s_branch .LBB92_7
.LBB92_4:                               ;   in Loop: Header=BB92_7 Depth=1
	s_or_b64 exec, exec, s[10:11]
.LBB92_5:                               ;   in Loop: Header=BB92_7 Depth=1
	s_or_b64 exec, exec, s[8:9]
	v_subrev_u32_e32 v52, s61, v52
.LBB92_6:                               ;   in Loop: Header=BB92_7 Depth=1
	s_or_b64 exec, exec, s[6:7]
	s_add_i32 s51, s51, 1
	v_cmp_ge_i32_e32 vcc, s51, v17
	s_cbranch_vccnz .LBB92_51
.LBB92_7:                               ; =>This Loop Header: Depth=1
                                        ;     Child Loop BB92_13 Depth 2
                                        ;       Child Loop BB92_15 Depth 3
                                        ;       Child Loop BB92_18 Depth 3
	;; [unrolled: 1-line block ×5, first 2 shown]
                                        ;     Child Loop BB92_38 Depth 2
                                        ;       Child Loop BB92_40 Depth 3
                                        ;     Child Loop BB92_48 Depth 2
                                        ;       Child Loop BB92_50 Depth 3
	s_abs_i32 s7, s51
	s_mul_hi_u32 s8, s7, s58
	s_mul_i32 s9, s8, s54
	s_ashr_i32 s6, s51, 31
	s_sub_i32 s7, s7, s9
	s_xor_b32 s6, s6, s57
	s_add_i32 s9, s8, 1
	s_sub_i32 s10, s7, s54
	s_cmp_ge_u32 s7, s54
	s_cselect_b32 s8, s9, s8
	s_cselect_b32 s7, s10, s7
	s_add_i32 s9, s8, 1
	s_cmp_ge_u32 s7, s54
	s_cselect_b32 s7, s9, s8
	s_xor_b32 s7, s7, s6
	s_sub_i32 s6, s7, s6
	s_abs_i32 s8, s6
	s_mul_i32 s7, s6, s33
	s_mul_hi_u32 s9, s8, s60
	s_sub_i32 s7, s51, s7
	s_mul_i32 s10, s9, s56
	s_lshl_b32 s62, s7, 4
	s_ashr_i32 s7, s6, 31
	s_sub_i32 s8, s8, s10
	s_xor_b32 s7, s7, s59
	s_add_i32 s10, s9, 1
	s_sub_i32 s11, s8, s56
	s_cmp_ge_u32 s8, s56
	s_cselect_b32 s9, s10, s9
	s_cselect_b32 s8, s11, s8
	s_add_i32 s10, s9, 1
	s_cmp_ge_u32 s8, s56
	s_cselect_b32 s8, s10, s9
	s_xor_b32 s8, s8, s7
	s_sub_i32 s7, s8, s7
	s_mul_i32 s8, s7, s52
	s_lshl_b32 s63, s8, 7
	s_cmp_eq_u32 s7, s24
	s_cselect_b32 s61, s53, s52
	s_sub_i32 s64, s62, s20
	s_add_i32 s64, s64, 16
	s_and_saveexec_b64 s[8:9], s[2:3]
	s_xor_b64 s[34:35], exec, s[8:9]
	s_cbranch_execz .LBB92_44
; %bb.8:                                ;   in Loop: Header=BB92_7 Depth=1
	s_mul_i32 s7, s7, s50
	s_sub_i32 s6, s6, s7
	s_lshl_b32 s6, s6, 6
	s_sub_i32 s45, s6, s21
	s_add_i32 s45, s45, 64
	s_max_i32 s7, s45, 0
	s_sub_i32 s44, s6, s7
	s_and_saveexec_b64 s[6:7], s[0:1]
	s_xor_b64 s[46:47], exec, s[6:7]
	s_cbranch_execz .LBB92_34
; %bb.9:                                ;   in Loop: Header=BB92_7 Depth=1
	s_and_saveexec_b64 s[48:49], s[4:5]
	s_cbranch_execz .LBB92_33
; %bb.10:                               ;   in Loop: Header=BB92_7 Depth=1
	s_waitcnt lgkmcnt(0)
	global_load_dword v53, v21, s[42:43]
	v_mov_b32_e32 v15, 0
	v_cmp_gt_i32_e32 vcc, s61, v52
	v_mov_b32_e32 v14, v15
	v_mov_b32_e32 v13, v15
	;; [unrolled: 1-line block ×15, first 2 shown]
	s_and_saveexec_b64 s[6:7], vcc
	s_cbranch_execz .LBB92_29
; %bb.11:                               ;   in Loop: Header=BB92_7 Depth=1
	v_mov_b32_e32 v0, 0
	s_mov_b64 s[8:9], 0
	v_mov_b32_e32 v1, v0
	v_mov_b32_e32 v2, v0
	;; [unrolled: 1-line block ×15, first 2 shown]
	s_branch .LBB92_13
.LBB92_12:                              ;   in Loop: Header=BB92_13 Depth=2
	s_or_b64 exec, exec, s[10:11]
	v_add_u32_e32 v33, 0x1800, v32
	ds_read2_b32 v[34:35], v33 offset1:32
	v_add_u32_e32 v52, s27, v52
	v_cmp_le_i32_e32 vcc, s61, v52
	s_or_b64 s[8:9], vcc, s[8:9]
	s_waitcnt lgkmcnt(0)
	v_mfma_f32_16x16x32_fp8_fp8 v[0:3], v[26:27], v[34:35], v[0:3]
	ds_read2_b32 v[26:27], v33 offset0:128 offset1:160
	v_add_u32_e32 v34, 0x1c00, v32
	ds_read2_b32 v[32:33], v34 offset1:32
	s_waitcnt lgkmcnt(1)
	v_mfma_f32_16x16x32_fp8_fp8 v[0:3], v[24:25], v[26:27], v[0:3]
	ds_read2_b32 v[26:27], v34 offset0:128 offset1:160
	v_add_u32_e32 v24, s27, v55
	v_add_u32_e32 v25, 2, v38
	s_waitcnt lgkmcnt(1)
	v_mfma_f32_16x16x32_fp8_fp8 v[0:3], v[30:31], v[32:33], v[0:3]
	v_cmp_lt_i32_e32 vcc, 0, v24
	;;#ASMSTART
	s_waitcnt lgkmcnt(0)
	;;#ASMEND
	ds_write_b32 v54, v56 offset:10256
	s_waitcnt lgkmcnt(1)
	v_mfma_f32_16x16x32_fp8_fp8 v[0:3], v[28:29], v[26:27], v[0:3]
	v_cndmask_b32_e32 v38, v38, v25, vcc
	s_andn2_b64 exec, exec, s[8:9]
	s_cbranch_execz .LBB92_28
.LBB92_13:                              ;   Parent Loop BB92_7 Depth=1
                                        ; =>  This Loop Header: Depth=2
                                        ;       Child Loop BB92_15 Depth 3
                                        ;       Child Loop BB92_18 Depth 3
                                        ;       Child Loop BB92_21 Depth 3
                                        ;       Child Loop BB92_24 Depth 3
                                        ;       Child Loop BB92_27 Depth 3
	v_cmp_lt_i32_e32 vcc, 0, v24
	s_nop 1
	v_subbrev_co_u32_e32 v55, vcc, 0, v24, vcc
	v_lshlrev_b32_e32 v54, 4, v55
	ds_read_b32 v24, v54 offset:10244
	s_waitcnt lgkmcnt(0)
	v_cmp_ne_u32_e32 vcc, v24, v38
	s_and_saveexec_b64 s[10:11], vcc
	s_cbranch_execz .LBB92_16
; %bb.14:                               ;   in Loop: Header=BB92_13 Depth=2
	s_mov_b64 s[12:13], 0
.LBB92_15:                              ;   Parent Loop BB92_7 Depth=1
                                        ;     Parent Loop BB92_13 Depth=2
                                        ; =>    This Inner Loop Header: Depth=3
	;;#ASMSTART
	s_sleep 0
	;;#ASMEND
	ds_read_b32 v24, v54 offset:10244
	s_waitcnt lgkmcnt(0)
	v_cmp_eq_u32_e32 vcc, v24, v38
	s_or_b64 s[12:13], vcc, s[12:13]
	s_andn2_b64 exec, exec, s[12:13]
	s_cbranch_execnz .LBB92_15
.LBB92_16:                              ;   in Loop: Header=BB92_13 Depth=2
	s_or_b64 exec, exec, s[10:11]
	v_lshlrev_b32_e32 v57, 13, v55
	v_or_b32_e32 v24, v39, v57
	ds_read2_b32 v[28:29], v24 offset1:32
	ds_read2_b32 v[32:33], v24 offset0:128 offset1:160
	v_add_u32_e32 v24, 0x400, v24
	v_add_u32_e32 v56, 1, v38
	ds_read2_b32 v[36:37], v24 offset1:32
	ds_read2_b32 v[34:35], v24 offset0:128 offset1:160
	;;#ASMSTART
	s_waitcnt lgkmcnt(0)
	;;#ASMEND
	ds_write_b32 v54, v56 offset:10244
	v_lshlrev_b32_e32 v24, 2, v55
	ds_read_b32 v25, v24 offset:10240
	v_add_u32_e32 v58, 0x2800, v24
	s_waitcnt lgkmcnt(0)
	v_cmp_ne_u32_e32 vcc, v25, v38
	s_and_saveexec_b64 s[10:11], vcc
	s_cbranch_execz .LBB92_19
; %bb.17:                               ;   in Loop: Header=BB92_13 Depth=2
	s_mov_b64 s[12:13], 0
.LBB92_18:                              ;   Parent Loop BB92_7 Depth=1
                                        ;     Parent Loop BB92_13 Depth=2
                                        ; =>    This Inner Loop Header: Depth=3
	;;#ASMSTART
	s_sleep 0
	;;#ASMEND
	ds_read_b32 v24, v58
	s_waitcnt lgkmcnt(0)
	v_cmp_eq_u32_e32 vcc, v24, v38
	s_or_b64 s[12:13], vcc, s[12:13]
	s_andn2_b64 exec, exec, s[12:13]
	s_cbranch_execnz .LBB92_18
.LBB92_19:                              ;   in Loop: Header=BB92_13 Depth=2
	s_or_b64 exec, exec, s[10:11]
	v_lshl_add_u32 v30, v55, 11, v40
	ds_read2_b32 v[26:27], v30 offset1:32
	ds_read2_b32 v[24:25], v30 offset0:128 offset1:160
	v_add_u32_e32 v59, 0x400, v30
	ds_read2_b32 v[30:31], v59 offset1:32
	ds_write_b32 v58, v56
	s_waitcnt lgkmcnt(3)
	v_mfma_f32_16x16x32_fp8_fp8 v[12:15], v[26:27], v[28:29], v[12:15]
	ds_read2_b32 v[28:29], v59 offset0:128 offset1:160
	s_waitcnt lgkmcnt(3)
	v_mfma_f32_16x16x32_fp8_fp8 v[12:15], v[24:25], v[32:33], v[12:15]
	ds_read_b32 v32, v54 offset:10248
	s_waitcnt lgkmcnt(0)
	v_cmp_ne_u32_e32 vcc, v32, v38
	v_mfma_f32_16x16x32_fp8_fp8 v[12:15], v[30:31], v[36:37], v[12:15]
	v_mfma_f32_16x16x32_fp8_fp8 v[12:15], v[28:29], v[34:35], v[12:15]
	s_and_saveexec_b64 s[10:11], vcc
	s_cbranch_execz .LBB92_22
; %bb.20:                               ;   in Loop: Header=BB92_13 Depth=2
	s_mov_b64 s[12:13], 0
.LBB92_21:                              ;   Parent Loop BB92_7 Depth=1
                                        ;     Parent Loop BB92_13 Depth=2
                                        ; =>    This Inner Loop Header: Depth=3
	;;#ASMSTART
	s_sleep 0
	;;#ASMEND
	ds_read_b32 v32, v54 offset:10248
	s_waitcnt lgkmcnt(0)
	v_cmp_eq_u32_e32 vcc, v32, v38
	s_or_b64 s[12:13], vcc, s[12:13]
	s_andn2_b64 exec, exec, s[12:13]
	s_cbranch_execnz .LBB92_21
.LBB92_22:                              ;   in Loop: Header=BB92_13 Depth=2
	s_or_b64 exec, exec, s[10:11]
	v_add_u32_e32 v32, v39, v57
	v_add_u32_e32 v33, 0x800, v32
	ds_read2_b32 v[34:35], v33 offset1:32
	s_waitcnt lgkmcnt(0)
	v_mfma_f32_16x16x32_fp8_fp8 v[8:11], v[26:27], v[34:35], v[8:11]
	ds_read2_b32 v[34:35], v33 offset0:128 offset1:160
	v_add_u32_e32 v33, 0xc00, v32
	s_waitcnt lgkmcnt(0)
	v_mfma_f32_16x16x32_fp8_fp8 v[8:11], v[24:25], v[34:35], v[8:11]
	ds_read2_b32 v[34:35], v33 offset1:32
	ds_read2_b32 v[36:37], v33 offset0:128 offset1:160
	;;#ASMSTART
	s_waitcnt lgkmcnt(0)
	;;#ASMEND
	ds_read_b32 v33, v54 offset:10252
	s_waitcnt lgkmcnt(2)
	v_mfma_f32_16x16x32_fp8_fp8 v[8:11], v[30:31], v[34:35], v[8:11]
	ds_write_b32 v54, v56 offset:10248
	s_waitcnt lgkmcnt(1)
	v_cmp_ne_u32_e32 vcc, v33, v38
	v_mfma_f32_16x16x32_fp8_fp8 v[8:11], v[28:29], v[36:37], v[8:11]
	s_and_saveexec_b64 s[10:11], vcc
	s_cbranch_execz .LBB92_25
; %bb.23:                               ;   in Loop: Header=BB92_13 Depth=2
	s_mov_b64 s[12:13], 0
.LBB92_24:                              ;   Parent Loop BB92_7 Depth=1
                                        ;     Parent Loop BB92_13 Depth=2
                                        ; =>    This Inner Loop Header: Depth=3
	;;#ASMSTART
	s_sleep 0
	;;#ASMEND
	ds_read_b32 v33, v54 offset:10252
	s_waitcnt lgkmcnt(0)
	v_cmp_eq_u32_e32 vcc, v33, v38
	s_or_b64 s[12:13], vcc, s[12:13]
	s_andn2_b64 exec, exec, s[12:13]
	s_cbranch_execnz .LBB92_24
.LBB92_25:                              ;   in Loop: Header=BB92_13 Depth=2
	s_or_b64 exec, exec, s[10:11]
	v_add_u32_e32 v33, 0x1000, v32
	ds_read2_b32 v[34:35], v33 offset1:32
	s_waitcnt lgkmcnt(0)
	v_mfma_f32_16x16x32_fp8_fp8 v[4:7], v[26:27], v[34:35], v[4:7]
	ds_read2_b32 v[34:35], v33 offset0:128 offset1:160
	v_add_u32_e32 v33, 0x1400, v32
	s_waitcnt lgkmcnt(0)
	v_mfma_f32_16x16x32_fp8_fp8 v[4:7], v[24:25], v[34:35], v[4:7]
	ds_read2_b32 v[34:35], v33 offset1:32
	ds_read2_b32 v[36:37], v33 offset0:128 offset1:160
	;;#ASMSTART
	s_waitcnt lgkmcnt(0)
	;;#ASMEND
	ds_read_b32 v33, v54 offset:10256
	s_waitcnt lgkmcnt(2)
	v_mfma_f32_16x16x32_fp8_fp8 v[4:7], v[30:31], v[34:35], v[4:7]
	ds_write_b32 v54, v56 offset:10252
	s_waitcnt lgkmcnt(1)
	v_cmp_ne_u32_e32 vcc, v33, v38
	v_mfma_f32_16x16x32_fp8_fp8 v[4:7], v[28:29], v[36:37], v[4:7]
	s_and_saveexec_b64 s[10:11], vcc
	s_cbranch_execz .LBB92_12
; %bb.26:                               ;   in Loop: Header=BB92_13 Depth=2
	s_mov_b64 s[12:13], 0
.LBB92_27:                              ;   Parent Loop BB92_7 Depth=1
                                        ;     Parent Loop BB92_13 Depth=2
                                        ; =>    This Inner Loop Header: Depth=3
	;;#ASMSTART
	s_sleep 0
	;;#ASMEND
	ds_read_b32 v33, v54 offset:10256
	s_waitcnt lgkmcnt(0)
	v_cmp_eq_u32_e32 vcc, v33, v38
	s_or_b64 s[12:13], vcc, s[12:13]
	s_andn2_b64 exec, exec, s[12:13]
	s_cbranch_execnz .LBB92_27
	s_branch .LBB92_12
.LBB92_28:                              ;   in Loop: Header=BB92_7 Depth=1
	s_or_b64 exec, exec, s[8:9]
.LBB92_29:                              ;   in Loop: Header=BB92_7 Depth=1
	s_or_b64 exec, exec, s[6:7]
	v_cmp_le_i32_e32 vcc, s45, v16
	v_cmp_eq_u32_e64 s[6:7], 2, v42
	v_cmp_eq_u32_e64 s[8:9], 3, v42
	s_waitcnt vmcnt(0)
	v_cndmask_b32_e32 v26, 0, v53, vcc
	v_pk_mul_f32 v[14:15], v[26:27], v[14:15] op_sel_hi:[0,1]
	v_pk_mul_f32 v[26:27], v[26:27], v[12:13] op_sel_hi:[0,1]
	v_cmp_eq_u32_e32 vcc, 1, v42
	v_cmp_eq_u32_e64 s[10:11], 0, v42
	v_cmp_le_i32_e64 s[14:15], s45, v44
	v_cndmask_b32_e32 v12, v26, v27, vcc
	v_cndmask_b32_e64 v12, v12, v14, s[6:7]
	v_cndmask_b32_e64 v12, v12, v15, s[8:9]
	ds_bpermute_b32 v25, v51, v12
	v_cmp_eq_u32_e64 s[12:13], 1, v43
	v_cmp_le_i32_e64 s[18:19], s45, v45
	v_cmp_eq_u32_e64 s[16:17], 3, v43
	s_waitcnt lgkmcnt(0)
	v_cndmask_b32_e64 v12, v15, v25, s[8:9]
	v_cndmask_b32_e64 v15, v26, v25, s[10:11]
	;; [unrolled: 1-line block ×4, first 2 shown]
	v_cndmask_b32_e32 v14, v27, v25, vcc
	v_pk_mul_f32 v[10:11], v[26:27], v[10:11] op_sel_hi:[0,1]
	v_pk_mul_f32 v[26:27], v[26:27], v[8:9] op_sel_hi:[0,1]
	v_cndmask_b32_e32 v8, v26, v27, vcc
	v_cndmask_b32_e64 v8, v8, v10, s[6:7]
	v_cndmask_b32_e64 v8, v8, v11, s[8:9]
	ds_bpermute_b32 v28, v51, v8
	v_cndmask_b32_e64 v25, v15, v14, s[12:13]
	v_cmp_eq_u32_e64 s[14:15], 2, v43
	s_waitcnt lgkmcnt(0)
	v_cndmask_b32_e64 v9, v11, v28, s[8:9]
	v_cndmask_b32_e64 v8, v25, v13, s[14:15]
	;; [unrolled: 1-line block ×3, first 2 shown]
	v_cndmask_b32_e32 v25, v27, v28, vcc
	v_cndmask_b32_e64 v26, v26, v28, s[10:11]
	v_cndmask_b32_e64 v28, 0, v53, s[18:19]
	v_pk_mul_f32 v[30:31], v[28:29], v[4:5] op_sel_hi:[0,1]
	v_pk_mul_f32 v[6:7], v[28:29], v[6:7] op_sel_hi:[0,1]
	v_cndmask_b32_e32 v4, v30, v31, vcc
	v_cndmask_b32_e64 v4, v4, v6, s[6:7]
	v_cndmask_b32_e64 v4, v4, v7, s[8:9]
	ds_bpermute_b32 v11, v51, v4
	v_cmp_le_i32_e64 s[18:19], s45, v46
	v_cndmask_b32_e64 v4, v26, v25, s[12:13]
	v_cndmask_b32_e64 v4, v4, v10, s[14:15]
	;; [unrolled: 1-line block ×3, first 2 shown]
	s_waitcnt lgkmcnt(0)
	v_cndmask_b32_e64 v29, v30, v11, s[10:11]
	v_cndmask_b32_e64 v30, 0, v53, s[18:19]
	v_cndmask_b32_e32 v28, v31, v11, vcc
	v_pk_mul_f32 v[32:33], v[30:31], v[2:3] op_sel_hi:[0,1]
	v_pk_mul_f32 v[30:31], v[30:31], v[0:1] op_sel_hi:[0,1]
	v_cndmask_b32_e32 v0, v30, v31, vcc
	v_cndmask_b32_e64 v0, v0, v32, s[6:7]
	v_cndmask_b32_e64 v0, v0, v33, s[8:9]
	ds_bpermute_b32 v1, v51, v0
	v_cndmask_b32_e64 v6, v6, v11, s[6:7]
	v_cndmask_b32_e64 v0, v29, v28, s[12:13]
	;; [unrolled: 1-line block ×5, first 2 shown]
	v_cmp_ne_u32_e32 vcc, 0, v42
	ds_bpermute_b32 v2, v51, v0
	s_waitcnt lgkmcnt(1)
	v_cndmask_b32_e64 v3, v33, v1, s[8:9]
	v_cndmask_b32_e64 v7, v32, v1, s[6:7]
	v_cndmask_b32_e32 v0, v31, v1, vcc
	v_cndmask_b32_e64 v1, v30, v1, s[10:11]
	v_cndmask_b32_e64 v11, v1, v0, s[12:13]
	;; [unrolled: 1-line block ×5, first 2 shown]
	ds_bpermute_b32 v8, v51, v8
	ds_bpermute_b32 v4, v51, v4
	ds_bpermute_b32 v11, v51, v11
	s_max_i32 s6, s64, 0
	v_add_u32_e32 v27, s6, v41
	v_cmp_gt_u32_e32 vcc, 16, v27
	s_and_saveexec_b64 s[12:13], vcc
	s_cbranch_execz .LBB92_32
; %bb.30:                               ;   in Loop: Header=BB92_7 Depth=1
	v_cmp_eq_u32_e64 s[8:9], 1, v43
	v_cmp_eq_u32_e64 s[10:11], 0, v43
	v_cmp_eq_u32_e32 vcc, 3, v43
	s_waitcnt lgkmcnt(2)
	v_cndmask_b32_e64 v14, v14, v8, s[8:9]
	s_waitcnt lgkmcnt(1)
	v_cndmask_b32_e64 v25, v25, v4, s[8:9]
	v_cndmask_b32_e64 v28, v28, v2, s[8:9]
	s_waitcnt lgkmcnt(0)
	v_cndmask_b32_e64 v30, v0, v11, s[8:9]
	s_mul_i32 s8, s62, s21
	s_ashr_i32 s9, s8, 31
	s_lshl_b64 s[8:9], s[8:9], 1
	v_cndmask_b32_e64 v15, v15, v8, s[10:11]
	v_cndmask_b32_e64 v26, v26, v4, s[10:11]
	;; [unrolled: 1-line block ×4, first 2 shown]
	s_add_u32 s10, s40, s8
	s_addc_u32 s11, s41, s9
	s_ashr_i32 s45, s44, 31
	v_cvt_f16_f32_e32 v15, v15
	v_cvt_f16_f32_sdwa v14, v14 dst_sel:WORD_1 dst_unused:UNUSED_PAD src0_sel:DWORD
	v_cvt_f16_f32_e32 v26, v26
	v_cvt_f16_f32_sdwa v25, v25 dst_sel:WORD_1 dst_unused:UNUSED_PAD src0_sel:DWORD
	s_lshl_b64 s[8:9], s[44:45], 1
	s_add_u32 s8, s10, s8
	s_addc_u32 s9, s11, s9
	v_lshl_add_u64 v[0:1], v[18:19], 1, s[8:9]
	v_or_b32_e32 v14, v14, v15
	v_or_b32_e32 v25, v25, v26
	;;#ASMSTART
	global_atomic_pk_add_f16 v[0:1], v14, off
	
	;;#ASMEND
	v_lshl_add_u64 v[14:15], v[0:1], 0, 32
	;;#ASMSTART
	global_atomic_pk_add_f16 v[14:15], v25, off
	
	;;#ASMEND
	v_cvt_f16_f32_e32 v25, v29
	v_cvt_f16_f32_sdwa v26, v28 dst_sel:WORD_1 dst_unused:UNUSED_PAD src0_sel:DWORD
	v_cvt_f16_f32_e32 v28, v31
	v_cvt_f16_f32_sdwa v29, v30 dst_sel:WORD_1 dst_unused:UNUSED_PAD src0_sel:DWORD
	v_cmp_eq_u32_e64 s[6:7], 2, v43
	v_lshl_add_u64 v[14:15], v[0:1], 0, 64
	v_or_b32_e32 v25, v26, v25
	v_cmp_gt_u32_e64 s[8:9], 14, v27
	;;#ASMSTART
	global_atomic_pk_add_f16 v[14:15], v25, off
	
	;;#ASMEND
	v_lshl_add_u64 v[14:15], v[0:1], 0, s[30:31]
	v_or_b32_e32 v25, v29, v28
	;;#ASMSTART
	global_atomic_pk_add_f16 v[14:15], v25, off
	
	;;#ASMEND
	s_and_b64 exec, exec, s[8:9]
	s_cbranch_execz .LBB92_32
; %bb.31:                               ;   in Loop: Header=BB92_7 Depth=1
	v_cndmask_b32_e32 v12, v12, v8, vcc
	v_cndmask_b32_e64 v8, v13, v8, s[6:7]
	v_cndmask_b32_e32 v9, v9, v4, vcc
	v_cndmask_b32_e64 v4, v10, v4, s[6:7]
	;; [unrolled: 2-line block ×3, first 2 shown]
	v_cndmask_b32_e32 v10, v3, v11, vcc
	v_cvt_f16_f32_e32 v2, v8
	v_cvt_f16_f32_sdwa v3, v12 dst_sel:WORD_1 dst_unused:UNUSED_PAD src0_sel:DWORD
	v_cvt_f16_f32_e32 v4, v4
	v_cvt_f16_f32_sdwa v8, v9 dst_sel:WORD_1 dst_unused:UNUSED_PAD src0_sel:DWORD
	v_cndmask_b32_e64 v7, v7, v11, s[6:7]
	v_lshl_add_u64 v[0:1], s[28:29], 2, v[0:1]
	v_or_b32_e32 v2, v3, v2
	v_or_b32_e32 v4, v8, v4
	;;#ASMSTART
	global_atomic_pk_add_f16 v[0:1], v2, off
	
	;;#ASMEND
	v_lshl_add_u64 v[2:3], v[0:1], 0, 32
	;;#ASMSTART
	global_atomic_pk_add_f16 v[2:3], v4, off
	
	;;#ASMEND
	v_cvt_f16_f32_e32 v4, v6
	v_cvt_f16_f32_sdwa v5, v5 dst_sel:WORD_1 dst_unused:UNUSED_PAD src0_sel:DWORD
	v_cvt_f16_f32_e32 v6, v7
	v_cvt_f16_f32_sdwa v7, v10 dst_sel:WORD_1 dst_unused:UNUSED_PAD src0_sel:DWORD
	v_lshl_add_u64 v[2:3], v[0:1], 0, 64
	v_or_b32_e32 v4, v5, v4
	;;#ASMSTART
	global_atomic_pk_add_f16 v[2:3], v4, off
	
	;;#ASMEND
	v_lshl_add_u64 v[0:1], v[0:1], 0, s[30:31]
	v_or_b32_e32 v2, v7, v6
	;;#ASMSTART
	global_atomic_pk_add_f16 v[0:1], v2, off
	
	;;#ASMEND
.LBB92_32:                              ;   in Loop: Header=BB92_7 Depth=1
	s_or_b64 exec, exec, s[12:13]
	v_subrev_u32_e32 v52, s61, v52
.LBB92_33:                              ;   in Loop: Header=BB92_7 Depth=1
	s_or_b64 exec, exec, s[48:49]
.LBB92_34:                              ;   in Loop: Header=BB92_7 Depth=1
	s_andn2_saveexec_b64 s[6:7], s[46:47]
	s_cbranch_execz .LBB92_43
; %bb.35:                               ;   in Loop: Header=BB92_7 Depth=1
	s_lshl_b32 s16, s61, 2
	v_cmp_gt_i32_e32 vcc, s16, v52
	s_and_saveexec_b64 s[8:9], vcc
	s_cbranch_execz .LBB92_42
; %bb.36:                               ;   in Loop: Header=BB92_7 Depth=1
	s_mul_i32 s10, s44, s23
	s_ashr_i32 s11, s10, 31
	s_waitcnt lgkmcnt(0)
	s_add_u32 s10, s38, s10
	s_addc_u32 s11, s39, s11
	s_ashr_i32 s12, s63, 31
	s_add_u32 s10, s10, s63
	s_addc_u32 s11, s11, s12
	v_lshl_add_u64 v[0:1], s[10:11], 0, v[22:23]
	v_lshl_add_u64 v[8:9], v[0:1], 0, v[20:21]
	s_mov_b64 s[10:11], 0
	s_branch .LBB92_38
.LBB92_37:                              ;   in Loop: Header=BB92_38 Depth=2
	s_or_b64 exec, exec, s[12:13]
	v_lshl_or_b32 v12, v10, 11, v47
	;;#ASMSTART
	s_waitcnt vmcnt(1)
	;;#ASMEND
	ds_write2_b32 v12, v4, v5 offset1:32
	ds_write2_b32 v12, v6, v7 offset0:64 offset1:96
	v_add_u32_e32 v4, 0x400, v12
	v_add_u32_e32 v52, s26, v52
	;;#ASMSTART
	s_waitcnt vmcnt(0)
	;;#ASMEND
	ds_write2_b32 v4, v0, v1 offset1:32
	ds_write2_b32 v4, v2, v3 offset0:64 offset1:96
	v_add_u32_e32 v0, 1, v38
	v_add_u32_e32 v24, s26, v10
	v_cmp_le_i32_e32 vcc, s16, v52
	ds_write_b32 v11, v0 offset:4
	v_add_u32_e32 v0, 2, v38
	s_or_b64 s[10:11], vcc, s[10:11]
	v_cmp_lt_i32_e32 vcc, 3, v24
	s_nop 1
	v_cndmask_b32_e32 v38, v38, v0, vcc
	s_andn2_b64 exec, exec, s[10:11]
	s_cbranch_execz .LBB92_41
.LBB92_38:                              ;   Parent Loop BB92_7 Depth=1
                                        ; =>  This Loop Header: Depth=2
                                        ;       Child Loop BB92_40 Depth 3
	v_cmp_gt_i32_e32 vcc, 4, v24
	s_nop 1
	v_cndmask_b32_e64 v0, -4, 0, vcc
	v_add_u32_e32 v10, v0, v24
	v_ashrrev_i32_e32 v0, 31, v52
	v_lshrrev_b32_e32 v0, 30, v0
	v_add_u32_e32 v0, v52, v0
	v_and_b32_e32 v1, -4, v0
	v_lshlrev_b32_e32 v0, 5, v0
	v_sub_u32_e32 v2, v52, v1
	v_and_b32_e32 v0, 0xffffff80, v0
	v_ashrrev_i32_e32 v1, 31, v0
	v_mul_lo_u32 v2, s55, v2
	v_lshl_add_u64 v[0:1], v[8:9], 0, v[0:1]
	v_ashrrev_i32_e32 v3, 31, v2
	v_lshl_add_u64 v[0:1], v[0:1], 0, v[2:3]
	v_lshlrev_b32_e32 v11, 2, v10
	;;#ASMSTART
	global_load_dwordx4 v[4:7], v[0:1], off offset:0   sc0 sc1 nt  
	global_load_dwordx4 v[0:3], v[0:1], off offset:64  sc0 sc1 nt  
	
	;;#ASMEND
	ds_read_b32 v12, v11 offset:10244
	v_add_u32_e32 v11, 0x2800, v11
	s_waitcnt lgkmcnt(0)
	v_cmp_ne_u32_e32 vcc, v12, v38
	s_and_saveexec_b64 s[12:13], vcc
	s_cbranch_execz .LBB92_37
; %bb.39:                               ;   in Loop: Header=BB92_38 Depth=2
	s_mov_b64 s[14:15], 0
.LBB92_40:                              ;   Parent Loop BB92_7 Depth=1
                                        ;     Parent Loop BB92_38 Depth=2
                                        ; =>    This Inner Loop Header: Depth=3
	;;#ASMSTART
	s_sleep 0
	;;#ASMEND
	ds_read_b32 v12, v11 offset:4
	s_waitcnt lgkmcnt(0)
	v_cmp_eq_u32_e32 vcc, v12, v38
	s_or_b64 s[14:15], vcc, s[14:15]
	s_andn2_b64 exec, exec, s[14:15]
	s_cbranch_execnz .LBB92_40
	s_branch .LBB92_37
.LBB92_41:                              ;   in Loop: Header=BB92_7 Depth=1
	s_or_b64 exec, exec, s[10:11]
.LBB92_42:                              ;   in Loop: Header=BB92_7 Depth=1
	s_or_b64 exec, exec, s[8:9]
	v_subrev_u32_e32 v52, s16, v52
.LBB92_43:                              ;   in Loop: Header=BB92_7 Depth=1
	s_or_b64 exec, exec, s[6:7]
.LBB92_44:                              ;   in Loop: Header=BB92_7 Depth=1
	s_andn2_saveexec_b64 s[6:7], s[34:35]
	s_cbranch_execz .LBB92_6
; %bb.45:                               ;   in Loop: Header=BB92_7 Depth=1
	v_cmp_gt_i32_e32 vcc, s61, v52
	s_and_saveexec_b64 s[8:9], vcc
	s_cbranch_execz .LBB92_5
; %bb.46:                               ;   in Loop: Header=BB92_7 Depth=1
	s_mul_i32 s62, s62, s22
	s_ashr_i32 s10, s62, 31
	s_waitcnt lgkmcnt(0)
	s_add_u32 s11, s36, s62
	s_addc_u32 s12, s37, s10
	s_ashr_i32 s13, s63, 31
	v_cmp_le_i32_e32 vcc, s64, v48
	s_add_u32 s10, s11, s63
	s_addc_u32 s11, s12, s13
	v_cndmask_b32_e32 v0, 0, v49, vcc
	v_ashrrev_i32_e32 v1, 31, v0
	v_lshl_add_u64 v[0:1], s[10:11], 0, v[0:1]
	v_lshl_add_u64 v[8:9], v[0:1], 0, v[20:21]
	s_mov_b64 s[10:11], 0
	s_branch .LBB92_48
.LBB92_47:                              ;   in Loop: Header=BB92_48 Depth=2
	s_or_b64 exec, exec, s[12:13]
	v_lshl_add_u32 v12, v10, 11, v50
	;;#ASMSTART
	s_waitcnt vmcnt(1)
	;;#ASMEND
	ds_write2_b32 v12, v4, v5 offset1:32
	ds_write2_b32 v12, v6, v7 offset0:64 offset1:96
	v_add_u32_e32 v4, 0x400, v12
	v_add_u32_e32 v52, s25, v52
	;;#ASMSTART
	s_waitcnt vmcnt(0)
	;;#ASMEND
	ds_write2_b32 v4, v0, v1 offset1:32
	ds_write2_b32 v4, v2, v3 offset0:64 offset1:96
	v_add_u32_e32 v0, 1, v38
	v_add_u32_e32 v24, s25, v10
	v_cmp_le_i32_e32 vcc, s61, v52
	ds_write_b32 v11, v0
	v_add_u32_e32 v0, 2, v38
	s_or_b64 s[10:11], vcc, s[10:11]
	v_cmp_lt_i32_e32 vcc, 0, v24
	s_nop 1
	v_cndmask_b32_e32 v38, v38, v0, vcc
	s_andn2_b64 exec, exec, s[10:11]
	s_cbranch_execz .LBB92_4
.LBB92_48:                              ;   Parent Loop BB92_7 Depth=1
                                        ; =>  This Loop Header: Depth=2
                                        ;       Child Loop BB92_50 Depth 3
	v_cmp_lt_i32_e32 vcc, 0, v24
	v_lshlrev_b32_e32 v0, 7, v52
	v_ashrrev_i32_e32 v1, 31, v0
	v_subbrev_co_u32_e32 v10, vcc, 0, v24, vcc
	v_lshl_add_u64 v[0:1], v[8:9], 0, v[0:1]
	v_lshlrev_b32_e32 v11, 2, v10
	;;#ASMSTART
	global_load_dwordx4 v[4:7], v[0:1], off offset:0   
	global_load_dwordx4 v[0:3], v[0:1], off offset:64  
	
	;;#ASMEND
	ds_read_b32 v12, v11 offset:10240
	v_add_u32_e32 v11, 0x2800, v11
	s_waitcnt lgkmcnt(0)
	v_cmp_ne_u32_e32 vcc, v12, v38
	s_and_saveexec_b64 s[12:13], vcc
	s_cbranch_execz .LBB92_47
; %bb.49:                               ;   in Loop: Header=BB92_48 Depth=2
	s_mov_b64 s[14:15], 0
.LBB92_50:                              ;   Parent Loop BB92_7 Depth=1
                                        ;     Parent Loop BB92_48 Depth=2
                                        ; =>    This Inner Loop Header: Depth=3
	;;#ASMSTART
	s_sleep 0
	;;#ASMEND
	ds_read_b32 v12, v11
	s_waitcnt lgkmcnt(0)
	v_cmp_eq_u32_e32 vcc, v12, v38
	s_or_b64 s[14:15], vcc, s[14:15]
	s_andn2_b64 exec, exec, s[14:15]
	s_cbranch_execnz .LBB92_50
	s_branch .LBB92_47
.LBB92_51:
	s_endpgm
	.section	.rodata,"a",@progbits
	.p2align	6, 0x0
	.amdhsa_kernel _Z19_skinny_gemm_kernelILi1ELi4ELi1ELi16ELi4EEvPKhS1_P6__halfPKfiiiiiiii
		.amdhsa_group_segment_fixed_size 10260
		.amdhsa_private_segment_fixed_size 0
		.amdhsa_kernarg_size 64
		.amdhsa_user_sgpr_count 2
		.amdhsa_user_sgpr_dispatch_ptr 0
		.amdhsa_user_sgpr_queue_ptr 0
		.amdhsa_user_sgpr_kernarg_segment_ptr 1
		.amdhsa_user_sgpr_dispatch_id 0
		.amdhsa_user_sgpr_kernarg_preload_length 0
		.amdhsa_user_sgpr_kernarg_preload_offset 0
		.amdhsa_user_sgpr_private_segment_size 0
		.amdhsa_uses_dynamic_stack 0
		.amdhsa_enable_private_segment 0
		.amdhsa_system_sgpr_workgroup_id_x 1
		.amdhsa_system_sgpr_workgroup_id_y 0
		.amdhsa_system_sgpr_workgroup_id_z 0
		.amdhsa_system_sgpr_workgroup_info 0
		.amdhsa_system_vgpr_workitem_id 0
		.amdhsa_next_free_vgpr 60
		.amdhsa_next_free_sgpr 65
		.amdhsa_accum_offset 60
		.amdhsa_reserve_vcc 1
		.amdhsa_float_round_mode_32 0
		.amdhsa_float_round_mode_16_64 0
		.amdhsa_float_denorm_mode_32 3
		.amdhsa_float_denorm_mode_16_64 3
		.amdhsa_dx10_clamp 1
		.amdhsa_ieee_mode 1
		.amdhsa_fp16_overflow 0
		.amdhsa_tg_split 0
		.amdhsa_exception_fp_ieee_invalid_op 0
		.amdhsa_exception_fp_denorm_src 0
		.amdhsa_exception_fp_ieee_div_zero 0
		.amdhsa_exception_fp_ieee_overflow 0
		.amdhsa_exception_fp_ieee_underflow 0
		.amdhsa_exception_fp_ieee_inexact 0
		.amdhsa_exception_int_div_zero 0
	.end_amdhsa_kernel
	.section	.text._Z19_skinny_gemm_kernelILi1ELi4ELi1ELi16ELi4EEvPKhS1_P6__halfPKfiiiiiiii,"axG",@progbits,_Z19_skinny_gemm_kernelILi1ELi4ELi1ELi16ELi4EEvPKhS1_P6__halfPKfiiiiiiii,comdat
.Lfunc_end92:
	.size	_Z19_skinny_gemm_kernelILi1ELi4ELi1ELi16ELi4EEvPKhS1_P6__halfPKfiiiiiiii, .Lfunc_end92-_Z19_skinny_gemm_kernelILi1ELi4ELi1ELi16ELi4EEvPKhS1_P6__halfPKfiiiiiiii
                                        ; -- End function
	.set _Z19_skinny_gemm_kernelILi1ELi4ELi1ELi16ELi4EEvPKhS1_P6__halfPKfiiiiiiii.num_vgpr, 60
	.set _Z19_skinny_gemm_kernelILi1ELi4ELi1ELi16ELi4EEvPKhS1_P6__halfPKfiiiiiiii.num_agpr, 0
	.set _Z19_skinny_gemm_kernelILi1ELi4ELi1ELi16ELi4EEvPKhS1_P6__halfPKfiiiiiiii.numbered_sgpr, 65
	.set _Z19_skinny_gemm_kernelILi1ELi4ELi1ELi16ELi4EEvPKhS1_P6__halfPKfiiiiiiii.num_named_barrier, 0
	.set _Z19_skinny_gemm_kernelILi1ELi4ELi1ELi16ELi4EEvPKhS1_P6__halfPKfiiiiiiii.private_seg_size, 0
	.set _Z19_skinny_gemm_kernelILi1ELi4ELi1ELi16ELi4EEvPKhS1_P6__halfPKfiiiiiiii.uses_vcc, 1
	.set _Z19_skinny_gemm_kernelILi1ELi4ELi1ELi16ELi4EEvPKhS1_P6__halfPKfiiiiiiii.uses_flat_scratch, 0
	.set _Z19_skinny_gemm_kernelILi1ELi4ELi1ELi16ELi4EEvPKhS1_P6__halfPKfiiiiiiii.has_dyn_sized_stack, 0
	.set _Z19_skinny_gemm_kernelILi1ELi4ELi1ELi16ELi4EEvPKhS1_P6__halfPKfiiiiiiii.has_recursion, 0
	.set _Z19_skinny_gemm_kernelILi1ELi4ELi1ELi16ELi4EEvPKhS1_P6__halfPKfiiiiiiii.has_indirect_call, 0
	.section	.AMDGPU.csdata,"",@progbits
; Kernel info:
; codeLenInByte = 4040
; TotalNumSgprs: 71
; NumVgprs: 60
; NumAgprs: 0
; TotalNumVgprs: 60
; ScratchSize: 0
; MemoryBound: 0
; FloatMode: 240
; IeeeMode: 1
; LDSByteSize: 10260 bytes/workgroup (compile time only)
; SGPRBlocks: 8
; VGPRBlocks: 7
; NumSGPRsForWavesPerEU: 71
; NumVGPRsForWavesPerEU: 60
; AccumOffset: 60
; Occupancy: 8
; WaveLimiterHint : 0
; COMPUTE_PGM_RSRC2:SCRATCH_EN: 0
; COMPUTE_PGM_RSRC2:USER_SGPR: 2
; COMPUTE_PGM_RSRC2:TRAP_HANDLER: 0
; COMPUTE_PGM_RSRC2:TGID_X_EN: 1
; COMPUTE_PGM_RSRC2:TGID_Y_EN: 0
; COMPUTE_PGM_RSRC2:TGID_Z_EN: 0
; COMPUTE_PGM_RSRC2:TIDIG_COMP_CNT: 0
; COMPUTE_PGM_RSRC3_GFX90A:ACCUM_OFFSET: 14
; COMPUTE_PGM_RSRC3_GFX90A:TG_SPLIT: 0
	.section	.text._Z19_skinny_gemm_kernelILi1ELi4ELi1ELi16ELi8EEvPKhS1_P6__halfPKfiiiiiiii,"axG",@progbits,_Z19_skinny_gemm_kernelILi1ELi4ELi1ELi16ELi8EEvPKhS1_P6__halfPKfiiiiiiii,comdat
	.protected	_Z19_skinny_gemm_kernelILi1ELi4ELi1ELi16ELi8EEvPKhS1_P6__halfPKfiiiiiiii ; -- Begin function _Z19_skinny_gemm_kernelILi1ELi4ELi1ELi16ELi8EEvPKhS1_P6__halfPKfiiiiiiii
	.globl	_Z19_skinny_gemm_kernelILi1ELi4ELi1ELi16ELi8EEvPKhS1_P6__halfPKfiiiiiiii
	.p2align	8
	.type	_Z19_skinny_gemm_kernelILi1ELi4ELi1ELi16ELi8EEvPKhS1_P6__halfPKfiiiiiiii,@function
_Z19_skinny_gemm_kernelILi1ELi4ELi1ELi16ELi8EEvPKhS1_P6__halfPKfiiiiiiii: ; @_Z19_skinny_gemm_kernelILi1ELi4ELi1ELi16ELi8EEvPKhS1_P6__halfPKfiiiiiiii
; %bb.0:
	v_cmp_gt_u32_e32 vcc, 5, v0
	v_lshlrev_b32_e32 v1, 2, v0
	s_and_saveexec_b64 s[4:5], vcc
; %bb.1:
	v_mov_b32_e32 v2, 0
	ds_write_b32 v1, v2 offset:20480
; %bb.2:
	s_or_b64 exec, exec, s[4:5]
	s_load_dwordx8 s[20:27], s[0:1], 0x20
	s_waitcnt lgkmcnt(0)
	s_barrier
	s_add_i32 s3, s20, 15
	s_ashr_i32 s5, s3, 31
	s_add_i32 s4, s21, 63
	s_lshr_b32 s5, s5, 28
	s_ashr_i32 s6, s4, 31
	s_add_i32 s3, s3, s5
	s_ashr_i32 s33, s3, 4
	s_lshr_b32 s3, s6, 26
	s_add_i32 s4, s4, s3
	s_ashr_i32 s50, s4, 6
	s_mul_i32 s3, s50, s33
	s_mul_i32 s3, s3, s24
	s_add_i32 s4, s3, 0x12f
	s_mul_hi_i32 s4, s4, 0x6bca1af3
	s_lshr_b32 s5, s4, 31
	s_ashr_i32 s4, s4, 7
	s_add_i32 s4, s4, s5
	s_add_i32 s5, s2, 1
	s_mul_i32 s5, s4, s5
	v_cvt_f64_i32_e32 v[2:3], s3
	v_cvt_f64_u32_e32 v[4:5], s5
	v_min_f64 v[2:3], v[2:3], v[4:5]
	v_cvt_i32_f64_e32 v17, v[2:3]
	s_mul_i32 s51, s4, s2
	v_cmp_ge_i32_e32 vcc, s51, v17
	s_cbranch_vccnz .LBB93_51
; %bb.3:
	v_lshrrev_b32_e32 v2, 6, v0
	s_add_i32 s4, s26, s25
	s_load_dwordx8 s[36:43], s[0:1], 0x0
	v_cmp_le_i32_e64 s[0:1], s4, v2
	v_mov_b32_e32 v3, s25
	v_cmp_le_i32_e64 s[2:3], s25, v2
	v_mov_b32_e32 v4, s26
	v_cndmask_b32_e64 v4, 0, v4, s[0:1]
	v_cndmask_b32_e64 v3, 0, v3, s[2:3]
	s_abs_i32 s5, s24
	v_add_u32_e32 v3, v3, v4
	v_cvt_f32_u32_e32 v4, s5
	v_sub_u32_e32 v26, v2, v3
	s_ashr_i32 s6, s22, 31
	s_lshr_b32 s6, s6, 24
	v_rcp_iflag_f32_e32 v3, v4
	s_sub_i32 s9, 0, s5
	s_add_i32 s6, s22, s6
	s_ashr_i32 s6, s6, 8
	v_mul_f32_e32 v3, 0x4f7ffffe, v3
	v_cvt_u32_f32_e32 v3, v3
	s_abs_i32 s8, s6
	s_xor_b32 s7, s6, s24
	s_ashr_i32 s7, s7, 31
	v_readfirstlane_b32 s10, v3
	s_mul_i32 s9, s9, s10
	s_mul_hi_u32 s9, s10, s9
	s_add_i32 s10, s10, s9
	s_mul_hi_u32 s9, s8, s10
	s_mul_i32 s10, s9, s5
	s_sub_i32 s8, s8, s10
	s_add_i32 s10, s9, 1
	s_sub_i32 s11, s8, s5
	s_cmp_ge_u32 s8, s5
	s_cselect_b32 s9, s10, s9
	s_cselect_b32 s8, s11, s8
	s_add_i32 s10, s9, 1
	s_cmp_ge_u32 s8, s5
	s_cselect_b32 s5, s10, s9
	s_xor_b32 s5, s5, s7
	s_sub_i32 s52, s5, s7
	s_add_i32 s24, s24, -1
	s_mul_i32 s5, s52, s24
	s_add_i32 s4, s4, s27
	s_sub_i32 s53, s6, s5
	v_cmp_gt_i32_e64 s[4:5], s4, v2
	v_lshlrev_b32_e32 v2, 1, v0
	v_lshlrev_b32_e32 v3, 4, v0
	v_and_b32_e32 v1, 60, v1
	v_and_b32_e32 v2, 64, v2
	;; [unrolled: 1-line block ×3, first 2 shown]
	s_abs_i32 s54, s33
	v_or3_b32 v51, v1, v2, v4
	v_and_b32_e32 v1, 1, v0
	v_cvt_f32_u32_e32 v6, s54
	v_lshlrev_b32_e32 v2, 1, v1
	v_lshrrev_b32_e32 v4, 2, v0
	v_and_b32_e32 v16, 14, v0
	v_sub_u32_e32 v2, v0, v2
	v_and_or_b32 v53, v4, 12, v1
	v_bitop3_b32 v54, v0, 1, v0 bitop3:0xc
	v_bitop3_b32 v55, v0, 3, 1 bitop3:0x6c
	v_and_b32_e32 v20, 48, v3
	v_bfe_u32 v1, v0, 2, 4
	v_and_b32_e32 v3, 60, v0
	v_lshlrev_b32_e32 v5, 8, v0
	v_lshlrev_b32_e32 v0, 6, v0
	v_and_b32_e32 v5, 0x200, v5
	v_and_b32_e32 v0, 64, v0
	v_or3_b32 v59, v3, v5, v0
	v_rcp_iflag_f32_e32 v0, v6
	s_abs_i32 s56, s50
	v_mul_lo_u32 v22, s23, v1
	v_mul_lo_u32 v61, s22, v1
	v_cvt_f32_u32_e32 v1, s56
	v_mul_f32_e32 v0, 0x4f7ffffe, v0
	v_cvt_u32_f32_e32 v0, v0
	v_mad_u64_u32 v[18:19], s[6:7], s21, v53, v[16:17]
	v_rcp_iflag_f32_e32 v1, v1
	v_readfirstlane_b32 s7, v0
	s_sub_i32 s6, 0, s54
	s_mul_i32 s6, s6, s7
	v_mul_f32_e32 v0, 0x4f7ffffe, v1
	v_cvt_u32_f32_e32 v0, v0
	s_mul_hi_u32 s6, s7, s6
	v_add_u32_e32 v2, 1, v2
	s_add_i32 s58, s7, s6
	s_sub_i32 s6, 0, s56
	v_readfirstlane_b32 s7, v0
	v_mbcnt_lo_u32_b32 v0, -1, 0
	v_and_b32_e32 v2, 63, v2
	s_mul_i32 s6, s6, s7
	v_mbcnt_hi_u32_b32 v0, -1, v0
	s_mul_hi_u32 s6, s7, s6
	v_and_or_b32 v0, v0, 64, v2
	v_cndmask_b32_e64 v50, 0, 1, s[0:1]
	v_or_b32_e32 v52, 0x4000, v51
	v_or_b32_e32 v56, 16, v16
	;; [unrolled: 1-line block ×4, first 2 shown]
	v_ashrrev_i32_e32 v19, 31, v18
	s_ashr_i32 s29, s21, 31
	s_mov_b32 s28, s21
	v_ashrrev_i32_e32 v23, 31, v22
	v_mov_b32_e32 v21, 0
	s_lshl_b32 s55, s23, 4
	v_bitop3_b32 v60, v4, 15, v4 bitop3:0xc
	v_or_b32_e32 v62, 0x4000, v59
	s_ashr_i32 s57, s33, 31
	s_ashr_i32 s59, s50, 31
	s_add_i32 s60, s7, s6
	s_mov_b64 s[30:31], 0x60
	v_lshlrev_b32_e32 v63, 2, v0
	v_mov_b32_e32 v64, v26
	s_branch .LBB93_7
.LBB93_4:                               ;   in Loop: Header=BB93_7 Depth=1
	s_or_b64 exec, exec, s[10:11]
.LBB93_5:                               ;   in Loop: Header=BB93_7 Depth=1
	s_or_b64 exec, exec, s[8:9]
	v_subrev_u32_e32 v64, s61, v64
.LBB93_6:                               ;   in Loop: Header=BB93_7 Depth=1
	s_or_b64 exec, exec, s[6:7]
	s_add_i32 s51, s51, 1
	v_cmp_ge_i32_e32 vcc, s51, v17
	s_cbranch_vccnz .LBB93_51
.LBB93_7:                               ; =>This Loop Header: Depth=1
                                        ;     Child Loop BB93_13 Depth 2
                                        ;       Child Loop BB93_15 Depth 3
                                        ;       Child Loop BB93_18 Depth 3
	;; [unrolled: 1-line block ×5, first 2 shown]
                                        ;     Child Loop BB93_38 Depth 2
                                        ;       Child Loop BB93_40 Depth 3
                                        ;     Child Loop BB93_48 Depth 2
                                        ;       Child Loop BB93_50 Depth 3
	s_abs_i32 s7, s51
	s_mul_hi_u32 s8, s7, s58
	s_mul_i32 s9, s8, s54
	s_ashr_i32 s6, s51, 31
	s_sub_i32 s7, s7, s9
	s_xor_b32 s6, s6, s57
	s_add_i32 s9, s8, 1
	s_sub_i32 s10, s7, s54
	s_cmp_ge_u32 s7, s54
	s_cselect_b32 s8, s9, s8
	s_cselect_b32 s7, s10, s7
	s_add_i32 s9, s8, 1
	s_cmp_ge_u32 s7, s54
	s_cselect_b32 s7, s9, s8
	s_xor_b32 s7, s7, s6
	s_sub_i32 s6, s7, s6
	s_abs_i32 s8, s6
	s_mul_i32 s7, s6, s33
	s_mul_hi_u32 s9, s8, s60
	s_sub_i32 s7, s51, s7
	s_mul_i32 s10, s9, s56
	s_lshl_b32 s62, s7, 4
	s_ashr_i32 s7, s6, 31
	s_sub_i32 s8, s8, s10
	s_xor_b32 s7, s7, s59
	s_add_i32 s10, s9, 1
	s_sub_i32 s11, s8, s56
	s_cmp_ge_u32 s8, s56
	s_cselect_b32 s9, s10, s9
	s_cselect_b32 s8, s11, s8
	s_add_i32 s10, s9, 1
	s_cmp_ge_u32 s8, s56
	s_cselect_b32 s8, s10, s9
	s_xor_b32 s8, s8, s7
	s_sub_i32 s7, s8, s7
	s_mul_i32 s8, s7, s52
	s_lshl_b32 s63, s8, 8
	s_cmp_eq_u32 s7, s24
	s_cselect_b32 s61, s53, s52
	s_sub_i32 s64, s62, s20
	s_add_i32 s64, s64, 16
	s_and_saveexec_b64 s[8:9], s[2:3]
	s_xor_b64 s[34:35], exec, s[8:9]
	s_cbranch_execz .LBB93_44
; %bb.8:                                ;   in Loop: Header=BB93_7 Depth=1
	s_mul_i32 s7, s7, s50
	s_sub_i32 s6, s6, s7
	s_lshl_b32 s6, s6, 6
	s_sub_i32 s45, s6, s21
	s_add_i32 s45, s45, 64
	s_max_i32 s7, s45, 0
	s_sub_i32 s44, s6, s7
	s_and_saveexec_b64 s[6:7], s[0:1]
	s_xor_b64 s[46:47], exec, s[6:7]
	s_cbranch_execz .LBB93_34
; %bb.9:                                ;   in Loop: Header=BB93_7 Depth=1
	s_and_saveexec_b64 s[48:49], s[4:5]
	s_cbranch_execz .LBB93_33
; %bb.10:                               ;   in Loop: Header=BB93_7 Depth=1
	s_waitcnt lgkmcnt(0)
	global_load_dword v65, v21, s[42:43]
	v_mov_b32_e32 v15, 0
	v_cmp_gt_i32_e32 vcc, s61, v64
	v_mov_b32_e32 v14, v15
	v_mov_b32_e32 v13, v15
	;; [unrolled: 1-line block ×15, first 2 shown]
	s_and_saveexec_b64 s[6:7], vcc
	s_cbranch_execz .LBB93_29
; %bb.11:                               ;   in Loop: Header=BB93_7 Depth=1
	v_mov_b32_e32 v0, 0
	s_mov_b64 s[8:9], 0
	v_mov_b32_e32 v1, v0
	v_mov_b32_e32 v2, v0
	;; [unrolled: 1-line block ×15, first 2 shown]
	s_branch .LBB93_13
.LBB93_12:                              ;   in Loop: Header=BB93_13 Depth=2
	s_or_b64 exec, exec, s[10:11]
	v_add_u32_e32 v42, 0x3000, v68
	ds_read2_b32 v[40:41], v42 offset1:32
	v_add_u32_e32 v64, s27, v64
	v_cmp_le_i32_e32 vcc, s61, v64
	s_or_b64 s[8:9], vcc, s[8:9]
	s_waitcnt lgkmcnt(0)
	v_mfma_f32_16x16x32_fp8_fp8 v[0:3], v[24:25], v[40:41], v[0:3]
	ds_read2_b32 v[24:25], v42 offset0:128 offset1:160
	v_add_u32_e32 v40, 0x3400, v68
	s_waitcnt lgkmcnt(0)
	v_mfma_f32_16x16x32_fp8_fp8 v[0:3], v[26:27], v[24:25], v[0:3]
	ds_read2_b32 v[24:25], v40 offset1:32
	v_add_u32_e32 v26, 0x3800, v68
	v_add_u32_e32 v27, 0x3c00, v68
	s_waitcnt lgkmcnt(0)
	v_mfma_f32_16x16x32_fp8_fp8 v[0:3], v[36:37], v[24:25], v[0:3]
	ds_read2_b32 v[24:25], v40 offset0:128 offset1:160
	s_waitcnt lgkmcnt(0)
	v_mfma_f32_16x16x32_fp8_fp8 v[0:3], v[34:35], v[24:25], v[0:3]
	ds_read2_b32 v[24:25], v26 offset1:32
	ds_read2_b32 v[34:35], v27 offset1:32
	s_waitcnt lgkmcnt(1)
	v_mfma_f32_16x16x32_fp8_fp8 v[0:3], v[38:39], v[24:25], v[0:3]
	ds_read2_b32 v[24:25], v26 offset0:128 offset1:160
	v_add_u32_e32 v26, s27, v67
	v_cmp_lt_i32_e32 vcc, 0, v26
	s_waitcnt lgkmcnt(0)
	v_mfma_f32_16x16x32_fp8_fp8 v[0:3], v[32:33], v[24:25], v[0:3]
	ds_read2_b32 v[24:25], v27 offset0:128 offset1:160
	v_add_u32_e32 v32, 2, v50
	v_cndmask_b32_e32 v50, v50, v32, vcc
	v_mfma_f32_16x16x32_fp8_fp8 v[0:3], v[30:31], v[34:35], v[0:3]
	;;#ASMSTART
	s_waitcnt lgkmcnt(0)
	;;#ASMEND
	ds_write_b32 v66, v69 offset:20496
	s_waitcnt lgkmcnt(1)
	v_mfma_f32_16x16x32_fp8_fp8 v[0:3], v[28:29], v[24:25], v[0:3]
	s_andn2_b64 exec, exec, s[8:9]
	s_cbranch_execz .LBB93_28
.LBB93_13:                              ;   Parent Loop BB93_7 Depth=1
                                        ; =>  This Loop Header: Depth=2
                                        ;       Child Loop BB93_15 Depth 3
                                        ;       Child Loop BB93_18 Depth 3
	;; [unrolled: 1-line block ×5, first 2 shown]
	v_cmp_lt_i32_e32 vcc, 0, v26
	s_nop 1
	v_subbrev_co_u32_e32 v67, vcc, 0, v26, vcc
	v_lshlrev_b32_e32 v66, 4, v67
	ds_read_b32 v24, v66 offset:20484
	s_waitcnt lgkmcnt(0)
	v_cmp_ne_u32_e32 vcc, v24, v50
	s_and_saveexec_b64 s[10:11], vcc
	s_cbranch_execz .LBB93_16
; %bb.14:                               ;   in Loop: Header=BB93_13 Depth=2
	s_mov_b64 s[12:13], 0
.LBB93_15:                              ;   Parent Loop BB93_7 Depth=1
                                        ;     Parent Loop BB93_13 Depth=2
                                        ; =>    This Inner Loop Header: Depth=3
	;;#ASMSTART
	s_sleep 0
	;;#ASMEND
	ds_read_b32 v24, v66 offset:20484
	s_waitcnt lgkmcnt(0)
	v_cmp_eq_u32_e32 vcc, v24, v50
	s_or_b64 s[12:13], vcc, s[12:13]
	s_andn2_b64 exec, exec, s[12:13]
	s_cbranch_execnz .LBB93_15
.LBB93_16:                              ;   in Loop: Header=BB93_13 Depth=2
	s_or_b64 exec, exec, s[10:11]
	v_lshl_or_b32 v68, v67, 14, v51
	v_add_u32_e32 v24, 0x400, v68
	ds_read2_b32 v[28:29], v68 offset1:32
	ds_read2_b32 v[30:31], v68 offset0:128 offset1:160
	ds_read2_b32 v[32:33], v24 offset1:32
	ds_read2_b32 v[40:41], v24 offset0:128 offset1:160
	v_add_u32_e32 v24, 0x800, v68
	ds_read2_b32 v[42:43], v24 offset1:32
	ds_read2_b32 v[44:45], v24 offset0:128 offset1:160
	v_add_u32_e32 v24, 0xc00, v68
	v_add_u32_e32 v69, 1, v50
	ds_read2_b32 v[48:49], v24 offset1:32
	ds_read2_b32 v[46:47], v24 offset0:128 offset1:160
	;;#ASMSTART
	s_waitcnt lgkmcnt(0)
	;;#ASMEND
	ds_write_b32 v66, v69 offset:20484
	v_lshlrev_b32_e32 v24, 2, v67
	ds_read_b32 v25, v24 offset:20480
	v_add_u32_e32 v70, 0x5000, v24
	s_waitcnt lgkmcnt(0)
	v_cmp_ne_u32_e32 vcc, v25, v50
	s_and_saveexec_b64 s[10:11], vcc
	s_cbranch_execz .LBB93_19
; %bb.17:                               ;   in Loop: Header=BB93_13 Depth=2
	s_mov_b64 s[12:13], 0
.LBB93_18:                              ;   Parent Loop BB93_7 Depth=1
                                        ;     Parent Loop BB93_13 Depth=2
                                        ; =>    This Inner Loop Header: Depth=3
	;;#ASMSTART
	s_sleep 0
	;;#ASMEND
	ds_read_b32 v24, v70
	s_waitcnt lgkmcnt(0)
	v_cmp_eq_u32_e32 vcc, v24, v50
	s_or_b64 s[12:13], vcc, s[12:13]
	s_andn2_b64 exec, exec, s[12:13]
	s_cbranch_execnz .LBB93_18
.LBB93_19:                              ;   in Loop: Header=BB93_13 Depth=2
	s_or_b64 exec, exec, s[10:11]
	v_lshl_add_u32 v71, v67, 12, v52
	ds_read2_b32 v[24:25], v71 offset1:32
	ds_read2_b32 v[26:27], v71 offset0:128 offset1:160
	v_add_u32_e32 v34, 0x400, v71
	ds_read2_b32 v[36:37], v34 offset1:32
	ds_read2_b32 v[34:35], v34 offset0:128 offset1:160
	s_waitcnt lgkmcnt(3)
	v_mfma_f32_16x16x32_fp8_fp8 v[12:15], v[24:25], v[28:29], v[12:15]
	v_add_u32_e32 v28, 0x800, v71
	ds_read2_b32 v[38:39], v28 offset1:32
	ds_write_b32 v70, v69
	s_waitcnt lgkmcnt(4)
	v_mfma_f32_16x16x32_fp8_fp8 v[12:15], v[26:27], v[30:31], v[12:15]
	s_waitcnt lgkmcnt(3)
	v_mfma_f32_16x16x32_fp8_fp8 v[12:15], v[36:37], v[32:33], v[12:15]
	ds_read2_b32 v[32:33], v28 offset0:128 offset1:160
	v_add_u32_e32 v28, 0xc00, v71
	ds_read2_b32 v[30:31], v28 offset1:32
	s_waitcnt lgkmcnt(4)
	v_mfma_f32_16x16x32_fp8_fp8 v[12:15], v[34:35], v[40:41], v[12:15]
	ds_read2_b32 v[28:29], v28 offset0:128 offset1:160
	ds_read_b32 v40, v66 offset:20488
	s_waitcnt lgkmcnt(0)
	v_cmp_ne_u32_e32 vcc, v40, v50
	v_mfma_f32_16x16x32_fp8_fp8 v[12:15], v[38:39], v[42:43], v[12:15]
	v_mfma_f32_16x16x32_fp8_fp8 v[12:15], v[32:33], v[44:45], v[12:15]
	;; [unrolled: 1-line block ×4, first 2 shown]
	s_and_saveexec_b64 s[10:11], vcc
	s_cbranch_execz .LBB93_22
; %bb.20:                               ;   in Loop: Header=BB93_13 Depth=2
	s_mov_b64 s[12:13], 0
.LBB93_21:                              ;   Parent Loop BB93_7 Depth=1
                                        ;     Parent Loop BB93_13 Depth=2
                                        ; =>    This Inner Loop Header: Depth=3
	;;#ASMSTART
	s_sleep 0
	;;#ASMEND
	ds_read_b32 v40, v66 offset:20488
	s_waitcnt lgkmcnt(0)
	v_cmp_eq_u32_e32 vcc, v40, v50
	s_or_b64 s[12:13], vcc, s[12:13]
	s_andn2_b64 exec, exec, s[12:13]
	s_cbranch_execnz .LBB93_21
.LBB93_22:                              ;   in Loop: Header=BB93_13 Depth=2
	s_or_b64 exec, exec, s[10:11]
	v_add_u32_e32 v42, 0x1000, v68
	ds_read2_b32 v[40:41], v42 offset1:32
	s_waitcnt lgkmcnt(0)
	v_mfma_f32_16x16x32_fp8_fp8 v[8:11], v[24:25], v[40:41], v[8:11]
	ds_read2_b32 v[40:41], v42 offset0:128 offset1:160
	v_add_u32_e32 v42, 0x1400, v68
	s_waitcnt lgkmcnt(0)
	v_mfma_f32_16x16x32_fp8_fp8 v[8:11], v[26:27], v[40:41], v[8:11]
	ds_read2_b32 v[40:41], v42 offset1:32
	s_waitcnt lgkmcnt(0)
	v_mfma_f32_16x16x32_fp8_fp8 v[8:11], v[36:37], v[40:41], v[8:11]
	ds_read2_b32 v[40:41], v42 offset0:128 offset1:160
	v_add_u32_e32 v42, 0x1800, v68
	s_waitcnt lgkmcnt(0)
	v_mfma_f32_16x16x32_fp8_fp8 v[8:11], v[34:35], v[40:41], v[8:11]
	;; [unrolled: 7-line block ×3, first 2 shown]
	ds_read2_b32 v[40:41], v42 offset1:32
	ds_read2_b32 v[42:43], v42 offset0:128 offset1:160
	;;#ASMSTART
	s_waitcnt lgkmcnt(0)
	;;#ASMEND
	ds_write_b32 v66, v69 offset:20488
	s_waitcnt lgkmcnt(2)
	v_mfma_f32_16x16x32_fp8_fp8 v[8:11], v[30:31], v[40:41], v[8:11]
	ds_read_b32 v40, v66 offset:20492
	s_waitcnt lgkmcnt(0)
	v_cmp_ne_u32_e32 vcc, v40, v50
	v_mfma_f32_16x16x32_fp8_fp8 v[8:11], v[28:29], v[42:43], v[8:11]
	s_and_saveexec_b64 s[10:11], vcc
	s_cbranch_execz .LBB93_25
; %bb.23:                               ;   in Loop: Header=BB93_13 Depth=2
	s_mov_b64 s[12:13], 0
.LBB93_24:                              ;   Parent Loop BB93_7 Depth=1
                                        ;     Parent Loop BB93_13 Depth=2
                                        ; =>    This Inner Loop Header: Depth=3
	;;#ASMSTART
	s_sleep 0
	;;#ASMEND
	ds_read_b32 v40, v66 offset:20492
	s_waitcnt lgkmcnt(0)
	v_cmp_eq_u32_e32 vcc, v40, v50
	s_or_b64 s[12:13], vcc, s[12:13]
	s_andn2_b64 exec, exec, s[12:13]
	s_cbranch_execnz .LBB93_24
.LBB93_25:                              ;   in Loop: Header=BB93_13 Depth=2
	s_or_b64 exec, exec, s[10:11]
	v_add_u32_e32 v42, 0x2000, v68
	ds_read2_b32 v[40:41], v42 offset1:32
	s_waitcnt lgkmcnt(0)
	v_mfma_f32_16x16x32_fp8_fp8 v[4:7], v[24:25], v[40:41], v[4:7]
	ds_read2_b32 v[40:41], v42 offset0:128 offset1:160
	v_add_u32_e32 v42, 0x2400, v68
	s_waitcnt lgkmcnt(0)
	v_mfma_f32_16x16x32_fp8_fp8 v[4:7], v[26:27], v[40:41], v[4:7]
	ds_read2_b32 v[40:41], v42 offset1:32
	s_waitcnt lgkmcnt(0)
	v_mfma_f32_16x16x32_fp8_fp8 v[4:7], v[36:37], v[40:41], v[4:7]
	ds_read2_b32 v[40:41], v42 offset0:128 offset1:160
	v_add_u32_e32 v42, 0x2800, v68
	s_waitcnt lgkmcnt(0)
	v_mfma_f32_16x16x32_fp8_fp8 v[4:7], v[34:35], v[40:41], v[4:7]
	;; [unrolled: 7-line block ×3, first 2 shown]
	ds_read2_b32 v[40:41], v42 offset1:32
	ds_read2_b32 v[42:43], v42 offset0:128 offset1:160
	;;#ASMSTART
	s_waitcnt lgkmcnt(0)
	;;#ASMEND
	ds_write_b32 v66, v69 offset:20492
	s_waitcnt lgkmcnt(2)
	v_mfma_f32_16x16x32_fp8_fp8 v[4:7], v[30:31], v[40:41], v[4:7]
	ds_read_b32 v40, v66 offset:20496
	s_waitcnt lgkmcnt(0)
	v_cmp_ne_u32_e32 vcc, v40, v50
	v_mfma_f32_16x16x32_fp8_fp8 v[4:7], v[28:29], v[42:43], v[4:7]
	s_and_saveexec_b64 s[10:11], vcc
	s_cbranch_execz .LBB93_12
; %bb.26:                               ;   in Loop: Header=BB93_13 Depth=2
	s_mov_b64 s[12:13], 0
.LBB93_27:                              ;   Parent Loop BB93_7 Depth=1
                                        ;     Parent Loop BB93_13 Depth=2
                                        ; =>    This Inner Loop Header: Depth=3
	;;#ASMSTART
	s_sleep 0
	;;#ASMEND
	ds_read_b32 v40, v66 offset:20496
	s_waitcnt lgkmcnt(0)
	v_cmp_eq_u32_e32 vcc, v40, v50
	s_or_b64 s[12:13], vcc, s[12:13]
	s_andn2_b64 exec, exec, s[12:13]
	s_cbranch_execnz .LBB93_27
	s_branch .LBB93_12
.LBB93_28:                              ;   in Loop: Header=BB93_7 Depth=1
	s_or_b64 exec, exec, s[8:9]
.LBB93_29:                              ;   in Loop: Header=BB93_7 Depth=1
	s_or_b64 exec, exec, s[6:7]
	v_cmp_le_i32_e32 vcc, s45, v16
	v_cmp_eq_u32_e64 s[6:7], 2, v54
	v_cmp_eq_u32_e64 s[8:9], 3, v54
	s_waitcnt vmcnt(0)
	v_cndmask_b32_e32 v24, 0, v65, vcc
	v_pk_mul_f32 v[14:15], v[24:25], v[14:15] op_sel_hi:[0,1]
	v_pk_mul_f32 v[24:25], v[24:25], v[12:13] op_sel_hi:[0,1]
	v_cmp_eq_u32_e32 vcc, 1, v54
	v_cmp_eq_u32_e64 s[10:11], 0, v54
	v_cmp_eq_u32_e64 s[12:13], 1, v55
	v_cndmask_b32_e32 v12, v24, v25, vcc
	v_cndmask_b32_e64 v12, v12, v14, s[6:7]
	v_cndmask_b32_e64 v12, v12, v15, s[8:9]
	ds_bpermute_b32 v27, v63, v12
	v_cmp_le_i32_e64 s[14:15], s45, v56
	v_cmp_le_i32_e64 s[18:19], s45, v57
	v_cmp_eq_u32_e64 s[16:17], 3, v55
	s_waitcnt lgkmcnt(0)
	v_cndmask_b32_e64 v12, v15, v27, s[8:9]
	v_cndmask_b32_e64 v13, v14, v27, s[6:7]
	v_cndmask_b32_e32 v14, v25, v27, vcc
	v_cndmask_b32_e64 v15, v24, v27, s[10:11]
	v_cndmask_b32_e64 v25, v15, v14, s[12:13]
	;; [unrolled: 1-line block ×3, first 2 shown]
	v_pk_mul_f32 v[28:29], v[24:25], v[8:9] op_sel_hi:[0,1]
	v_pk_mul_f32 v[10:11], v[24:25], v[10:11] op_sel_hi:[0,1]
	v_cndmask_b32_e32 v8, v28, v29, vcc
	v_cndmask_b32_e64 v8, v8, v10, s[6:7]
	v_cndmask_b32_e64 v8, v8, v11, s[8:9]
	ds_bpermute_b32 v27, v63, v8
	v_cmp_eq_u32_e64 s[14:15], 2, v55
	s_waitcnt lgkmcnt(0)
	v_cndmask_b32_e64 v9, v11, v27, s[8:9]
	v_cndmask_b32_e64 v8, v25, v13, s[14:15]
	;; [unrolled: 1-line block ×4, first 2 shown]
	v_pk_mul_f32 v[30:31], v[28:29], v[4:5] op_sel_hi:[0,1]
	v_pk_mul_f32 v[6:7], v[28:29], v[6:7] op_sel_hi:[0,1]
	v_cndmask_b32_e32 v4, v30, v31, vcc
	v_cndmask_b32_e64 v4, v4, v6, s[6:7]
	v_cndmask_b32_e64 v4, v4, v7, s[8:9]
	ds_bpermute_b32 v11, v63, v4
	v_cmp_le_i32_e64 s[18:19], s45, v58
	v_cndmask_b32_e32 v24, v29, v27, vcc
	v_cndmask_b32_e64 v10, v10, v27, s[6:7]
	v_cndmask_b32_e64 v4, v25, v24, s[12:13]
	s_waitcnt lgkmcnt(0)
	v_cndmask_b32_e64 v29, v30, v11, s[10:11]
	v_cndmask_b32_e64 v30, 0, v65, s[18:19]
	v_cndmask_b32_e32 v28, v31, v11, vcc
	v_pk_mul_f32 v[32:33], v[30:31], v[2:3] op_sel_hi:[0,1]
	v_pk_mul_f32 v[30:31], v[30:31], v[0:1] op_sel_hi:[0,1]
	v_cndmask_b32_e32 v0, v30, v31, vcc
	v_cndmask_b32_e64 v0, v0, v32, s[6:7]
	v_cndmask_b32_e64 v0, v0, v33, s[8:9]
	ds_bpermute_b32 v1, v63, v0
	v_cndmask_b32_e64 v6, v6, v11, s[6:7]
	v_cndmask_b32_e64 v0, v29, v28, s[12:13]
	;; [unrolled: 1-line block ×5, first 2 shown]
	v_cmp_ne_u32_e32 vcc, 0, v54
	ds_bpermute_b32 v2, v63, v0
	s_waitcnt lgkmcnt(1)
	v_cndmask_b32_e64 v3, v33, v1, s[8:9]
	v_cndmask_b32_e64 v7, v32, v1, s[6:7]
	v_cndmask_b32_e32 v0, v31, v1, vcc
	v_cndmask_b32_e64 v1, v30, v1, s[10:11]
	v_cndmask_b32_e64 v11, v1, v0, s[12:13]
	v_cndmask_b32_e64 v4, v4, v10, s[14:15]
	v_cndmask_b32_e64 v11, v11, v7, s[14:15]
	v_cndmask_b32_e64 v8, v8, v12, s[16:17]
	v_cndmask_b32_e64 v4, v4, v9, s[16:17]
	v_cndmask_b32_e64 v11, v11, v3, s[16:17]
	ds_bpermute_b32 v8, v63, v8
	ds_bpermute_b32 v4, v63, v4
	;; [unrolled: 1-line block ×3, first 2 shown]
	s_max_i32 s6, s64, 0
	v_add_u32_e32 v27, s6, v53
	v_cmp_gt_u32_e32 vcc, 16, v27
	s_and_saveexec_b64 s[12:13], vcc
	s_cbranch_execz .LBB93_32
; %bb.30:                               ;   in Loop: Header=BB93_7 Depth=1
	v_cmp_eq_u32_e64 s[8:9], 1, v55
	v_cmp_eq_u32_e64 s[10:11], 0, v55
	v_cmp_eq_u32_e32 vcc, 3, v55
	s_waitcnt lgkmcnt(2)
	v_cndmask_b32_e64 v14, v14, v8, s[8:9]
	s_waitcnt lgkmcnt(1)
	v_cndmask_b32_e64 v24, v24, v4, s[8:9]
	v_cndmask_b32_e64 v28, v28, v2, s[8:9]
	s_waitcnt lgkmcnt(0)
	v_cndmask_b32_e64 v30, v0, v11, s[8:9]
	s_mul_i32 s8, s62, s21
	s_ashr_i32 s9, s8, 31
	s_lshl_b64 s[8:9], s[8:9], 1
	v_cndmask_b32_e64 v15, v15, v8, s[10:11]
	v_cndmask_b32_e64 v25, v25, v4, s[10:11]
	;; [unrolled: 1-line block ×4, first 2 shown]
	s_add_u32 s10, s40, s8
	s_addc_u32 s11, s41, s9
	s_ashr_i32 s45, s44, 31
	v_cvt_f16_f32_e32 v15, v15
	v_cvt_f16_f32_sdwa v14, v14 dst_sel:WORD_1 dst_unused:UNUSED_PAD src0_sel:DWORD
	v_cvt_f16_f32_e32 v25, v25
	v_cvt_f16_f32_sdwa v24, v24 dst_sel:WORD_1 dst_unused:UNUSED_PAD src0_sel:DWORD
	s_lshl_b64 s[8:9], s[44:45], 1
	s_add_u32 s8, s10, s8
	s_addc_u32 s9, s11, s9
	v_lshl_add_u64 v[0:1], v[18:19], 1, s[8:9]
	v_or_b32_e32 v14, v14, v15
	v_or_b32_e32 v24, v24, v25
	;;#ASMSTART
	global_atomic_pk_add_f16 v[0:1], v14, off
	
	;;#ASMEND
	v_lshl_add_u64 v[14:15], v[0:1], 0, 32
	;;#ASMSTART
	global_atomic_pk_add_f16 v[14:15], v24, off
	
	;;#ASMEND
	v_cvt_f16_f32_e32 v24, v29
	v_cvt_f16_f32_sdwa v25, v28 dst_sel:WORD_1 dst_unused:UNUSED_PAD src0_sel:DWORD
	v_cvt_f16_f32_e32 v28, v31
	v_cvt_f16_f32_sdwa v29, v30 dst_sel:WORD_1 dst_unused:UNUSED_PAD src0_sel:DWORD
	v_cmp_eq_u32_e64 s[6:7], 2, v55
	v_lshl_add_u64 v[14:15], v[0:1], 0, 64
	v_or_b32_e32 v24, v25, v24
	v_cmp_gt_u32_e64 s[8:9], 14, v27
	;;#ASMSTART
	global_atomic_pk_add_f16 v[14:15], v24, off
	
	;;#ASMEND
	v_lshl_add_u64 v[14:15], v[0:1], 0, s[30:31]
	v_or_b32_e32 v24, v29, v28
	;;#ASMSTART
	global_atomic_pk_add_f16 v[14:15], v24, off
	
	;;#ASMEND
	s_and_b64 exec, exec, s[8:9]
	s_cbranch_execz .LBB93_32
; %bb.31:                               ;   in Loop: Header=BB93_7 Depth=1
	v_cndmask_b32_e32 v12, v12, v8, vcc
	v_cndmask_b32_e64 v8, v13, v8, s[6:7]
	v_cndmask_b32_e32 v9, v9, v4, vcc
	v_cndmask_b32_e64 v4, v10, v4, s[6:7]
	v_cndmask_b32_e32 v5, v5, v2, vcc
	v_cndmask_b32_e64 v6, v6, v2, s[6:7]
	v_cndmask_b32_e32 v10, v3, v11, vcc
	v_cvt_f16_f32_e32 v2, v8
	v_cvt_f16_f32_sdwa v3, v12 dst_sel:WORD_1 dst_unused:UNUSED_PAD src0_sel:DWORD
	v_cvt_f16_f32_e32 v4, v4
	v_cvt_f16_f32_sdwa v8, v9 dst_sel:WORD_1 dst_unused:UNUSED_PAD src0_sel:DWORD
	v_cndmask_b32_e64 v7, v7, v11, s[6:7]
	v_lshl_add_u64 v[0:1], s[28:29], 2, v[0:1]
	v_or_b32_e32 v2, v3, v2
	v_or_b32_e32 v4, v8, v4
	;;#ASMSTART
	global_atomic_pk_add_f16 v[0:1], v2, off
	
	;;#ASMEND
	v_lshl_add_u64 v[2:3], v[0:1], 0, 32
	;;#ASMSTART
	global_atomic_pk_add_f16 v[2:3], v4, off
	
	;;#ASMEND
	v_cvt_f16_f32_e32 v4, v6
	v_cvt_f16_f32_sdwa v5, v5 dst_sel:WORD_1 dst_unused:UNUSED_PAD src0_sel:DWORD
	v_cvt_f16_f32_e32 v6, v7
	v_cvt_f16_f32_sdwa v7, v10 dst_sel:WORD_1 dst_unused:UNUSED_PAD src0_sel:DWORD
	v_lshl_add_u64 v[2:3], v[0:1], 0, 64
	v_or_b32_e32 v4, v5, v4
	;;#ASMSTART
	global_atomic_pk_add_f16 v[2:3], v4, off
	
	;;#ASMEND
	v_lshl_add_u64 v[0:1], v[0:1], 0, s[30:31]
	v_or_b32_e32 v2, v7, v6
	;;#ASMSTART
	global_atomic_pk_add_f16 v[0:1], v2, off
	
	;;#ASMEND
.LBB93_32:                              ;   in Loop: Header=BB93_7 Depth=1
	s_or_b64 exec, exec, s[12:13]
	v_subrev_u32_e32 v64, s61, v64
.LBB93_33:                              ;   in Loop: Header=BB93_7 Depth=1
	s_or_b64 exec, exec, s[48:49]
.LBB93_34:                              ;   in Loop: Header=BB93_7 Depth=1
	s_andn2_saveexec_b64 s[6:7], s[46:47]
	s_cbranch_execz .LBB93_43
; %bb.35:                               ;   in Loop: Header=BB93_7 Depth=1
	s_lshl_b32 s16, s61, 2
	v_cmp_gt_i32_e32 vcc, s16, v64
	s_and_saveexec_b64 s[8:9], vcc
	s_cbranch_execz .LBB93_42
; %bb.36:                               ;   in Loop: Header=BB93_7 Depth=1
	s_mul_i32 s10, s44, s23
	s_ashr_i32 s11, s10, 31
	s_waitcnt lgkmcnt(0)
	s_add_u32 s10, s38, s10
	s_addc_u32 s11, s39, s11
	s_ashr_i32 s12, s63, 31
	s_add_u32 s10, s10, s63
	s_addc_u32 s11, s11, s12
	v_lshl_add_u64 v[0:1], s[10:11], 0, v[22:23]
	v_lshl_add_u64 v[24:25], v[0:1], 0, v[20:21]
	s_mov_b64 s[10:11], 0
	s_branch .LBB93_38
.LBB93_37:                              ;   in Loop: Header=BB93_38 Depth=2
	s_or_b64 exec, exec, s[12:13]
	v_lshl_or_b32 v28, v26, 12, v59
	;;#ASMSTART
	s_waitcnt vmcnt(3)
	;;#ASMEND
	ds_write2_b32 v28, v12, v13 offset1:32
	ds_write2_b32 v28, v14, v15 offset0:64 offset1:96
	v_add_u32_e32 v12, 0x400, v28
	;;#ASMSTART
	s_waitcnt vmcnt(2)
	;;#ASMEND
	ds_write2_b32 v12, v8, v9 offset1:32
	ds_write2_b32 v12, v10, v11 offset0:64 offset1:96
	v_add_u32_e32 v8, 0x800, v28
	;; [unrolled: 6-line block ×3, first 2 shown]
	v_add_u32_e32 v64, s26, v64
	;;#ASMSTART
	s_waitcnt vmcnt(0)
	;;#ASMEND
	ds_write2_b32 v4, v0, v1 offset1:32
	ds_write2_b32 v4, v2, v3 offset0:64 offset1:96
	v_add_u32_e32 v0, 1, v50
	v_add_u32_e32 v26, s26, v26
	v_cmp_le_i32_e32 vcc, s16, v64
	ds_write_b32 v27, v0 offset:4
	v_add_u32_e32 v0, 2, v50
	s_or_b64 s[10:11], vcc, s[10:11]
	v_cmp_lt_i32_e32 vcc, 3, v26
	s_nop 1
	v_cndmask_b32_e32 v50, v50, v0, vcc
	s_andn2_b64 exec, exec, s[10:11]
	s_cbranch_execz .LBB93_41
.LBB93_38:                              ;   Parent Loop BB93_7 Depth=1
                                        ; =>  This Loop Header: Depth=2
                                        ;       Child Loop BB93_40 Depth 3
	v_cmp_gt_i32_e32 vcc, 4, v26
	s_nop 1
	v_cndmask_b32_e64 v0, -4, 0, vcc
	v_add_u32_e32 v26, v0, v26
	v_ashrrev_i32_e32 v0, 31, v64
	v_lshrrev_b32_e32 v0, 30, v0
	v_add_u32_e32 v0, v64, v0
	v_and_b32_e32 v1, -4, v0
	v_lshlrev_b32_e32 v0, 6, v0
	v_sub_u32_e32 v2, v64, v1
	v_and_b32_e32 v0, 0xffffff00, v0
	v_ashrrev_i32_e32 v1, 31, v0
	v_mul_lo_u32 v2, s55, v2
	v_lshl_add_u64 v[0:1], v[24:25], 0, v[0:1]
	v_ashrrev_i32_e32 v3, 31, v2
	v_lshl_add_u64 v[0:1], v[0:1], 0, v[2:3]
	v_lshlrev_b32_e32 v27, 2, v26
	;;#ASMSTART
	global_load_dwordx4 v[12:15], v[0:1], off offset:0    sc0 sc1 nt  
	global_load_dwordx4 v[8:11], v[0:1], off offset:64   sc0 sc1 nt  
	global_load_dwordx4 v[4:7], v[0:1], off offset:128  sc0 sc1 nt  
	global_load_dwordx4 v[0:3], v[0:1], off offset:192  sc0 sc1 nt  
	
	;;#ASMEND
	ds_read_b32 v28, v27 offset:20484
	v_add_u32_e32 v27, 0x5000, v27
	s_waitcnt lgkmcnt(0)
	v_cmp_ne_u32_e32 vcc, v28, v50
	s_and_saveexec_b64 s[12:13], vcc
	s_cbranch_execz .LBB93_37
; %bb.39:                               ;   in Loop: Header=BB93_38 Depth=2
	s_mov_b64 s[14:15], 0
.LBB93_40:                              ;   Parent Loop BB93_7 Depth=1
                                        ;     Parent Loop BB93_38 Depth=2
                                        ; =>    This Inner Loop Header: Depth=3
	;;#ASMSTART
	s_sleep 0
	;;#ASMEND
	ds_read_b32 v28, v27 offset:4
	s_waitcnt lgkmcnt(0)
	v_cmp_eq_u32_e32 vcc, v28, v50
	s_or_b64 s[14:15], vcc, s[14:15]
	s_andn2_b64 exec, exec, s[14:15]
	s_cbranch_execnz .LBB93_40
	s_branch .LBB93_37
.LBB93_41:                              ;   in Loop: Header=BB93_7 Depth=1
	s_or_b64 exec, exec, s[10:11]
.LBB93_42:                              ;   in Loop: Header=BB93_7 Depth=1
	s_or_b64 exec, exec, s[8:9]
	v_subrev_u32_e32 v64, s16, v64
.LBB93_43:                              ;   in Loop: Header=BB93_7 Depth=1
	s_or_b64 exec, exec, s[6:7]
.LBB93_44:                              ;   in Loop: Header=BB93_7 Depth=1
	s_andn2_saveexec_b64 s[6:7], s[34:35]
	s_cbranch_execz .LBB93_6
; %bb.45:                               ;   in Loop: Header=BB93_7 Depth=1
	v_cmp_gt_i32_e32 vcc, s61, v64
	s_and_saveexec_b64 s[8:9], vcc
	s_cbranch_execz .LBB93_5
; %bb.46:                               ;   in Loop: Header=BB93_7 Depth=1
	s_mul_i32 s62, s62, s22
	s_ashr_i32 s10, s62, 31
	s_waitcnt lgkmcnt(0)
	s_add_u32 s11, s36, s62
	s_addc_u32 s12, s37, s10
	s_ashr_i32 s13, s63, 31
	v_cmp_le_i32_e32 vcc, s64, v60
	s_add_u32 s10, s11, s63
	s_addc_u32 s11, s12, s13
	v_cndmask_b32_e32 v0, 0, v61, vcc
	v_ashrrev_i32_e32 v1, 31, v0
	v_lshl_add_u64 v[0:1], s[10:11], 0, v[0:1]
	v_lshl_add_u64 v[24:25], v[0:1], 0, v[20:21]
	s_mov_b64 s[10:11], 0
	s_branch .LBB93_48
.LBB93_47:                              ;   in Loop: Header=BB93_48 Depth=2
	s_or_b64 exec, exec, s[12:13]
	v_lshl_add_u32 v28, v26, 12, v62
	;;#ASMSTART
	s_waitcnt vmcnt(3)
	;;#ASMEND
	ds_write2_b32 v28, v12, v13 offset1:32
	ds_write2_b32 v28, v14, v15 offset0:64 offset1:96
	v_add_u32_e32 v12, 0x400, v28
	;;#ASMSTART
	s_waitcnt vmcnt(2)
	;;#ASMEND
	ds_write2_b32 v12, v8, v9 offset1:32
	ds_write2_b32 v12, v10, v11 offset0:64 offset1:96
	v_add_u32_e32 v8, 0x800, v28
	;; [unrolled: 6-line block ×3, first 2 shown]
	v_add_u32_e32 v64, s25, v64
	;;#ASMSTART
	s_waitcnt vmcnt(0)
	;;#ASMEND
	ds_write2_b32 v4, v0, v1 offset1:32
	ds_write2_b32 v4, v2, v3 offset0:64 offset1:96
	v_add_u32_e32 v0, 1, v50
	v_add_u32_e32 v26, s25, v26
	v_cmp_le_i32_e32 vcc, s61, v64
	ds_write_b32 v27, v0
	v_add_u32_e32 v0, 2, v50
	s_or_b64 s[10:11], vcc, s[10:11]
	v_cmp_lt_i32_e32 vcc, 0, v26
	s_nop 1
	v_cndmask_b32_e32 v50, v50, v0, vcc
	s_andn2_b64 exec, exec, s[10:11]
	s_cbranch_execz .LBB93_4
.LBB93_48:                              ;   Parent Loop BB93_7 Depth=1
                                        ; =>  This Loop Header: Depth=2
                                        ;       Child Loop BB93_50 Depth 3
	v_cmp_lt_i32_e32 vcc, 0, v26
	v_lshlrev_b32_e32 v0, 8, v64
	v_ashrrev_i32_e32 v1, 31, v0
	v_subbrev_co_u32_e32 v26, vcc, 0, v26, vcc
	v_lshl_add_u64 v[0:1], v[24:25], 0, v[0:1]
	v_lshlrev_b32_e32 v27, 2, v26
	;;#ASMSTART
	global_load_dwordx4 v[12:15], v[0:1], off offset:0    
	global_load_dwordx4 v[8:11], v[0:1], off offset:64   
	;; [unrolled: 1-line block ×4, first 2 shown]
	
	;;#ASMEND
	ds_read_b32 v28, v27 offset:20480
	v_add_u32_e32 v27, 0x5000, v27
	s_waitcnt lgkmcnt(0)
	v_cmp_ne_u32_e32 vcc, v28, v50
	s_and_saveexec_b64 s[12:13], vcc
	s_cbranch_execz .LBB93_47
; %bb.49:                               ;   in Loop: Header=BB93_48 Depth=2
	s_mov_b64 s[14:15], 0
.LBB93_50:                              ;   Parent Loop BB93_7 Depth=1
                                        ;     Parent Loop BB93_48 Depth=2
                                        ; =>    This Inner Loop Header: Depth=3
	;;#ASMSTART
	s_sleep 0
	;;#ASMEND
	ds_read_b32 v28, v27
	s_waitcnt lgkmcnt(0)
	v_cmp_eq_u32_e32 vcc, v28, v50
	s_or_b64 s[14:15], vcc, s[14:15]
	s_andn2_b64 exec, exec, s[14:15]
	s_cbranch_execnz .LBB93_50
	s_branch .LBB93_47
.LBB93_51:
	s_endpgm
	.section	.rodata,"a",@progbits
	.p2align	6, 0x0
	.amdhsa_kernel _Z19_skinny_gemm_kernelILi1ELi4ELi1ELi16ELi8EEvPKhS1_P6__halfPKfiiiiiiii
		.amdhsa_group_segment_fixed_size 20500
		.amdhsa_private_segment_fixed_size 0
		.amdhsa_kernarg_size 64
		.amdhsa_user_sgpr_count 2
		.amdhsa_user_sgpr_dispatch_ptr 0
		.amdhsa_user_sgpr_queue_ptr 0
		.amdhsa_user_sgpr_kernarg_segment_ptr 1
		.amdhsa_user_sgpr_dispatch_id 0
		.amdhsa_user_sgpr_kernarg_preload_length 0
		.amdhsa_user_sgpr_kernarg_preload_offset 0
		.amdhsa_user_sgpr_private_segment_size 0
		.amdhsa_uses_dynamic_stack 0
		.amdhsa_enable_private_segment 0
		.amdhsa_system_sgpr_workgroup_id_x 1
		.amdhsa_system_sgpr_workgroup_id_y 0
		.amdhsa_system_sgpr_workgroup_id_z 0
		.amdhsa_system_sgpr_workgroup_info 0
		.amdhsa_system_vgpr_workitem_id 0
		.amdhsa_next_free_vgpr 72
		.amdhsa_next_free_sgpr 65
		.amdhsa_accum_offset 72
		.amdhsa_reserve_vcc 1
		.amdhsa_float_round_mode_32 0
		.amdhsa_float_round_mode_16_64 0
		.amdhsa_float_denorm_mode_32 3
		.amdhsa_float_denorm_mode_16_64 3
		.amdhsa_dx10_clamp 1
		.amdhsa_ieee_mode 1
		.amdhsa_fp16_overflow 0
		.amdhsa_tg_split 0
		.amdhsa_exception_fp_ieee_invalid_op 0
		.amdhsa_exception_fp_denorm_src 0
		.amdhsa_exception_fp_ieee_div_zero 0
		.amdhsa_exception_fp_ieee_overflow 0
		.amdhsa_exception_fp_ieee_underflow 0
		.amdhsa_exception_fp_ieee_inexact 0
		.amdhsa_exception_int_div_zero 0
	.end_amdhsa_kernel
	.section	.text._Z19_skinny_gemm_kernelILi1ELi4ELi1ELi16ELi8EEvPKhS1_P6__halfPKfiiiiiiii,"axG",@progbits,_Z19_skinny_gemm_kernelILi1ELi4ELi1ELi16ELi8EEvPKhS1_P6__halfPKfiiiiiiii,comdat
.Lfunc_end93:
	.size	_Z19_skinny_gemm_kernelILi1ELi4ELi1ELi16ELi8EEvPKhS1_P6__halfPKfiiiiiiii, .Lfunc_end93-_Z19_skinny_gemm_kernelILi1ELi4ELi1ELi16ELi8EEvPKhS1_P6__halfPKfiiiiiiii
                                        ; -- End function
	.set _Z19_skinny_gemm_kernelILi1ELi4ELi1ELi16ELi8EEvPKhS1_P6__halfPKfiiiiiiii.num_vgpr, 72
	.set _Z19_skinny_gemm_kernelILi1ELi4ELi1ELi16ELi8EEvPKhS1_P6__halfPKfiiiiiiii.num_agpr, 0
	.set _Z19_skinny_gemm_kernelILi1ELi4ELi1ELi16ELi8EEvPKhS1_P6__halfPKfiiiiiiii.numbered_sgpr, 65
	.set _Z19_skinny_gemm_kernelILi1ELi4ELi1ELi16ELi8EEvPKhS1_P6__halfPKfiiiiiiii.num_named_barrier, 0
	.set _Z19_skinny_gemm_kernelILi1ELi4ELi1ELi16ELi8EEvPKhS1_P6__halfPKfiiiiiiii.private_seg_size, 0
	.set _Z19_skinny_gemm_kernelILi1ELi4ELi1ELi16ELi8EEvPKhS1_P6__halfPKfiiiiiiii.uses_vcc, 1
	.set _Z19_skinny_gemm_kernelILi1ELi4ELi1ELi16ELi8EEvPKhS1_P6__halfPKfiiiiiiii.uses_flat_scratch, 0
	.set _Z19_skinny_gemm_kernelILi1ELi4ELi1ELi16ELi8EEvPKhS1_P6__halfPKfiiiiiiii.has_dyn_sized_stack, 0
	.set _Z19_skinny_gemm_kernelILi1ELi4ELi1ELi16ELi8EEvPKhS1_P6__halfPKfiiiiiiii.has_recursion, 0
	.set _Z19_skinny_gemm_kernelILi1ELi4ELi1ELi16ELi8EEvPKhS1_P6__halfPKfiiiiiiii.has_indirect_call, 0
	.section	.AMDGPU.csdata,"",@progbits
; Kernel info:
; codeLenInByte = 4680
; TotalNumSgprs: 71
; NumVgprs: 72
; NumAgprs: 0
; TotalNumVgprs: 72
; ScratchSize: 0
; MemoryBound: 0
; FloatMode: 240
; IeeeMode: 1
; LDSByteSize: 20500 bytes/workgroup (compile time only)
; SGPRBlocks: 8
; VGPRBlocks: 8
; NumSGPRsForWavesPerEU: 71
; NumVGPRsForWavesPerEU: 72
; AccumOffset: 72
; Occupancy: 7
; WaveLimiterHint : 0
; COMPUTE_PGM_RSRC2:SCRATCH_EN: 0
; COMPUTE_PGM_RSRC2:USER_SGPR: 2
; COMPUTE_PGM_RSRC2:TRAP_HANDLER: 0
; COMPUTE_PGM_RSRC2:TGID_X_EN: 1
; COMPUTE_PGM_RSRC2:TGID_Y_EN: 0
; COMPUTE_PGM_RSRC2:TGID_Z_EN: 0
; COMPUTE_PGM_RSRC2:TIDIG_COMP_CNT: 0
; COMPUTE_PGM_RSRC3_GFX90A:ACCUM_OFFSET: 17
; COMPUTE_PGM_RSRC3_GFX90A:TG_SPLIT: 0
	.section	.text._Z19_skinny_gemm_kernelILi1ELi4ELi1ELi32ELi4EEvPKhS1_P6__halfPKfiiiiiiii,"axG",@progbits,_Z19_skinny_gemm_kernelILi1ELi4ELi1ELi32ELi4EEvPKhS1_P6__halfPKfiiiiiiii,comdat
	.protected	_Z19_skinny_gemm_kernelILi1ELi4ELi1ELi32ELi4EEvPKhS1_P6__halfPKfiiiiiiii ; -- Begin function _Z19_skinny_gemm_kernelILi1ELi4ELi1ELi32ELi4EEvPKhS1_P6__halfPKfiiiiiiii
	.globl	_Z19_skinny_gemm_kernelILi1ELi4ELi1ELi32ELi4EEvPKhS1_P6__halfPKfiiiiiiii
	.p2align	8
	.type	_Z19_skinny_gemm_kernelILi1ELi4ELi1ELi32ELi4EEvPKhS1_P6__halfPKfiiiiiiii,@function
_Z19_skinny_gemm_kernelILi1ELi4ELi1ELi32ELi4EEvPKhS1_P6__halfPKfiiiiiiii: ; @_Z19_skinny_gemm_kernelILi1ELi4ELi1ELi32ELi4EEvPKhS1_P6__halfPKfiiiiiiii
; %bb.0:
	v_cmp_gt_u32_e32 vcc, 5, v0
	s_and_saveexec_b64 s[4:5], vcc
; %bb.1:
	v_lshlrev_b32_e32 v1, 2, v0
	v_mov_b32_e32 v2, 0
	ds_write_b32 v1, v2 offset:10240
; %bb.2:
	s_or_b64 exec, exec, s[4:5]
	s_load_dwordx8 s[20:27], s[0:1], 0x20
	s_waitcnt lgkmcnt(0)
	s_barrier
	s_add_i32 s3, s20, 31
	s_ashr_i32 s5, s3, 31
	s_add_i32 s4, s21, 0x7f
	s_lshr_b32 s5, s5, 27
	s_ashr_i32 s6, s4, 31
	s_add_i32 s3, s3, s5
	s_ashr_i32 s14, s3, 5
	s_lshr_b32 s3, s6, 25
	s_add_i32 s4, s4, s3
	s_ashr_i32 s15, s4, 7
	s_mul_i32 s3, s15, s14
	s_mul_i32 s3, s3, s24
	s_add_i32 s4, s3, 0x12f
	s_mul_hi_i32 s4, s4, 0x6bca1af3
	s_lshr_b32 s5, s4, 31
	s_ashr_i32 s4, s4, 7
	s_add_i32 s4, s4, s5
	s_add_i32 s5, s2, 1
	s_mul_i32 s5, s4, s5
	v_cvt_f64_i32_e32 v[2:3], s3
	v_cvt_f64_u32_e32 v[4:5], s5
	v_min_f64 v[2:3], v[2:3], v[4:5]
	v_cvt_i32_f64_e32 v78, v[2:3]
	s_mul_i32 s33, s4, s2
	v_cmp_ge_i32_e32 vcc, s33, v78
	s_cbranch_vccnz .LBB94_54
; %bb.3:
	s_load_dwordx8 s[72:79], s[0:1], 0x0
	v_lshrrev_b32_e32 v1, 6, v0
	s_add_i32 s0, s26, s25
	v_cmp_le_i32_e64 s[28:29], s0, v1
	v_mov_b32_e32 v2, s25
	v_cmp_le_i32_e64 s[30:31], s25, v1
	v_mov_b32_e32 v3, s26
	v_cndmask_b32_e64 v3, 0, v3, s[28:29]
	v_cndmask_b32_e64 v2, 0, v2, s[30:31]
	s_abs_i32 s1, s24
	v_add_u32_e32 v2, v2, v3
	v_cvt_f32_u32_e32 v3, s1
	v_sub_u32_e32 v72, v1, v2
	s_ashr_i32 s2, s22, 31
	s_lshr_b32 s2, s2, 26
	v_rcp_iflag_f32_e32 v2, v3
	s_sub_i32 s5, 0, s1
	s_add_i32 s2, s22, s2
	s_ashr_i32 s2, s2, 6
	v_mul_f32_e32 v2, 0x4f7ffffe, v2
	v_cvt_u32_f32_e32 v2, v2
	s_abs_i32 s4, s2
	s_xor_b32 s3, s2, s24
	s_ashr_i32 s3, s3, 31
	v_readfirstlane_b32 s6, v2
	s_mul_i32 s5, s5, s6
	s_mul_hi_u32 s5, s6, s5
	s_add_i32 s6, s6, s5
	s_mul_hi_u32 s5, s4, s6
	s_mul_i32 s6, s5, s1
	s_sub_i32 s4, s4, s6
	s_add_i32 s6, s5, 1
	s_sub_i32 s7, s4, s1
	s_cmp_ge_u32 s4, s1
	s_cselect_b32 s5, s6, s5
	s_cselect_b32 s4, s7, s4
	s_add_i32 s6, s5, 1
	s_cmp_ge_u32 s4, s1
	v_lshrrev_b32_e32 v2, 3, v0
	v_lshrrev_b32_e32 v7, 1, v0
	s_cselect_b32 s1, s6, s5
	s_add_i32 s0, s0, s27
	v_and_b32_e32 v80, 31, v0
	v_and_b32_e32 v3, 4, v2
	;; [unrolled: 1-line block ×3, first 2 shown]
	v_lshlrev_b32_e32 v7, 4, v0
	v_cmp_gt_i32_e64 s[36:37], s0, v1
	v_lshlrev_b32_e32 v1, 2, v80
	v_lshlrev_b32_e32 v2, 6, v3
	v_and_b32_e32 v7, 0x200, v7
	s_abs_i32 s97, s14
                                        ; implicit-def: $vgpr127 : SGPR spill to VGPR lane
	v_or_b32_e32 v4, 0x2000, v1
	v_or_b32_e32 v82, v1, v2
	v_and_b32_e32 v5, 1, v0
	v_or_b32_e32 v94, v1, v7
	v_cvt_f32_u32_e32 v1, s97
	v_writelane_b32 v127, s14, 0
	v_or_b32_e32 v81, v4, v2
	v_lshlrev_b32_e32 v2, 1, v5
	v_writelane_b32 v127, s15, 1
	v_sub_u32_e32 v2, v0, v2
	s_waitcnt lgkmcnt(0)
	v_writelane_b32 v127, s72, 2
	v_add_u32_e32 v2, 1, v2
	v_and_b32_e32 v6, 63, v2
	v_writelane_b32 v127, s73, 3
	v_bitop3_b32 v83, v0, 1, v0 bitop3:0xc
	v_bitop3_b32 v84, v0, 3, 1 bitop3:0x6c
	;; [unrolled: 1-line block ×8, first 2 shown]
	v_and_b32_e32 v2, 30, v0
	v_bitop3_b32 v95, v0, 31, v0 bitop3:0xc
	v_rcp_iflag_f32_e32 v0, v1
	s_abs_i32 s98, s15
	v_writelane_b32 v127, s74, 4
	v_cvt_f32_u32_e32 v1, s98
	v_writelane_b32 v127, s75, 5
	v_writelane_b32 v127, s76, 6
	;; [unrolled: 1-line block ×3, first 2 shown]
	v_mul_f32_e32 v0, 0x4f7ffffe, v0
	v_writelane_b32 v127, s78, 8
	v_cvt_u32_f32_e32 v0, v0
	v_rcp_iflag_f32_e32 v1, v1
	v_writelane_b32 v127, s79, 9
	v_cndmask_b32_e64 v79, 0, 1, s[28:29]
	s_xor_b32 s1, s1, s3
	v_writelane_b32 v127, s28, 10
	s_sub_i32 s17, s1, s3
	s_add_i32 s34, s24, -1
	v_writelane_b32 v127, s29, 11
	s_mul_i32 s1, s17, s34
	v_writelane_b32 v127, s30, 12
	s_sub_i32 s35, s2, s1
	v_readfirstlane_b32 s1, v0
	v_mul_f32_e32 v0, 0x4f7ffffe, v1
	v_writelane_b32 v127, s31, 13
	v_cvt_u32_f32_e32 v0, v0
	v_writelane_b32 v127, s17, 14
	s_sub_i32 s0, 0, s97
	v_writelane_b32 v127, s34, 15
	s_mul_i32 s0, s0, s1
	v_writelane_b32 v127, s35, 16
	s_mul_hi_u32 s0, s1, s0
	v_writelane_b32 v127, s36, 17
	s_ashr_i32 s38, s14, 31
	s_add_i32 s39, s1, s0
	s_sub_i32 s0, 0, s98
	v_readfirstlane_b32 s1, v0
	v_writelane_b32 v127, s37, 18
	s_mul_i32 s0, s0, s1
	v_mbcnt_lo_u32_b32 v0, -1, 0
	v_writelane_b32 v127, s38, 19
	s_ashr_i32 s40, s15, 31
	s_mul_hi_u32 s0, s1, s0
	v_mbcnt_hi_u32_b32 v0, -1, v0
	v_writelane_b32 v127, s39, 20
	v_mov_b32_e32 v65, 0
	v_mul_lo_u32 v8, s23, v80
	v_or_b32_e32 v98, v5, v3
	s_add_i32 s41, s1, s0
	v_and_or_b32 v0, v0, 64, v6
	v_writelane_b32 v127, s40, 21
	v_ashrrev_i32_e32 v9, 31, v8
	v_mov_b32_e32 v67, v65
	s_lshl_b32 s24, s23, 5
	v_mul_lo_u32 v96, s22, v80
	v_or_b32_e32 v97, v4, v7
	v_or_b32_e32 v99, 2, v98
	v_lshlrev_b32_e32 v64, 1, v2
	v_lshlrev_b32_e32 v100, 2, v0
	v_mov_b32_e32 v101, v72
	v_writelane_b32 v127, s41, 22
	scratch_store_dwordx2 off, v[8:9], off  ; 8-byte Folded Spill
	s_branch .LBB94_7
.LBB94_4:                               ;   in Loop: Header=BB94_7 Depth=1
	s_or_b64 exec, exec, s[4:5]
.LBB94_5:                               ;   in Loop: Header=BB94_7 Depth=1
	s_or_b64 exec, exec, s[2:3]
	v_subrev_u32_e32 v101, s99, v101
.LBB94_6:                               ;   in Loop: Header=BB94_7 Depth=1
	s_or_b64 exec, exec, s[0:1]
	s_add_i32 s33, s33, 1
	v_cmp_ge_i32_e32 vcc, s33, v78
	s_cbranch_vccnz .LBB94_54
.LBB94_7:                               ; =>This Loop Header: Depth=1
                                        ;     Child Loop BB94_13 Depth 2
                                        ;       Child Loop BB94_15 Depth 3
                                        ;       Child Loop BB94_18 Depth 3
	;; [unrolled: 1-line block ×5, first 2 shown]
                                        ;     Child Loop BB94_32 Depth 2
                                        ;     Child Loop BB94_41 Depth 2
                                        ;       Child Loop BB94_43 Depth 3
                                        ;     Child Loop BB94_51 Depth 2
                                        ;       Child Loop BB94_53 Depth 3
	s_abs_i32 s1, s33
	s_mul_hi_u32 s2, s1, s39
	s_mul_i32 s3, s2, s97
	s_ashr_i32 s0, s33, 31
	s_sub_i32 s1, s1, s3
	s_xor_b32 s0, s0, s38
	s_add_i32 s3, s2, 1
	s_sub_i32 s4, s1, s97
	s_cmp_ge_u32 s1, s97
	s_cselect_b32 s2, s3, s2
	s_cselect_b32 s1, s4, s1
	s_add_i32 s3, s2, 1
	s_cmp_ge_u32 s1, s97
	s_cselect_b32 s1, s3, s2
	s_xor_b32 s1, s1, s0
	s_sub_i32 s0, s1, s0
	s_abs_i32 s2, s0
	s_mul_i32 s1, s0, s14
	s_mul_hi_u32 s3, s2, s41
	s_sub_i32 s1, s33, s1
	s_mul_i32 s4, s3, s98
	s_lshl_b32 s96, s1, 5
	s_ashr_i32 s1, s0, 31
	s_sub_i32 s2, s2, s4
	s_xor_b32 s1, s1, s40
	s_add_i32 s4, s3, 1
	s_sub_i32 s5, s2, s98
	s_cmp_ge_u32 s2, s98
	s_cselect_b32 s3, s4, s3
	s_cselect_b32 s2, s5, s2
	s_add_i32 s4, s3, 1
	s_cmp_ge_u32 s2, s98
	s_cselect_b32 s2, s4, s3
	s_xor_b32 s2, s2, s1
	s_sub_i32 s1, s2, s1
	s_mul_i32 s2, s1, s17
	s_lshl_b32 s46, s2, 6
	s_cmp_eq_u32 s1, s34
	s_cselect_b32 s99, s35, s17
	s_sub_i32 s2, s96, s20
	s_add_i32 s71, s2, 32
	s_and_saveexec_b64 s[2:3], s[30:31]
	s_xor_b64 s[4:5], exec, s[2:3]
	s_cbranch_execz .LBB94_47
; %bb.8:                                ;   in Loop: Header=BB94_7 Depth=1
	s_mul_i32 s1, s1, s15
	s_sub_i32 s0, s0, s1
	s_lshl_b32 s0, s0, 7
	s_sub_i32 s70, s0, s21
	s_addk_i32 s70, 0x80
	s_max_i32 s1, s70, 0
	s_sub_i32 s0, s0, s1
	s_and_saveexec_b64 s[2:3], s[28:29]
	s_xor_b64 s[2:3], exec, s[2:3]
	s_cbranch_execz .LBB94_37
; %bb.9:                                ;   in Loop: Header=BB94_7 Depth=1
	s_and_saveexec_b64 s[8:9], s[36:37]
	s_cbranch_execz .LBB94_36
; %bb.10:                               ;   in Loop: Header=BB94_7 Depth=1
	global_load_dword v102, v65, s[78:79]
	v_writelane_b32 v127, s8, 23
	v_mov_b32_e32 v63, 0
	v_cmp_gt_i32_e32 vcc, s99, v101
	v_writelane_b32 v127, s9, 24
	v_mov_b32_e32 v62, v63
	v_mov_b32_e32 v61, v63
	;; [unrolled: 1-line block ×63, first 2 shown]
	s_and_saveexec_b64 s[6:7], vcc
	s_cbranch_execz .LBB94_29
; %bb.11:                               ;   in Loop: Header=BB94_7 Depth=1
	v_mov_b32_e32 v0, 0
	s_mov_b64 s[8:9], 0
	v_mov_b32_e32 v1, v0
	v_mov_b32_e32 v2, v0
	;; [unrolled: 1-line block ×63, first 2 shown]
	s_branch .LBB94_13
.LBB94_12:                              ;   in Loop: Header=BB94_13 Depth=2
	s_or_b64 exec, exec, s[10:11]
	v_add_u32_e32 v107, 0x1800, v106
	ds_read2_b32 v[108:109], v107 offset1:32
	v_add_u32_e32 v101, s27, v101
	s_waitcnt lgkmcnt(0)
	v_mfma_f32_32x32x16_fp8_fp8 v[0:15], v[76:77], v[108:109], v[0:15]
	ds_read2_b32 v[76:77], v107 offset0:128 offset1:160
	s_waitcnt lgkmcnt(0)
	v_mfma_f32_32x32x16_fp8_fp8 v[0:15], v[74:75], v[76:77], v[0:15]
	v_add_u32_e32 v76, 0x1c00, v106
	ds_read2_b32 v[74:75], v76 offset1:32
	ds_read2_b32 v[76:77], v76 offset0:128 offset1:160
	ds_write_b32 v104, v105 offset:10268
	s_waitcnt lgkmcnt(2)
	v_mfma_f32_32x32x16_fp8_fp8 v[0:15], v[72:73], v[74:75], v[0:15]
	v_add_u32_e32 v72, s27, v103
	v_add_u32_e32 v73, 2, v79
	v_cmp_lt_i32_e32 vcc, 0, v72
	s_nop 1
	v_cndmask_b32_e32 v79, v79, v73, vcc
	v_cmp_le_i32_e32 vcc, s99, v101
	s_waitcnt lgkmcnt(1)
	v_mfma_f32_32x32x16_fp8_fp8 v[0:15], v[70:71], v[76:77], v[0:15]
	s_or_b64 s[8:9], vcc, s[8:9]
	s_andn2_b64 exec, exec, s[8:9]
	s_cbranch_execz .LBB94_28
.LBB94_13:                              ;   Parent Loop BB94_7 Depth=1
                                        ; =>  This Loop Header: Depth=2
                                        ;       Child Loop BB94_15 Depth 3
                                        ;       Child Loop BB94_18 Depth 3
	;; [unrolled: 1-line block ×5, first 2 shown]
	v_cmp_lt_i32_e32 vcc, 0, v72
	s_nop 1
	v_subbrev_co_u32_e32 v103, vcc, 0, v72, vcc
	v_lshlrev_b32_e32 v104, 5, v103
	ds_read_b32 v70, v104 offset:10240
	s_waitcnt lgkmcnt(0)
	v_cmp_ne_u32_e32 vcc, v70, v79
	s_and_saveexec_b64 s[10:11], vcc
	s_cbranch_execz .LBB94_16
; %bb.14:                               ;   in Loop: Header=BB94_13 Depth=2
	s_mov_b64 s[12:13], 0
.LBB94_15:                              ;   Parent Loop BB94_7 Depth=1
                                        ;     Parent Loop BB94_13 Depth=2
                                        ; =>    This Inner Loop Header: Depth=3
	;;#ASMSTART
	s_sleep 0
	;;#ASMEND
	ds_read_b32 v70, v104 offset:10240
	s_waitcnt lgkmcnt(0)
	v_cmp_eq_u32_e32 vcc, v70, v79
	s_or_b64 s[12:13], vcc, s[12:13]
	s_andn2_b64 exec, exec, s[12:13]
	s_cbranch_execnz .LBB94_15
.LBB94_16:                              ;   in Loop: Header=BB94_13 Depth=2
	s_or_b64 exec, exec, s[10:11]
	v_lshl_add_u32 v70, v103, 11, v81
	ds_read2_b32 v[76:77], v70 offset1:32
	ds_read2_b32 v[74:75], v70 offset0:128 offset1:160
	v_add_u32_e32 v70, 0x400, v70
	ds_read2_b32 v[72:73], v70 offset1:32
	ds_read_b32 v106, v104 offset:10244
	ds_read2_b32 v[70:71], v70 offset0:128 offset1:160
	v_add_u32_e32 v105, 1, v79
	ds_write_b32 v104, v105 offset:10240
	s_waitcnt lgkmcnt(2)
	v_cmp_ne_u32_e32 vcc, v106, v79
	s_and_saveexec_b64 s[10:11], vcc
	s_cbranch_execz .LBB94_19
; %bb.17:                               ;   in Loop: Header=BB94_13 Depth=2
	s_mov_b64 s[12:13], 0
.LBB94_18:                              ;   Parent Loop BB94_7 Depth=1
                                        ;     Parent Loop BB94_13 Depth=2
                                        ; =>    This Inner Loop Header: Depth=3
	;;#ASMSTART
	s_sleep 0
	;;#ASMEND
	ds_read_b32 v106, v104 offset:10244
	s_waitcnt lgkmcnt(0)
	v_cmp_eq_u32_e32 vcc, v106, v79
	s_or_b64 s[12:13], vcc, s[12:13]
	s_andn2_b64 exec, exec, s[12:13]
	s_cbranch_execnz .LBB94_18
.LBB94_19:                              ;   in Loop: Header=BB94_13 Depth=2
	s_or_b64 exec, exec, s[10:11]
	v_lshlrev_b32_e32 v106, 13, v103
	v_or_b32_e32 v107, v82, v106
	ds_read2_b32 v[108:109], v107 offset1:32
	ds_write_b32 v104, v105 offset:10244
	s_waitcnt lgkmcnt(1)
	v_mfma_f32_32x32x16_fp8_fp8 v[48:63], v[76:77], v[108:109], v[48:63]
	ds_read2_b32 v[108:109], v107 offset0:128 offset1:160
	v_add_u32_e32 v107, 0x400, v107
	s_waitcnt lgkmcnt(0)
	v_mfma_f32_32x32x16_fp8_fp8 v[48:63], v[74:75], v[108:109], v[48:63]
	ds_read2_b32 v[108:109], v107 offset1:32
	s_waitcnt lgkmcnt(0)
	v_mfma_f32_32x32x16_fp8_fp8 v[48:63], v[72:73], v[108:109], v[48:63]
	ds_read2_b32 v[108:109], v107 offset0:128 offset1:160
	ds_read_b32 v107, v104 offset:10252
	s_waitcnt lgkmcnt(0)
	v_cmp_ne_u32_e32 vcc, v107, v79
	v_mfma_f32_32x32x16_fp8_fp8 v[48:63], v[70:71], v[108:109], v[48:63]
	s_and_saveexec_b64 s[10:11], vcc
	s_cbranch_execz .LBB94_22
; %bb.20:                               ;   in Loop: Header=BB94_13 Depth=2
	s_mov_b64 s[12:13], 0
.LBB94_21:                              ;   Parent Loop BB94_7 Depth=1
                                        ;     Parent Loop BB94_13 Depth=2
                                        ; =>    This Inner Loop Header: Depth=3
	;;#ASMSTART
	s_sleep 0
	;;#ASMEND
	ds_read_b32 v107, v104 offset:10252
	s_waitcnt lgkmcnt(0)
	v_cmp_eq_u32_e32 vcc, v107, v79
	s_or_b64 s[12:13], vcc, s[12:13]
	s_andn2_b64 exec, exec, s[12:13]
	s_cbranch_execnz .LBB94_21
.LBB94_22:                              ;   in Loop: Header=BB94_13 Depth=2
	s_or_b64 exec, exec, s[10:11]
	v_add_u32_e32 v106, v82, v106
	v_add_u32_e32 v107, 0x800, v106
	ds_read2_b32 v[108:109], v107 offset1:32
	ds_write_b32 v104, v105 offset:10252
	s_waitcnt lgkmcnt(1)
	v_mfma_f32_32x32x16_fp8_fp8 v[32:47], v[76:77], v[108:109], v[32:47]
	ds_read2_b32 v[108:109], v107 offset0:128 offset1:160
	v_add_u32_e32 v107, 0xc00, v106
	s_waitcnt lgkmcnt(0)
	v_mfma_f32_32x32x16_fp8_fp8 v[32:47], v[74:75], v[108:109], v[32:47]
	ds_read2_b32 v[108:109], v107 offset1:32
	s_waitcnt lgkmcnt(0)
	v_mfma_f32_32x32x16_fp8_fp8 v[32:47], v[72:73], v[108:109], v[32:47]
	ds_read2_b32 v[108:109], v107 offset0:128 offset1:160
	ds_read_b32 v107, v104 offset:10260
	s_waitcnt lgkmcnt(0)
	v_cmp_ne_u32_e32 vcc, v107, v79
	v_mfma_f32_32x32x16_fp8_fp8 v[32:47], v[70:71], v[108:109], v[32:47]
	s_and_saveexec_b64 s[10:11], vcc
	s_cbranch_execz .LBB94_25
; %bb.23:                               ;   in Loop: Header=BB94_13 Depth=2
	s_mov_b64 s[12:13], 0
.LBB94_24:                              ;   Parent Loop BB94_7 Depth=1
                                        ;     Parent Loop BB94_13 Depth=2
                                        ; =>    This Inner Loop Header: Depth=3
	;;#ASMSTART
	s_sleep 0
	;;#ASMEND
	ds_read_b32 v107, v104 offset:10260
	s_waitcnt lgkmcnt(0)
	v_cmp_eq_u32_e32 vcc, v107, v79
	s_or_b64 s[12:13], vcc, s[12:13]
	s_andn2_b64 exec, exec, s[12:13]
	s_cbranch_execnz .LBB94_24
.LBB94_25:                              ;   in Loop: Header=BB94_13 Depth=2
	s_or_b64 exec, exec, s[10:11]
	v_add_u32_e32 v107, 0x1000, v106
	ds_read2_b32 v[108:109], v107 offset1:32
	s_waitcnt lgkmcnt(0)
	v_mfma_f32_32x32x16_fp8_fp8 v[16:31], v[76:77], v[108:109], v[16:31]
	ds_read2_b32 v[108:109], v107 offset0:128 offset1:160
	v_add_u32_e32 v107, 0x1400, v106
	s_waitcnt lgkmcnt(0)
	v_mfma_f32_32x32x16_fp8_fp8 v[16:31], v[74:75], v[108:109], v[16:31]
	ds_read2_b32 v[108:109], v107 offset1:32
	s_waitcnt lgkmcnt(0)
	v_mfma_f32_32x32x16_fp8_fp8 v[16:31], v[72:73], v[108:109], v[16:31]
	ds_read_b32 v110, v104 offset:10268
	ds_read2_b32 v[108:109], v107 offset0:128 offset1:160
	ds_write_b32 v104, v105 offset:10260
	s_waitcnt lgkmcnt(2)
	v_cmp_ne_u32_e32 vcc, v110, v79
	s_waitcnt lgkmcnt(1)
	v_mfma_f32_32x32x16_fp8_fp8 v[16:31], v[70:71], v[108:109], v[16:31]
	s_and_saveexec_b64 s[10:11], vcc
	s_cbranch_execz .LBB94_12
; %bb.26:                               ;   in Loop: Header=BB94_13 Depth=2
	s_mov_b64 s[12:13], 0
.LBB94_27:                              ;   Parent Loop BB94_7 Depth=1
                                        ;     Parent Loop BB94_13 Depth=2
                                        ; =>    This Inner Loop Header: Depth=3
	;;#ASMSTART
	s_sleep 0
	;;#ASMEND
	ds_read_b32 v107, v104 offset:10268
	s_waitcnt lgkmcnt(0)
	v_cmp_eq_u32_e32 vcc, v107, v79
	s_or_b64 s[12:13], vcc, s[12:13]
	s_andn2_b64 exec, exec, s[12:13]
	s_cbranch_execnz .LBB94_27
	s_branch .LBB94_12
.LBB94_28:                              ;   in Loop: Header=BB94_7 Depth=1
	s_or_b64 exec, exec, s[8:9]
.LBB94_29:                              ;   in Loop: Header=BB94_7 Depth=1
	v_writelane_b32 v127, s71, 25
	v_writelane_b32 v127, s46, 26
	s_or_b64 exec, exec, s[6:7]
	v_cmp_le_i32_e32 vcc, s70, v80
	v_cmp_eq_u32_e64 s[64:65], 1, v83
	v_cmp_eq_u32_e64 s[36:37], 2, v83
	s_waitcnt vmcnt(0)
	v_cndmask_b32_e32 v70, 0, v102, vcc
	v_pk_mul_f32 v[48:49], v[70:71], v[48:49] op_sel_hi:[0,1]
	v_pk_mul_f32 v[62:63], v[70:71], v[62:63] op_sel_hi:[0,1]
	;; [unrolled: 1-line block ×8, first 2 shown]
	v_cndmask_b32_e64 v70, v48, v49, s[64:65]
	v_cndmask_b32_e64 v70, v70, v50, s[36:37]
	v_cmp_eq_u32_e64 s[40:41], 3, v83
	v_cmp_eq_u32_e64 s[42:43], 4, v83
	v_cmp_eq_u32_e64 s[44:45], 5, v83
	v_cndmask_b32_e64 v70, v70, v51, s[40:41]
	v_cndmask_b32_e64 v70, v70, v52, s[42:43]
	v_cndmask_b32_e64 v70, v70, v53, s[44:45]
	v_cmp_eq_u32_e64 s[46:47], 6, v83
	v_cmp_eq_u32_e64 s[48:49], 7, v83
	v_cmp_eq_u32_e64 s[50:51], 8, v83
	v_cndmask_b32_e64 v70, v70, v54, s[46:47]
	;; [unrolled: 6-line block ×4, first 2 shown]
	v_cndmask_b32_e64 v70, v70, v61, s[60:61]
	v_cndmask_b32_e64 v70, v70, v62, s[62:63]
	v_cmp_eq_u32_e64 s[66:67], 15, v83
	s_mul_i32 s6, s96, s21
	s_ashr_i32 s7, s6, 31
	v_cndmask_b32_e64 v70, v70, v63, s[66:67]
	ds_bpermute_b32 v70, v100, v70
	s_lshl_b64 s[6:7], s[6:7], 1
	v_cmp_eq_u32_e64 s[34:35], 0, v83
	s_add_u32 s68, s76, s6
	v_cmp_eq_u32_e32 vcc, 1, v84
	s_waitcnt lgkmcnt(0)
	v_cndmask_b32_e64 v63, v63, v70, s[66:67]
	v_cndmask_b32_e64 v62, v62, v70, s[62:63]
	;; [unrolled: 1-line block ×16, first 2 shown]
	s_addc_u32 s69, s77, s7
	v_cndmask_b32_e32 v48, v70, v104, vcc
	v_cmp_eq_u32_e64 s[6:7], 2, v84
	v_cmp_eq_u32_e64 s[8:9], 3, v84
	;; [unrolled: 1-line block ×3, first 2 shown]
	v_cndmask_b32_e64 v48, v48, v103, s[6:7]
	v_cndmask_b32_e64 v48, v48, v77, s[8:9]
	v_cndmask_b32_e64 v48, v48, v76, s[10:11]
	v_cmp_eq_u32_e64 s[12:13], 5, v84
	v_cmp_eq_u32_e64 s[14:15], 6, v84
	;; [unrolled: 1-line block ×3, first 2 shown]
	v_cndmask_b32_e64 v48, v48, v75, s[12:13]
	v_cndmask_b32_e64 v48, v48, v74, s[14:15]
	;; [unrolled: 1-line block ×3, first 2 shown]
	v_cmp_eq_u32_e64 s[18:19], 8, v84
	v_cmp_eq_u32_e64 s[74:75], 9, v84
	;; [unrolled: 1-line block ×3, first 2 shown]
	v_cndmask_b32_e64 v48, v48, v56, s[18:19]
	v_cndmask_b32_e64 v48, v48, v57, s[74:75]
	s_ashr_i32 s1, s0, 31
	v_cndmask_b32_e64 v48, v48, v58, s[76:77]
	v_cmp_eq_u32_e64 s[78:79], 11, v84
	s_lshl_b64 s[38:39], s[0:1], 1
	v_cmp_eq_u32_e64 s[80:81], 12, v84
	v_cndmask_b32_e64 v48, v48, v59, s[78:79]
	s_add_u32 s38, s68, s38
	v_cndmask_b32_e64 v48, v48, v60, s[80:81]
	v_cmp_eq_u32_e64 s[28:29], 13, v84
	s_addc_u32 s39, s69, s39
	v_cmp_eq_u32_e64 s[30:31], 14, v84
	v_cndmask_b32_e64 v48, v48, v61, s[28:29]
	v_writelane_b32 v127, s38, 27
	v_cndmask_b32_e64 v48, v48, v62, s[30:31]
	v_or_b32_e32 v68, 64, v80
	v_writelane_b32 v127, s39, 28
	v_cmp_eq_u32_e64 s[38:39], 15, v84
	v_cmp_eq_u32_e64 s[72:73], 9, v85
	;; [unrolled: 1-line block ×3, first 2 shown]
	v_cndmask_b32_e64 v48, v48, v63, s[38:39]
	ds_bpermute_b32 v71, v100, v48
	v_or_b32_e32 v48, 32, v80
	v_cmp_le_i32_e64 s[68:69], s70, v48
	v_cmp_eq_u32_e64 s[86:87], 6, v86
	v_cmp_eq_u32_e64 s[90:91], 7, v86
	v_cndmask_b32_e64 v48, 0, v102, s[68:69]
	v_cmp_le_i32_e64 s[68:69], s70, v68
	v_or_b32_e32 v68, 0x60, v80
	s_waitcnt lgkmcnt(0)
	v_cndmask_b32_e64 v54, v58, v71, s[76:77]
	v_cndmask_b32_e64 v58, v74, v71, s[14:15]
	;; [unrolled: 1-line block ×3, first 2 shown]
	v_cmp_le_i32_e64 s[68:69], s70, v68
	v_cndmask_b32_e64 v49, v63, v71, s[38:39]
	v_pk_mul_f32 v[30:31], v[74:75], v[30:31] op_sel_hi:[0,1]
	v_pk_mul_f32 v[28:29], v[74:75], v[28:29] op_sel_hi:[0,1]
	;; [unrolled: 1-line block ×8, first 2 shown]
	v_cndmask_b32_e64 v74, 0, v102, s[68:69]
	v_pk_mul_f32 v[32:33], v[48:49], v[32:33] op_sel_hi:[0,1]
	v_cmp_eq_u32_e64 s[68:69], 0, v84
	v_pk_mul_f32 v[0:1], v[74:75], v[0:1] op_sel_hi:[0,1]
	v_cndmask_b32_e64 v50, v62, v71, s[30:31]
	v_cndmask_b32_e64 v51, v61, v71, s[28:29]
	;; [unrolled: 1-line block ×11, first 2 shown]
	v_cndmask_b32_e32 v63, v104, v71, vcc
	v_pk_mul_f32 v[46:47], v[48:49], v[46:47] op_sel_hi:[0,1]
	v_pk_mul_f32 v[44:45], v[48:49], v[44:45] op_sel_hi:[0,1]
	;; [unrolled: 1-line block ×7, first 2 shown]
	v_cndmask_b32_e64 v48, v32, v33, s[64:65]
	v_cndmask_b32_e64 v73, v16, v17, s[64:65]
	v_cndmask_b32_e64 v70, v70, v71, s[68:69]
	v_pk_mul_f32 v[2:3], v[74:75], v[2:3] op_sel_hi:[0,1]
	v_cndmask_b32_e64 v71, v0, v1, s[64:65]
	v_cndmask_b32_e64 v48, v48, v34, s[36:37]
	v_cndmask_b32_e64 v73, v73, v18, s[36:37]
	v_cndmask_b32_e64 v71, v71, v2, s[36:37]
	v_cndmask_b32_e64 v48, v48, v35, s[40:41]
	v_cndmask_b32_e64 v73, v73, v19, s[40:41]
	v_pk_mul_f32 v[4:5], v[74:75], v[4:5] op_sel_hi:[0,1]
	v_cndmask_b32_e64 v71, v71, v3, s[40:41]
	v_cndmask_b32_e64 v48, v48, v36, s[42:43]
	v_cndmask_b32_e64 v73, v73, v20, s[42:43]
	;; [unrolled: 7-line block ×7, first 2 shown]
	v_cndmask_b32_e64 v71, v71, v14, s[62:63]
	v_cndmask_b32_e64 v48, v48, v47, s[66:67]
	;; [unrolled: 1-line block ×4, first 2 shown]
	ds_bpermute_b32 v48, v100, v48
	ds_bpermute_b32 v73, v100, v73
	;; [unrolled: 1-line block ×3, first 2 shown]
	v_cmp_eq_u32_e64 s[70:71], 7, v85
	v_cmp_eq_u32_e64 s[84:85], 13, v87
	s_waitcnt lgkmcnt(2)
	v_cndmask_b32_e64 v34, v34, v48, s[36:37]
	s_waitcnt lgkmcnt(1)
	v_cndmask_b32_e64 v18, v18, v73, s[36:37]
	s_waitcnt lgkmcnt(0)
	v_cndmask_b32_e64 v2, v2, v71, s[36:37]
	v_cmp_ne_u32_e64 s[36:37], 0, v83
	v_cndmask_b32_e64 v33, v33, v48, s[64:65]
	v_cndmask_b32_e64 v17, v17, v73, s[64:65]
	v_cmp_eq_u32_e64 s[64:65], 1, v85
	v_cndmask_b32_e64 v1, v1, v71, s[36:37]
	v_cndmask_b32_e64 v32, v32, v48, s[34:35]
	;; [unrolled: 1-line block ×8, first 2 shown]
	v_cmp_eq_u32_e64 s[66:67], 2, v85
	v_cndmask_b32_e64 v46, v46, v48, s[62:63]
	v_cndmask_b32_e64 v30, v30, v73, s[62:63]
	;; [unrolled: 1-line block ×36, first 2 shown]
	v_cndmask_b32_e32 v48, v32, v33, vcc
	v_cndmask_b32_e32 v73, v16, v17, vcc
	;; [unrolled: 1-line block ×3, first 2 shown]
	v_cndmask_b32_e64 v74, v74, v62, s[66:67]
	v_cmp_eq_u32_e64 s[62:63], 3, v85
	v_cndmask_b32_e64 v48, v48, v34, s[6:7]
	v_cndmask_b32_e64 v73, v73, v18, s[6:7]
	v_cndmask_b32_e64 v71, v71, v2, s[6:7]
	v_cndmask_b32_e64 v74, v74, v61, s[62:63]
	v_cmp_eq_u32_e64 s[60:61], 4, v85
	v_cndmask_b32_e64 v48, v48, v35, s[8:9]
	v_cndmask_b32_e64 v73, v73, v19, s[8:9]
	v_cndmask_b32_e64 v71, v71, v3, s[8:9]
	v_cndmask_b32_e64 v74, v74, v60, s[60:61]
	v_cmp_eq_u32_e64 s[58:59], 5, v85
	v_cndmask_b32_e64 v48, v48, v36, s[10:11]
	v_cndmask_b32_e64 v73, v73, v20, s[10:11]
	v_cndmask_b32_e64 v71, v71, v4, s[10:11]
	v_cndmask_b32_e64 v74, v74, v59, s[58:59]
	v_cmp_eq_u32_e64 s[56:57], 6, v85
	v_cndmask_b32_e64 v48, v48, v37, s[12:13]
	v_cndmask_b32_e64 v73, v73, v21, s[12:13]
	v_cndmask_b32_e64 v71, v71, v5, s[12:13]
	v_cndmask_b32_e64 v74, v74, v58, s[56:57]
	v_cndmask_b32_e64 v48, v48, v38, s[14:15]
	;; [unrolled: 1-line block ×5, first 2 shown]
	v_cmp_eq_u32_e64 s[52:53], 8, v85
	v_cndmask_b32_e64 v48, v48, v39, s[16:17]
	v_cndmask_b32_e64 v73, v73, v23, s[16:17]
	;; [unrolled: 1-line block ×8, first 2 shown]
	v_cmp_eq_u32_e64 s[48:49], 10, v85
	v_cndmask_b32_e64 v48, v48, v41, s[74:75]
	v_cndmask_b32_e64 v73, v73, v25, s[74:75]
	v_cndmask_b32_e64 v71, v71, v9, s[74:75]
	v_cndmask_b32_e64 v74, v74, v54, s[48:49]
	v_cmp_eq_u32_e64 s[50:51], 11, v85
	v_cndmask_b32_e64 v48, v48, v42, s[76:77]
	v_cndmask_b32_e64 v73, v73, v26, s[76:77]
	v_cndmask_b32_e64 v71, v71, v10, s[76:77]
	v_cndmask_b32_e64 v74, v74, v53, s[50:51]
	;; [unrolled: 5-line block ×6, first 2 shown]
	v_cndmask_b32_e64 v48, v48, v47, s[38:39]
	v_cndmask_b32_e64 v73, v73, v31, s[38:39]
	;; [unrolled: 1-line block ×3, first 2 shown]
	ds_bpermute_b32 v74, v100, v74
	ds_bpermute_b32 v48, v100, v48
	;; [unrolled: 1-line block ×4, first 2 shown]
	v_cmp_eq_u32_e64 s[46:47], 0, v85
	s_waitcnt lgkmcnt(3)
	v_cndmask_b32_e64 v63, v63, v74, s[64:65]
	v_cmp_eq_u32_e64 s[34:35], 1, v86
	v_cndmask_b32_e64 v70, v70, v74, s[46:47]
	s_waitcnt lgkmcnt(2)
	v_cndmask_b32_e32 v33, v33, v48, vcc
	s_waitcnt lgkmcnt(1)
	v_cndmask_b32_e32 v17, v17, v73, vcc
	;; [unrolled: 2-line block ×3, first 2 shown]
	v_cndmask_b32_e64 v32, v32, v48, s[68:69]
	v_cndmask_b32_e64 v16, v16, v73, s[68:69]
	;; [unrolled: 1-line block ×24, first 2 shown]
	v_cmp_eq_u32_e64 s[38:39], 2, v86
	v_cndmask_b32_e64 v45, v45, v48, s[28:29]
	v_cndmask_b32_e64 v29, v29, v73, s[28:29]
	v_cndmask_b32_e64 v13, v13, v71, s[28:29]
	v_cndmask_b32_e64 v44, v44, v48, s[80:81]
	v_cndmask_b32_e64 v28, v28, v73, s[80:81]
	v_cndmask_b32_e64 v12, v12, v71, s[80:81]
	v_cndmask_b32_e64 v43, v43, v48, s[78:79]
	v_cndmask_b32_e64 v27, v27, v73, s[78:79]
	v_cndmask_b32_e64 v11, v11, v71, s[78:79]
	v_cndmask_b32_e64 v42, v42, v48, s[76:77]
	v_cndmask_b32_e64 v26, v26, v73, s[76:77]
	v_cndmask_b32_e64 v10, v10, v71, s[76:77]
	v_cndmask_b32_e64 v41, v41, v48, s[74:75]
	v_cndmask_b32_e64 v25, v25, v73, s[74:75]
	v_cndmask_b32_e64 v9, v9, v71, s[74:75]
	v_cndmask_b32_e64 v40, v40, v48, s[18:19]
	v_cndmask_b32_e64 v24, v24, v73, s[18:19]
	v_cndmask_b32_e64 v8, v8, v71, s[18:19]
	v_cndmask_b32_e64 v39, v39, v48, s[16:17]
	v_cndmask_b32_e64 v23, v23, v73, s[16:17]
	v_cndmask_b32_e64 v7, v7, v71, s[16:17]
	v_cndmask_b32_e64 v38, v38, v48, s[14:15]
	v_cndmask_b32_e64 v22, v22, v73, s[14:15]
	v_cndmask_b32_e64 v6, v6, v71, s[14:15]
	v_cndmask_b32_e64 v37, v37, v48, s[12:13]
	v_cndmask_b32_e64 v21, v21, v73, s[12:13]
	v_cndmask_b32_e64 v5, v5, v71, s[12:13]
	v_cndmask_b32_e64 v36, v36, v48, s[10:11]
	v_cndmask_b32_e64 v20, v20, v73, s[10:11]
	v_cndmask_b32_e64 v4, v4, v71, s[10:11]
	v_cndmask_b32_e64 v35, v35, v48, s[8:9]
	v_cndmask_b32_e64 v19, v19, v73, s[8:9]
	v_cndmask_b32_e64 v3, v3, v71, s[8:9]
	v_cndmask_b32_e64 v34, v34, v48, s[6:7]
	v_cndmask_b32_e64 v18, v18, v73, s[6:7]
	v_cndmask_b32_e64 v2, v2, v71, s[6:7]
	v_cndmask_b32_e64 v48, v32, v33, s[64:65]
	v_cndmask_b32_e64 v73, v16, v17, s[64:65]
	v_cndmask_b32_e64 v71, v0, v1, s[64:65]
	v_cndmask_b32_e64 v74, v74, v62, s[38:39]
	v_cmp_eq_u32_e64 s[28:29], 3, v86
	v_cndmask_b32_e64 v48, v48, v34, s[66:67]
	v_cndmask_b32_e64 v73, v73, v18, s[66:67]
	v_cndmask_b32_e64 v71, v71, v2, s[66:67]
	v_cndmask_b32_e64 v74, v74, v61, s[28:29]
	v_cndmask_b32_e64 v48, v48, v35, s[62:63]
	v_cndmask_b32_e64 v73, v73, v19, s[62:63]
	v_cndmask_b32_e64 v71, v71, v3, s[62:63]
	v_cndmask_b32_e64 v74, v74, v60, s[82:83]
	v_cmp_eq_u32_e64 s[78:79], 5, v86
	v_cndmask_b32_e64 v48, v48, v36, s[60:61]
	v_cndmask_b32_e64 v73, v73, v20, s[60:61]
	;; [unrolled: 1-line block ×12, first 2 shown]
	v_cmp_eq_u32_e64 s[18:19], 8, v86
	v_cndmask_b32_e64 v48, v48, v39, s[70:71]
	v_cndmask_b32_e64 v73, v73, v23, s[70:71]
	v_cndmask_b32_e64 v71, v71, v7, s[70:71]
	v_cndmask_b32_e64 v74, v74, v56, s[18:19]
	v_cmp_eq_u32_e64 s[16:17], 9, v86
	v_cndmask_b32_e64 v48, v48, v40, s[52:53]
	v_cndmask_b32_e64 v73, v73, v24, s[52:53]
	v_cndmask_b32_e64 v71, v71, v8, s[52:53]
	v_cndmask_b32_e64 v74, v74, v55, s[16:17]
	;; [unrolled: 5-line block ×7, first 2 shown]
	v_cmp_eq_u32_e32 vcc, 15, v86
	v_cndmask_b32_e64 v48, v48, v46, s[40:41]
	v_cndmask_b32_e64 v73, v73, v30, s[40:41]
	;; [unrolled: 1-line block ×3, first 2 shown]
	v_cndmask_b32_e32 v74, v74, v49, vcc
	v_cndmask_b32_e64 v48, v48, v47, s[36:37]
	v_cndmask_b32_e64 v73, v73, v31, s[36:37]
	;; [unrolled: 1-line block ×3, first 2 shown]
	ds_bpermute_b32 v74, v100, v74
	ds_bpermute_b32 v48, v100, v48
	;; [unrolled: 1-line block ×4, first 2 shown]
	v_cmp_eq_u32_e64 s[8:9], 0, v86
	s_waitcnt lgkmcnt(3)
	v_cndmask_b32_e64 v63, v63, v74, s[34:35]
	s_waitcnt lgkmcnt(2)
	v_cndmask_b32_e64 v47, v47, v48, s[36:37]
	v_cndmask_b32_e64 v70, v70, v74, s[8:9]
	s_waitcnt lgkmcnt(1)
	v_cndmask_b32_e64 v31, v31, v73, s[36:37]
	s_waitcnt lgkmcnt(0)
	v_cndmask_b32_e64 v15, v15, v71, s[36:37]
	v_cmp_eq_u32_e64 s[36:37], 1, v87
	v_cndmask_b32_e64 v33, v33, v48, s[64:65]
	v_cndmask_b32_e64 v17, v17, v73, s[64:65]
	;; [unrolled: 1-line block ×6, first 2 shown]
	v_cndmask_b32_e32 v49, v49, v74, vcc
	v_cndmask_b32_e64 v50, v50, v74, s[6:7]
	v_cndmask_b32_e64 v51, v51, v74, s[30:31]
	;; [unrolled: 1-line block ×17, first 2 shown]
	v_cmp_eq_u32_e64 s[40:41], 2, v87
	v_cndmask_b32_e64 v45, v45, v48, s[42:43]
	v_cndmask_b32_e64 v29, v29, v73, s[42:43]
	;; [unrolled: 1-line block ×40, first 2 shown]
	v_cmp_eq_u32_e64 s[42:43], 3, v87
	v_cndmask_b32_e64 v48, v48, v34, s[38:39]
	v_cndmask_b32_e64 v73, v73, v18, s[38:39]
	v_cndmask_b32_e64 v71, v71, v2, s[38:39]
	v_cndmask_b32_e64 v74, v74, v61, s[42:43]
	v_cmp_eq_u32_e64 s[44:45], 4, v87
	v_cndmask_b32_e64 v48, v48, v35, s[28:29]
	v_cndmask_b32_e64 v73, v73, v19, s[28:29]
	v_cndmask_b32_e64 v71, v71, v3, s[28:29]
	v_cndmask_b32_e64 v74, v74, v60, s[44:45]
	;; [unrolled: 5-line block ×10, first 2 shown]
	v_cndmask_b32_e64 v48, v48, v44, s[10:11]
	v_cndmask_b32_e64 v73, v73, v28, s[10:11]
	v_cndmask_b32_e64 v71, v71, v12, s[10:11]
	v_cndmask_b32_e64 v74, v74, v51, s[84:85]
	v_cmp_eq_u32_e64 s[88:89], 14, v87
	v_cndmask_b32_e64 v48, v48, v45, s[30:31]
	v_cndmask_b32_e64 v73, v73, v29, s[30:31]
	;; [unrolled: 1-line block ×4, first 2 shown]
	v_cmp_eq_u32_e64 s[92:93], 15, v87
	v_cndmask_b32_e64 v48, v48, v46, s[6:7]
	v_cndmask_b32_e64 v73, v73, v30, s[6:7]
	;; [unrolled: 1-line block ×4, first 2 shown]
	v_cndmask_b32_e32 v48, v48, v47, vcc
	v_cndmask_b32_e32 v73, v73, v31, vcc
	;; [unrolled: 1-line block ×3, first 2 shown]
	ds_bpermute_b32 v74, v100, v74
	ds_bpermute_b32 v48, v100, v48
	;; [unrolled: 1-line block ×4, first 2 shown]
	v_cmp_eq_u32_e64 s[60:61], 0, v87
	s_waitcnt lgkmcnt(3)
	v_cndmask_b32_e64 v63, v63, v74, s[36:37]
	s_waitcnt lgkmcnt(2)
	v_cndmask_b32_e32 v47, v47, v48, vcc
	v_cndmask_b32_e64 v70, v70, v74, s[60:61]
	s_waitcnt lgkmcnt(1)
	v_cndmask_b32_e32 v31, v31, v73, vcc
	s_waitcnt lgkmcnt(0)
	v_cndmask_b32_e32 v15, v15, v71, vcc
	v_cmp_eq_u32_e32 vcc, 1, v88
	v_cndmask_b32_e64 v49, v49, v74, s[92:93]
	v_cndmask_b32_e64 v50, v50, v74, s[88:89]
	;; [unrolled: 1-line block ×14, first 2 shown]
	v_cndmask_b32_e32 v74, v70, v63, vcc
	v_cndmask_b32_e64 v46, v46, v48, s[6:7]
	v_cndmask_b32_e64 v30, v30, v73, s[6:7]
	;; [unrolled: 1-line block ×3, first 2 shown]
	v_cmp_eq_u32_e64 s[6:7], 2, v88
	v_cndmask_b32_e64 v1, v1, v71, s[34:35]
	v_cndmask_b32_e64 v0, v0, v71, s[8:9]
	;; [unrolled: 1-line block ×6, first 2 shown]
	v_cmp_eq_u32_e64 s[30:31], 3, v88
	v_cndmask_b32_e64 v12, v12, v71, s[10:11]
	v_cndmask_b32_e64 v11, v11, v71, s[12:13]
	;; [unrolled: 1-line block ×13, first 2 shown]
	v_cmp_eq_u32_e64 s[46:47], 4, v88
	v_cndmask_b32_e64 v71, v71, v2, s[40:41]
	v_cmp_eq_u32_e64 s[52:53], 5, v88
	v_cndmask_b32_e64 v74, v74, v60, s[46:47]
	v_cndmask_b32_e64 v71, v71, v3, s[42:43]
	;; [unrolled: 1-line block ×3, first 2 shown]
	v_cmp_eq_u32_e64 s[58:59], 6, v88
	v_cndmask_b32_e64 v71, v71, v4, s[44:45]
	v_cmp_eq_u32_e64 s[64:65], 7, v88
	v_cndmask_b32_e64 v74, v74, v58, s[58:59]
	v_cndmask_b32_e64 v33, v33, v48, s[34:35]
	;; [unrolled: 1-line block ×17, first 2 shown]
	v_cmp_eq_u32_e64 s[70:71], 8, v88
	v_cndmask_b32_e64 v39, v39, v48, s[90:91]
	v_cndmask_b32_e64 v23, v23, v73, s[90:91]
	;; [unrolled: 1-line block ×16, first 2 shown]
	v_cmp_eq_u32_e64 s[66:67], 9, v88
	v_cndmask_b32_e64 v48, v48, v34, s[40:41]
	v_cndmask_b32_e64 v73, v73, v18, s[40:41]
	v_cndmask_b32_e64 v71, v71, v7, s[68:69]
	v_cndmask_b32_e64 v74, v74, v55, s[66:67]
	v_cmp_eq_u32_e64 s[62:63], 10, v88
	v_cndmask_b32_e64 v48, v48, v35, s[42:43]
	v_cndmask_b32_e64 v73, v73, v19, s[42:43]
	v_cndmask_b32_e64 v71, v71, v8, s[72:73]
	v_cndmask_b32_e64 v74, v74, v54, s[62:63]
	;; [unrolled: 5-line block ×7, first 2 shown]
	v_cndmask_b32_e64 v48, v48, v41, s[74:75]
	v_cndmask_b32_e64 v73, v73, v25, s[74:75]
	;; [unrolled: 1-line block ×3, first 2 shown]
	ds_bpermute_b32 v74, v100, v74
	v_cndmask_b32_e64 v48, v48, v42, s[56:57]
	v_cndmask_b32_e64 v73, v73, v26, s[56:57]
	v_cndmask_b32_e64 v71, v71, v15, s[92:93]
	v_cndmask_b32_e64 v48, v48, v43, s[76:77]
	v_cndmask_b32_e64 v73, v73, v27, s[76:77]
	ds_bpermute_b32 v71, v100, v71
	v_cndmask_b32_e64 v48, v48, v44, s[80:81]
	v_cndmask_b32_e64 v73, v73, v28, s[80:81]
	;; [unrolled: 1-line block ×6, first 2 shown]
	v_cmp_eq_u32_e64 s[48:49], 0, v88
	s_waitcnt lgkmcnt(1)
	v_cndmask_b32_e32 v63, v63, v74, vcc
	v_cndmask_b32_e64 v48, v48, v47, s[92:93]
	v_cndmask_b32_e64 v73, v73, v31, s[92:93]
	;; [unrolled: 1-line block ×3, first 2 shown]
	v_cmp_eq_u32_e64 s[8:9], 1, v89
	v_cndmask_b32_e64 v49, v49, v74, s[94:95]
	v_cndmask_b32_e64 v50, v50, v74, s[90:91]
	;; [unrolled: 1-line block ×14, first 2 shown]
	ds_bpermute_b32 v48, v100, v48
	ds_bpermute_b32 v73, v100, v73
	s_waitcnt lgkmcnt(2)
	v_cndmask_b32_e64 v74, v15, v71, s[92:93]
	v_cndmask_b32_e64 v15, v70, v63, s[8:9]
	v_cmp_eq_u32_e64 s[10:11], 2, v89
	v_cndmask_b32_e64 v77, v14, v71, s[88:89]
	v_cmp_eq_u32_e64 s[12:13], 3, v89
	v_cndmask_b32_e64 v14, v15, v62, s[10:11]
	v_cndmask_b32_e64 v103, v13, v71, s[84:85]
	;; [unrolled: 1-line block ×3, first 2 shown]
	v_cmp_eq_u32_e64 s[14:15], 4, v89
	v_cndmask_b32_e64 v106, v12, v71, s[80:81]
	v_cmp_eq_u32_e64 s[16:17], 5, v89
	v_cndmask_b32_e64 v12, v13, v60, s[14:15]
	v_cndmask_b32_e64 v108, v11, v71, s[76:77]
	;; [unrolled: 1-line block ×3, first 2 shown]
	v_cmp_eq_u32_e64 s[18:19], 6, v89
	v_cndmask_b32_e64 v110, v10, v71, s[56:57]
	s_waitcnt lgkmcnt(1)
	v_cndmask_b32_e64 v41, v41, v48, s[74:75]
	v_cndmask_b32_e64 v10, v11, v58, s[18:19]
	s_waitcnt lgkmcnt(0)
	v_cndmask_b32_e64 v111, v25, v73, s[74:75]
	v_cndmask_b32_e64 v112, v9, v71, s[74:75]
	v_cmp_eq_u32_e64 s[74:75], 7, v89
	v_cndmask_b32_e64 v40, v40, v48, s[72:73]
	v_cndmask_b32_e64 v113, v24, v73, s[72:73]
	;; [unrolled: 1-line block ×4, first 2 shown]
	v_cmp_eq_u32_e64 s[72:73], 8, v89
	v_cndmask_b32_e64 v43, v43, v48, s[76:77]
	v_cndmask_b32_e64 v107, v27, v73, s[76:77]
	;; [unrolled: 1-line block ×3, first 2 shown]
	v_cmp_eq_u32_e64 s[76:77], 9, v89
	v_cndmask_b32_e64 v104, v44, v48, s[80:81]
	v_cndmask_b32_e64 v105, v28, v73, s[80:81]
	;; [unrolled: 1-line block ×4, first 2 shown]
	v_cmp_eq_u32_e64 s[80:81], 10, v89
	v_cndmask_b32_e64 v120, v6, v71, s[54:55]
	v_cmp_eq_u32_e64 s[28:29], 11, v89
	v_cndmask_b32_e64 v6, v7, v54, s[80:81]
	v_cndmask_b32_e64 v123, v5, v71, s[50:51]
	;; [unrolled: 1-line block ×3, first 2 shown]
	v_cmp_eq_u32_e64 s[34:35], 12, v89
	v_cndmask_b32_e64 v126, v4, v71, s[44:45]
	v_cmp_eq_u32_e64 s[38:39], 13, v89
	v_cndmask_b32_e64 v4, v5, v52, s[34:35]
	v_cndmask_b32_e64 v75, v46, v48, s[88:89]
	;; [unrolled: 1-line block ×7, first 2 shown]
	v_cmp_eq_u32_e64 s[40:41], 14, v89
	v_cndmask_b32_e64 v5, v17, v73, s[36:37]
	v_cndmask_b32_e64 v6, v1, v71, s[36:37]
	;; [unrolled: 1-line block ×7, first 2 shown]
	v_cndmask_b32_e32 v13, v12, v4, vcc
	v_cndmask_b32_e32 v15, v14, v5, vcc
	;; [unrolled: 1-line block ×3, first 2 shown]
	v_cndmask_b32_e64 v91, v35, v48, s[42:43]
	v_cndmask_b32_e64 v92, v19, v73, s[42:43]
	;; [unrolled: 1-line block ×33, first 2 shown]
	v_cmp_eq_u32_e64 s[56:57], 15, v89
	v_cndmask_b32_e64 v13, v13, v41, s[66:67]
	v_cndmask_b32_e64 v15, v15, v111, s[66:67]
	;; [unrolled: 1-line block ×7, first 2 shown]
	ds_bpermute_b32 v17, v100, v1
	v_cndmask_b32_e64 v13, v13, v43, s[78:79]
	v_cndmask_b32_e64 v15, v15, v107, s[78:79]
	;; [unrolled: 1-line block ×20, first 2 shown]
	v_cmp_eq_u32_e64 s[54:55], 0, v89
	s_waitcnt lgkmcnt(0)
	v_cndmask_b32_e64 v25, v56, v17, s[72:73]
	v_cndmask_b32_e64 v22, v63, v17, s[8:9]
	ds_bpermute_b32 v13, v100, v13
	ds_bpermute_b32 v15, v100, v15
	;; [unrolled: 1-line block ×3, first 2 shown]
	v_cndmask_b32_e64 v0, v70, v17, s[54:55]
	v_cmp_eq_u32_e64 s[36:37], 1, v90
	v_cndmask_b32_e64 v7, v49, v17, s[56:57]
	v_cndmask_b32_e64 v8, v50, v17, s[40:41]
	;; [unrolled: 1-line block ×14, first 2 shown]
	v_cmp_eq_u32_e64 s[42:43], 2, v90
	v_cmp_eq_u32_e64 s[44:45], 3, v90
	;; [unrolled: 1-line block ×3, first 2 shown]
	v_cndmask_b32_e64 v19, v17, v21, s[42:43]
	v_cndmask_b32_e64 v35, v19, v2, s[44:45]
	;; [unrolled: 1-line block ×3, first 2 shown]
	v_cmp_eq_u32_e64 s[60:61], 5, v90
	s_waitcnt lgkmcnt(2)
	v_cndmask_b32_e64 v57, v42, v13, s[62:63]
	s_waitcnt lgkmcnt(0)
	v_cndmask_b32_e64 v48, v110, v56, s[62:63]
	v_cndmask_b32_e64 v38, v37, v28, s[60:61]
	;; [unrolled: 1-line block ×3, first 2 shown]
	v_cmp_eq_u32_e64 s[62:63], 6, v90
	v_cndmask_b32_e64 v58, v41, v13, s[66:67]
	v_cndmask_b32_e64 v49, v112, v56, s[66:67]
	;; [unrolled: 1-line block ×4, first 2 shown]
	v_cmp_eq_u32_e64 s[66:67], 7, v90
	v_cmp_eq_u32_e64 s[68:69], 8, v90
	v_cndmask_b32_e64 v59, v40, v13, s[70:71]
	v_cndmask_b32_e64 v41, v39, v26, s[66:67]
	;; [unrolled: 1-line block ×6, first 2 shown]
	v_cmp_eq_u32_e64 s[64:65], 9, v90
	v_cndmask_b32_e64 v61, v118, v13, s[58:59]
	v_cndmask_b32_e64 v52, v120, v56, s[58:59]
	;; [unrolled: 1-line block ×4, first 2 shown]
	v_cmp_eq_u32_e64 s[58:59], 10, v90
	v_cndmask_b32_e64 v29, v47, v13, s[94:95]
	v_cndmask_b32_e64 v47, v43, v13, s[78:79]
	;; [unrolled: 1-line block ×6, first 2 shown]
	v_cmp_eq_u32_e64 s[52:53], 11, v90
	v_cndmask_b32_e64 v63, v124, v13, s[46:47]
	v_cndmask_b32_e64 v54, v126, v56, s[46:47]
	v_cndmask_b32_e64 v55, v43, v11, s[52:53]
	v_cndmask_b32_e64 v43, v125, v15, s[46:47]
	v_cmp_eq_u32_e64 s[46:47], 12, v90
	v_cndmask_b32_e64 v70, v91, v13, s[30:31]
	v_cndmask_b32_e64 v71, v92, v15, s[30:31]
	v_cndmask_b32_e64 v69, v55, v10, s[46:47]
	v_cndmask_b32_e64 v55, v93, v56, s[30:31]
	;; [unrolled: 5-line block ×3, first 2 shown]
	v_cmp_eq_u32_e64 s[6:7], 14, v90
	v_cndmask_b32_e64 v18, v74, v56, s[94:95]
	v_cndmask_b32_e64 v30, v75, v13, s[90:91]
	;; [unrolled: 1-line block ×3, first 2 shown]
	v_cndmask_b32_e32 v69, v4, v13, vcc
	v_cndmask_b32_e32 v74, v5, v15, vcc
	;; [unrolled: 1-line block ×3, first 2 shown]
	v_cmp_eq_u32_e32 vcc, 15, v90
	v_cndmask_b32_e64 v32, v77, v56, s[90:91]
	v_cndmask_b32_e64 v77, v12, v13, s[48:49]
	v_cndmask_b32_e32 v3, v3, v7, vcc
	v_cndmask_b32_e64 v16, v76, v15, s[90:91]
	ds_bpermute_b32 v76, v100, v3
	v_cndmask_b32_e64 v3, v77, v69, s[8:9]
	v_cndmask_b32_e64 v3, v3, v68, s[10:11]
	;; [unrolled: 1-line block ×15, first 2 shown]
	s_waitcnt lgkmcnt(0)
	v_cndmask_b32_e64 v6, v27, v76, s[62:63]
	v_cndmask_b32_e64 v3, v3, v45, s[34:35]
	v_cndmask_b32_e64 v27, v91, v74, s[8:9]
	v_cndmask_b32_e64 v3, v3, v31, s[38:39]
	v_cndmask_b32_e64 v27, v27, v46, s[10:11]
	v_cndmask_b32_e64 v3, v3, v30, s[40:41]
	v_cndmask_b32_e64 v27, v27, v71, s[12:13]
	v_cndmask_b32_e64 v3, v3, v29, s[56:57]
	v_cndmask_b32_e64 v27, v27, v43, s[14:15]
	v_cndmask_b32_e64 v12, v10, v76, s[46:47]
	v_cndmask_b32_e64 v10, v23, v76, s[58:59]
	ds_bpermute_b32 v23, v100, v3
	v_cndmask_b32_e64 v27, v27, v42, s[16:17]
	v_cndmask_b32_e64 v27, v27, v41, s[18:19]
	;; [unrolled: 1-line block ×14, first 2 shown]
	v_cndmask_b32_e32 v15, v7, v76, vcc
	v_cndmask_b32_e64 v7, v26, v76, s[66:67]
	s_waitcnt lgkmcnt(0)
	v_cndmask_b32_e64 v26, v47, v23, s[28:29]
	v_cndmask_b32_e64 v44, v57, v23, s[80:81]
	;; [unrolled: 1-line block ×36, first 2 shown]
	ds_bpermute_b32 v69, v100, v27
	v_cndmask_b32_e64 v27, v56, v75, s[8:9]
	v_cndmask_b32_e64 v23, v23, v57, s[66:67]
	v_cndmask_b32_e64 v27, v27, v73, s[10:11]
	v_cndmask_b32_e64 v23, v23, v47, s[68:69]
	v_cndmask_b32_e64 v27, v27, v55, s[12:13]
	v_cndmask_b32_e64 v23, v23, v45, s[64:65]
	v_cndmask_b32_e64 v27, v27, v54, s[14:15]
	v_cndmask_b32_e64 v23, v23, v44, s[58:59]
	v_cndmask_b32_e64 v27, v27, v53, s[16:17]
	v_cndmask_b32_e64 v23, v23, v26, s[52:53]
	v_cndmask_b32_e64 v27, v27, v52, s[18:19]
	v_cndmask_b32_e64 v23, v23, v25, s[46:47]
	v_cndmask_b32_e64 v27, v27, v51, s[74:75]
	v_cndmask_b32_e64 v23, v23, v24, s[30:31]
	v_cndmask_b32_e64 v27, v27, v50, s[72:73]
	v_cndmask_b32_e64 v27, v27, v49, s[76:77]
	v_cndmask_b32_e64 v23, v23, v22, s[6:7]
	v_cndmask_b32_e64 v27, v27, v48, s[80:81]
	v_cndmask_b32_e32 v23, v23, v21, vcc
	v_cndmask_b32_e64 v27, v27, v35, s[28:29]
	ds_bpermute_b32 v77, v100, v23
	v_cndmask_b32_e64 v27, v27, v34, s[34:35]
	v_cndmask_b32_e64 v27, v27, v33, s[38:39]
	;; [unrolled: 1-line block ×4, first 2 shown]
	v_cmp_eq_u32_e64 s[48:49], 0, v90
	v_cndmask_b32_e64 v11, v11, v76, s[52:53]
	v_cndmask_b32_e64 v5, v28, v76, s[60:61]
	ds_bpermute_b32 v70, v100, v27
	s_waitcnt lgkmcnt(2)
	v_cndmask_b32_e64 v92, v20, v69, s[56:57]
	v_cndmask_b32_e64 v0, v0, v76, s[48:49]
	s_waitcnt lgkmcnt(1)
	v_cndmask_b32_e32 v31, v21, v77, vcc
	v_cndmask_b32_e64 v30, v22, v77, s[6:7]
	v_cndmask_b32_e64 v28, v25, v77, s[46:47]
	;; [unrolled: 1-line block ×38, first 2 shown]
	v_cndmask_b32_e32 v16, v16, v92, vcc
	ds_bpermute_b32 v91, v100, v16
	s_waitcnt lgkmcnt(1)
	v_cndmask_b32_e64 v93, v18, v70, s[56:57]
	v_cndmask_b32_e64 v29, v24, v77, s[30:31]
	;; [unrolled: 1-line block ×7, first 2 shown]
	s_waitcnt lgkmcnt(0)
	v_cndmask_b32_e64 v46, v44, v91, s[6:7]
	v_cndmask_b32_e64 v44, v57, v91, s[46:47]
	;; [unrolled: 1-line block ×37, first 2 shown]
	v_cndmask_b32_e32 v32, v32, v93, vcc
	v_cndmask_b32_e32 v47, v92, v91, vcc
	ds_bpermute_b32 v92, v100, v32
	v_readlane_b32 s71, v127, 25
	v_cndmask_b32_e64 v45, v45, v91, s[30:31]
	v_cndmask_b32_e64 v33, v74, v91, s[36:37]
	v_readlane_b32 s28, v127, 10
	s_waitcnt lgkmcnt(0)
	v_cndmask_b32_e64 v62, v57, v92, s[6:7]
	v_readlane_b32 s6, v127, 27
	v_cndmask_b32_e64 v61, v58, v92, s[30:31]
	v_cndmask_b32_e64 v57, v49, v92, s[64:65]
	;; [unrolled: 1-line block ×3, first 2 shown]
	v_readlane_b32 s7, v127, 28
	v_readlane_b32 s30, v127, 12
	;; [unrolled: 1-line block ×3, first 2 shown]
	s_mov_b32 s1, 0
	s_max_i32 s70, s71, 0
	v_subrev_u32_e32 v101, s99, v101
	v_cndmask_b32_e64 v42, v37, v91, s[58:59]
	v_cndmask_b32_e64 v37, v60, v91, s[60:61]
	;; [unrolled: 1-line block ×5, first 2 shown]
	v_cndmask_b32_e32 v63, v93, v92, vcc
	v_cndmask_b32_e64 v60, v59, v92, s[46:47]
	v_cndmask_b32_e64 v59, v68, v92, s[52:53]
	;; [unrolled: 1-line block ×11, first 2 shown]
	v_lshl_add_u64 v[70:71], s[6:7], 0, v[64:65]
	s_mov_b64 s[6:7], 0
	s_mov_b32 s16, 0
	v_readlane_b32 s29, v127, 11
	v_readlane_b32 s31, v127, 13
	;; [unrolled: 1-line block ×10, first 2 shown]
	s_mov_b64 s[42:43], 0x80
	s_mov_b64 s[44:45], 0xc0
	v_readlane_b32 s46, v127, 26
                                        ; implicit-def: $sgpr8_sgpr9
	s_branch .LBB94_32
.LBB94_30:                              ;   in Loop: Header=BB94_32 Depth=2
	s_or_b64 exec, exec, s[12:13]
	s_andn2_b64 s[8:9], s[8:9], exec
	s_and_b64 s[12:13], s[14:15], exec
	s_or_b64 s[8:9], s[8:9], s[12:13]
.LBB94_31:                              ;   in Loop: Header=BB94_32 Depth=2
	s_or_b64 exec, exec, s[10:11]
	s_and_b64 s[10:11], exec, s[8:9]
	s_or_b64 s[6:7], s[10:11], s[6:7]
	s_andn2_b64 exec, exec, s[6:7]
	s_cbranch_execz .LBB94_35
.LBB94_32:                              ;   Parent Loop BB94_7 Depth=1
                                        ; =>  This Inner Loop Header: Depth=2
	s_and_b32 s12, s1, 24
	v_or_b32_e32 v73, s12, v98
	v_add_u32_e32 v68, s70, v73
	v_cmp_gt_u32_e32 vcc, 32, v68
	s_or_b64 s[8:9], s[8:9], exec
	s_and_saveexec_b64 s[10:11], vcc
	s_cbranch_execz .LBB94_31
; %bb.33:                               ;   in Loop: Header=BB94_32 Depth=2
	s_add_i32 s13, s16, 1
	s_set_gpr_idx_on s16, gpr_idx(SRC0)
	v_mov_b32_e32 v68, v0
	s_set_gpr_idx_off
	v_cvt_f16_f32_e32 v68, v68
	s_set_gpr_idx_on s13, gpr_idx(SRC0)
	v_mov_b32_e32 v69, v0
	s_set_gpr_idx_off
	v_cvt_f16_f32_sdwa v69, v69 dst_sel:WORD_1 dst_unused:UNUSED_PAD src0_sel:DWORD
	v_mul_lo_u32 v74, v73, s21
	v_ashrrev_i32_e32 v75, 31, v74
	v_lshl_add_u64 v[74:75], v[74:75], 1, v[70:71]
	v_or_b32_e32 v68, v69, v68
	;;#ASMSTART
	global_atomic_pk_add_f16 v[74:75], v68, off
	
	;;#ASMEND
	s_set_gpr_idx_on s16, gpr_idx(SRC0)
	v_mov_b32_e32 v68, v16
	s_set_gpr_idx_off
	v_cvt_f16_f32_e32 v68, v68
	s_set_gpr_idx_on s13, gpr_idx(SRC0)
	v_mov_b32_e32 v69, v16
	s_set_gpr_idx_off
	v_cvt_f16_f32_sdwa v69, v69 dst_sel:WORD_1 dst_unused:UNUSED_PAD src0_sel:DWORD
	v_lshl_add_u64 v[76:77], v[74:75], 0, 64
	v_or_b32_e32 v73, s12, v99
	s_mov_b64 s[14:15], -1
	v_or_b32_e32 v68, v69, v68
	;;#ASMSTART
	global_atomic_pk_add_f16 v[76:77], v68, off
	
	;;#ASMEND
	s_set_gpr_idx_on s16, gpr_idx(SRC0)
	v_mov_b32_e32 v68, v32
	s_set_gpr_idx_off
	v_cvt_f16_f32_e32 v68, v68
	s_set_gpr_idx_on s13, gpr_idx(SRC0)
	v_mov_b32_e32 v69, v32
	s_set_gpr_idx_off
	v_cvt_f16_f32_sdwa v69, v69 dst_sel:WORD_1 dst_unused:UNUSED_PAD src0_sel:DWORD
	v_lshl_add_u64 v[76:77], v[74:75], 0, s[42:43]
	v_lshl_add_u64 v[74:75], v[74:75], 0, s[44:45]
	v_or_b32_e32 v68, v69, v68
	;;#ASMSTART
	global_atomic_pk_add_f16 v[76:77], v68, off
	
	;;#ASMEND
	s_set_gpr_idx_on s16, gpr_idx(SRC0)
	v_mov_b32_e32 v68, v48
	s_set_gpr_idx_off
	v_cvt_f16_f32_e32 v68, v68
	s_set_gpr_idx_on s13, gpr_idx(SRC0)
	v_mov_b32_e32 v69, v48
	s_set_gpr_idx_off
	v_cvt_f16_f32_sdwa v69, v69 dst_sel:WORD_1 dst_unused:UNUSED_PAD src0_sel:DWORD
	s_nop 0
	v_or_b32_e32 v68, v69, v68
	;;#ASMSTART
	global_atomic_pk_add_f16 v[74:75], v68, off
	
	;;#ASMEND
	v_add_u32_e32 v68, s70, v73
	v_cmp_gt_u32_e32 vcc, 32, v68
	s_and_saveexec_b64 s[12:13], vcc
	s_cbranch_execz .LBB94_30
; %bb.34:                               ;   in Loop: Header=BB94_32 Depth=2
	s_add_i32 s14, s16, 2
	s_add_i32 s15, s16, 3
	s_set_gpr_idx_on s14, gpr_idx(SRC0)
	v_mov_b32_e32 v68, v0
	s_set_gpr_idx_off
	v_cvt_f16_f32_e32 v68, v68
	s_set_gpr_idx_on s15, gpr_idx(SRC0)
	v_mov_b32_e32 v69, v0
	s_set_gpr_idx_off
	v_cvt_f16_f32_sdwa v69, v69 dst_sel:WORD_1 dst_unused:UNUSED_PAD src0_sel:DWORD
	v_mul_lo_u32 v74, v73, s21
	v_ashrrev_i32_e32 v75, 31, v74
	v_lshl_add_u64 v[74:75], v[74:75], 1, v[70:71]
	v_or_b32_e32 v68, v69, v68
	;;#ASMSTART
	global_atomic_pk_add_f16 v[74:75], v68, off
	
	;;#ASMEND
	s_set_gpr_idx_on s14, gpr_idx(SRC0)
	v_mov_b32_e32 v68, v16
	s_set_gpr_idx_off
	v_cvt_f16_f32_e32 v68, v68
	s_set_gpr_idx_on s15, gpr_idx(SRC0)
	v_mov_b32_e32 v69, v16
	s_set_gpr_idx_off
	v_cvt_f16_f32_sdwa v69, v69 dst_sel:WORD_1 dst_unused:UNUSED_PAD src0_sel:DWORD
	v_lshl_add_u64 v[76:77], v[74:75], 0, 64
	s_add_i32 s16, s16, 4
	s_add_i32 s1, s1, 8
	v_or_b32_e32 v68, v69, v68
	;;#ASMSTART
	global_atomic_pk_add_f16 v[76:77], v68, off
	
	;;#ASMEND
	s_set_gpr_idx_on s14, gpr_idx(SRC0)
	v_mov_b32_e32 v68, v32
	s_set_gpr_idx_off
	v_cvt_f16_f32_e32 v68, v68
	s_set_gpr_idx_on s15, gpr_idx(SRC0)
	v_mov_b32_e32 v69, v32
	s_set_gpr_idx_off
	v_cvt_f16_f32_sdwa v69, v69 dst_sel:WORD_1 dst_unused:UNUSED_PAD src0_sel:DWORD
	v_lshl_add_u64 v[76:77], v[74:75], 0, s[42:43]
	s_cmp_eq_u32 s16, 16
	v_lshl_add_u64 v[74:75], v[74:75], 0, s[44:45]
	v_or_b32_e32 v68, v69, v68
	;;#ASMSTART
	global_atomic_pk_add_f16 v[76:77], v68, off
	
	;;#ASMEND
	s_set_gpr_idx_on s14, gpr_idx(SRC0)
	v_mov_b32_e32 v68, v48
	s_set_gpr_idx_off
	v_cvt_f16_f32_e32 v68, v68
	s_set_gpr_idx_on s15, gpr_idx(SRC0)
	v_mov_b32_e32 v69, v48
	s_set_gpr_idx_off
	v_cvt_f16_f32_sdwa v69, v69 dst_sel:WORD_1 dst_unused:UNUSED_PAD src0_sel:DWORD
	s_cselect_b64 s[14:15], -1, 0
	s_orn2_b64 s[14:15], s[14:15], exec
	v_or_b32_e32 v68, v69, v68
	;;#ASMSTART
	global_atomic_pk_add_f16 v[74:75], v68, off
	
	;;#ASMEND
	s_branch .LBB94_30
.LBB94_35:                              ;   in Loop: Header=BB94_7 Depth=1
	s_or_b64 exec, exec, s[6:7]
	v_readlane_b32 s72, v127, 2
	v_readlane_b32 s8, v127, 23
	;; [unrolled: 1-line block ×12, first 2 shown]
.LBB94_36:                              ;   in Loop: Header=BB94_7 Depth=1
	s_or_b64 exec, exec, s[8:9]
.LBB94_37:                              ;   in Loop: Header=BB94_7 Depth=1
	s_andn2_saveexec_b64 s[2:3], s[2:3]
	s_cbranch_execz .LBB94_46
; %bb.38:                               ;   in Loop: Header=BB94_7 Depth=1
	s_lshl_b32 s12, s99, 2
	v_cmp_gt_i32_e32 vcc, s12, v101
	s_and_saveexec_b64 s[6:7], vcc
	s_cbranch_execz .LBB94_45
; %bb.39:                               ;   in Loop: Header=BB94_7 Depth=1
	scratch_load_dwordx2 v[0:1], off, off   ; 8-byte Folded Reload
	s_mul_i32 s0, s0, s23
	s_ashr_i32 s1, s0, 31
	s_add_u32 s0, s74, s0
	s_addc_u32 s1, s75, s1
	s_ashr_i32 s8, s46, 31
	s_add_u32 s0, s0, s46
	s_addc_u32 s1, s1, s8
	s_waitcnt vmcnt(0)
	v_lshl_add_u64 v[0:1], s[0:1], 0, v[0:1]
	v_lshl_add_u64 v[8:9], v[0:1], 0, v[66:67]
	s_mov_b64 s[0:1], 0
	s_branch .LBB94_41
.LBB94_40:                              ;   in Loop: Header=BB94_41 Depth=2
	s_or_b64 exec, exec, s[8:9]
	v_lshl_or_b32 v12, v10, 11, v94
	;;#ASMSTART
	s_waitcnt vmcnt(1)
	;;#ASMEND
	ds_write2_b32 v12, v4, v5 offset1:32
	ds_write2_b32 v12, v6, v7 offset0:64 offset1:96
	v_add_u32_e32 v4, 0x400, v12
	v_add_u32_e32 v101, s26, v101
	;;#ASMSTART
	s_waitcnt vmcnt(0)
	;;#ASMEND
	ds_write2_b32 v4, v0, v1 offset1:32
	ds_write2_b32 v4, v2, v3 offset0:64 offset1:96
	v_add_u32_e32 v0, 1, v79
	v_add_u32_e32 v72, s26, v10
	v_cmp_le_i32_e32 vcc, s12, v101
	ds_write_b32 v11, v0 offset:4
	v_add_u32_e32 v0, 2, v79
	s_or_b64 s[0:1], vcc, s[0:1]
	v_cmp_lt_i32_e32 vcc, 3, v72
	s_nop 1
	v_cndmask_b32_e32 v79, v79, v0, vcc
	s_andn2_b64 exec, exec, s[0:1]
	s_cbranch_execz .LBB94_44
.LBB94_41:                              ;   Parent Loop BB94_7 Depth=1
                                        ; =>  This Loop Header: Depth=2
                                        ;       Child Loop BB94_43 Depth 3
	v_cmp_gt_i32_e32 vcc, 4, v72
	s_nop 1
	v_cndmask_b32_e64 v0, -4, 0, vcc
	v_add_u32_e32 v10, v0, v72
	v_ashrrev_i32_e32 v0, 31, v101
	v_lshrrev_b32_e32 v0, 30, v0
	v_add_u32_e32 v0, v101, v0
	v_and_b32_e32 v1, -4, v0
	v_lshlrev_b32_e32 v0, 4, v0
	v_sub_u32_e32 v2, v101, v1
	v_and_b32_e32 v0, 0xffffffc0, v0
	v_ashrrev_i32_e32 v1, 31, v0
	v_mul_lo_u32 v2, s24, v2
	v_lshl_add_u64 v[0:1], v[8:9], 0, v[0:1]
	v_ashrrev_i32_e32 v3, 31, v2
	v_lshl_add_u64 v[0:1], v[0:1], 0, v[2:3]
	v_lshlrev_b32_e32 v11, 2, v10
	;;#ASMSTART
	global_load_dwordx4 v[4:7], v[0:1], off offset:0   sc0 sc1 nt  
	global_load_dwordx4 v[0:3], v[0:1], off offset:32  sc0 sc1 nt  
	
	;;#ASMEND
	ds_read_b32 v12, v11 offset:10244
	v_add_u32_e32 v11, 0x2800, v11
	s_waitcnt lgkmcnt(0)
	v_cmp_ne_u32_e32 vcc, v12, v79
	s_and_saveexec_b64 s[8:9], vcc
	s_cbranch_execz .LBB94_40
; %bb.42:                               ;   in Loop: Header=BB94_41 Depth=2
	s_mov_b64 s[10:11], 0
.LBB94_43:                              ;   Parent Loop BB94_7 Depth=1
                                        ;     Parent Loop BB94_41 Depth=2
                                        ; =>    This Inner Loop Header: Depth=3
	;;#ASMSTART
	s_sleep 0
	;;#ASMEND
	ds_read_b32 v12, v11 offset:4
	s_waitcnt lgkmcnt(0)
	v_cmp_eq_u32_e32 vcc, v12, v79
	s_or_b64 s[10:11], vcc, s[10:11]
	s_andn2_b64 exec, exec, s[10:11]
	s_cbranch_execnz .LBB94_43
	s_branch .LBB94_40
.LBB94_44:                              ;   in Loop: Header=BB94_7 Depth=1
	s_or_b64 exec, exec, s[0:1]
.LBB94_45:                              ;   in Loop: Header=BB94_7 Depth=1
	s_or_b64 exec, exec, s[6:7]
	v_subrev_u32_e32 v101, s12, v101
.LBB94_46:                              ;   in Loop: Header=BB94_7 Depth=1
	s_or_b64 exec, exec, s[2:3]
.LBB94_47:                              ;   in Loop: Header=BB94_7 Depth=1
	s_andn2_saveexec_b64 s[0:1], s[4:5]
	s_cbranch_execz .LBB94_6
; %bb.48:                               ;   in Loop: Header=BB94_7 Depth=1
	v_cmp_gt_i32_e32 vcc, s99, v101
	s_and_saveexec_b64 s[2:3], vcc
	s_cbranch_execz .LBB94_5
; %bb.49:                               ;   in Loop: Header=BB94_7 Depth=1
	s_mul_i32 s96, s96, s22
	s_ashr_i32 s4, s96, 31
	s_add_u32 s5, s72, s96
	s_addc_u32 s6, s73, s4
	s_ashr_i32 s7, s46, 31
	v_cmp_le_i32_e32 vcc, s71, v95
	s_add_u32 s4, s5, s46
	s_addc_u32 s5, s6, s7
	v_cndmask_b32_e32 v0, 0, v96, vcc
	v_ashrrev_i32_e32 v1, 31, v0
	v_lshl_add_u64 v[0:1], s[4:5], 0, v[0:1]
	v_lshl_add_u64 v[8:9], v[0:1], 0, v[66:67]
	s_mov_b64 s[4:5], 0
	s_branch .LBB94_51
.LBB94_50:                              ;   in Loop: Header=BB94_51 Depth=2
	s_or_b64 exec, exec, s[6:7]
	v_lshl_add_u32 v12, v10, 11, v97
	;;#ASMSTART
	s_waitcnt vmcnt(1)
	;;#ASMEND
	ds_write2_b32 v12, v4, v5 offset1:32
	ds_write2_b32 v12, v6, v7 offset0:64 offset1:96
	v_add_u32_e32 v4, 0x400, v12
	v_add_u32_e32 v101, s25, v101
	;;#ASMSTART
	s_waitcnt vmcnt(0)
	;;#ASMEND
	ds_write2_b32 v4, v0, v1 offset1:32
	ds_write2_b32 v4, v2, v3 offset0:64 offset1:96
	v_add_u32_e32 v0, 1, v79
	v_add_u32_e32 v72, s25, v10
	v_cmp_le_i32_e32 vcc, s99, v101
	ds_write_b32 v11, v0
	v_add_u32_e32 v0, 2, v79
	s_or_b64 s[4:5], vcc, s[4:5]
	v_cmp_lt_i32_e32 vcc, 0, v72
	s_nop 1
	v_cndmask_b32_e32 v79, v79, v0, vcc
	s_andn2_b64 exec, exec, s[4:5]
	s_cbranch_execz .LBB94_4
.LBB94_51:                              ;   Parent Loop BB94_7 Depth=1
                                        ; =>  This Loop Header: Depth=2
                                        ;       Child Loop BB94_53 Depth 3
	v_cmp_lt_i32_e32 vcc, 0, v72
	v_lshlrev_b32_e32 v0, 6, v101
	v_ashrrev_i32_e32 v1, 31, v0
	v_subbrev_co_u32_e32 v10, vcc, 0, v72, vcc
	v_lshl_add_u64 v[0:1], v[8:9], 0, v[0:1]
	v_lshlrev_b32_e32 v11, 2, v10
	;;#ASMSTART
	global_load_dwordx4 v[4:7], v[0:1], off offset:0   
	global_load_dwordx4 v[0:3], v[0:1], off offset:32  
	
	;;#ASMEND
	ds_read_b32 v12, v11 offset:10240
	v_add_u32_e32 v11, 0x2800, v11
	s_waitcnt lgkmcnt(0)
	v_cmp_ne_u32_e32 vcc, v12, v79
	s_and_saveexec_b64 s[6:7], vcc
	s_cbranch_execz .LBB94_50
; %bb.52:                               ;   in Loop: Header=BB94_51 Depth=2
	s_mov_b64 s[8:9], 0
.LBB94_53:                              ;   Parent Loop BB94_7 Depth=1
                                        ;     Parent Loop BB94_51 Depth=2
                                        ; =>    This Inner Loop Header: Depth=3
	;;#ASMSTART
	s_sleep 0
	;;#ASMEND
	ds_read_b32 v12, v11
	s_waitcnt lgkmcnt(0)
	v_cmp_eq_u32_e32 vcc, v12, v79
	s_or_b64 s[8:9], vcc, s[8:9]
	s_andn2_b64 exec, exec, s[8:9]
	s_cbranch_execnz .LBB94_53
	s_branch .LBB94_50
.LBB94_54:
	s_endpgm
	.section	.rodata,"a",@progbits
	.p2align	6, 0x0
	.amdhsa_kernel _Z19_skinny_gemm_kernelILi1ELi4ELi1ELi32ELi4EEvPKhS1_P6__halfPKfiiiiiiii
		.amdhsa_group_segment_fixed_size 10260
		.amdhsa_private_segment_fixed_size 12
		.amdhsa_kernarg_size 64
		.amdhsa_user_sgpr_count 2
		.amdhsa_user_sgpr_dispatch_ptr 0
		.amdhsa_user_sgpr_queue_ptr 0
		.amdhsa_user_sgpr_kernarg_segment_ptr 1
		.amdhsa_user_sgpr_dispatch_id 0
		.amdhsa_user_sgpr_kernarg_preload_length 0
		.amdhsa_user_sgpr_kernarg_preload_offset 0
		.amdhsa_user_sgpr_private_segment_size 0
		.amdhsa_uses_dynamic_stack 0
		.amdhsa_enable_private_segment 1
		.amdhsa_system_sgpr_workgroup_id_x 1
		.amdhsa_system_sgpr_workgroup_id_y 0
		.amdhsa_system_sgpr_workgroup_id_z 0
		.amdhsa_system_sgpr_workgroup_info 0
		.amdhsa_system_vgpr_workitem_id 0
		.amdhsa_next_free_vgpr 128
		.amdhsa_next_free_sgpr 100
		.amdhsa_accum_offset 128
		.amdhsa_reserve_vcc 1
		.amdhsa_float_round_mode_32 0
		.amdhsa_float_round_mode_16_64 0
		.amdhsa_float_denorm_mode_32 3
		.amdhsa_float_denorm_mode_16_64 3
		.amdhsa_dx10_clamp 1
		.amdhsa_ieee_mode 1
		.amdhsa_fp16_overflow 0
		.amdhsa_tg_split 0
		.amdhsa_exception_fp_ieee_invalid_op 0
		.amdhsa_exception_fp_denorm_src 0
		.amdhsa_exception_fp_ieee_div_zero 0
		.amdhsa_exception_fp_ieee_overflow 0
		.amdhsa_exception_fp_ieee_underflow 0
		.amdhsa_exception_fp_ieee_inexact 0
		.amdhsa_exception_int_div_zero 0
	.end_amdhsa_kernel
	.section	.text._Z19_skinny_gemm_kernelILi1ELi4ELi1ELi32ELi4EEvPKhS1_P6__halfPKfiiiiiiii,"axG",@progbits,_Z19_skinny_gemm_kernelILi1ELi4ELi1ELi32ELi4EEvPKhS1_P6__halfPKfiiiiiiii,comdat
.Lfunc_end94:
	.size	_Z19_skinny_gemm_kernelILi1ELi4ELi1ELi32ELi4EEvPKhS1_P6__halfPKfiiiiiiii, .Lfunc_end94-_Z19_skinny_gemm_kernelILi1ELi4ELi1ELi32ELi4EEvPKhS1_P6__halfPKfiiiiiiii
                                        ; -- End function
	.set _Z19_skinny_gemm_kernelILi1ELi4ELi1ELi32ELi4EEvPKhS1_P6__halfPKfiiiiiiii.num_vgpr, 128
	.set _Z19_skinny_gemm_kernelILi1ELi4ELi1ELi32ELi4EEvPKhS1_P6__halfPKfiiiiiiii.num_agpr, 0
	.set _Z19_skinny_gemm_kernelILi1ELi4ELi1ELi32ELi4EEvPKhS1_P6__halfPKfiiiiiiii.numbered_sgpr, 100
	.set _Z19_skinny_gemm_kernelILi1ELi4ELi1ELi32ELi4EEvPKhS1_P6__halfPKfiiiiiiii.num_named_barrier, 0
	.set _Z19_skinny_gemm_kernelILi1ELi4ELi1ELi32ELi4EEvPKhS1_P6__halfPKfiiiiiiii.private_seg_size, 12
	.set _Z19_skinny_gemm_kernelILi1ELi4ELi1ELi32ELi4EEvPKhS1_P6__halfPKfiiiiiiii.uses_vcc, 1
	.set _Z19_skinny_gemm_kernelILi1ELi4ELi1ELi32ELi4EEvPKhS1_P6__halfPKfiiiiiiii.uses_flat_scratch, 0
	.set _Z19_skinny_gemm_kernelILi1ELi4ELi1ELi32ELi4EEvPKhS1_P6__halfPKfiiiiiiii.has_dyn_sized_stack, 0
	.set _Z19_skinny_gemm_kernelILi1ELi4ELi1ELi32ELi4EEvPKhS1_P6__halfPKfiiiiiiii.has_recursion, 0
	.set _Z19_skinny_gemm_kernelILi1ELi4ELi1ELi32ELi4EEvPKhS1_P6__halfPKfiiiiiiii.has_indirect_call, 0
	.section	.AMDGPU.csdata,"",@progbits
; Kernel info:
; codeLenInByte = 14012
; TotalNumSgprs: 106
; NumVgprs: 128
; NumAgprs: 0
; TotalNumVgprs: 128
; ScratchSize: 12
; MemoryBound: 0
; FloatMode: 240
; IeeeMode: 1
; LDSByteSize: 10260 bytes/workgroup (compile time only)
; SGPRBlocks: 13
; VGPRBlocks: 15
; NumSGPRsForWavesPerEU: 106
; NumVGPRsForWavesPerEU: 128
; AccumOffset: 128
; Occupancy: 4
; WaveLimiterHint : 0
; COMPUTE_PGM_RSRC2:SCRATCH_EN: 1
; COMPUTE_PGM_RSRC2:USER_SGPR: 2
; COMPUTE_PGM_RSRC2:TRAP_HANDLER: 0
; COMPUTE_PGM_RSRC2:TGID_X_EN: 1
; COMPUTE_PGM_RSRC2:TGID_Y_EN: 0
; COMPUTE_PGM_RSRC2:TGID_Z_EN: 0
; COMPUTE_PGM_RSRC2:TIDIG_COMP_CNT: 0
; COMPUTE_PGM_RSRC3_GFX90A:ACCUM_OFFSET: 31
; COMPUTE_PGM_RSRC3_GFX90A:TG_SPLIT: 0
	.section	.text._Z19_skinny_gemm_kernelILi1ELi4ELi1ELi32ELi8EEvPKhS1_P6__halfPKfiiiiiiii,"axG",@progbits,_Z19_skinny_gemm_kernelILi1ELi4ELi1ELi32ELi8EEvPKhS1_P6__halfPKfiiiiiiii,comdat
	.protected	_Z19_skinny_gemm_kernelILi1ELi4ELi1ELi32ELi8EEvPKhS1_P6__halfPKfiiiiiiii ; -- Begin function _Z19_skinny_gemm_kernelILi1ELi4ELi1ELi32ELi8EEvPKhS1_P6__halfPKfiiiiiiii
	.globl	_Z19_skinny_gemm_kernelILi1ELi4ELi1ELi32ELi8EEvPKhS1_P6__halfPKfiiiiiiii
	.p2align	8
	.type	_Z19_skinny_gemm_kernelILi1ELi4ELi1ELi32ELi8EEvPKhS1_P6__halfPKfiiiiiiii,@function
_Z19_skinny_gemm_kernelILi1ELi4ELi1ELi32ELi8EEvPKhS1_P6__halfPKfiiiiiiii: ; @_Z19_skinny_gemm_kernelILi1ELi4ELi1ELi32ELi8EEvPKhS1_P6__halfPKfiiiiiiii
; %bb.0:
	v_cmp_gt_u32_e32 vcc, 5, v0
	s_and_saveexec_b64 s[4:5], vcc
; %bb.1:
	v_lshlrev_b32_e32 v1, 2, v0
	v_mov_b32_e32 v2, 0
	ds_write_b32 v1, v2 offset:20480
; %bb.2:
	s_or_b64 exec, exec, s[4:5]
	s_load_dwordx8 s[20:27], s[0:1], 0x20
	s_waitcnt lgkmcnt(0)
	s_barrier
	s_add_i32 s3, s20, 31
	s_ashr_i32 s5, s3, 31
	s_add_i32 s4, s21, 0x7f
	s_lshr_b32 s5, s5, 27
	s_ashr_i32 s6, s4, 31
	s_add_i32 s3, s3, s5
	s_ashr_i32 s14, s3, 5
	s_lshr_b32 s3, s6, 25
	s_add_i32 s4, s4, s3
	s_ashr_i32 s15, s4, 7
	s_mul_i32 s3, s15, s14
	s_mul_i32 s3, s3, s24
	s_add_i32 s4, s3, 0x12f
	s_mul_hi_i32 s4, s4, 0x6bca1af3
	s_lshr_b32 s5, s4, 31
	s_ashr_i32 s4, s4, 7
	s_add_i32 s4, s4, s5
	s_add_i32 s5, s2, 1
	s_mul_i32 s5, s4, s5
	v_cvt_f64_i32_e32 v[2:3], s3
	v_cvt_f64_u32_e32 v[4:5], s5
	v_min_f64 v[2:3], v[2:3], v[4:5]
	v_cvt_i32_f64_e32 v86, v[2:3]
	s_mul_i32 s33, s4, s2
	v_cmp_ge_i32_e32 vcc, s33, v86
	s_cbranch_vccnz .LBB95_54
; %bb.3:
	s_load_dwordx8 s[72:79], s[0:1], 0x0
	v_lshrrev_b32_e32 v1, 6, v0
	s_add_i32 s0, s26, s25
	v_cmp_le_i32_e64 s[28:29], s0, v1
	v_mov_b32_e32 v2, s25
	v_cmp_le_i32_e64 s[30:31], s25, v1
	v_mov_b32_e32 v3, s26
	v_cndmask_b32_e64 v3, 0, v3, s[28:29]
	v_cndmask_b32_e64 v2, 0, v2, s[30:31]
	s_abs_i32 s1, s24
	v_add_u32_e32 v2, v2, v3
	v_cvt_f32_u32_e32 v3, s1
	v_sub_u32_e32 v72, v1, v2
	s_ashr_i32 s2, s22, 31
	s_lshr_b32 s2, s2, 25
	v_rcp_iflag_f32_e32 v2, v3
	s_sub_i32 s5, 0, s1
	s_add_i32 s2, s22, s2
	s_ashr_i32 s2, s2, 7
	v_mul_f32_e32 v2, 0x4f7ffffe, v2
	v_cvt_u32_f32_e32 v2, v2
	s_abs_i32 s4, s2
	s_xor_b32 s3, s2, s24
	s_ashr_i32 s3, s3, 31
	v_readfirstlane_b32 s6, v2
	s_mul_i32 s5, s5, s6
	s_mul_hi_u32 s5, s6, s5
	s_add_i32 s6, s6, s5
	s_mul_hi_u32 s5, s4, s6
	s_mul_i32 s6, s5, s1
	s_sub_i32 s4, s4, s6
	s_add_i32 s6, s5, 1
	s_sub_i32 s7, s4, s1
	s_cmp_ge_u32 s4, s1
	s_cselect_b32 s5, s6, s5
	s_cselect_b32 s4, s7, s4
	s_add_i32 s6, s5, 1
	s_cmp_ge_u32 s4, s1
	v_lshrrev_b32_e32 v2, 3, v0
	v_lshrrev_b32_e32 v7, 1, v0
	s_cselect_b32 s1, s6, s5
	s_add_i32 s0, s0, s27
	v_and_b32_e32 v88, 31, v0
	v_and_b32_e32 v3, 4, v2
	;; [unrolled: 1-line block ×3, first 2 shown]
	v_lshlrev_b32_e32 v7, 4, v0
	v_cmp_gt_i32_e64 s[36:37], s0, v1
	v_lshlrev_b32_e32 v1, 2, v88
	v_lshlrev_b32_e32 v2, 6, v3
	v_and_b32_e32 v7, 0x200, v7
	s_abs_i32 s97, s14
                                        ; implicit-def: $vgpr127 : SGPR spill to VGPR lane
	v_or_b32_e32 v4, 0x4000, v1
	v_or_b32_e32 v90, v1, v2
	v_and_b32_e32 v5, 1, v0
	v_or_b32_e32 v102, v1, v7
	v_cvt_f32_u32_e32 v1, s97
	v_writelane_b32 v127, s14, 0
	v_or_b32_e32 v89, v4, v2
	v_lshlrev_b32_e32 v2, 1, v5
	v_writelane_b32 v127, s15, 1
	v_sub_u32_e32 v2, v0, v2
	s_waitcnt lgkmcnt(0)
	v_writelane_b32 v127, s72, 2
	v_add_u32_e32 v2, 1, v2
	v_and_b32_e32 v6, 63, v2
	v_writelane_b32 v127, s73, 3
	v_bitop3_b32 v91, v0, 1, v0 bitop3:0xc
	v_bitop3_b32 v92, v0, 3, 1 bitop3:0x6c
	;; [unrolled: 1-line block ×8, first 2 shown]
	v_and_b32_e32 v2, 30, v0
	v_bitop3_b32 v103, v0, 31, v0 bitop3:0xc
	v_rcp_iflag_f32_e32 v0, v1
	s_abs_i32 s98, s15
	v_writelane_b32 v127, s74, 4
	v_cvt_f32_u32_e32 v1, s98
	v_writelane_b32 v127, s75, 5
	v_writelane_b32 v127, s76, 6
	;; [unrolled: 1-line block ×3, first 2 shown]
	v_mul_f32_e32 v0, 0x4f7ffffe, v0
	v_writelane_b32 v127, s78, 8
	v_cvt_u32_f32_e32 v0, v0
	v_rcp_iflag_f32_e32 v1, v1
	v_writelane_b32 v127, s79, 9
	v_cndmask_b32_e64 v87, 0, 1, s[28:29]
	s_xor_b32 s1, s1, s3
	v_writelane_b32 v127, s28, 10
	s_sub_i32 s17, s1, s3
	s_add_i32 s34, s24, -1
	v_writelane_b32 v127, s29, 11
	s_mul_i32 s1, s17, s34
	v_writelane_b32 v127, s30, 12
	s_sub_i32 s35, s2, s1
	v_readfirstlane_b32 s1, v0
	v_mul_f32_e32 v0, 0x4f7ffffe, v1
	v_writelane_b32 v127, s31, 13
	v_cvt_u32_f32_e32 v0, v0
	v_writelane_b32 v127, s17, 14
	s_sub_i32 s0, 0, s97
	v_writelane_b32 v127, s34, 15
	s_mul_i32 s0, s0, s1
	v_writelane_b32 v127, s35, 16
	s_mul_hi_u32 s0, s1, s0
	v_writelane_b32 v127, s36, 17
	s_ashr_i32 s38, s14, 31
	s_add_i32 s39, s1, s0
	s_sub_i32 s0, 0, s98
	v_readfirstlane_b32 s1, v0
	v_writelane_b32 v127, s37, 18
	s_mul_i32 s0, s0, s1
	v_mbcnt_lo_u32_b32 v0, -1, 0
	v_writelane_b32 v127, s38, 19
	s_ashr_i32 s40, s15, 31
	s_mul_hi_u32 s0, s1, s0
	v_mbcnt_hi_u32_b32 v0, -1, v0
	v_writelane_b32 v127, s39, 20
	v_mov_b32_e32 v65, 0
	v_mul_lo_u32 v8, s23, v88
	v_or_b32_e32 v106, v5, v3
	s_add_i32 s41, s1, s0
	v_and_or_b32 v0, v0, 64, v6
	v_writelane_b32 v127, s40, 21
	v_ashrrev_i32_e32 v9, 31, v8
	v_mov_b32_e32 v67, v65
	s_lshl_b32 s24, s23, 5
	v_mul_lo_u32 v104, s22, v88
	v_or_b32_e32 v105, v4, v7
	v_or_b32_e32 v107, 2, v106
	v_lshlrev_b32_e32 v64, 1, v2
	v_lshlrev_b32_e32 v108, 2, v0
	v_mov_b32_e32 v109, v72
	v_writelane_b32 v127, s41, 22
	scratch_store_dwordx2 off, v[8:9], off  ; 8-byte Folded Spill
	s_branch .LBB95_7
.LBB95_4:                               ;   in Loop: Header=BB95_7 Depth=1
	s_or_b64 exec, exec, s[4:5]
.LBB95_5:                               ;   in Loop: Header=BB95_7 Depth=1
	s_or_b64 exec, exec, s[2:3]
	v_subrev_u32_e32 v109, s99, v109
.LBB95_6:                               ;   in Loop: Header=BB95_7 Depth=1
	s_or_b64 exec, exec, s[0:1]
	s_add_i32 s33, s33, 1
	v_cmp_ge_i32_e32 vcc, s33, v86
	s_cbranch_vccnz .LBB95_54
.LBB95_7:                               ; =>This Loop Header: Depth=1
                                        ;     Child Loop BB95_13 Depth 2
                                        ;       Child Loop BB95_15 Depth 3
                                        ;       Child Loop BB95_18 Depth 3
	;; [unrolled: 1-line block ×5, first 2 shown]
                                        ;     Child Loop BB95_32 Depth 2
                                        ;     Child Loop BB95_41 Depth 2
                                        ;       Child Loop BB95_43 Depth 3
                                        ;     Child Loop BB95_51 Depth 2
                                        ;       Child Loop BB95_53 Depth 3
	s_abs_i32 s1, s33
	s_mul_hi_u32 s2, s1, s39
	s_mul_i32 s3, s2, s97
	s_ashr_i32 s0, s33, 31
	s_sub_i32 s1, s1, s3
	s_xor_b32 s0, s0, s38
	s_add_i32 s3, s2, 1
	s_sub_i32 s4, s1, s97
	s_cmp_ge_u32 s1, s97
	s_cselect_b32 s2, s3, s2
	s_cselect_b32 s1, s4, s1
	s_add_i32 s3, s2, 1
	s_cmp_ge_u32 s1, s97
	s_cselect_b32 s1, s3, s2
	s_xor_b32 s1, s1, s0
	s_sub_i32 s0, s1, s0
	s_abs_i32 s2, s0
	s_mul_i32 s1, s0, s14
	s_mul_hi_u32 s3, s2, s41
	s_sub_i32 s1, s33, s1
	s_mul_i32 s4, s3, s98
	s_lshl_b32 s96, s1, 5
	s_ashr_i32 s1, s0, 31
	s_sub_i32 s2, s2, s4
	s_xor_b32 s1, s1, s40
	s_add_i32 s4, s3, 1
	s_sub_i32 s5, s2, s98
	s_cmp_ge_u32 s2, s98
	s_cselect_b32 s3, s4, s3
	s_cselect_b32 s2, s5, s2
	s_add_i32 s4, s3, 1
	s_cmp_ge_u32 s2, s98
	s_cselect_b32 s2, s4, s3
	s_xor_b32 s2, s2, s1
	s_sub_i32 s1, s2, s1
	s_mul_i32 s2, s1, s17
	s_lshl_b32 s46, s2, 7
	s_cmp_eq_u32 s1, s34
	s_cselect_b32 s99, s35, s17
	s_sub_i32 s2, s96, s20
	s_add_i32 s71, s2, 32
	s_and_saveexec_b64 s[2:3], s[30:31]
	s_xor_b64 s[4:5], exec, s[2:3]
	s_cbranch_execz .LBB95_47
; %bb.8:                                ;   in Loop: Header=BB95_7 Depth=1
	s_mul_i32 s1, s1, s15
	s_sub_i32 s0, s0, s1
	s_lshl_b32 s0, s0, 7
	s_sub_i32 s70, s0, s21
	s_addk_i32 s70, 0x80
	s_max_i32 s1, s70, 0
	s_sub_i32 s0, s0, s1
	s_and_saveexec_b64 s[2:3], s[28:29]
	s_xor_b64 s[2:3], exec, s[2:3]
	s_cbranch_execz .LBB95_37
; %bb.9:                                ;   in Loop: Header=BB95_7 Depth=1
	s_and_saveexec_b64 s[8:9], s[36:37]
	s_cbranch_execz .LBB95_36
; %bb.10:                               ;   in Loop: Header=BB95_7 Depth=1
	global_load_dword v110, v65, s[78:79]
	v_writelane_b32 v127, s8, 23
	v_mov_b32_e32 v63, 0
	v_cmp_gt_i32_e32 vcc, s99, v109
	v_writelane_b32 v127, s9, 24
	v_mov_b32_e32 v62, v63
	v_mov_b32_e32 v61, v63
	;; [unrolled: 1-line block ×63, first 2 shown]
	s_and_saveexec_b64 s[6:7], vcc
	s_cbranch_execz .LBB95_29
; %bb.11:                               ;   in Loop: Header=BB95_7 Depth=1
	v_mov_b32_e32 v0, 0
	s_mov_b64 s[8:9], 0
	v_mov_b32_e32 v1, v0
	v_mov_b32_e32 v2, v0
	;; [unrolled: 1-line block ×63, first 2 shown]
	s_branch .LBB95_13
.LBB95_12:                              ;   in Loop: Header=BB95_13 Depth=2
	s_or_b64 exec, exec, s[10:11]
	v_add_u32_e32 v115, 0x3000, v114
	ds_read2_b32 v[116:117], v115 offset1:32
	v_add_u32_e32 v109, s27, v109
	s_waitcnt lgkmcnt(0)
	v_mfma_f32_32x32x16_fp8_fp8 v[0:15], v[84:85], v[116:117], v[0:15]
	ds_read2_b32 v[84:85], v115 offset0:128 offset1:160
	s_waitcnt lgkmcnt(0)
	v_mfma_f32_32x32x16_fp8_fp8 v[0:15], v[82:83], v[84:85], v[0:15]
	v_add_u32_e32 v84, 0x3400, v114
	ds_read2_b32 v[82:83], v84 offset1:32
	s_waitcnt lgkmcnt(0)
	v_mfma_f32_32x32x16_fp8_fp8 v[0:15], v[80:81], v[82:83], v[0:15]
	ds_read2_b32 v[80:81], v84 offset0:128 offset1:160
	s_waitcnt lgkmcnt(0)
	v_mfma_f32_32x32x16_fp8_fp8 v[0:15], v[78:79], v[80:81], v[0:15]
	v_add_u32_e32 v80, 0x3800, v114
	ds_read2_b32 v[78:79], v80 offset1:32
	s_waitcnt lgkmcnt(0)
	v_mfma_f32_32x32x16_fp8_fp8 v[0:15], v[76:77], v[78:79], v[0:15]
	ds_read2_b32 v[76:77], v80 offset0:128 offset1:160
	s_waitcnt lgkmcnt(0)
	v_mfma_f32_32x32x16_fp8_fp8 v[0:15], v[74:75], v[76:77], v[0:15]
	v_add_u32_e32 v76, 0x3c00, v114
	ds_read2_b32 v[74:75], v76 offset1:32
	ds_read2_b32 v[76:77], v76 offset0:128 offset1:160
	ds_write_b32 v112, v113 offset:20508
	s_waitcnt lgkmcnt(2)
	v_mfma_f32_32x32x16_fp8_fp8 v[0:15], v[72:73], v[74:75], v[0:15]
	v_add_u32_e32 v72, s27, v111
	v_add_u32_e32 v73, 2, v87
	v_cmp_lt_i32_e32 vcc, 0, v72
	s_nop 1
	v_cndmask_b32_e32 v87, v87, v73, vcc
	v_cmp_le_i32_e32 vcc, s99, v109
	s_waitcnt lgkmcnt(1)
	v_mfma_f32_32x32x16_fp8_fp8 v[0:15], v[70:71], v[76:77], v[0:15]
	s_or_b64 s[8:9], vcc, s[8:9]
	s_andn2_b64 exec, exec, s[8:9]
	s_cbranch_execz .LBB95_28
.LBB95_13:                              ;   Parent Loop BB95_7 Depth=1
                                        ; =>  This Loop Header: Depth=2
                                        ;       Child Loop BB95_15 Depth 3
                                        ;       Child Loop BB95_18 Depth 3
	;; [unrolled: 1-line block ×5, first 2 shown]
	v_cmp_lt_i32_e32 vcc, 0, v72
	s_nop 1
	v_subbrev_co_u32_e32 v111, vcc, 0, v72, vcc
	v_lshlrev_b32_e32 v112, 5, v111
	ds_read_b32 v70, v112 offset:20480
	s_waitcnt lgkmcnt(0)
	v_cmp_ne_u32_e32 vcc, v70, v87
	s_and_saveexec_b64 s[10:11], vcc
	s_cbranch_execz .LBB95_16
; %bb.14:                               ;   in Loop: Header=BB95_13 Depth=2
	s_mov_b64 s[12:13], 0
.LBB95_15:                              ;   Parent Loop BB95_7 Depth=1
                                        ;     Parent Loop BB95_13 Depth=2
                                        ; =>    This Inner Loop Header: Depth=3
	;;#ASMSTART
	s_sleep 0
	;;#ASMEND
	ds_read_b32 v70, v112 offset:20480
	s_waitcnt lgkmcnt(0)
	v_cmp_eq_u32_e32 vcc, v70, v87
	s_or_b64 s[12:13], vcc, s[12:13]
	s_andn2_b64 exec, exec, s[12:13]
	s_cbranch_execnz .LBB95_15
.LBB95_16:                              ;   in Loop: Header=BB95_13 Depth=2
	s_or_b64 exec, exec, s[10:11]
	v_lshl_add_u32 v70, v111, 12, v89
	v_add_u32_e32 v71, 0x400, v70
	ds_read2_b32 v[84:85], v70 offset1:32
	ds_read2_b32 v[82:83], v70 offset0:128 offset1:160
	ds_read2_b32 v[80:81], v71 offset1:32
	ds_read2_b32 v[78:79], v71 offset0:128 offset1:160
	v_add_u32_e32 v71, 0x800, v70
	v_add_u32_e32 v70, 0xc00, v70
	ds_read2_b32 v[76:77], v71 offset1:32
	ds_read2_b32 v[74:75], v71 offset0:128 offset1:160
	ds_read2_b32 v[72:73], v70 offset1:32
	ds_read_b32 v114, v112 offset:20484
	ds_read2_b32 v[70:71], v70 offset0:128 offset1:160
	v_add_u32_e32 v113, 1, v87
	ds_write_b32 v112, v113 offset:20480
	s_waitcnt lgkmcnt(2)
	v_cmp_ne_u32_e32 vcc, v114, v87
	s_and_saveexec_b64 s[10:11], vcc
	s_cbranch_execz .LBB95_19
; %bb.17:                               ;   in Loop: Header=BB95_13 Depth=2
	s_mov_b64 s[12:13], 0
.LBB95_18:                              ;   Parent Loop BB95_7 Depth=1
                                        ;     Parent Loop BB95_13 Depth=2
                                        ; =>    This Inner Loop Header: Depth=3
	;;#ASMSTART
	s_sleep 0
	;;#ASMEND
	ds_read_b32 v114, v112 offset:20484
	s_waitcnt lgkmcnt(0)
	v_cmp_eq_u32_e32 vcc, v114, v87
	s_or_b64 s[12:13], vcc, s[12:13]
	s_andn2_b64 exec, exec, s[12:13]
	s_cbranch_execnz .LBB95_18
.LBB95_19:                              ;   in Loop: Header=BB95_13 Depth=2
	s_or_b64 exec, exec, s[10:11]
	v_lshl_or_b32 v114, v111, 14, v90
	ds_read2_b32 v[116:117], v114 offset1:32
	v_add_u32_e32 v115, 0x400, v114
	s_waitcnt lgkmcnt(0)
	v_mfma_f32_32x32x16_fp8_fp8 v[48:63], v[84:85], v[116:117], v[48:63]
	ds_read2_b32 v[116:117], v114 offset0:128 offset1:160
	s_waitcnt lgkmcnt(0)
	v_mfma_f32_32x32x16_fp8_fp8 v[48:63], v[82:83], v[116:117], v[48:63]
	ds_read2_b32 v[116:117], v115 offset1:32
	s_waitcnt lgkmcnt(0)
	v_mfma_f32_32x32x16_fp8_fp8 v[48:63], v[80:81], v[116:117], v[48:63]
	ds_read2_b32 v[116:117], v115 offset0:128 offset1:160
	v_add_u32_e32 v115, 0x800, v114
	s_waitcnt lgkmcnt(0)
	v_mfma_f32_32x32x16_fp8_fp8 v[48:63], v[78:79], v[116:117], v[48:63]
	ds_read2_b32 v[116:117], v115 offset1:32
	s_waitcnt lgkmcnt(0)
	v_mfma_f32_32x32x16_fp8_fp8 v[48:63], v[76:77], v[116:117], v[48:63]
	ds_read2_b32 v[116:117], v115 offset0:128 offset1:160
	v_add_u32_e32 v115, 0xc00, v114
	s_waitcnt lgkmcnt(0)
	v_mfma_f32_32x32x16_fp8_fp8 v[48:63], v[74:75], v[116:117], v[48:63]
	ds_read2_b32 v[116:117], v115 offset1:32
	s_waitcnt lgkmcnt(0)
	v_mfma_f32_32x32x16_fp8_fp8 v[48:63], v[72:73], v[116:117], v[48:63]
	ds_read_b32 v118, v112 offset:20492
	ds_read2_b32 v[116:117], v115 offset0:128 offset1:160
	ds_write_b32 v112, v113 offset:20484
	s_waitcnt lgkmcnt(2)
	v_cmp_ne_u32_e32 vcc, v118, v87
	s_waitcnt lgkmcnt(1)
	v_mfma_f32_32x32x16_fp8_fp8 v[48:63], v[70:71], v[116:117], v[48:63]
	s_and_saveexec_b64 s[10:11], vcc
	s_cbranch_execz .LBB95_22
; %bb.20:                               ;   in Loop: Header=BB95_13 Depth=2
	s_mov_b64 s[12:13], 0
.LBB95_21:                              ;   Parent Loop BB95_7 Depth=1
                                        ;     Parent Loop BB95_13 Depth=2
                                        ; =>    This Inner Loop Header: Depth=3
	;;#ASMSTART
	s_sleep 0
	;;#ASMEND
	ds_read_b32 v115, v112 offset:20492
	s_waitcnt lgkmcnt(0)
	v_cmp_eq_u32_e32 vcc, v115, v87
	s_or_b64 s[12:13], vcc, s[12:13]
	s_andn2_b64 exec, exec, s[12:13]
	s_cbranch_execnz .LBB95_21
.LBB95_22:                              ;   in Loop: Header=BB95_13 Depth=2
	s_or_b64 exec, exec, s[10:11]
	v_add_u32_e32 v115, 0x1000, v114
	ds_read2_b32 v[116:117], v115 offset1:32
	s_waitcnt lgkmcnt(0)
	v_mfma_f32_32x32x16_fp8_fp8 v[32:47], v[84:85], v[116:117], v[32:47]
	ds_read2_b32 v[116:117], v115 offset0:128 offset1:160
	v_add_u32_e32 v115, 0x1400, v114
	s_waitcnt lgkmcnt(0)
	v_mfma_f32_32x32x16_fp8_fp8 v[32:47], v[82:83], v[116:117], v[32:47]
	ds_read2_b32 v[116:117], v115 offset1:32
	s_waitcnt lgkmcnt(0)
	v_mfma_f32_32x32x16_fp8_fp8 v[32:47], v[80:81], v[116:117], v[32:47]
	ds_read2_b32 v[116:117], v115 offset0:128 offset1:160
	v_add_u32_e32 v115, 0x1800, v114
	s_waitcnt lgkmcnt(0)
	v_mfma_f32_32x32x16_fp8_fp8 v[32:47], v[78:79], v[116:117], v[32:47]
	;; [unrolled: 7-line block ×3, first 2 shown]
	ds_read2_b32 v[116:117], v115 offset1:32
	s_waitcnt lgkmcnt(0)
	v_mfma_f32_32x32x16_fp8_fp8 v[32:47], v[72:73], v[116:117], v[32:47]
	ds_read_b32 v118, v112 offset:20500
	ds_read2_b32 v[116:117], v115 offset0:128 offset1:160
	ds_write_b32 v112, v113 offset:20492
	s_waitcnt lgkmcnt(2)
	v_cmp_ne_u32_e32 vcc, v118, v87
	s_waitcnt lgkmcnt(1)
	v_mfma_f32_32x32x16_fp8_fp8 v[32:47], v[70:71], v[116:117], v[32:47]
	s_and_saveexec_b64 s[10:11], vcc
	s_cbranch_execz .LBB95_25
; %bb.23:                               ;   in Loop: Header=BB95_13 Depth=2
	s_mov_b64 s[12:13], 0
.LBB95_24:                              ;   Parent Loop BB95_7 Depth=1
                                        ;     Parent Loop BB95_13 Depth=2
                                        ; =>    This Inner Loop Header: Depth=3
	;;#ASMSTART
	s_sleep 0
	;;#ASMEND
	ds_read_b32 v115, v112 offset:20500
	s_waitcnt lgkmcnt(0)
	v_cmp_eq_u32_e32 vcc, v115, v87
	s_or_b64 s[12:13], vcc, s[12:13]
	s_andn2_b64 exec, exec, s[12:13]
	s_cbranch_execnz .LBB95_24
.LBB95_25:                              ;   in Loop: Header=BB95_13 Depth=2
	s_or_b64 exec, exec, s[10:11]
	v_add_u32_e32 v115, 0x2000, v114
	ds_read2_b32 v[116:117], v115 offset1:32
	s_waitcnt lgkmcnt(0)
	v_mfma_f32_32x32x16_fp8_fp8 v[16:31], v[84:85], v[116:117], v[16:31]
	ds_read2_b32 v[116:117], v115 offset0:128 offset1:160
	v_add_u32_e32 v115, 0x2400, v114
	s_waitcnt lgkmcnt(0)
	v_mfma_f32_32x32x16_fp8_fp8 v[16:31], v[82:83], v[116:117], v[16:31]
	ds_read2_b32 v[116:117], v115 offset1:32
	s_waitcnt lgkmcnt(0)
	v_mfma_f32_32x32x16_fp8_fp8 v[16:31], v[80:81], v[116:117], v[16:31]
	ds_read2_b32 v[116:117], v115 offset0:128 offset1:160
	v_add_u32_e32 v115, 0x2800, v114
	s_waitcnt lgkmcnt(0)
	v_mfma_f32_32x32x16_fp8_fp8 v[16:31], v[78:79], v[116:117], v[16:31]
	;; [unrolled: 7-line block ×3, first 2 shown]
	ds_read2_b32 v[116:117], v115 offset1:32
	s_waitcnt lgkmcnt(0)
	v_mfma_f32_32x32x16_fp8_fp8 v[16:31], v[72:73], v[116:117], v[16:31]
	ds_read_b32 v118, v112 offset:20508
	ds_read2_b32 v[116:117], v115 offset0:128 offset1:160
	ds_write_b32 v112, v113 offset:20500
	s_waitcnt lgkmcnt(2)
	v_cmp_ne_u32_e32 vcc, v118, v87
	s_waitcnt lgkmcnt(1)
	v_mfma_f32_32x32x16_fp8_fp8 v[16:31], v[70:71], v[116:117], v[16:31]
	s_and_saveexec_b64 s[10:11], vcc
	s_cbranch_execz .LBB95_12
; %bb.26:                               ;   in Loop: Header=BB95_13 Depth=2
	s_mov_b64 s[12:13], 0
.LBB95_27:                              ;   Parent Loop BB95_7 Depth=1
                                        ;     Parent Loop BB95_13 Depth=2
                                        ; =>    This Inner Loop Header: Depth=3
	;;#ASMSTART
	s_sleep 0
	;;#ASMEND
	ds_read_b32 v115, v112 offset:20508
	s_waitcnt lgkmcnt(0)
	v_cmp_eq_u32_e32 vcc, v115, v87
	s_or_b64 s[12:13], vcc, s[12:13]
	s_andn2_b64 exec, exec, s[12:13]
	s_cbranch_execnz .LBB95_27
	s_branch .LBB95_12
.LBB95_28:                              ;   in Loop: Header=BB95_7 Depth=1
	s_or_b64 exec, exec, s[8:9]
.LBB95_29:                              ;   in Loop: Header=BB95_7 Depth=1
	v_writelane_b32 v127, s71, 25
	v_writelane_b32 v127, s46, 26
	s_or_b64 exec, exec, s[6:7]
	v_cmp_le_i32_e32 vcc, s70, v88
	v_cmp_eq_u32_e64 s[64:65], 1, v91
	v_cmp_eq_u32_e64 s[36:37], 2, v91
	s_waitcnt vmcnt(0)
	v_cndmask_b32_e32 v70, 0, v110, vcc
	v_pk_mul_f32 v[48:49], v[70:71], v[48:49] op_sel_hi:[0,1]
	v_pk_mul_f32 v[62:63], v[70:71], v[62:63] op_sel_hi:[0,1]
	v_pk_mul_f32 v[60:61], v[70:71], v[60:61] op_sel_hi:[0,1]
	v_pk_mul_f32 v[58:59], v[70:71], v[58:59] op_sel_hi:[0,1]
	v_pk_mul_f32 v[56:57], v[70:71], v[56:57] op_sel_hi:[0,1]
	v_pk_mul_f32 v[54:55], v[70:71], v[54:55] op_sel_hi:[0,1]
	v_pk_mul_f32 v[52:53], v[70:71], v[52:53] op_sel_hi:[0,1]
	v_pk_mul_f32 v[50:51], v[70:71], v[50:51] op_sel_hi:[0,1]
	v_cndmask_b32_e64 v70, v48, v49, s[64:65]
	v_cndmask_b32_e64 v70, v70, v50, s[36:37]
	v_cmp_eq_u32_e64 s[40:41], 3, v91
	v_cmp_eq_u32_e64 s[42:43], 4, v91
	v_cmp_eq_u32_e64 s[44:45], 5, v91
	v_cndmask_b32_e64 v70, v70, v51, s[40:41]
	v_cndmask_b32_e64 v70, v70, v52, s[42:43]
	v_cndmask_b32_e64 v70, v70, v53, s[44:45]
	v_cmp_eq_u32_e64 s[46:47], 6, v91
	v_cmp_eq_u32_e64 s[48:49], 7, v91
	v_cmp_eq_u32_e64 s[50:51], 8, v91
	v_cndmask_b32_e64 v70, v70, v54, s[46:47]
	;; [unrolled: 6-line block ×4, first 2 shown]
	v_cndmask_b32_e64 v70, v70, v61, s[60:61]
	v_cndmask_b32_e64 v70, v70, v62, s[62:63]
	v_cmp_eq_u32_e64 s[66:67], 15, v91
	s_mul_i32 s6, s96, s21
	s_ashr_i32 s7, s6, 31
	v_cndmask_b32_e64 v70, v70, v63, s[66:67]
	ds_bpermute_b32 v70, v108, v70
	s_lshl_b64 s[6:7], s[6:7], 1
	v_cmp_eq_u32_e64 s[34:35], 0, v91
	s_add_u32 s68, s76, s6
	v_cmp_eq_u32_e32 vcc, 1, v92
	s_waitcnt lgkmcnt(0)
	v_cndmask_b32_e64 v63, v63, v70, s[66:67]
	v_cndmask_b32_e64 v62, v62, v70, s[62:63]
	;; [unrolled: 1-line block ×16, first 2 shown]
	s_addc_u32 s69, s77, s7
	v_cndmask_b32_e32 v48, v70, v79, vcc
	v_cmp_eq_u32_e64 s[6:7], 2, v92
	v_cmp_eq_u32_e64 s[8:9], 3, v92
	;; [unrolled: 1-line block ×3, first 2 shown]
	v_cndmask_b32_e64 v48, v48, v78, s[6:7]
	v_cndmask_b32_e64 v48, v48, v77, s[8:9]
	;; [unrolled: 1-line block ×3, first 2 shown]
	v_cmp_eq_u32_e64 s[12:13], 5, v92
	v_cmp_eq_u32_e64 s[14:15], 6, v92
	;; [unrolled: 1-line block ×3, first 2 shown]
	v_cndmask_b32_e64 v48, v48, v75, s[12:13]
	v_cndmask_b32_e64 v48, v48, v74, s[14:15]
	v_cndmask_b32_e64 v48, v48, v73, s[16:17]
	v_cmp_eq_u32_e64 s[18:19], 8, v92
	v_cmp_eq_u32_e64 s[74:75], 9, v92
	;; [unrolled: 1-line block ×3, first 2 shown]
	v_cndmask_b32_e64 v48, v48, v56, s[18:19]
	v_cndmask_b32_e64 v48, v48, v57, s[74:75]
	s_ashr_i32 s1, s0, 31
	v_cndmask_b32_e64 v48, v48, v58, s[76:77]
	v_cmp_eq_u32_e64 s[78:79], 11, v92
	s_lshl_b64 s[38:39], s[0:1], 1
	v_cmp_eq_u32_e64 s[80:81], 12, v92
	v_cndmask_b32_e64 v48, v48, v59, s[78:79]
	s_add_u32 s38, s68, s38
	v_cndmask_b32_e64 v48, v48, v60, s[80:81]
	v_cmp_eq_u32_e64 s[28:29], 13, v92
	s_addc_u32 s39, s69, s39
	v_cmp_eq_u32_e64 s[30:31], 14, v92
	v_cndmask_b32_e64 v48, v48, v61, s[28:29]
	v_writelane_b32 v127, s38, 27
	v_cndmask_b32_e64 v48, v48, v62, s[30:31]
	v_or_b32_e32 v68, 64, v88
	v_writelane_b32 v127, s39, 28
	v_cmp_eq_u32_e64 s[38:39], 15, v92
	v_cmp_eq_u32_e64 s[72:73], 9, v93
	;; [unrolled: 1-line block ×3, first 2 shown]
	v_cndmask_b32_e64 v48, v48, v63, s[38:39]
	ds_bpermute_b32 v71, v108, v48
	v_or_b32_e32 v48, 32, v88
	v_cmp_le_i32_e64 s[68:69], s70, v48
	v_cmp_eq_u32_e64 s[86:87], 6, v94
	v_cmp_eq_u32_e64 s[90:91], 7, v94
	v_cndmask_b32_e64 v48, 0, v110, s[68:69]
	v_cmp_le_i32_e64 s[68:69], s70, v68
	v_or_b32_e32 v68, 0x60, v88
	s_waitcnt lgkmcnt(0)
	v_cndmask_b32_e64 v54, v58, v71, s[76:77]
	v_cndmask_b32_e64 v58, v74, v71, s[14:15]
	;; [unrolled: 1-line block ×3, first 2 shown]
	v_cmp_le_i32_e64 s[68:69], s70, v68
	v_cndmask_b32_e64 v49, v63, v71, s[38:39]
	v_pk_mul_f32 v[30:31], v[74:75], v[30:31] op_sel_hi:[0,1]
	v_pk_mul_f32 v[28:29], v[74:75], v[28:29] op_sel_hi:[0,1]
	;; [unrolled: 1-line block ×8, first 2 shown]
	v_cndmask_b32_e64 v74, 0, v110, s[68:69]
	v_pk_mul_f32 v[32:33], v[48:49], v[32:33] op_sel_hi:[0,1]
	v_cmp_eq_u32_e64 s[68:69], 0, v92
	v_pk_mul_f32 v[0:1], v[74:75], v[0:1] op_sel_hi:[0,1]
	v_cndmask_b32_e64 v50, v62, v71, s[30:31]
	v_cndmask_b32_e64 v51, v61, v71, s[28:29]
	v_cndmask_b32_e64 v52, v60, v71, s[80:81]
	v_cndmask_b32_e64 v53, v59, v71, s[78:79]
	v_cndmask_b32_e64 v55, v57, v71, s[74:75]
	v_cndmask_b32_e64 v56, v56, v71, s[18:19]
	v_cndmask_b32_e64 v57, v73, v71, s[16:17]
	v_cndmask_b32_e64 v59, v75, v71, s[12:13]
	v_cndmask_b32_e64 v60, v76, v71, s[10:11]
	v_cndmask_b32_e64 v61, v77, v71, s[8:9]
	v_cndmask_b32_e64 v62, v78, v71, s[6:7]
	v_cndmask_b32_e32 v63, v79, v71, vcc
	v_pk_mul_f32 v[46:47], v[48:49], v[46:47] op_sel_hi:[0,1]
	v_pk_mul_f32 v[44:45], v[48:49], v[44:45] op_sel_hi:[0,1]
	;; [unrolled: 1-line block ×7, first 2 shown]
	v_cndmask_b32_e64 v48, v32, v33, s[64:65]
	v_cndmask_b32_e64 v73, v16, v17, s[64:65]
	v_cndmask_b32_e64 v70, v70, v71, s[68:69]
	v_pk_mul_f32 v[2:3], v[74:75], v[2:3] op_sel_hi:[0,1]
	v_cndmask_b32_e64 v71, v0, v1, s[64:65]
	v_cndmask_b32_e64 v48, v48, v34, s[36:37]
	v_cndmask_b32_e64 v73, v73, v18, s[36:37]
	v_cndmask_b32_e64 v71, v71, v2, s[36:37]
	v_cndmask_b32_e64 v48, v48, v35, s[40:41]
	v_cndmask_b32_e64 v73, v73, v19, s[40:41]
	v_pk_mul_f32 v[4:5], v[74:75], v[4:5] op_sel_hi:[0,1]
	v_cndmask_b32_e64 v71, v71, v3, s[40:41]
	v_cndmask_b32_e64 v48, v48, v36, s[42:43]
	v_cndmask_b32_e64 v73, v73, v20, s[42:43]
	;; [unrolled: 7-line block ×7, first 2 shown]
	v_cndmask_b32_e64 v71, v71, v14, s[62:63]
	v_cndmask_b32_e64 v48, v48, v47, s[66:67]
	;; [unrolled: 1-line block ×4, first 2 shown]
	ds_bpermute_b32 v48, v108, v48
	ds_bpermute_b32 v73, v108, v73
	;; [unrolled: 1-line block ×3, first 2 shown]
	v_cmp_eq_u32_e64 s[70:71], 7, v93
	v_cmp_eq_u32_e64 s[84:85], 13, v95
	s_waitcnt lgkmcnt(2)
	v_cndmask_b32_e64 v34, v34, v48, s[36:37]
	s_waitcnt lgkmcnt(1)
	v_cndmask_b32_e64 v18, v18, v73, s[36:37]
	s_waitcnt lgkmcnt(0)
	v_cndmask_b32_e64 v2, v2, v71, s[36:37]
	v_cmp_ne_u32_e64 s[36:37], 0, v91
	v_cndmask_b32_e64 v33, v33, v48, s[64:65]
	v_cndmask_b32_e64 v17, v17, v73, s[64:65]
	v_cmp_eq_u32_e64 s[64:65], 1, v93
	v_cndmask_b32_e64 v1, v1, v71, s[36:37]
	v_cndmask_b32_e64 v32, v32, v48, s[34:35]
	;; [unrolled: 1-line block ×8, first 2 shown]
	v_cmp_eq_u32_e64 s[66:67], 2, v93
	v_cndmask_b32_e64 v46, v46, v48, s[62:63]
	v_cndmask_b32_e64 v30, v30, v73, s[62:63]
	;; [unrolled: 1-line block ×36, first 2 shown]
	v_cndmask_b32_e32 v48, v32, v33, vcc
	v_cndmask_b32_e32 v73, v16, v17, vcc
	;; [unrolled: 1-line block ×3, first 2 shown]
	v_cndmask_b32_e64 v74, v74, v62, s[66:67]
	v_cmp_eq_u32_e64 s[62:63], 3, v93
	v_cndmask_b32_e64 v48, v48, v34, s[6:7]
	v_cndmask_b32_e64 v73, v73, v18, s[6:7]
	v_cndmask_b32_e64 v71, v71, v2, s[6:7]
	v_cndmask_b32_e64 v74, v74, v61, s[62:63]
	v_cmp_eq_u32_e64 s[60:61], 4, v93
	v_cndmask_b32_e64 v48, v48, v35, s[8:9]
	v_cndmask_b32_e64 v73, v73, v19, s[8:9]
	v_cndmask_b32_e64 v71, v71, v3, s[8:9]
	;; [unrolled: 5-line block ×4, first 2 shown]
	v_cndmask_b32_e64 v74, v74, v58, s[56:57]
	v_cndmask_b32_e64 v48, v48, v38, s[14:15]
	v_cndmask_b32_e64 v73, v73, v22, s[14:15]
	v_cndmask_b32_e64 v71, v71, v6, s[14:15]
	v_cndmask_b32_e64 v74, v74, v57, s[70:71]
	v_cmp_eq_u32_e64 s[52:53], 8, v93
	v_cndmask_b32_e64 v48, v48, v39, s[16:17]
	v_cndmask_b32_e64 v73, v73, v23, s[16:17]
	;; [unrolled: 1-line block ×8, first 2 shown]
	v_cmp_eq_u32_e64 s[48:49], 10, v93
	v_cndmask_b32_e64 v48, v48, v41, s[74:75]
	v_cndmask_b32_e64 v73, v73, v25, s[74:75]
	v_cndmask_b32_e64 v71, v71, v9, s[74:75]
	v_cndmask_b32_e64 v74, v74, v54, s[48:49]
	v_cmp_eq_u32_e64 s[50:51], 11, v93
	v_cndmask_b32_e64 v48, v48, v42, s[76:77]
	v_cndmask_b32_e64 v73, v73, v26, s[76:77]
	v_cndmask_b32_e64 v71, v71, v10, s[76:77]
	v_cndmask_b32_e64 v74, v74, v53, s[50:51]
	;; [unrolled: 5-line block ×6, first 2 shown]
	v_cndmask_b32_e64 v48, v48, v47, s[38:39]
	v_cndmask_b32_e64 v73, v73, v31, s[38:39]
	;; [unrolled: 1-line block ×3, first 2 shown]
	ds_bpermute_b32 v74, v108, v74
	ds_bpermute_b32 v48, v108, v48
	;; [unrolled: 1-line block ×4, first 2 shown]
	v_cmp_eq_u32_e64 s[46:47], 0, v93
	s_waitcnt lgkmcnt(3)
	v_cndmask_b32_e64 v63, v63, v74, s[64:65]
	v_cmp_eq_u32_e64 s[34:35], 1, v94
	v_cndmask_b32_e64 v70, v70, v74, s[46:47]
	s_waitcnt lgkmcnt(2)
	v_cndmask_b32_e32 v33, v33, v48, vcc
	s_waitcnt lgkmcnt(1)
	v_cndmask_b32_e32 v17, v17, v73, vcc
	;; [unrolled: 2-line block ×3, first 2 shown]
	v_cndmask_b32_e64 v32, v32, v48, s[68:69]
	v_cndmask_b32_e64 v16, v16, v73, s[68:69]
	;; [unrolled: 1-line block ×24, first 2 shown]
	v_cmp_eq_u32_e64 s[38:39], 2, v94
	v_cndmask_b32_e64 v45, v45, v48, s[28:29]
	v_cndmask_b32_e64 v29, v29, v73, s[28:29]
	;; [unrolled: 1-line block ×40, first 2 shown]
	v_cmp_eq_u32_e64 s[28:29], 3, v94
	v_cndmask_b32_e64 v48, v48, v34, s[66:67]
	v_cndmask_b32_e64 v73, v73, v18, s[66:67]
	v_cndmask_b32_e64 v71, v71, v2, s[66:67]
	v_cndmask_b32_e64 v74, v74, v61, s[28:29]
	v_cndmask_b32_e64 v48, v48, v35, s[62:63]
	v_cndmask_b32_e64 v73, v73, v19, s[62:63]
	v_cndmask_b32_e64 v71, v71, v3, s[62:63]
	v_cndmask_b32_e64 v74, v74, v60, s[82:83]
	v_cmp_eq_u32_e64 s[78:79], 5, v94
	v_cndmask_b32_e64 v48, v48, v36, s[60:61]
	v_cndmask_b32_e64 v73, v73, v20, s[60:61]
	;; [unrolled: 1-line block ×12, first 2 shown]
	v_cmp_eq_u32_e64 s[18:19], 8, v94
	v_cndmask_b32_e64 v48, v48, v39, s[70:71]
	v_cndmask_b32_e64 v73, v73, v23, s[70:71]
	v_cndmask_b32_e64 v71, v71, v7, s[70:71]
	v_cndmask_b32_e64 v74, v74, v56, s[18:19]
	v_cmp_eq_u32_e64 s[16:17], 9, v94
	v_cndmask_b32_e64 v48, v48, v40, s[52:53]
	v_cndmask_b32_e64 v73, v73, v24, s[52:53]
	v_cndmask_b32_e64 v71, v71, v8, s[52:53]
	v_cndmask_b32_e64 v74, v74, v55, s[16:17]
	;; [unrolled: 5-line block ×7, first 2 shown]
	v_cmp_eq_u32_e32 vcc, 15, v94
	v_cndmask_b32_e64 v48, v48, v46, s[40:41]
	v_cndmask_b32_e64 v73, v73, v30, s[40:41]
	;; [unrolled: 1-line block ×3, first 2 shown]
	v_cndmask_b32_e32 v74, v74, v49, vcc
	v_cndmask_b32_e64 v48, v48, v47, s[36:37]
	v_cndmask_b32_e64 v73, v73, v31, s[36:37]
	;; [unrolled: 1-line block ×3, first 2 shown]
	ds_bpermute_b32 v74, v108, v74
	ds_bpermute_b32 v48, v108, v48
	;; [unrolled: 1-line block ×4, first 2 shown]
	v_cmp_eq_u32_e64 s[8:9], 0, v94
	s_waitcnt lgkmcnt(3)
	v_cndmask_b32_e64 v63, v63, v74, s[34:35]
	s_waitcnt lgkmcnt(2)
	v_cndmask_b32_e64 v47, v47, v48, s[36:37]
	v_cndmask_b32_e64 v70, v70, v74, s[8:9]
	s_waitcnt lgkmcnt(1)
	v_cndmask_b32_e64 v31, v31, v73, s[36:37]
	s_waitcnt lgkmcnt(0)
	v_cndmask_b32_e64 v15, v15, v71, s[36:37]
	v_cmp_eq_u32_e64 s[36:37], 1, v95
	v_cndmask_b32_e64 v33, v33, v48, s[64:65]
	v_cndmask_b32_e64 v17, v17, v73, s[64:65]
	;; [unrolled: 1-line block ×6, first 2 shown]
	v_cndmask_b32_e32 v49, v49, v74, vcc
	v_cndmask_b32_e64 v50, v50, v74, s[6:7]
	v_cndmask_b32_e64 v51, v51, v74, s[30:31]
	;; [unrolled: 1-line block ×17, first 2 shown]
	v_cmp_eq_u32_e64 s[40:41], 2, v95
	v_cndmask_b32_e64 v45, v45, v48, s[42:43]
	v_cndmask_b32_e64 v29, v29, v73, s[42:43]
	;; [unrolled: 1-line block ×40, first 2 shown]
	v_cmp_eq_u32_e64 s[42:43], 3, v95
	v_cndmask_b32_e64 v48, v48, v34, s[38:39]
	v_cndmask_b32_e64 v73, v73, v18, s[38:39]
	v_cndmask_b32_e64 v71, v71, v2, s[38:39]
	v_cndmask_b32_e64 v74, v74, v61, s[42:43]
	v_cmp_eq_u32_e64 s[44:45], 4, v95
	v_cndmask_b32_e64 v48, v48, v35, s[28:29]
	v_cndmask_b32_e64 v73, v73, v19, s[28:29]
	v_cndmask_b32_e64 v71, v71, v3, s[28:29]
	v_cndmask_b32_e64 v74, v74, v60, s[44:45]
	;; [unrolled: 5-line block ×10, first 2 shown]
	v_cndmask_b32_e64 v48, v48, v44, s[10:11]
	v_cndmask_b32_e64 v73, v73, v28, s[10:11]
	;; [unrolled: 1-line block ×4, first 2 shown]
	v_cmp_eq_u32_e64 s[88:89], 14, v95
	v_cndmask_b32_e64 v48, v48, v45, s[30:31]
	v_cndmask_b32_e64 v73, v73, v29, s[30:31]
	;; [unrolled: 1-line block ×4, first 2 shown]
	v_cmp_eq_u32_e64 s[92:93], 15, v95
	v_cndmask_b32_e64 v48, v48, v46, s[6:7]
	v_cndmask_b32_e64 v73, v73, v30, s[6:7]
	;; [unrolled: 1-line block ×4, first 2 shown]
	v_cndmask_b32_e32 v48, v48, v47, vcc
	v_cndmask_b32_e32 v73, v73, v31, vcc
	;; [unrolled: 1-line block ×3, first 2 shown]
	ds_bpermute_b32 v74, v108, v74
	ds_bpermute_b32 v48, v108, v48
	;; [unrolled: 1-line block ×4, first 2 shown]
	v_cmp_eq_u32_e64 s[60:61], 0, v95
	s_waitcnt lgkmcnt(3)
	v_cndmask_b32_e64 v63, v63, v74, s[36:37]
	s_waitcnt lgkmcnt(2)
	v_cndmask_b32_e32 v47, v47, v48, vcc
	v_cndmask_b32_e64 v70, v70, v74, s[60:61]
	s_waitcnt lgkmcnt(1)
	v_cndmask_b32_e32 v31, v31, v73, vcc
	s_waitcnt lgkmcnt(0)
	v_cndmask_b32_e32 v15, v15, v71, vcc
	v_cmp_eq_u32_e32 vcc, 1, v96
	v_cndmask_b32_e64 v49, v49, v74, s[92:93]
	v_cndmask_b32_e64 v50, v50, v74, s[88:89]
	;; [unrolled: 1-line block ×14, first 2 shown]
	v_cndmask_b32_e32 v74, v70, v63, vcc
	v_cndmask_b32_e64 v46, v46, v48, s[6:7]
	v_cndmask_b32_e64 v30, v30, v73, s[6:7]
	;; [unrolled: 1-line block ×3, first 2 shown]
	v_cmp_eq_u32_e64 s[6:7], 2, v96
	v_cndmask_b32_e64 v1, v1, v71, s[34:35]
	v_cndmask_b32_e64 v0, v0, v71, s[8:9]
	;; [unrolled: 1-line block ×6, first 2 shown]
	v_cmp_eq_u32_e64 s[30:31], 3, v96
	v_cndmask_b32_e64 v12, v12, v71, s[10:11]
	v_cndmask_b32_e64 v11, v11, v71, s[12:13]
	;; [unrolled: 1-line block ×13, first 2 shown]
	v_cmp_eq_u32_e64 s[46:47], 4, v96
	v_cndmask_b32_e64 v71, v71, v2, s[40:41]
	v_cmp_eq_u32_e64 s[52:53], 5, v96
	v_cndmask_b32_e64 v74, v74, v60, s[46:47]
	v_cndmask_b32_e64 v71, v71, v3, s[42:43]
	;; [unrolled: 1-line block ×3, first 2 shown]
	v_cmp_eq_u32_e64 s[58:59], 6, v96
	v_cndmask_b32_e64 v71, v71, v4, s[44:45]
	v_cmp_eq_u32_e64 s[64:65], 7, v96
	v_cndmask_b32_e64 v74, v74, v58, s[58:59]
	v_cndmask_b32_e64 v33, v33, v48, s[34:35]
	;; [unrolled: 1-line block ×17, first 2 shown]
	v_cmp_eq_u32_e64 s[70:71], 8, v96
	v_cndmask_b32_e64 v39, v39, v48, s[90:91]
	v_cndmask_b32_e64 v23, v23, v73, s[90:91]
	v_cndmask_b32_e64 v38, v38, v48, s[86:87]
	v_cndmask_b32_e64 v22, v22, v73, s[86:87]
	v_cndmask_b32_e64 v37, v37, v48, s[78:79]
	v_cndmask_b32_e64 v21, v21, v73, s[78:79]
	v_cndmask_b32_e64 v36, v36, v48, s[82:83]
	v_cndmask_b32_e64 v20, v20, v73, s[82:83]
	v_cndmask_b32_e64 v35, v35, v48, s[28:29]
	v_cndmask_b32_e64 v19, v19, v73, s[28:29]
	v_cndmask_b32_e64 v34, v34, v48, s[38:39]
	v_cndmask_b32_e64 v18, v18, v73, s[38:39]
	v_cndmask_b32_e64 v48, v32, v33, s[36:37]
	v_cndmask_b32_e64 v73, v16, v17, s[36:37]
	v_cndmask_b32_e64 v71, v71, v6, s[54:55]
	v_cndmask_b32_e64 v74, v74, v56, s[70:71]
	v_cmp_eq_u32_e64 s[66:67], 9, v96
	v_cndmask_b32_e64 v48, v48, v34, s[40:41]
	v_cndmask_b32_e64 v73, v73, v18, s[40:41]
	v_cndmask_b32_e64 v71, v71, v7, s[68:69]
	v_cndmask_b32_e64 v74, v74, v55, s[66:67]
	v_cmp_eq_u32_e64 s[62:63], 10, v96
	v_cndmask_b32_e64 v48, v48, v35, s[42:43]
	v_cndmask_b32_e64 v73, v73, v19, s[42:43]
	v_cndmask_b32_e64 v71, v71, v8, s[72:73]
	v_cndmask_b32_e64 v74, v74, v54, s[62:63]
	;; [unrolled: 5-line block ×7, first 2 shown]
	v_cndmask_b32_e64 v48, v48, v41, s[74:75]
	v_cndmask_b32_e64 v73, v73, v25, s[74:75]
	;; [unrolled: 1-line block ×3, first 2 shown]
	ds_bpermute_b32 v74, v108, v74
	v_cndmask_b32_e64 v48, v48, v42, s[56:57]
	v_cndmask_b32_e64 v73, v73, v26, s[56:57]
	;; [unrolled: 1-line block ×5, first 2 shown]
	ds_bpermute_b32 v71, v108, v71
	v_cndmask_b32_e64 v48, v48, v44, s[80:81]
	v_cndmask_b32_e64 v73, v73, v28, s[80:81]
	v_cndmask_b32_e64 v48, v48, v45, s[84:85]
	v_cndmask_b32_e64 v73, v73, v29, s[84:85]
	v_cndmask_b32_e64 v48, v48, v46, s[88:89]
	v_cndmask_b32_e64 v73, v73, v30, s[88:89]
	v_cmp_eq_u32_e64 s[48:49], 0, v96
	s_waitcnt lgkmcnt(1)
	v_cndmask_b32_e32 v63, v63, v74, vcc
	v_cndmask_b32_e64 v48, v48, v47, s[92:93]
	v_cndmask_b32_e64 v73, v73, v31, s[92:93]
	;; [unrolled: 1-line block ×3, first 2 shown]
	v_cmp_eq_u32_e64 s[8:9], 1, v97
	v_cndmask_b32_e64 v49, v49, v74, s[94:95]
	v_cndmask_b32_e64 v50, v50, v74, s[90:91]
	;; [unrolled: 1-line block ×14, first 2 shown]
	ds_bpermute_b32 v48, v108, v48
	ds_bpermute_b32 v73, v108, v73
	s_waitcnt lgkmcnt(2)
	v_cndmask_b32_e64 v74, v15, v71, s[92:93]
	v_cndmask_b32_e64 v15, v70, v63, s[8:9]
	v_cmp_eq_u32_e64 s[10:11], 2, v97
	v_cndmask_b32_e64 v77, v14, v71, s[88:89]
	v_cmp_eq_u32_e64 s[12:13], 3, v97
	v_cndmask_b32_e64 v14, v15, v62, s[10:11]
	v_cndmask_b32_e64 v79, v13, v71, s[84:85]
	;; [unrolled: 1-line block ×3, first 2 shown]
	v_cmp_eq_u32_e64 s[14:15], 4, v97
	v_cndmask_b32_e64 v82, v12, v71, s[80:81]
	v_cmp_eq_u32_e64 s[16:17], 5, v97
	v_cndmask_b32_e64 v12, v13, v60, s[14:15]
	v_cndmask_b32_e64 v84, v11, v71, s[76:77]
	;; [unrolled: 1-line block ×3, first 2 shown]
	v_cmp_eq_u32_e64 s[18:19], 6, v97
	v_cndmask_b32_e64 v110, v10, v71, s[56:57]
	s_waitcnt lgkmcnt(1)
	v_cndmask_b32_e64 v41, v41, v48, s[74:75]
	v_cndmask_b32_e64 v10, v11, v58, s[18:19]
	s_waitcnt lgkmcnt(0)
	v_cndmask_b32_e64 v111, v25, v73, s[74:75]
	v_cndmask_b32_e64 v112, v9, v71, s[74:75]
	v_cmp_eq_u32_e64 s[74:75], 7, v97
	v_cndmask_b32_e64 v40, v40, v48, s[72:73]
	v_cndmask_b32_e64 v113, v24, v73, s[72:73]
	;; [unrolled: 1-line block ×4, first 2 shown]
	v_cmp_eq_u32_e64 s[72:73], 8, v97
	v_cndmask_b32_e64 v43, v43, v48, s[76:77]
	v_cndmask_b32_e64 v83, v27, v73, s[76:77]
	;; [unrolled: 1-line block ×3, first 2 shown]
	v_cmp_eq_u32_e64 s[76:77], 9, v97
	v_cndmask_b32_e64 v80, v44, v48, s[80:81]
	v_cndmask_b32_e64 v81, v28, v73, s[80:81]
	;; [unrolled: 1-line block ×4, first 2 shown]
	v_cmp_eq_u32_e64 s[80:81], 10, v97
	v_cndmask_b32_e64 v120, v6, v71, s[54:55]
	v_cmp_eq_u32_e64 s[28:29], 11, v97
	v_cndmask_b32_e64 v6, v7, v54, s[80:81]
	v_cndmask_b32_e64 v123, v5, v71, s[50:51]
	;; [unrolled: 1-line block ×3, first 2 shown]
	v_cmp_eq_u32_e64 s[34:35], 12, v97
	v_cndmask_b32_e64 v126, v4, v71, s[44:45]
	v_cmp_eq_u32_e64 s[38:39], 13, v97
	v_cndmask_b32_e64 v4, v5, v52, s[34:35]
	v_cndmask_b32_e64 v75, v46, v48, s[88:89]
	;; [unrolled: 1-line block ×7, first 2 shown]
	v_cmp_eq_u32_e64 s[40:41], 14, v97
	v_cndmask_b32_e64 v5, v17, v73, s[36:37]
	v_cndmask_b32_e64 v6, v1, v71, s[36:37]
	v_cndmask_b32_e64 v2, v4, v50, s[40:41]
	v_cndmask_b32_e64 v4, v33, v48, s[36:37]
	v_cndmask_b32_e64 v12, v32, v48, s[60:61]
	v_cndmask_b32_e64 v14, v16, v73, s[60:61]
	v_cndmask_b32_e64 v44, v0, v71, s[60:61]
	v_cndmask_b32_e32 v13, v12, v4, vcc
	v_cndmask_b32_e32 v15, v14, v5, vcc
	;; [unrolled: 1-line block ×3, first 2 shown]
	v_cndmask_b32_e64 v99, v35, v48, s[42:43]
	v_cndmask_b32_e64 v100, v19, v73, s[42:43]
	;; [unrolled: 1-line block ×33, first 2 shown]
	v_cmp_eq_u32_e64 s[56:57], 15, v97
	v_cndmask_b32_e64 v13, v13, v41, s[66:67]
	v_cndmask_b32_e64 v15, v15, v111, s[66:67]
	;; [unrolled: 1-line block ×7, first 2 shown]
	ds_bpermute_b32 v17, v108, v1
	v_cndmask_b32_e64 v13, v13, v43, s[78:79]
	v_cndmask_b32_e64 v15, v15, v83, s[78:79]
	;; [unrolled: 1-line block ×20, first 2 shown]
	v_cmp_eq_u32_e64 s[54:55], 0, v97
	s_waitcnt lgkmcnt(0)
	v_cndmask_b32_e64 v25, v56, v17, s[72:73]
	v_cndmask_b32_e64 v22, v63, v17, s[8:9]
	ds_bpermute_b32 v13, v108, v13
	ds_bpermute_b32 v15, v108, v15
	;; [unrolled: 1-line block ×3, first 2 shown]
	v_cndmask_b32_e64 v0, v70, v17, s[54:55]
	v_cmp_eq_u32_e64 s[36:37], 1, v98
	v_cndmask_b32_e64 v7, v49, v17, s[56:57]
	v_cndmask_b32_e64 v8, v50, v17, s[40:41]
	;; [unrolled: 1-line block ×14, first 2 shown]
	v_cmp_eq_u32_e64 s[42:43], 2, v98
	v_cmp_eq_u32_e64 s[44:45], 3, v98
	;; [unrolled: 1-line block ×3, first 2 shown]
	v_cndmask_b32_e64 v19, v17, v21, s[42:43]
	v_cndmask_b32_e64 v35, v19, v2, s[44:45]
	;; [unrolled: 1-line block ×3, first 2 shown]
	v_cmp_eq_u32_e64 s[60:61], 5, v98
	s_waitcnt lgkmcnt(2)
	v_cndmask_b32_e64 v57, v42, v13, s[62:63]
	s_waitcnt lgkmcnt(0)
	v_cndmask_b32_e64 v48, v110, v56, s[62:63]
	v_cndmask_b32_e64 v38, v37, v28, s[60:61]
	;; [unrolled: 1-line block ×3, first 2 shown]
	v_cmp_eq_u32_e64 s[62:63], 6, v98
	v_cndmask_b32_e64 v58, v41, v13, s[66:67]
	v_cndmask_b32_e64 v49, v112, v56, s[66:67]
	;; [unrolled: 1-line block ×4, first 2 shown]
	v_cmp_eq_u32_e64 s[66:67], 7, v98
	v_cmp_eq_u32_e64 s[68:69], 8, v98
	v_cndmask_b32_e64 v59, v40, v13, s[70:71]
	v_cndmask_b32_e64 v41, v39, v26, s[66:67]
	;; [unrolled: 1-line block ×6, first 2 shown]
	v_cmp_eq_u32_e64 s[64:65], 9, v98
	v_cndmask_b32_e64 v61, v118, v13, s[58:59]
	v_cndmask_b32_e64 v52, v120, v56, s[58:59]
	;; [unrolled: 1-line block ×4, first 2 shown]
	v_cmp_eq_u32_e64 s[58:59], 10, v98
	v_cndmask_b32_e64 v29, v47, v13, s[94:95]
	v_cndmask_b32_e64 v47, v43, v13, s[78:79]
	;; [unrolled: 1-line block ×6, first 2 shown]
	v_cmp_eq_u32_e64 s[52:53], 11, v98
	v_cndmask_b32_e64 v63, v124, v13, s[46:47]
	v_cndmask_b32_e64 v54, v126, v56, s[46:47]
	v_cndmask_b32_e64 v55, v43, v11, s[52:53]
	v_cndmask_b32_e64 v43, v125, v15, s[46:47]
	v_cmp_eq_u32_e64 s[46:47], 12, v98
	v_cndmask_b32_e64 v70, v99, v13, s[30:31]
	v_cndmask_b32_e64 v71, v100, v15, s[30:31]
	v_cndmask_b32_e64 v69, v55, v10, s[46:47]
	v_cndmask_b32_e64 v55, v101, v56, s[30:31]
	;; [unrolled: 5-line block ×3, first 2 shown]
	v_cmp_eq_u32_e64 s[6:7], 14, v98
	v_cndmask_b32_e64 v18, v74, v56, s[94:95]
	v_cndmask_b32_e64 v30, v75, v13, s[90:91]
	;; [unrolled: 1-line block ×3, first 2 shown]
	v_cndmask_b32_e32 v69, v4, v13, vcc
	v_cndmask_b32_e32 v74, v5, v15, vcc
	;; [unrolled: 1-line block ×3, first 2 shown]
	v_cmp_eq_u32_e32 vcc, 15, v98
	v_cndmask_b32_e64 v32, v77, v56, s[90:91]
	v_cndmask_b32_e64 v77, v12, v13, s[48:49]
	v_cndmask_b32_e32 v3, v3, v7, vcc
	v_cndmask_b32_e64 v16, v76, v15, s[90:91]
	ds_bpermute_b32 v76, v108, v3
	v_cndmask_b32_e64 v3, v77, v69, s[8:9]
	v_cndmask_b32_e64 v3, v3, v68, s[10:11]
	;; [unrolled: 1-line block ×16, first 2 shown]
	s_waitcnt lgkmcnt(0)
	v_cndmask_b32_e64 v6, v27, v76, s[62:63]
	v_cndmask_b32_e64 v3, v3, v45, s[34:35]
	v_cndmask_b32_e64 v27, v78, v74, s[8:9]
	v_cndmask_b32_e64 v3, v3, v31, s[38:39]
	v_cndmask_b32_e64 v27, v27, v46, s[10:11]
	v_cndmask_b32_e64 v3, v3, v30, s[40:41]
	v_cndmask_b32_e64 v27, v27, v71, s[12:13]
	v_cndmask_b32_e64 v3, v3, v29, s[56:57]
	v_cndmask_b32_e64 v27, v27, v43, s[14:15]
	v_cndmask_b32_e64 v12, v10, v76, s[46:47]
	v_cndmask_b32_e64 v10, v23, v76, s[58:59]
	ds_bpermute_b32 v23, v108, v3
	v_cndmask_b32_e64 v27, v27, v42, s[16:17]
	v_cndmask_b32_e64 v27, v27, v41, s[18:19]
	v_cndmask_b32_e64 v39, v113, v15, s[70:71]
	v_cndmask_b32_e64 v27, v27, v40, s[74:75]
	v_cndmask_b32_e64 v27, v27, v39, s[72:73]
	v_cndmask_b32_e64 v27, v27, v38, s[76:77]
	v_cndmask_b32_e64 v33, v79, v56, s[86:87]
	v_cndmask_b32_e64 v19, v81, v15, s[82:83]
	v_cndmask_b32_e64 v34, v82, v56, s[82:83]
	v_cndmask_b32_e64 v36, v83, v15, s[78:79]
	v_cndmask_b32_e64 v35, v84, v56, s[78:79]
	v_cndmask_b32_e64 v50, v114, v56, s[70:71]
	v_cndmask_b32_e64 v56, v44, v56, s[48:49]
	v_cndmask_b32_e32 v15, v7, v76, vcc
	v_cndmask_b32_e64 v7, v26, v76, s[66:67]
	s_waitcnt lgkmcnt(0)
	v_cndmask_b32_e64 v26, v47, v23, s[28:29]
	v_cndmask_b32_e64 v44, v57, v23, s[80:81]
	;; [unrolled: 1-line block ×36, first 2 shown]
	ds_bpermute_b32 v69, v108, v27
	v_cndmask_b32_e64 v27, v56, v75, s[8:9]
	v_cndmask_b32_e64 v23, v23, v57, s[66:67]
	;; [unrolled: 1-line block ×18, first 2 shown]
	v_cndmask_b32_e32 v23, v23, v21, vcc
	v_cndmask_b32_e64 v27, v27, v35, s[28:29]
	ds_bpermute_b32 v77, v108, v23
	v_cndmask_b32_e64 v27, v27, v34, s[34:35]
	v_cndmask_b32_e64 v27, v27, v33, s[38:39]
	;; [unrolled: 1-line block ×4, first 2 shown]
	v_cmp_eq_u32_e64 s[48:49], 0, v98
	v_cndmask_b32_e64 v11, v11, v76, s[52:53]
	v_cndmask_b32_e64 v5, v28, v76, s[60:61]
	ds_bpermute_b32 v70, v108, v27
	s_waitcnt lgkmcnt(2)
	v_cndmask_b32_e64 v79, v20, v69, s[56:57]
	v_cndmask_b32_e64 v0, v0, v76, s[48:49]
	s_waitcnt lgkmcnt(1)
	v_cndmask_b32_e32 v31, v21, v77, vcc
	v_cndmask_b32_e64 v30, v22, v77, s[6:7]
	v_cndmask_b32_e64 v28, v25, v77, s[46:47]
	;; [unrolled: 1-line block ×38, first 2 shown]
	v_cndmask_b32_e32 v16, v16, v79, vcc
	ds_bpermute_b32 v78, v108, v16
	s_waitcnt lgkmcnt(1)
	v_cndmask_b32_e64 v80, v18, v70, s[56:57]
	v_cndmask_b32_e64 v29, v24, v77, s[30:31]
	;; [unrolled: 1-line block ×7, first 2 shown]
	s_waitcnt lgkmcnt(0)
	v_cndmask_b32_e64 v46, v44, v78, s[6:7]
	v_cndmask_b32_e64 v44, v57, v78, s[46:47]
	;; [unrolled: 1-line block ×37, first 2 shown]
	v_cndmask_b32_e32 v32, v32, v80, vcc
	v_cndmask_b32_e32 v47, v79, v78, vcc
	ds_bpermute_b32 v79, v108, v32
	v_readlane_b32 s71, v127, 25
	v_cndmask_b32_e64 v45, v45, v78, s[30:31]
	v_cndmask_b32_e64 v33, v74, v78, s[36:37]
	v_readlane_b32 s28, v127, 10
	s_waitcnt lgkmcnt(0)
	v_cndmask_b32_e64 v62, v57, v79, s[6:7]
	v_readlane_b32 s6, v127, 27
	v_cndmask_b32_e64 v61, v58, v79, s[30:31]
	v_cndmask_b32_e64 v57, v49, v79, s[64:65]
	;; [unrolled: 1-line block ×3, first 2 shown]
	v_readlane_b32 s7, v127, 28
	v_readlane_b32 s30, v127, 12
	;; [unrolled: 1-line block ×3, first 2 shown]
	s_mov_b32 s1, 0
	s_max_i32 s70, s71, 0
	v_subrev_u32_e32 v109, s99, v109
	v_cndmask_b32_e64 v42, v37, v78, s[58:59]
	v_cndmask_b32_e64 v37, v60, v78, s[60:61]
	;; [unrolled: 1-line block ×5, first 2 shown]
	v_cndmask_b32_e32 v63, v80, v79, vcc
	v_cndmask_b32_e64 v60, v59, v79, s[46:47]
	v_cndmask_b32_e64 v59, v68, v79, s[52:53]
	v_cndmask_b32_e64 v58, v48, v79, s[58:59]
	v_cndmask_b32_e64 v56, v50, v79, s[68:69]
	v_cndmask_b32_e64 v55, v51, v79, s[66:67]
	v_cndmask_b32_e64 v54, v52, v79, s[62:63]
	v_cndmask_b32_e64 v53, v53, v79, s[60:61]
	v_cndmask_b32_e64 v52, v76, v79, s[50:51]
	v_cndmask_b32_e64 v51, v77, v79, s[44:45]
	v_cndmask_b32_e64 v50, v73, v79, s[42:43]
	v_cndmask_b32_e64 v48, v70, v79, s[48:49]
	v_lshl_add_u64 v[70:71], s[6:7], 0, v[64:65]
	s_mov_b64 s[6:7], 0
	s_mov_b32 s16, 0
	v_readlane_b32 s29, v127, 11
	v_readlane_b32 s31, v127, 13
	;; [unrolled: 1-line block ×10, first 2 shown]
	s_mov_b64 s[42:43], 0x80
	s_mov_b64 s[44:45], 0xc0
	v_readlane_b32 s46, v127, 26
                                        ; implicit-def: $sgpr8_sgpr9
	s_branch .LBB95_32
.LBB95_30:                              ;   in Loop: Header=BB95_32 Depth=2
	s_or_b64 exec, exec, s[12:13]
	s_andn2_b64 s[8:9], s[8:9], exec
	s_and_b64 s[12:13], s[14:15], exec
	s_or_b64 s[8:9], s[8:9], s[12:13]
.LBB95_31:                              ;   in Loop: Header=BB95_32 Depth=2
	s_or_b64 exec, exec, s[10:11]
	s_and_b64 s[10:11], exec, s[8:9]
	s_or_b64 s[6:7], s[10:11], s[6:7]
	s_andn2_b64 exec, exec, s[6:7]
	s_cbranch_execz .LBB95_35
.LBB95_32:                              ;   Parent Loop BB95_7 Depth=1
                                        ; =>  This Inner Loop Header: Depth=2
	s_and_b32 s12, s1, 24
	v_or_b32_e32 v73, s12, v106
	v_add_u32_e32 v68, s70, v73
	v_cmp_gt_u32_e32 vcc, 32, v68
	s_or_b64 s[8:9], s[8:9], exec
	s_and_saveexec_b64 s[10:11], vcc
	s_cbranch_execz .LBB95_31
; %bb.33:                               ;   in Loop: Header=BB95_32 Depth=2
	s_add_i32 s13, s16, 1
	s_set_gpr_idx_on s16, gpr_idx(SRC0)
	v_mov_b32_e32 v68, v0
	s_set_gpr_idx_off
	v_cvt_f16_f32_e32 v68, v68
	s_set_gpr_idx_on s13, gpr_idx(SRC0)
	v_mov_b32_e32 v69, v0
	s_set_gpr_idx_off
	v_cvt_f16_f32_sdwa v69, v69 dst_sel:WORD_1 dst_unused:UNUSED_PAD src0_sel:DWORD
	v_mul_lo_u32 v74, v73, s21
	v_ashrrev_i32_e32 v75, 31, v74
	v_lshl_add_u64 v[74:75], v[74:75], 1, v[70:71]
	v_or_b32_e32 v68, v69, v68
	;;#ASMSTART
	global_atomic_pk_add_f16 v[74:75], v68, off
	
	;;#ASMEND
	s_set_gpr_idx_on s16, gpr_idx(SRC0)
	v_mov_b32_e32 v68, v16
	s_set_gpr_idx_off
	v_cvt_f16_f32_e32 v68, v68
	s_set_gpr_idx_on s13, gpr_idx(SRC0)
	v_mov_b32_e32 v69, v16
	s_set_gpr_idx_off
	v_cvt_f16_f32_sdwa v69, v69 dst_sel:WORD_1 dst_unused:UNUSED_PAD src0_sel:DWORD
	v_lshl_add_u64 v[76:77], v[74:75], 0, 64
	v_or_b32_e32 v73, s12, v107
	s_mov_b64 s[14:15], -1
	v_or_b32_e32 v68, v69, v68
	;;#ASMSTART
	global_atomic_pk_add_f16 v[76:77], v68, off
	
	;;#ASMEND
	s_set_gpr_idx_on s16, gpr_idx(SRC0)
	v_mov_b32_e32 v68, v32
	s_set_gpr_idx_off
	v_cvt_f16_f32_e32 v68, v68
	s_set_gpr_idx_on s13, gpr_idx(SRC0)
	v_mov_b32_e32 v69, v32
	s_set_gpr_idx_off
	v_cvt_f16_f32_sdwa v69, v69 dst_sel:WORD_1 dst_unused:UNUSED_PAD src0_sel:DWORD
	v_lshl_add_u64 v[76:77], v[74:75], 0, s[42:43]
	v_lshl_add_u64 v[74:75], v[74:75], 0, s[44:45]
	v_or_b32_e32 v68, v69, v68
	;;#ASMSTART
	global_atomic_pk_add_f16 v[76:77], v68, off
	
	;;#ASMEND
	s_set_gpr_idx_on s16, gpr_idx(SRC0)
	v_mov_b32_e32 v68, v48
	s_set_gpr_idx_off
	v_cvt_f16_f32_e32 v68, v68
	s_set_gpr_idx_on s13, gpr_idx(SRC0)
	v_mov_b32_e32 v69, v48
	s_set_gpr_idx_off
	v_cvt_f16_f32_sdwa v69, v69 dst_sel:WORD_1 dst_unused:UNUSED_PAD src0_sel:DWORD
	s_nop 0
	v_or_b32_e32 v68, v69, v68
	;;#ASMSTART
	global_atomic_pk_add_f16 v[74:75], v68, off
	
	;;#ASMEND
	v_add_u32_e32 v68, s70, v73
	v_cmp_gt_u32_e32 vcc, 32, v68
	s_and_saveexec_b64 s[12:13], vcc
	s_cbranch_execz .LBB95_30
; %bb.34:                               ;   in Loop: Header=BB95_32 Depth=2
	s_add_i32 s14, s16, 2
	s_add_i32 s15, s16, 3
	s_set_gpr_idx_on s14, gpr_idx(SRC0)
	v_mov_b32_e32 v68, v0
	s_set_gpr_idx_off
	v_cvt_f16_f32_e32 v68, v68
	s_set_gpr_idx_on s15, gpr_idx(SRC0)
	v_mov_b32_e32 v69, v0
	s_set_gpr_idx_off
	v_cvt_f16_f32_sdwa v69, v69 dst_sel:WORD_1 dst_unused:UNUSED_PAD src0_sel:DWORD
	v_mul_lo_u32 v74, v73, s21
	v_ashrrev_i32_e32 v75, 31, v74
	v_lshl_add_u64 v[74:75], v[74:75], 1, v[70:71]
	v_or_b32_e32 v68, v69, v68
	;;#ASMSTART
	global_atomic_pk_add_f16 v[74:75], v68, off
	
	;;#ASMEND
	s_set_gpr_idx_on s14, gpr_idx(SRC0)
	v_mov_b32_e32 v68, v16
	s_set_gpr_idx_off
	v_cvt_f16_f32_e32 v68, v68
	s_set_gpr_idx_on s15, gpr_idx(SRC0)
	v_mov_b32_e32 v69, v16
	s_set_gpr_idx_off
	v_cvt_f16_f32_sdwa v69, v69 dst_sel:WORD_1 dst_unused:UNUSED_PAD src0_sel:DWORD
	v_lshl_add_u64 v[76:77], v[74:75], 0, 64
	s_add_i32 s16, s16, 4
	s_add_i32 s1, s1, 8
	v_or_b32_e32 v68, v69, v68
	;;#ASMSTART
	global_atomic_pk_add_f16 v[76:77], v68, off
	
	;;#ASMEND
	s_set_gpr_idx_on s14, gpr_idx(SRC0)
	v_mov_b32_e32 v68, v32
	s_set_gpr_idx_off
	v_cvt_f16_f32_e32 v68, v68
	s_set_gpr_idx_on s15, gpr_idx(SRC0)
	v_mov_b32_e32 v69, v32
	s_set_gpr_idx_off
	v_cvt_f16_f32_sdwa v69, v69 dst_sel:WORD_1 dst_unused:UNUSED_PAD src0_sel:DWORD
	v_lshl_add_u64 v[76:77], v[74:75], 0, s[42:43]
	s_cmp_eq_u32 s16, 16
	v_lshl_add_u64 v[74:75], v[74:75], 0, s[44:45]
	v_or_b32_e32 v68, v69, v68
	;;#ASMSTART
	global_atomic_pk_add_f16 v[76:77], v68, off
	
	;;#ASMEND
	s_set_gpr_idx_on s14, gpr_idx(SRC0)
	v_mov_b32_e32 v68, v48
	s_set_gpr_idx_off
	v_cvt_f16_f32_e32 v68, v68
	s_set_gpr_idx_on s15, gpr_idx(SRC0)
	v_mov_b32_e32 v69, v48
	s_set_gpr_idx_off
	v_cvt_f16_f32_sdwa v69, v69 dst_sel:WORD_1 dst_unused:UNUSED_PAD src0_sel:DWORD
	s_cselect_b64 s[14:15], -1, 0
	s_orn2_b64 s[14:15], s[14:15], exec
	v_or_b32_e32 v68, v69, v68
	;;#ASMSTART
	global_atomic_pk_add_f16 v[74:75], v68, off
	
	;;#ASMEND
	s_branch .LBB95_30
.LBB95_35:                              ;   in Loop: Header=BB95_7 Depth=1
	s_or_b64 exec, exec, s[6:7]
	v_readlane_b32 s72, v127, 2
	v_readlane_b32 s8, v127, 23
	;; [unrolled: 1-line block ×12, first 2 shown]
.LBB95_36:                              ;   in Loop: Header=BB95_7 Depth=1
	s_or_b64 exec, exec, s[8:9]
.LBB95_37:                              ;   in Loop: Header=BB95_7 Depth=1
	s_andn2_saveexec_b64 s[2:3], s[2:3]
	s_cbranch_execz .LBB95_46
; %bb.38:                               ;   in Loop: Header=BB95_7 Depth=1
	s_lshl_b32 s12, s99, 2
	v_cmp_gt_i32_e32 vcc, s12, v109
	s_and_saveexec_b64 s[6:7], vcc
	s_cbranch_execz .LBB95_45
; %bb.39:                               ;   in Loop: Header=BB95_7 Depth=1
	scratch_load_dwordx2 v[0:1], off, off   ; 8-byte Folded Reload
	s_mul_i32 s0, s0, s23
	s_ashr_i32 s1, s0, 31
	s_add_u32 s0, s74, s0
	s_addc_u32 s1, s75, s1
	s_ashr_i32 s8, s46, 31
	s_add_u32 s0, s0, s46
	s_addc_u32 s1, s1, s8
	s_waitcnt vmcnt(0)
	v_lshl_add_u64 v[0:1], s[0:1], 0, v[0:1]
	v_lshl_add_u64 v[16:17], v[0:1], 0, v[66:67]
	s_mov_b64 s[0:1], 0
	s_branch .LBB95_41
.LBB95_40:                              ;   in Loop: Header=BB95_41 Depth=2
	s_or_b64 exec, exec, s[8:9]
	v_lshl_or_b32 v20, v18, 12, v102
	;;#ASMSTART
	s_waitcnt vmcnt(3)
	;;#ASMEND
	ds_write2_b32 v20, v12, v13 offset1:32
	ds_write2_b32 v20, v14, v15 offset0:64 offset1:96
	v_add_u32_e32 v12, 0x400, v20
	;;#ASMSTART
	s_waitcnt vmcnt(2)
	;;#ASMEND
	ds_write2_b32 v12, v8, v9 offset1:32
	ds_write2_b32 v12, v10, v11 offset0:64 offset1:96
	v_add_u32_e32 v8, 0x800, v20
	;; [unrolled: 6-line block ×3, first 2 shown]
	v_add_u32_e32 v109, s26, v109
	;;#ASMSTART
	s_waitcnt vmcnt(0)
	;;#ASMEND
	ds_write2_b32 v4, v0, v1 offset1:32
	ds_write2_b32 v4, v2, v3 offset0:64 offset1:96
	v_add_u32_e32 v0, 1, v87
	v_add_u32_e32 v72, s26, v18
	v_cmp_le_i32_e32 vcc, s12, v109
	ds_write_b32 v19, v0 offset:4
	v_add_u32_e32 v0, 2, v87
	s_or_b64 s[0:1], vcc, s[0:1]
	v_cmp_lt_i32_e32 vcc, 3, v72
	s_nop 1
	v_cndmask_b32_e32 v87, v87, v0, vcc
	s_andn2_b64 exec, exec, s[0:1]
	s_cbranch_execz .LBB95_44
.LBB95_41:                              ;   Parent Loop BB95_7 Depth=1
                                        ; =>  This Loop Header: Depth=2
                                        ;       Child Loop BB95_43 Depth 3
	v_cmp_gt_i32_e32 vcc, 4, v72
	s_nop 1
	v_cndmask_b32_e64 v0, -4, 0, vcc
	v_add_u32_e32 v18, v0, v72
	v_ashrrev_i32_e32 v0, 31, v109
	v_lshrrev_b32_e32 v0, 30, v0
	v_add_u32_e32 v0, v109, v0
	v_and_b32_e32 v1, -4, v0
	v_lshlrev_b32_e32 v0, 5, v0
	v_sub_u32_e32 v2, v109, v1
	v_and_b32_e32 v0, 0xffffff80, v0
	v_ashrrev_i32_e32 v1, 31, v0
	v_mul_lo_u32 v2, s24, v2
	v_lshl_add_u64 v[0:1], v[16:17], 0, v[0:1]
	v_ashrrev_i32_e32 v3, 31, v2
	v_lshl_add_u64 v[0:1], v[0:1], 0, v[2:3]
	v_lshlrev_b32_e32 v19, 2, v18
	;;#ASMSTART
	global_load_dwordx4 v[12:15], v[0:1], off offset:0   sc0 sc1 nt  
	global_load_dwordx4 v[8:11], v[0:1], off offset:32  sc0 sc1 nt  
	global_load_dwordx4 v[4:7], v[0:1], off offset:64  sc0 sc1 nt  
	;; [unrolled: 1-line block ×3, first 2 shown]
	
	;;#ASMEND
	ds_read_b32 v20, v19 offset:20484
	v_add_u32_e32 v19, 0x5000, v19
	s_waitcnt lgkmcnt(0)
	v_cmp_ne_u32_e32 vcc, v20, v87
	s_and_saveexec_b64 s[8:9], vcc
	s_cbranch_execz .LBB95_40
; %bb.42:                               ;   in Loop: Header=BB95_41 Depth=2
	s_mov_b64 s[10:11], 0
.LBB95_43:                              ;   Parent Loop BB95_7 Depth=1
                                        ;     Parent Loop BB95_41 Depth=2
                                        ; =>    This Inner Loop Header: Depth=3
	;;#ASMSTART
	s_sleep 0
	;;#ASMEND
	ds_read_b32 v20, v19 offset:4
	s_waitcnt lgkmcnt(0)
	v_cmp_eq_u32_e32 vcc, v20, v87
	s_or_b64 s[10:11], vcc, s[10:11]
	s_andn2_b64 exec, exec, s[10:11]
	s_cbranch_execnz .LBB95_43
	s_branch .LBB95_40
.LBB95_44:                              ;   in Loop: Header=BB95_7 Depth=1
	s_or_b64 exec, exec, s[0:1]
.LBB95_45:                              ;   in Loop: Header=BB95_7 Depth=1
	s_or_b64 exec, exec, s[6:7]
	v_subrev_u32_e32 v109, s12, v109
.LBB95_46:                              ;   in Loop: Header=BB95_7 Depth=1
	s_or_b64 exec, exec, s[2:3]
.LBB95_47:                              ;   in Loop: Header=BB95_7 Depth=1
	s_andn2_saveexec_b64 s[0:1], s[4:5]
	s_cbranch_execz .LBB95_6
; %bb.48:                               ;   in Loop: Header=BB95_7 Depth=1
	v_cmp_gt_i32_e32 vcc, s99, v109
	s_and_saveexec_b64 s[2:3], vcc
	s_cbranch_execz .LBB95_5
; %bb.49:                               ;   in Loop: Header=BB95_7 Depth=1
	s_mul_i32 s96, s96, s22
	s_ashr_i32 s4, s96, 31
	s_add_u32 s5, s72, s96
	s_addc_u32 s6, s73, s4
	s_ashr_i32 s7, s46, 31
	v_cmp_le_i32_e32 vcc, s71, v103
	s_add_u32 s4, s5, s46
	s_addc_u32 s5, s6, s7
	v_cndmask_b32_e32 v0, 0, v104, vcc
	v_ashrrev_i32_e32 v1, 31, v0
	v_lshl_add_u64 v[0:1], s[4:5], 0, v[0:1]
	v_lshl_add_u64 v[16:17], v[0:1], 0, v[66:67]
	s_mov_b64 s[4:5], 0
	s_branch .LBB95_51
.LBB95_50:                              ;   in Loop: Header=BB95_51 Depth=2
	s_or_b64 exec, exec, s[6:7]
	v_lshl_add_u32 v20, v18, 12, v105
	;;#ASMSTART
	s_waitcnt vmcnt(3)
	;;#ASMEND
	ds_write2_b32 v20, v12, v13 offset1:32
	ds_write2_b32 v20, v14, v15 offset0:64 offset1:96
	v_add_u32_e32 v12, 0x400, v20
	;;#ASMSTART
	s_waitcnt vmcnt(2)
	;;#ASMEND
	ds_write2_b32 v12, v8, v9 offset1:32
	ds_write2_b32 v12, v10, v11 offset0:64 offset1:96
	v_add_u32_e32 v8, 0x800, v20
	;;#ASMSTART
	s_waitcnt vmcnt(1)
	;;#ASMEND
	ds_write2_b32 v8, v4, v5 offset1:32
	ds_write2_b32 v8, v6, v7 offset0:64 offset1:96
	v_add_u32_e32 v4, 0xc00, v20
	v_add_u32_e32 v109, s25, v109
	;;#ASMSTART
	s_waitcnt vmcnt(0)
	;;#ASMEND
	ds_write2_b32 v4, v0, v1 offset1:32
	ds_write2_b32 v4, v2, v3 offset0:64 offset1:96
	v_add_u32_e32 v0, 1, v87
	v_add_u32_e32 v72, s25, v18
	v_cmp_le_i32_e32 vcc, s99, v109
	ds_write_b32 v19, v0
	v_add_u32_e32 v0, 2, v87
	s_or_b64 s[4:5], vcc, s[4:5]
	v_cmp_lt_i32_e32 vcc, 0, v72
	s_nop 1
	v_cndmask_b32_e32 v87, v87, v0, vcc
	s_andn2_b64 exec, exec, s[4:5]
	s_cbranch_execz .LBB95_4
.LBB95_51:                              ;   Parent Loop BB95_7 Depth=1
                                        ; =>  This Loop Header: Depth=2
                                        ;       Child Loop BB95_53 Depth 3
	v_cmp_lt_i32_e32 vcc, 0, v72
	v_lshlrev_b32_e32 v0, 7, v109
	v_ashrrev_i32_e32 v1, 31, v0
	v_subbrev_co_u32_e32 v18, vcc, 0, v72, vcc
	v_lshl_add_u64 v[0:1], v[16:17], 0, v[0:1]
	v_lshlrev_b32_e32 v19, 2, v18
	;;#ASMSTART
	global_load_dwordx4 v[12:15], v[0:1], off offset:0   
	global_load_dwordx4 v[8:11], v[0:1], off offset:32  
	;; [unrolled: 1-line block ×4, first 2 shown]
	
	;;#ASMEND
	ds_read_b32 v20, v19 offset:20480
	v_add_u32_e32 v19, 0x5000, v19
	s_waitcnt lgkmcnt(0)
	v_cmp_ne_u32_e32 vcc, v20, v87
	s_and_saveexec_b64 s[6:7], vcc
	s_cbranch_execz .LBB95_50
; %bb.52:                               ;   in Loop: Header=BB95_51 Depth=2
	s_mov_b64 s[8:9], 0
.LBB95_53:                              ;   Parent Loop BB95_7 Depth=1
                                        ;     Parent Loop BB95_51 Depth=2
                                        ; =>    This Inner Loop Header: Depth=3
	;;#ASMSTART
	s_sleep 0
	;;#ASMEND
	ds_read_b32 v20, v19
	s_waitcnt lgkmcnt(0)
	v_cmp_eq_u32_e32 vcc, v20, v87
	s_or_b64 s[8:9], vcc, s[8:9]
	s_andn2_b64 exec, exec, s[8:9]
	s_cbranch_execnz .LBB95_53
	s_branch .LBB95_50
.LBB95_54:
	s_endpgm
	.section	.rodata,"a",@progbits
	.p2align	6, 0x0
	.amdhsa_kernel _Z19_skinny_gemm_kernelILi1ELi4ELi1ELi32ELi8EEvPKhS1_P6__halfPKfiiiiiiii
		.amdhsa_group_segment_fixed_size 20500
		.amdhsa_private_segment_fixed_size 12
		.amdhsa_kernarg_size 64
		.amdhsa_user_sgpr_count 2
		.amdhsa_user_sgpr_dispatch_ptr 0
		.amdhsa_user_sgpr_queue_ptr 0
		.amdhsa_user_sgpr_kernarg_segment_ptr 1
		.amdhsa_user_sgpr_dispatch_id 0
		.amdhsa_user_sgpr_kernarg_preload_length 0
		.amdhsa_user_sgpr_kernarg_preload_offset 0
		.amdhsa_user_sgpr_private_segment_size 0
		.amdhsa_uses_dynamic_stack 0
		.amdhsa_enable_private_segment 1
		.amdhsa_system_sgpr_workgroup_id_x 1
		.amdhsa_system_sgpr_workgroup_id_y 0
		.amdhsa_system_sgpr_workgroup_id_z 0
		.amdhsa_system_sgpr_workgroup_info 0
		.amdhsa_system_vgpr_workitem_id 0
		.amdhsa_next_free_vgpr 128
		.amdhsa_next_free_sgpr 100
		.amdhsa_accum_offset 128
		.amdhsa_reserve_vcc 1
		.amdhsa_float_round_mode_32 0
		.amdhsa_float_round_mode_16_64 0
		.amdhsa_float_denorm_mode_32 3
		.amdhsa_float_denorm_mode_16_64 3
		.amdhsa_dx10_clamp 1
		.amdhsa_ieee_mode 1
		.amdhsa_fp16_overflow 0
		.amdhsa_tg_split 0
		.amdhsa_exception_fp_ieee_invalid_op 0
		.amdhsa_exception_fp_denorm_src 0
		.amdhsa_exception_fp_ieee_div_zero 0
		.amdhsa_exception_fp_ieee_overflow 0
		.amdhsa_exception_fp_ieee_underflow 0
		.amdhsa_exception_fp_ieee_inexact 0
		.amdhsa_exception_int_div_zero 0
	.end_amdhsa_kernel
	.section	.text._Z19_skinny_gemm_kernelILi1ELi4ELi1ELi32ELi8EEvPKhS1_P6__halfPKfiiiiiiii,"axG",@progbits,_Z19_skinny_gemm_kernelILi1ELi4ELi1ELi32ELi8EEvPKhS1_P6__halfPKfiiiiiiii,comdat
.Lfunc_end95:
	.size	_Z19_skinny_gemm_kernelILi1ELi4ELi1ELi32ELi8EEvPKhS1_P6__halfPKfiiiiiiii, .Lfunc_end95-_Z19_skinny_gemm_kernelILi1ELi4ELi1ELi32ELi8EEvPKhS1_P6__halfPKfiiiiiiii
                                        ; -- End function
	.set _Z19_skinny_gemm_kernelILi1ELi4ELi1ELi32ELi8EEvPKhS1_P6__halfPKfiiiiiiii.num_vgpr, 128
	.set _Z19_skinny_gemm_kernelILi1ELi4ELi1ELi32ELi8EEvPKhS1_P6__halfPKfiiiiiiii.num_agpr, 0
	.set _Z19_skinny_gemm_kernelILi1ELi4ELi1ELi32ELi8EEvPKhS1_P6__halfPKfiiiiiiii.numbered_sgpr, 100
	.set _Z19_skinny_gemm_kernelILi1ELi4ELi1ELi32ELi8EEvPKhS1_P6__halfPKfiiiiiiii.num_named_barrier, 0
	.set _Z19_skinny_gemm_kernelILi1ELi4ELi1ELi32ELi8EEvPKhS1_P6__halfPKfiiiiiiii.private_seg_size, 12
	.set _Z19_skinny_gemm_kernelILi1ELi4ELi1ELi32ELi8EEvPKhS1_P6__halfPKfiiiiiiii.uses_vcc, 1
	.set _Z19_skinny_gemm_kernelILi1ELi4ELi1ELi32ELi8EEvPKhS1_P6__halfPKfiiiiiiii.uses_flat_scratch, 0
	.set _Z19_skinny_gemm_kernelILi1ELi4ELi1ELi32ELi8EEvPKhS1_P6__halfPKfiiiiiiii.has_dyn_sized_stack, 0
	.set _Z19_skinny_gemm_kernelILi1ELi4ELi1ELi32ELi8EEvPKhS1_P6__halfPKfiiiiiiii.has_recursion, 0
	.set _Z19_skinny_gemm_kernelILi1ELi4ELi1ELi32ELi8EEvPKhS1_P6__halfPKfiiiiiiii.has_indirect_call, 0
	.section	.AMDGPU.csdata,"",@progbits
; Kernel info:
; codeLenInByte = 14672
; TotalNumSgprs: 106
; NumVgprs: 128
; NumAgprs: 0
; TotalNumVgprs: 128
; ScratchSize: 12
; MemoryBound: 0
; FloatMode: 240
; IeeeMode: 1
; LDSByteSize: 20500 bytes/workgroup (compile time only)
; SGPRBlocks: 13
; VGPRBlocks: 15
; NumSGPRsForWavesPerEU: 106
; NumVGPRsForWavesPerEU: 128
; AccumOffset: 128
; Occupancy: 4
; WaveLimiterHint : 0
; COMPUTE_PGM_RSRC2:SCRATCH_EN: 1
; COMPUTE_PGM_RSRC2:USER_SGPR: 2
; COMPUTE_PGM_RSRC2:TRAP_HANDLER: 0
; COMPUTE_PGM_RSRC2:TGID_X_EN: 1
; COMPUTE_PGM_RSRC2:TGID_Y_EN: 0
; COMPUTE_PGM_RSRC2:TGID_Z_EN: 0
; COMPUTE_PGM_RSRC2:TIDIG_COMP_CNT: 0
; COMPUTE_PGM_RSRC3_GFX90A:ACCUM_OFFSET: 31
; COMPUTE_PGM_RSRC3_GFX90A:TG_SPLIT: 0
	.section	.text._Z19_skinny_gemm_kernelILi1ELi4ELi2ELi8ELi4EEvPKhS1_P6__halfPKfiiiiiiii,"axG",@progbits,_Z19_skinny_gemm_kernelILi1ELi4ELi2ELi8ELi4EEvPKhS1_P6__halfPKfiiiiiiii,comdat
	.protected	_Z19_skinny_gemm_kernelILi1ELi4ELi2ELi8ELi4EEvPKhS1_P6__halfPKfiiiiiiii ; -- Begin function _Z19_skinny_gemm_kernelILi1ELi4ELi2ELi8ELi4EEvPKhS1_P6__halfPKfiiiiiiii
	.globl	_Z19_skinny_gemm_kernelILi1ELi4ELi2ELi8ELi4EEvPKhS1_P6__halfPKfiiiiiiii
	.p2align	8
	.type	_Z19_skinny_gemm_kernelILi1ELi4ELi2ELi8ELi4EEvPKhS1_P6__halfPKfiiiiiiii,@function
_Z19_skinny_gemm_kernelILi1ELi4ELi2ELi8ELi4EEvPKhS1_P6__halfPKfiiiiiiii: ; @_Z19_skinny_gemm_kernelILi1ELi4ELi2ELi8ELi4EEvPKhS1_P6__halfPKfiiiiiiii
; %bb.0:
	v_cmp_gt_u32_e32 vcc, 10, v0
	v_lshlrev_b32_e32 v1, 2, v0
	s_and_saveexec_b64 s[4:5], vcc
; %bb.1:
	v_mov_b32_e32 v2, 0
	ds_write_b32 v1, v2 offset:36864
; %bb.2:
	s_or_b64 exec, exec, s[4:5]
	s_load_dwordx8 s[12:19], s[0:1], 0x20
	s_waitcnt lgkmcnt(0)
	s_barrier
	s_add_i32 s3, s12, 7
	s_ashr_i32 s5, s3, 31
	s_add_i32 s4, s13, 63
	s_lshr_b32 s5, s5, 29
	s_ashr_i32 s6, s4, 31
	s_add_i32 s3, s3, s5
	s_ashr_i32 s33, s3, 3
	s_lshr_b32 s3, s6, 26
	s_add_i32 s4, s4, s3
	s_ashr_i32 s44, s4, 6
	s_mul_i32 s3, s44, s33
	s_mul_i32 s3, s3, s16
	s_add_i32 s4, s3, 0x12f
	s_mul_hi_i32 s4, s4, 0x6bca1af3
	s_lshr_b32 s5, s4, 31
	s_ashr_i32 s4, s4, 7
	s_add_i32 s4, s4, s5
	s_add_i32 s5, s2, 1
	s_mul_i32 s5, s4, s5
	v_cvt_f64_i32_e32 v[2:3], s3
	v_cvt_f64_u32_e32 v[4:5], s5
	v_min_f64 v[2:3], v[2:3], v[4:5]
	v_cvt_i32_f64_e32 v17, v[2:3]
	s_mul_i32 s45, s4, s2
	v_cmp_ge_i32_e32 vcc, s45, v17
	s_cbranch_vccnz .LBB96_50
; %bb.3:
	v_lshrrev_b32_e32 v2, 6, v0
	s_add_i32 s4, s18, s17
	s_load_dwordx8 s[20:27], s[0:1], 0x0
	v_cmp_le_i32_e64 s[0:1], s4, v2
	v_mov_b32_e32 v3, s17
	v_cmp_le_i32_e64 s[2:3], s17, v2
	v_mov_b32_e32 v4, s18
	v_cndmask_b32_e64 v4, 0, v4, s[0:1]
	v_cndmask_b32_e64 v3, 0, v3, s[2:3]
	s_abs_i32 s5, s16
	v_add_u32_e32 v3, v3, v4
	v_cvt_f32_u32_e32 v4, s5
	v_sub_u32_e32 v30, v2, v3
	s_ashr_i32 s6, s14, 31
	s_lshr_b32 s6, s6, 24
	v_rcp_iflag_f32_e32 v3, v4
	s_sub_i32 s9, 0, s5
	s_add_i32 s6, s14, s6
	s_ashr_i32 s6, s6, 8
	v_mul_f32_e32 v3, 0x4f7ffffe, v3
	v_cvt_u32_f32_e32 v3, v3
	s_abs_i32 s8, s6
	s_xor_b32 s7, s6, s16
	s_ashr_i32 s7, s7, 31
	v_readfirstlane_b32 s10, v3
	s_mul_i32 s9, s9, s10
	s_mul_hi_u32 s9, s10, s9
	s_add_i32 s10, s10, s9
	s_mul_hi_u32 s9, s8, s10
	s_mul_i32 s10, s9, s5
	s_sub_i32 s8, s8, s10
	s_add_i32 s10, s9, 1
	s_sub_i32 s11, s8, s5
	s_cmp_ge_u32 s8, s5
	s_cselect_b32 s9, s10, s9
	s_cselect_b32 s8, s11, s8
	s_add_i32 s10, s9, 1
	s_cmp_ge_u32 s8, s5
	s_cselect_b32 s5, s10, s9
	s_xor_b32 s5, s5, s7
	s_sub_i32 s46, s5, s7
	s_add_i32 s16, s16, -1
	s_mul_i32 s5, s46, s16
	s_add_i32 s4, s4, s19
	s_sub_i32 s47, s6, s5
	v_cmp_gt_i32_e64 s[4:5], s4, v2
	v_and_b32_e32 v2, 1, v0
	v_lshlrev_b32_e32 v3, 1, v0
	v_and_b32_e32 v3, 0x7c, v3
	v_lshlrev_b32_e32 v4, 8, v2
	v_lshlrev_b32_e32 v5, 4, v0
	s_mov_b32 s7, 0x8000
	s_movk_i32 s6, 0x7c
	v_and_b32_e32 v6, 0x200, v5
	v_or3_b32 v38, v3, v4, s7
	v_lshrrev_b32_e32 v3, 3, v0
	v_cmp_eq_u32_e32 vcc, 0, v2
	v_and_or_b32 v39, v1, s6, v6
	v_lshlrev_b32_e32 v1, 1, v2
	v_and_or_b32 v2, v3, 6, v2
	v_sub_u32_e32 v44, 8, v2
	v_mul_lo_u32 v18, s13, v2
	v_bfe_u32 v2, v0, 2, 4
	v_lshlrev_b32_e32 v4, 8, v0
	v_lshlrev_b32_e32 v6, 6, v0
	v_mul_lo_u32 v24, s15, v2
	v_and_b32_e32 v2, 60, v0
	v_and_b32_e32 v4, 0x200, v4
	;; [unrolled: 1-line block ×3, first 2 shown]
	s_abs_i32 s49, s33
	v_or3_b32 v45, v2, v4, v6
	v_cvt_f32_u32_e32 v6, s49
	v_lshlrev_b32_e32 v4, 7, v0
	v_and_b32_e32 v16, 14, v0
	v_bitop3_b32 v40, v0, 1, v0 bitop3:0xc
	v_sub_u32_e32 v1, v0, v1
	v_bfe_u32 v2, v0, 3, 3
	v_and_b32_e32 v4, 0x200, v4
	v_lshlrev_b32_e32 v0, 5, v0
	v_lshl_or_b32 v4, v2, 2, v4
	v_and_b32_e32 v0, 0x60, v0
	v_or3_b32 v46, v4, v0, s7
	v_rcp_iflag_f32_e32 v0, v6
	s_abs_i32 s50, s44
	v_mul_lo_u32 v48, s14, v2
	v_cvt_f32_u32_e32 v2, s50
	v_mul_f32_e32 v0, 0x4f7ffffe, v0
	v_cvt_u32_f32_e32 v0, v0
	s_sub_i32 s6, 0, s49
	v_rcp_iflag_f32_e32 v2, v2
	v_add_u32_e32 v1, 1, v1
	v_readfirstlane_b32 s7, v0
	s_mul_i32 s6, s6, s7
	v_mul_f32_e32 v0, 0x4f7ffffe, v2
	v_cvt_u32_f32_e32 v0, v0
	s_mul_hi_u32 s6, s7, s6
	s_add_i32 s52, s7, s6
	s_sub_i32 s6, 0, s50
	v_readfirstlane_b32 s7, v0
	v_mbcnt_lo_u32_b32 v0, -1, 0
	v_and_b32_e32 v1, 63, v1
	s_mul_i32 s6, s6, s7
	v_mbcnt_hi_u32_b32 v0, -1, v0
	v_mov_b32_e32 v7, 0xeeee
	v_mov_b32_e32 v8, 0x4444
	;; [unrolled: 1-line block ×3, first 2 shown]
	s_mul_hi_u32 s6, s7, s6
	v_and_or_b32 v0, v0, 64, v1
	v_cndmask_b32_e64 v36, 0, 1, s[0:1]
	s_mov_b32 s29, 0
	v_cndmask_b32_e32 v37, v7, v8, vcc
	v_or_b32_e32 v41, 16, v16
	v_or_b32_e32 v42, 32, v16
	;; [unrolled: 1-line block ×3, first 2 shown]
	v_ashrrev_i32_e32 v19, 31, v18
	v_and_b32_e32 v22, 48, v5
	v_ashrrev_i32_e32 v25, 31, v24
	v_mov_b32_e32 v23, v21
	s_lshl_b32 s48, s15, 4
	v_bitop3_b32 v47, v3, 7, v3 bitop3:0xc
	v_and_b32_e32 v26, 0x70, v5
	v_mov_b32_e32 v27, v21
	s_lshl_b32 s28, s17, 8
	s_ashr_i32 s51, s33, 31
	s_ashr_i32 s53, s44, 31
	s_add_i32 s54, s7, s6
	s_mov_b64 s[30:31], 0x60
	v_lshlrev_b32_e32 v49, 2, v0
	v_mov_b32_e32 v50, v30
	s_branch .LBB96_7
.LBB96_4:                               ;   in Loop: Header=BB96_7 Depth=1
	s_or_b64 exec, exec, s[10:11]
.LBB96_5:                               ;   in Loop: Header=BB96_7 Depth=1
	s_or_b64 exec, exec, s[8:9]
	v_subrev_u32_e32 v50, s55, v50
.LBB96_6:                               ;   in Loop: Header=BB96_7 Depth=1
	s_or_b64 exec, exec, s[6:7]
	s_add_i32 s45, s45, 1
	v_cmp_ge_i32_e32 vcc, s45, v17
	s_cbranch_vccnz .LBB96_50
.LBB96_7:                               ; =>This Loop Header: Depth=1
                                        ;     Child Loop BB96_13 Depth 2
                                        ;       Child Loop BB96_15 Depth 3
                                        ;       Child Loop BB96_18 Depth 3
	;; [unrolled: 1-line block ×5, first 2 shown]
                                        ;     Child Loop BB96_37 Depth 2
                                        ;       Child Loop BB96_39 Depth 3
                                        ;     Child Loop BB96_47 Depth 2
                                        ;       Child Loop BB96_49 Depth 3
	s_abs_i32 s7, s45
	s_mul_hi_u32 s8, s7, s52
	s_mul_i32 s9, s8, s49
	s_ashr_i32 s6, s45, 31
	s_sub_i32 s7, s7, s9
	s_xor_b32 s6, s6, s51
	s_add_i32 s9, s8, 1
	s_sub_i32 s10, s7, s49
	s_cmp_ge_u32 s7, s49
	s_cselect_b32 s8, s9, s8
	s_cselect_b32 s7, s10, s7
	s_add_i32 s9, s8, 1
	s_cmp_ge_u32 s7, s49
	s_cselect_b32 s7, s9, s8
	s_xor_b32 s7, s7, s6
	s_sub_i32 s6, s7, s6
	s_abs_i32 s8, s6
	s_mul_i32 s7, s6, s33
	s_mul_hi_u32 s9, s8, s54
	s_sub_i32 s7, s45, s7
	s_mul_i32 s10, s9, s50
	s_lshl_b32 s56, s7, 3
	s_ashr_i32 s7, s6, 31
	s_sub_i32 s8, s8, s10
	s_xor_b32 s7, s7, s53
	s_add_i32 s10, s9, 1
	s_sub_i32 s11, s8, s50
	s_cmp_ge_u32 s8, s50
	s_cselect_b32 s9, s10, s9
	s_cselect_b32 s8, s11, s8
	s_add_i32 s10, s9, 1
	s_cmp_ge_u32 s8, s50
	s_cselect_b32 s8, s10, s9
	s_xor_b32 s8, s8, s7
	s_sub_i32 s7, s8, s7
	s_mul_i32 s8, s7, s46
	s_lshl_b32 s57, s8, 8
	s_cmp_eq_u32 s7, s16
	s_cselect_b32 s55, s47, s46
	s_sub_i32 s58, s56, s12
	s_add_i32 s58, s58, 8
	s_and_saveexec_b64 s[8:9], s[2:3]
	s_xor_b64 s[34:35], exec, s[8:9]
	s_cbranch_execz .LBB96_43
; %bb.8:                                ;   in Loop: Header=BB96_7 Depth=1
	s_mul_i32 s7, s7, s44
	s_sub_i32 s6, s6, s7
	s_lshl_b32 s6, s6, 6
	s_sub_i32 s37, s6, s13
	s_add_i32 s37, s37, 64
	s_max_i32 s7, s37, 0
	s_sub_i32 s36, s6, s7
	s_and_saveexec_b64 s[6:7], s[0:1]
	s_xor_b64 s[38:39], exec, s[6:7]
	s_cbranch_execz .LBB96_33
; %bb.9:                                ;   in Loop: Header=BB96_7 Depth=1
	s_and_saveexec_b64 s[40:41], s[4:5]
	s_cbranch_execz .LBB96_32
; %bb.10:                               ;   in Loop: Header=BB96_7 Depth=1
	s_waitcnt lgkmcnt(0)
	global_load_dword v20, v21, s[26:27]
	v_mov_b32_e32 v15, 0
	v_cmp_gt_i32_e32 vcc, s55, v50
	v_mov_b32_e32 v14, v15
	v_mov_b32_e32 v13, v15
	;; [unrolled: 1-line block ×15, first 2 shown]
	s_and_saveexec_b64 s[6:7], vcc
	s_cbranch_execz .LBB96_29
; %bb.11:                               ;   in Loop: Header=BB96_7 Depth=1
	v_mov_b32_e32 v0, 0
	s_mov_b64 s[8:9], 0
	v_mov_b32_e32 v1, v0
	v_mov_b32_e32 v2, v0
	;; [unrolled: 1-line block ×15, first 2 shown]
	s_branch .LBB96_13
.LBB96_12:                              ;   in Loop: Header=BB96_13 Depth=2
	s_or_b64 exec, exec, s[10:11]
	v_add_u32_e32 v55, 0x3000, v54
	ds_read2_b32 v[56:57], v55 offset1:32
	ds_read2_b32 v[58:59], v55 offset0:64 offset1:96
	v_add_u32_e32 v55, 0x3400, v54
	ds_read2_b32 v[60:61], v55 offset1:32
	ds_read2_b32 v[62:63], v55 offset0:64 offset1:96
	v_add_u32_e32 v50, s19, v50
	v_cmp_le_i32_e32 vcc, s55, v50
	s_waitcnt lgkmcnt(2)
	v_smfmac_f32_16x16x64_fp8_fp8 v[0:3], v[34:35], v[56:59], v37 cbsz:7 abid:1
	v_add_u32_e32 v34, 0x3800, v54
	ds_read2_b32 v[56:57], v34 offset1:32
	ds_read2_b32 v[58:59], v34 offset0:64 offset1:96
	v_add_u32_e32 v34, 0x3c00, v54
	s_waitcnt lgkmcnt(2)
	v_smfmac_f32_16x16x64_fp8_fp8 v[0:3], v[32:33], v[60:63], v37 cbsz:7 abid:1
	ds_read2_b32 v[32:33], v34 offset1:32
	ds_read2_b32 v[34:35], v34 offset0:64 offset1:96
	s_or_b64 s[8:9], vcc, s[8:9]
	ds_write_b32 v53, v52 offset:36884
	s_waitcnt lgkmcnt(3)
	v_smfmac_f32_16x16x64_fp8_fp8 v[0:3], v[30:31], v[56:59], v37 cbsz:7 abid:1
	v_add_u32_e32 v30, s19, v51
	v_add_u32_e32 v31, 2, v36
	v_cmp_lt_i32_e32 vcc, 1, v30
	s_waitcnt lgkmcnt(1)
	v_smfmac_f32_16x16x64_fp8_fp8 v[0:3], v[28:29], v[32:35], v37 cbsz:7 abid:1
	v_cndmask_b32_e32 v36, v36, v31, vcc
	s_andn2_b64 exec, exec, s[8:9]
	s_cbranch_execz .LBB96_28
.LBB96_13:                              ;   Parent Loop BB96_7 Depth=1
                                        ; =>  This Loop Header: Depth=2
                                        ;       Child Loop BB96_15 Depth 3
                                        ;       Child Loop BB96_18 Depth 3
	;; [unrolled: 1-line block ×5, first 2 shown]
	v_cmp_gt_i32_e32 vcc, 2, v30
	s_nop 1
	v_cndmask_b32_e64 v28, -2, 0, vcc
	v_add_u32_e32 v51, v28, v30
	v_lshlrev_b32_e32 v28, 2, v51
	ds_read_b32 v29, v28 offset:36864
	v_add_u32_e32 v53, 0x9000, v28
	s_waitcnt lgkmcnt(0)
	v_cmp_ne_u32_e32 vcc, v29, v36
	s_and_saveexec_b64 s[10:11], vcc
	s_cbranch_execz .LBB96_16
; %bb.14:                               ;   in Loop: Header=BB96_13 Depth=2
	s_mov_b64 s[42:43], 0
.LBB96_15:                              ;   Parent Loop BB96_7 Depth=1
                                        ;     Parent Loop BB96_13 Depth=2
                                        ; =>    This Inner Loop Header: Depth=3
	;;#ASMSTART
	s_sleep 0
	;;#ASMEND
	ds_read_b32 v28, v53
	s_waitcnt lgkmcnt(0)
	v_cmp_eq_u32_e32 vcc, v28, v36
	s_or_b64 s[42:43], vcc, s[42:43]
	s_andn2_b64 exec, exec, s[42:43]
	s_cbranch_execnz .LBB96_15
.LBB96_16:                              ;   in Loop: Header=BB96_13 Depth=2
	s_or_b64 exec, exec, s[10:11]
	v_lshl_add_u32 v28, v51, 11, v38
	ds_read2_b32 v[34:35], v28 offset1:32
	ds_read2_b32 v[32:33], v28 offset0:128 offset1:160
	v_add_u32_e32 v28, 0x400, v28
	v_add_u32_e32 v52, 1, v36
	ds_read2_b32 v[30:31], v28 offset1:32
	ds_read2_b32 v[28:29], v28 offset0:128 offset1:160
	;;#ASMSTART
	s_waitcnt lgkmcnt(0)
	;;#ASMEND
	ds_write_b32 v53, v52
	v_lshlrev_b32_e32 v53, 4, v51
	ds_read_b32 v54, v53 offset:36872
	s_waitcnt lgkmcnt(0)
	v_cmp_ne_u32_e32 vcc, v54, v36
	s_and_saveexec_b64 s[10:11], vcc
	s_cbranch_execz .LBB96_19
; %bb.17:                               ;   in Loop: Header=BB96_13 Depth=2
	s_mov_b64 s[42:43], 0
.LBB96_18:                              ;   Parent Loop BB96_7 Depth=1
                                        ;     Parent Loop BB96_13 Depth=2
                                        ; =>    This Inner Loop Header: Depth=3
	;;#ASMSTART
	s_sleep 0
	;;#ASMEND
	ds_read_b32 v54, v53 offset:36872
	s_waitcnt lgkmcnt(0)
	v_cmp_eq_u32_e32 vcc, v54, v36
	s_or_b64 s[42:43], vcc, s[42:43]
	s_andn2_b64 exec, exec, s[42:43]
	s_cbranch_execnz .LBB96_18
.LBB96_19:                              ;   in Loop: Header=BB96_13 Depth=2
	s_or_b64 exec, exec, s[10:11]
	v_lshl_or_b32 v54, v51, 14, v39
	ds_read2_b32 v[56:57], v54 offset1:32
	ds_read2_b32 v[58:59], v54 offset0:64 offset1:96
	v_add_u32_e32 v55, 0x400, v54
	ds_read2_b32 v[60:61], v55 offset1:32
	ds_read2_b32 v[62:63], v55 offset0:64 offset1:96
	v_add_u32_e32 v55, 0x800, v54
	s_waitcnt lgkmcnt(2)
	v_smfmac_f32_16x16x64_fp8_fp8 v[12:15], v[34:35], v[56:59], v37 cbsz:7 abid:1
	ds_read2_b32 v[56:57], v55 offset1:32
	ds_read2_b32 v[58:59], v55 offset0:64 offset1:96
	v_add_u32_e32 v55, 0xc00, v54
	s_waitcnt lgkmcnt(2)
	v_smfmac_f32_16x16x64_fp8_fp8 v[12:15], v[32:33], v[60:63], v37 cbsz:7 abid:1
	ds_read2_b32 v[60:61], v55 offset1:32
	ds_read2_b32 v[62:63], v55 offset0:64 offset1:96
	ds_read_b32 v55, v53 offset:36876
	ds_write_b32 v53, v52 offset:36872
	s_waitcnt lgkmcnt(4)
	v_smfmac_f32_16x16x64_fp8_fp8 v[12:15], v[30:31], v[56:59], v37 cbsz:7 abid:1
	s_waitcnt lgkmcnt(1)
	v_cmp_ne_u32_e32 vcc, v55, v36
	v_smfmac_f32_16x16x64_fp8_fp8 v[12:15], v[28:29], v[60:63], v37 cbsz:7 abid:1
	s_and_saveexec_b64 s[10:11], vcc
	s_cbranch_execz .LBB96_22
; %bb.20:                               ;   in Loop: Header=BB96_13 Depth=2
	s_mov_b64 s[42:43], 0
.LBB96_21:                              ;   Parent Loop BB96_7 Depth=1
                                        ;     Parent Loop BB96_13 Depth=2
                                        ; =>    This Inner Loop Header: Depth=3
	;;#ASMSTART
	s_sleep 0
	;;#ASMEND
	ds_read_b32 v55, v53 offset:36876
	s_waitcnt lgkmcnt(0)
	v_cmp_eq_u32_e32 vcc, v55, v36
	s_or_b64 s[42:43], vcc, s[42:43]
	s_andn2_b64 exec, exec, s[42:43]
	s_cbranch_execnz .LBB96_21
.LBB96_22:                              ;   in Loop: Header=BB96_13 Depth=2
	s_or_b64 exec, exec, s[10:11]
	v_add_u32_e32 v55, 0x1000, v54
	ds_read2_b32 v[56:57], v55 offset1:32
	ds_read2_b32 v[58:59], v55 offset0:64 offset1:96
	v_add_u32_e32 v55, 0x1400, v54
	ds_read2_b32 v[60:61], v55 offset1:32
	ds_read2_b32 v[62:63], v55 offset0:64 offset1:96
	v_add_u32_e32 v55, 0x1800, v54
	s_waitcnt lgkmcnt(2)
	v_smfmac_f32_16x16x64_fp8_fp8 v[8:11], v[34:35], v[56:59], v37 cbsz:7 abid:1
	ds_read2_b32 v[56:57], v55 offset1:32
	ds_read2_b32 v[58:59], v55 offset0:64 offset1:96
	v_add_u32_e32 v55, 0x1c00, v54
	s_waitcnt lgkmcnt(2)
	v_smfmac_f32_16x16x64_fp8_fp8 v[8:11], v[32:33], v[60:63], v37 cbsz:7 abid:1
	ds_read2_b32 v[60:61], v55 offset1:32
	ds_read2_b32 v[62:63], v55 offset0:64 offset1:96
	ds_read_b32 v55, v53 offset:36880
	ds_write_b32 v53, v52 offset:36876
	s_waitcnt lgkmcnt(4)
	v_smfmac_f32_16x16x64_fp8_fp8 v[8:11], v[30:31], v[56:59], v37 cbsz:7 abid:1
	s_waitcnt lgkmcnt(1)
	v_cmp_ne_u32_e32 vcc, v55, v36
	v_smfmac_f32_16x16x64_fp8_fp8 v[8:11], v[28:29], v[60:63], v37 cbsz:7 abid:1
	s_and_saveexec_b64 s[10:11], vcc
	s_cbranch_execz .LBB96_25
; %bb.23:                               ;   in Loop: Header=BB96_13 Depth=2
	s_mov_b64 s[42:43], 0
.LBB96_24:                              ;   Parent Loop BB96_7 Depth=1
                                        ;     Parent Loop BB96_13 Depth=2
                                        ; =>    This Inner Loop Header: Depth=3
	;;#ASMSTART
	s_sleep 0
	;;#ASMEND
	ds_read_b32 v55, v53 offset:36880
	s_waitcnt lgkmcnt(0)
	v_cmp_eq_u32_e32 vcc, v55, v36
	s_or_b64 s[42:43], vcc, s[42:43]
	s_andn2_b64 exec, exec, s[42:43]
	s_cbranch_execnz .LBB96_24
.LBB96_25:                              ;   in Loop: Header=BB96_13 Depth=2
	s_or_b64 exec, exec, s[10:11]
	v_add_u32_e32 v55, 0x2000, v54
	ds_read2_b32 v[56:57], v55 offset1:32
	ds_read2_b32 v[58:59], v55 offset0:64 offset1:96
	v_add_u32_e32 v55, 0x2400, v54
	ds_read2_b32 v[60:61], v55 offset1:32
	ds_read2_b32 v[62:63], v55 offset0:64 offset1:96
	v_add_u32_e32 v55, 0x2800, v54
	s_waitcnt lgkmcnt(2)
	v_smfmac_f32_16x16x64_fp8_fp8 v[4:7], v[34:35], v[56:59], v37 cbsz:7 abid:1
	ds_read2_b32 v[56:57], v55 offset1:32
	ds_read2_b32 v[58:59], v55 offset0:64 offset1:96
	v_add_u32_e32 v55, 0x2c00, v54
	s_waitcnt lgkmcnt(2)
	v_smfmac_f32_16x16x64_fp8_fp8 v[4:7], v[32:33], v[60:63], v37 cbsz:7 abid:1
	ds_read2_b32 v[60:61], v55 offset1:32
	ds_read2_b32 v[62:63], v55 offset0:64 offset1:96
	ds_read_b32 v55, v53 offset:36884
	ds_write_b32 v53, v52 offset:36880
	s_waitcnt lgkmcnt(4)
	v_smfmac_f32_16x16x64_fp8_fp8 v[4:7], v[30:31], v[56:59], v37 cbsz:7 abid:1
	s_waitcnt lgkmcnt(1)
	v_cmp_ne_u32_e32 vcc, v55, v36
	v_smfmac_f32_16x16x64_fp8_fp8 v[4:7], v[28:29], v[60:63], v37 cbsz:7 abid:1
	s_and_saveexec_b64 s[10:11], vcc
	s_cbranch_execz .LBB96_12
; %bb.26:                               ;   in Loop: Header=BB96_13 Depth=2
	s_mov_b64 s[42:43], 0
.LBB96_27:                              ;   Parent Loop BB96_7 Depth=1
                                        ;     Parent Loop BB96_13 Depth=2
                                        ; =>    This Inner Loop Header: Depth=3
	;;#ASMSTART
	s_sleep 0
	;;#ASMEND
	ds_read_b32 v55, v53 offset:36884
	s_waitcnt lgkmcnt(0)
	v_cmp_eq_u32_e32 vcc, v55, v36
	s_or_b64 s[42:43], vcc, s[42:43]
	s_andn2_b64 exec, exec, s[42:43]
	s_cbranch_execnz .LBB96_27
	s_branch .LBB96_12
.LBB96_28:                              ;   in Loop: Header=BB96_7 Depth=1
	s_or_b64 exec, exec, s[8:9]
.LBB96_29:                              ;   in Loop: Header=BB96_7 Depth=1
	s_or_b64 exec, exec, s[6:7]
	v_cmp_le_i32_e32 vcc, s37, v16
	v_mov_b32_e32 v32, v13
	v_mov_b32_e32 v33, v14
	;; [unrolled: 1-line block ×3, first 2 shown]
	s_waitcnt vmcnt(0)
	v_cndmask_b32_e32 v28, 0, v20, vcc
	v_pk_add_f32 v[12:13], v[32:33], v[12:13]
	v_cmp_eq_u32_e32 vcc, 1, v40
	v_pk_mul_f32 v[12:13], v[28:29], v[12:13] op_sel_hi:[0,1]
	v_cmp_eq_u32_e64 s[6:7], 2, v40
	v_cndmask_b32_e32 v28, v12, v13, vcc
	v_cmp_le_i32_e64 s[10:11], s37, v41
	v_mov_b32_e32 v32, v9
	v_mov_b32_e32 v33, v10
	;; [unrolled: 1-line block ×3, first 2 shown]
	v_cndmask_b32_e64 v14, v28, v14, s[6:7]
	v_cndmask_b32_e64 v28, 0, v20, s[10:11]
	v_pk_add_f32 v[8:9], v[32:33], v[8:9]
	v_cmp_eq_u32_e64 s[8:9], 3, v40
	v_pk_mul_f32 v[8:9], v[28:29], v[8:9] op_sel_hi:[0,1]
	v_cmp_le_i32_e64 s[10:11], s37, v42
	v_mov_b32_e32 v32, v5
	v_mov_b32_e32 v33, v6
	;; [unrolled: 1-line block ×3, first 2 shown]
	v_cndmask_b32_e64 v14, v14, v15, s[8:9]
	v_cndmask_b32_e32 v15, v8, v9, vcc
	v_cndmask_b32_e64 v28, 0, v20, s[10:11]
	v_pk_add_f32 v[4:5], v[32:33], v[4:5]
	v_cndmask_b32_e64 v10, v15, v10, s[6:7]
	v_pk_mul_f32 v[4:5], v[28:29], v[4:5] op_sel_hi:[0,1]
	v_cndmask_b32_e64 v10, v10, v11, s[8:9]
	v_cndmask_b32_e32 v11, v4, v5, vcc
	v_cmp_le_i32_e32 vcc, s37, v43
	v_mov_b32_e32 v28, v1
	v_mov_b32_e32 v29, v2
	;; [unrolled: 1-line block ×3, first 2 shown]
	v_cndmask_b32_e32 v20, 0, v20, vcc
	v_pk_add_f32 v[0:1], v[28:29], v[0:1]
	v_cndmask_b32_e64 v6, v11, v6, s[6:7]
	v_pk_mul_f32 v[0:1], v[20:21], v[0:1] op_sel_hi:[0,1]
	v_cmp_ne_u32_e32 vcc, 0, v40
	v_cndmask_b32_e64 v6, v6, v7, s[8:9]
	ds_bpermute_b32 v14, v49, v14
	v_cndmask_b32_e32 v7, v0, v1, vcc
	v_cndmask_b32_e64 v2, v7, v2, s[6:7]
	v_cndmask_b32_e64 v2, v2, v3, s[8:9]
	ds_bpermute_b32 v10, v49, v10
	ds_bpermute_b32 v6, v49, v6
	;; [unrolled: 1-line block ×3, first 2 shown]
	v_cmp_lt_i32_e32 vcc, s58, v44
	s_and_saveexec_b64 s[8:9], vcc
	s_cbranch_execz .LBB96_31
; %bb.30:                               ;   in Loop: Header=BB96_7 Depth=1
	s_mul_i32 s6, s56, s13
	s_ashr_i32 s7, s6, 31
	s_lshl_b64 s[6:7], s[6:7], 1
	s_add_u32 s10, s24, s6
	s_addc_u32 s11, s25, s7
	s_ashr_i32 s37, s36, 31
	s_lshl_b64 s[6:7], s[36:37], 1
	s_add_u32 s10, s10, s6
	s_addc_u32 s11, s11, s7
	v_cmp_ne_u32_e32 vcc, 0, v40
	v_cmp_eq_u32_e64 s[6:7], 0, v40
	v_lshlrev_b32_e32 v20, 1, v16
	s_waitcnt lgkmcnt(0)
	v_cndmask_b32_e32 v7, v1, v2, vcc
	v_cndmask_b32_e64 v11, v0, v2, s[6:7]
	v_cndmask_b32_e32 v5, v5, v6, vcc
	v_cndmask_b32_e64 v4, v4, v6, s[6:7]
	;; [unrolled: 2-line block ×4, first 2 shown]
	v_cvt_f16_f32_e32 v8, v8
	v_cvt_f16_f32_sdwa v6, v6 dst_sel:WORD_1 dst_unused:UNUSED_PAD src0_sel:DWORD
	v_cvt_f16_f32_e32 v9, v3
	v_cvt_f16_f32_sdwa v10, v2 dst_sel:WORD_1 dst_unused:UNUSED_PAD src0_sel:DWORD
	v_lshl_add_u64 v[0:1], v[18:19], 1, s[10:11]
	v_lshl_add_u64 v[0:1], v[0:1], 0, v[20:21]
	v_or_b32_e32 v2, v6, v8
	v_or_b32_e32 v6, v10, v9
	;;#ASMSTART
	global_atomic_pk_add_f16 v[0:1], v2, off
	
	;;#ASMEND
	v_lshl_add_u64 v[2:3], v[0:1], 0, 32
	;;#ASMSTART
	global_atomic_pk_add_f16 v[2:3], v6, off
	
	;;#ASMEND
	v_cvt_f16_f32_e32 v4, v4
	v_cvt_f16_f32_sdwa v5, v5 dst_sel:WORD_1 dst_unused:UNUSED_PAD src0_sel:DWORD
	v_cvt_f16_f32_e32 v6, v11
	v_cvt_f16_f32_sdwa v7, v7 dst_sel:WORD_1 dst_unused:UNUSED_PAD src0_sel:DWORD
	v_lshl_add_u64 v[2:3], v[0:1], 0, 64
	v_or_b32_e32 v4, v5, v4
	;;#ASMSTART
	global_atomic_pk_add_f16 v[2:3], v4, off
	
	;;#ASMEND
	v_lshl_add_u64 v[0:1], v[0:1], 0, s[30:31]
	v_or_b32_e32 v2, v7, v6
	;;#ASMSTART
	global_atomic_pk_add_f16 v[0:1], v2, off
	
	;;#ASMEND
.LBB96_31:                              ;   in Loop: Header=BB96_7 Depth=1
	s_or_b64 exec, exec, s[8:9]
	v_subrev_u32_e32 v50, s55, v50
.LBB96_32:                              ;   in Loop: Header=BB96_7 Depth=1
	s_or_b64 exec, exec, s[40:41]
.LBB96_33:                              ;   in Loop: Header=BB96_7 Depth=1
	s_andn2_saveexec_b64 s[6:7], s[38:39]
	s_cbranch_execz .LBB96_42
; %bb.34:                               ;   in Loop: Header=BB96_7 Depth=1
	s_lshl_b32 s40, s55, 2
	v_cmp_gt_i32_e32 vcc, s40, v50
	s_and_saveexec_b64 s[8:9], vcc
	s_cbranch_execz .LBB96_41
; %bb.35:                               ;   in Loop: Header=BB96_7 Depth=1
	s_mul_i32 s10, s36, s15
	s_ashr_i32 s11, s10, 31
	s_waitcnt lgkmcnt(0)
	s_add_u32 s10, s22, s10
	s_addc_u32 s11, s23, s11
	s_ashr_i32 s36, s57, 31
	s_add_u32 s10, s10, s57
	s_addc_u32 s11, s11, s36
	v_lshl_add_u64 v[0:1], s[10:11], 0, v[24:25]
	v_lshl_add_u64 v[28:29], v[0:1], 0, v[22:23]
	s_mov_b64 s[10:11], 0
	s_branch .LBB96_37
.LBB96_36:                              ;   in Loop: Header=BB96_37 Depth=2
	s_or_b64 exec, exec, s[36:37]
	v_lshl_or_b32 v31, v20, 12, v45
	;;#ASMSTART
	s_waitcnt vmcnt(3)
	;;#ASMEND
	ds_write2_b32 v31, v12, v13 offset1:32
	ds_write2_b32 v31, v14, v15 offset0:64 offset1:96
	v_add_u32_e32 v12, 0x400, v31
	;;#ASMSTART
	s_waitcnt vmcnt(2)
	;;#ASMEND
	ds_write2_b32 v12, v8, v9 offset1:32
	ds_write2_b32 v12, v10, v11 offset0:64 offset1:96
	v_add_u32_e32 v8, 0x800, v31
	;; [unrolled: 6-line block ×4, first 2 shown]
	v_add_u32_e32 v50, s18, v50
	ds_write_b32 v30, v0 offset:8
	v_add_u32_e32 v30, s18, v20
	v_cmp_le_i32_e32 vcc, s40, v50
	v_add_u32_e32 v0, 2, v36
	s_or_b64 s[10:11], vcc, s[10:11]
	v_cmp_lt_i32_e32 vcc, 7, v30
	s_nop 1
	v_cndmask_b32_e32 v36, v36, v0, vcc
	s_andn2_b64 exec, exec, s[10:11]
	s_cbranch_execz .LBB96_40
.LBB96_37:                              ;   Parent Loop BB96_7 Depth=1
                                        ; =>  This Loop Header: Depth=2
                                        ;       Child Loop BB96_39 Depth 3
	v_cmp_gt_i32_e32 vcc, 8, v30
	s_nop 1
	v_cndmask_b32_e64 v0, -8, 0, vcc
	v_add_u32_e32 v20, v0, v30
	v_ashrrev_i32_e32 v0, 31, v50
	v_lshrrev_b32_e32 v0, 30, v0
	v_add_u32_e32 v0, v50, v0
	v_and_b32_e32 v1, -4, v0
	v_lshlrev_b32_e32 v0, 6, v0
	v_sub_u32_e32 v2, v50, v1
	v_and_b32_e32 v0, 0xffffff00, v0
	v_ashrrev_i32_e32 v1, 31, v0
	v_mul_lo_u32 v2, s48, v2
	v_lshl_add_u64 v[0:1], v[28:29], 0, v[0:1]
	v_ashrrev_i32_e32 v3, 31, v2
	v_lshl_add_u64 v[0:1], v[0:1], 0, v[2:3]
	v_lshlrev_b32_e32 v30, 2, v20
	;;#ASMSTART
	global_load_dwordx4 v[12:15], v[0:1], off offset:0    sc0 sc1 nt  
	global_load_dwordx4 v[8:11], v[0:1], off offset:64   sc0 sc1 nt  
	global_load_dwordx4 v[4:7], v[0:1], off offset:128  sc0 sc1 nt  
	global_load_dwordx4 v[0:3], v[0:1], off offset:192  sc0 sc1 nt  
	
	;;#ASMEND
	ds_read_b32 v31, v30 offset:36872
	v_add_u32_e32 v30, 0x9000, v30
	s_waitcnt lgkmcnt(0)
	v_cmp_ne_u32_e32 vcc, v31, v36
	s_and_saveexec_b64 s[36:37], vcc
	s_cbranch_execz .LBB96_36
; %bb.38:                               ;   in Loop: Header=BB96_37 Depth=2
	s_mov_b64 s[38:39], 0
.LBB96_39:                              ;   Parent Loop BB96_7 Depth=1
                                        ;     Parent Loop BB96_37 Depth=2
                                        ; =>    This Inner Loop Header: Depth=3
	;;#ASMSTART
	s_sleep 0
	;;#ASMEND
	ds_read_b32 v31, v30 offset:8
	s_waitcnt lgkmcnt(0)
	v_cmp_eq_u32_e32 vcc, v31, v36
	s_or_b64 s[38:39], vcc, s[38:39]
	s_andn2_b64 exec, exec, s[38:39]
	s_cbranch_execnz .LBB96_39
	s_branch .LBB96_36
.LBB96_40:                              ;   in Loop: Header=BB96_7 Depth=1
	s_or_b64 exec, exec, s[10:11]
.LBB96_41:                              ;   in Loop: Header=BB96_7 Depth=1
	s_or_b64 exec, exec, s[8:9]
	v_subrev_u32_e32 v50, s40, v50
.LBB96_42:                              ;   in Loop: Header=BB96_7 Depth=1
	s_or_b64 exec, exec, s[6:7]
.LBB96_43:                              ;   in Loop: Header=BB96_7 Depth=1
	s_andn2_saveexec_b64 s[6:7], s[34:35]
	s_cbranch_execz .LBB96_6
; %bb.44:                               ;   in Loop: Header=BB96_7 Depth=1
	v_cmp_gt_i32_e32 vcc, s55, v50
	s_and_saveexec_b64 s[8:9], vcc
	s_cbranch_execz .LBB96_5
; %bb.45:                               ;   in Loop: Header=BB96_7 Depth=1
	s_mul_i32 s56, s56, s14
	s_ashr_i32 s10, s56, 31
	s_waitcnt lgkmcnt(0)
	s_add_u32 s11, s20, s56
	s_addc_u32 s34, s21, s10
	s_ashr_i32 s35, s57, 31
	v_cmp_le_i32_e32 vcc, s58, v47
	s_add_u32 s10, s11, s57
	s_addc_u32 s11, s34, s35
	v_cndmask_b32_e32 v0, 0, v48, vcc
	v_ashrrev_i32_e32 v1, 31, v0
	v_lshl_add_u64 v[0:1], s[10:11], 0, v[0:1]
	v_lshlrev_b32_e32 v2, 8, v50
	v_lshl_add_u64 v[0:1], v[0:1], 0, v[26:27]
	v_ashrrev_i32_e32 v3, 31, v2
	v_lshl_add_u64 v[8:9], v[0:1], 0, v[2:3]
	s_mov_b64 s[10:11], 0
	s_branch .LBB96_47
.LBB96_46:                              ;   in Loop: Header=BB96_47 Depth=2
	s_or_b64 exec, exec, s[34:35]
	;;#ASMSTART
	s_waitcnt vmcnt(1)
	v_pack_b32_f16 v12, v4, v5, op_sel:[0,0]
	v_pack_b32_f16 v13, v4, v5, op_sel:[1,1]
	v_pack_b32_f16 v14, v6, v7, op_sel:[0,0]
	v_pack_b32_f16 v15, v6, v7, op_sel:[1,1]
	v_swap_b32 v12, v4
	v_swap_b32 v13, v6
	;; [unrolled: 1-line block ×4, first 2 shown]
	;;#ASMEND
	v_add_u32_e32 v50, s17, v50
	v_lshl_add_u32 v12, v10, 11, v46
	ds_write2_b32 v12, v4, v5 offset1:32
	ds_write2_b32 v12, v6, v7 offset0:64 offset1:96
	;;#ASMSTART
	s_waitcnt vmcnt(0)
	v_pack_b32_f16 v4, v0, v1, op_sel:[0,0]
	v_pack_b32_f16 v5, v0, v1, op_sel:[1,1]
	;; [unrolled: 1-line block ×4, first 2 shown]
	v_swap_b32 v4, v0
	v_swap_b32 v5, v2
	;; [unrolled: 1-line block ×4, first 2 shown]
	;;#ASMEND
	v_add_u32_e32 v30, s17, v10
	v_add_u32_e32 v4, 0x400, v12
	ds_write2_b32 v4, v0, v1 offset1:32
	ds_write2_b32 v4, v2, v3 offset0:64 offset1:96
	v_add_u32_e32 v0, 1, v36
	v_cmp_le_i32_e32 vcc, s55, v50
	ds_write_b32 v11, v0
	v_add_u32_e32 v0, 2, v36
	s_or_b64 s[10:11], vcc, s[10:11]
	v_cmp_lt_i32_e32 vcc, 1, v30
	v_lshl_add_u64 v[8:9], v[8:9], 0, s[28:29]
	s_nop 0
	v_cndmask_b32_e32 v36, v36, v0, vcc
	s_andn2_b64 exec, exec, s[10:11]
	s_cbranch_execz .LBB96_4
.LBB96_47:                              ;   Parent Loop BB96_7 Depth=1
                                        ; =>  This Loop Header: Depth=2
                                        ;       Child Loop BB96_49 Depth 3
	v_cmp_gt_i32_e32 vcc, 2, v30
	s_nop 1
	v_cndmask_b32_e64 v0, -2, 0, vcc
	v_add_u32_e32 v10, v0, v30
	v_lshlrev_b32_e32 v11, 2, v10
	;;#ASMSTART
	global_load_dwordx4 v[4:7], v[8:9], off offset:0  
	global_load_dwordx4 v[0:3], v[8:9], off offset:128
	
	;;#ASMEND
	ds_read_b32 v12, v11 offset:36864
	v_add_u32_e32 v11, 0x9000, v11
	s_waitcnt lgkmcnt(0)
	v_cmp_ne_u32_e32 vcc, v12, v36
	s_and_saveexec_b64 s[34:35], vcc
	s_cbranch_execz .LBB96_46
; %bb.48:                               ;   in Loop: Header=BB96_47 Depth=2
	s_mov_b64 s[36:37], 0
.LBB96_49:                              ;   Parent Loop BB96_7 Depth=1
                                        ;     Parent Loop BB96_47 Depth=2
                                        ; =>    This Inner Loop Header: Depth=3
	;;#ASMSTART
	s_sleep 0
	;;#ASMEND
	ds_read_b32 v12, v11
	s_waitcnt lgkmcnt(0)
	v_cmp_eq_u32_e32 vcc, v12, v36
	s_or_b64 s[36:37], vcc, s[36:37]
	s_andn2_b64 exec, exec, s[36:37]
	s_cbranch_execnz .LBB96_49
	s_branch .LBB96_46
.LBB96_50:
	s_endpgm
	.section	.rodata,"a",@progbits
	.p2align	6, 0x0
	.amdhsa_kernel _Z19_skinny_gemm_kernelILi1ELi4ELi2ELi8ELi4EEvPKhS1_P6__halfPKfiiiiiiii
		.amdhsa_group_segment_fixed_size 36904
		.amdhsa_private_segment_fixed_size 0
		.amdhsa_kernarg_size 64
		.amdhsa_user_sgpr_count 2
		.amdhsa_user_sgpr_dispatch_ptr 0
		.amdhsa_user_sgpr_queue_ptr 0
		.amdhsa_user_sgpr_kernarg_segment_ptr 1
		.amdhsa_user_sgpr_dispatch_id 0
		.amdhsa_user_sgpr_kernarg_preload_length 0
		.amdhsa_user_sgpr_kernarg_preload_offset 0
		.amdhsa_user_sgpr_private_segment_size 0
		.amdhsa_uses_dynamic_stack 0
		.amdhsa_enable_private_segment 0
		.amdhsa_system_sgpr_workgroup_id_x 1
		.amdhsa_system_sgpr_workgroup_id_y 0
		.amdhsa_system_sgpr_workgroup_id_z 0
		.amdhsa_system_sgpr_workgroup_info 0
		.amdhsa_system_vgpr_workitem_id 0
		.amdhsa_next_free_vgpr 64
		.amdhsa_next_free_sgpr 59
		.amdhsa_accum_offset 64
		.amdhsa_reserve_vcc 1
		.amdhsa_float_round_mode_32 0
		.amdhsa_float_round_mode_16_64 0
		.amdhsa_float_denorm_mode_32 3
		.amdhsa_float_denorm_mode_16_64 3
		.amdhsa_dx10_clamp 1
		.amdhsa_ieee_mode 1
		.amdhsa_fp16_overflow 0
		.amdhsa_tg_split 0
		.amdhsa_exception_fp_ieee_invalid_op 0
		.amdhsa_exception_fp_denorm_src 0
		.amdhsa_exception_fp_ieee_div_zero 0
		.amdhsa_exception_fp_ieee_overflow 0
		.amdhsa_exception_fp_ieee_underflow 0
		.amdhsa_exception_fp_ieee_inexact 0
		.amdhsa_exception_int_div_zero 0
	.end_amdhsa_kernel
	.section	.text._Z19_skinny_gemm_kernelILi1ELi4ELi2ELi8ELi4EEvPKhS1_P6__halfPKfiiiiiiii,"axG",@progbits,_Z19_skinny_gemm_kernelILi1ELi4ELi2ELi8ELi4EEvPKhS1_P6__halfPKfiiiiiiii,comdat
.Lfunc_end96:
	.size	_Z19_skinny_gemm_kernelILi1ELi4ELi2ELi8ELi4EEvPKhS1_P6__halfPKfiiiiiiii, .Lfunc_end96-_Z19_skinny_gemm_kernelILi1ELi4ELi2ELi8ELi4EEvPKhS1_P6__halfPKfiiiiiiii
                                        ; -- End function
	.set _Z19_skinny_gemm_kernelILi1ELi4ELi2ELi8ELi4EEvPKhS1_P6__halfPKfiiiiiiii.num_vgpr, 64
	.set _Z19_skinny_gemm_kernelILi1ELi4ELi2ELi8ELi4EEvPKhS1_P6__halfPKfiiiiiiii.num_agpr, 0
	.set _Z19_skinny_gemm_kernelILi1ELi4ELi2ELi8ELi4EEvPKhS1_P6__halfPKfiiiiiiii.numbered_sgpr, 59
	.set _Z19_skinny_gemm_kernelILi1ELi4ELi2ELi8ELi4EEvPKhS1_P6__halfPKfiiiiiiii.num_named_barrier, 0
	.set _Z19_skinny_gemm_kernelILi1ELi4ELi2ELi8ELi4EEvPKhS1_P6__halfPKfiiiiiiii.private_seg_size, 0
	.set _Z19_skinny_gemm_kernelILi1ELi4ELi2ELi8ELi4EEvPKhS1_P6__halfPKfiiiiiiii.uses_vcc, 1
	.set _Z19_skinny_gemm_kernelILi1ELi4ELi2ELi8ELi4EEvPKhS1_P6__halfPKfiiiiiiii.uses_flat_scratch, 0
	.set _Z19_skinny_gemm_kernelILi1ELi4ELi2ELi8ELi4EEvPKhS1_P6__halfPKfiiiiiiii.has_dyn_sized_stack, 0
	.set _Z19_skinny_gemm_kernelILi1ELi4ELi2ELi8ELi4EEvPKhS1_P6__halfPKfiiiiiiii.has_recursion, 0
	.set _Z19_skinny_gemm_kernelILi1ELi4ELi2ELi8ELi4EEvPKhS1_P6__halfPKfiiiiiiii.has_indirect_call, 0
	.section	.AMDGPU.csdata,"",@progbits
; Kernel info:
; codeLenInByte = 4164
; TotalNumSgprs: 65
; NumVgprs: 64
; NumAgprs: 0
; TotalNumVgprs: 64
; ScratchSize: 0
; MemoryBound: 0
; FloatMode: 240
; IeeeMode: 1
; LDSByteSize: 36904 bytes/workgroup (compile time only)
; SGPRBlocks: 8
; VGPRBlocks: 7
; NumSGPRsForWavesPerEU: 65
; NumVGPRsForWavesPerEU: 64
; AccumOffset: 64
; Occupancy: 8
; WaveLimiterHint : 0
; COMPUTE_PGM_RSRC2:SCRATCH_EN: 0
; COMPUTE_PGM_RSRC2:USER_SGPR: 2
; COMPUTE_PGM_RSRC2:TRAP_HANDLER: 0
; COMPUTE_PGM_RSRC2:TGID_X_EN: 1
; COMPUTE_PGM_RSRC2:TGID_Y_EN: 0
; COMPUTE_PGM_RSRC2:TGID_Z_EN: 0
; COMPUTE_PGM_RSRC2:TIDIG_COMP_CNT: 0
; COMPUTE_PGM_RSRC3_GFX90A:ACCUM_OFFSET: 15
; COMPUTE_PGM_RSRC3_GFX90A:TG_SPLIT: 0
	.section	.text._Z19_skinny_gemm_kernelILi1ELi4ELi2ELi16ELi4EEvPKhS1_P6__halfPKfiiiiiiii,"axG",@progbits,_Z19_skinny_gemm_kernelILi1ELi4ELi2ELi16ELi4EEvPKhS1_P6__halfPKfiiiiiiii,comdat
	.protected	_Z19_skinny_gemm_kernelILi1ELi4ELi2ELi16ELi4EEvPKhS1_P6__halfPKfiiiiiiii ; -- Begin function _Z19_skinny_gemm_kernelILi1ELi4ELi2ELi16ELi4EEvPKhS1_P6__halfPKfiiiiiiii
	.globl	_Z19_skinny_gemm_kernelILi1ELi4ELi2ELi16ELi4EEvPKhS1_P6__halfPKfiiiiiiii
	.p2align	8
	.type	_Z19_skinny_gemm_kernelILi1ELi4ELi2ELi16ELi4EEvPKhS1_P6__halfPKfiiiiiiii,@function
_Z19_skinny_gemm_kernelILi1ELi4ELi2ELi16ELi4EEvPKhS1_P6__halfPKfiiiiiiii: ; @_Z19_skinny_gemm_kernelILi1ELi4ELi2ELi16ELi4EEvPKhS1_P6__halfPKfiiiiiiii
; %bb.0:
	v_cmp_gt_u32_e32 vcc, 10, v0
	v_lshlrev_b32_e32 v1, 2, v0
	s_and_saveexec_b64 s[4:5], vcc
; %bb.1:
	v_mov_b32_e32 v2, 0
	ds_write_b32 v1, v2 offset:20480
; %bb.2:
	s_or_b64 exec, exec, s[4:5]
	s_load_dwordx8 s[20:27], s[0:1], 0x20
	s_waitcnt lgkmcnt(0)
	s_barrier
	s_add_i32 s3, s20, 15
	s_ashr_i32 s5, s3, 31
	s_add_i32 s4, s21, 63
	s_lshr_b32 s5, s5, 28
	s_ashr_i32 s6, s4, 31
	s_add_i32 s3, s3, s5
	s_ashr_i32 s33, s3, 4
	s_lshr_b32 s3, s6, 26
	s_add_i32 s4, s4, s3
	s_ashr_i32 s50, s4, 6
	s_mul_i32 s3, s50, s33
	s_mul_i32 s3, s3, s24
	s_add_i32 s4, s3, 0x12f
	s_mul_hi_i32 s4, s4, 0x6bca1af3
	s_lshr_b32 s5, s4, 31
	s_ashr_i32 s4, s4, 7
	s_add_i32 s4, s4, s5
	s_add_i32 s5, s2, 1
	s_mul_i32 s5, s4, s5
	v_cvt_f64_i32_e32 v[2:3], s3
	v_cvt_f64_u32_e32 v[4:5], s5
	v_min_f64 v[2:3], v[2:3], v[4:5]
	v_cvt_i32_f64_e32 v17, v[2:3]
	s_mul_i32 s51, s4, s2
	v_cmp_ge_i32_e32 vcc, s51, v17
	s_cbranch_vccnz .LBB97_51
; %bb.3:
	v_lshrrev_b32_e32 v2, 6, v0
	s_add_i32 s4, s26, s25
	s_load_dwordx8 s[36:43], s[0:1], 0x0
	v_cmp_le_i32_e64 s[0:1], s4, v2
	v_mov_b32_e32 v3, s25
	v_cmp_le_i32_e64 s[2:3], s25, v2
	v_mov_b32_e32 v4, s26
	v_cndmask_b32_e64 v4, 0, v4, s[0:1]
	v_cndmask_b32_e64 v3, 0, v3, s[2:3]
	s_abs_i32 s5, s24
	v_add_u32_e32 v3, v3, v4
	v_cvt_f32_u32_e32 v4, s5
	v_sub_u32_e32 v24, v2, v3
	s_ashr_i32 s6, s22, 31
	s_lshr_b32 s6, s6, 25
	v_rcp_iflag_f32_e32 v3, v4
	s_sub_i32 s9, 0, s5
	s_add_i32 s6, s22, s6
	s_ashr_i32 s6, s6, 7
	v_mul_f32_e32 v3, 0x4f7ffffe, v3
	v_cvt_u32_f32_e32 v3, v3
	s_abs_i32 s8, s6
	s_xor_b32 s7, s6, s24
	s_ashr_i32 s7, s7, 31
	v_readfirstlane_b32 s10, v3
	s_mul_i32 s9, s9, s10
	s_mul_hi_u32 s9, s10, s9
	s_add_i32 s10, s10, s9
	s_mul_hi_u32 s9, s8, s10
	s_mul_i32 s10, s9, s5
	s_sub_i32 s8, s8, s10
	s_add_i32 s10, s9, 1
	s_sub_i32 s11, s8, s5
	s_cmp_ge_u32 s8, s5
	s_cselect_b32 s9, s10, s9
	s_cselect_b32 s8, s11, s8
	s_add_i32 s10, s9, 1
	s_cmp_ge_u32 s8, s5
	s_cselect_b32 s5, s10, s9
	s_xor_b32 s5, s5, s7
	s_sub_i32 s52, s5, s7
	s_add_i32 s24, s24, -1
	s_mul_i32 s5, s52, s24
	s_add_i32 s4, s4, s27
	s_sub_i32 s53, s6, s5
	v_cmp_gt_i32_e64 s[4:5], s4, v2
	v_lshlrev_b32_e32 v2, 1, v0
	v_lshlrev_b32_e32 v3, 4, v0
	v_and_b32_e32 v1, 60, v1
	v_and_b32_e32 v2, 64, v2
	;; [unrolled: 1-line block ×3, first 2 shown]
	s_abs_i32 s54, s33
	v_or3_b32 v39, v1, v2, v4
	v_and_b32_e32 v1, 1, v0
	v_cvt_f32_u32_e32 v6, s54
	v_lshlrev_b32_e32 v2, 1, v1
	v_lshrrev_b32_e32 v4, 2, v0
	v_and_b32_e32 v16, 14, v0
	v_sub_u32_e32 v2, v0, v2
	v_and_or_b32 v41, v4, 12, v1
	v_bitop3_b32 v42, v0, 1, v0 bitop3:0xc
	v_bitop3_b32 v43, v0, 3, 1 bitop3:0x6c
	v_and_b32_e32 v20, 48, v3
	v_bfe_u32 v1, v0, 2, 4
	v_and_b32_e32 v3, 60, v0
	v_lshlrev_b32_e32 v5, 8, v0
	v_lshlrev_b32_e32 v0, 6, v0
	v_and_b32_e32 v5, 0x200, v5
	v_and_b32_e32 v0, 64, v0
	v_or3_b32 v47, v3, v5, v0
	v_rcp_iflag_f32_e32 v0, v6
	s_abs_i32 s56, s50
	v_mul_lo_u32 v22, s23, v1
	v_mul_lo_u32 v49, s22, v1
	v_cvt_f32_u32_e32 v1, s56
	v_mul_f32_e32 v0, 0x4f7ffffe, v0
	v_cvt_u32_f32_e32 v0, v0
	v_mad_u64_u32 v[18:19], s[6:7], s21, v41, v[16:17]
	v_rcp_iflag_f32_e32 v1, v1
	v_readfirstlane_b32 s7, v0
	s_sub_i32 s6, 0, s54
	s_mul_i32 s6, s6, s7
	v_mul_f32_e32 v0, 0x4f7ffffe, v1
	v_cvt_u32_f32_e32 v0, v0
	s_mul_hi_u32 s6, s7, s6
	v_add_u32_e32 v2, 1, v2
	s_add_i32 s58, s7, s6
	s_sub_i32 s6, 0, s56
	v_readfirstlane_b32 s7, v0
	v_mbcnt_lo_u32_b32 v0, -1, 0
	v_and_b32_e32 v2, 63, v2
	s_mul_i32 s6, s6, s7
	v_mbcnt_hi_u32_b32 v0, -1, v0
	s_mul_hi_u32 s6, s7, s6
	v_and_or_b32 v0, v0, 64, v2
	v_cndmask_b32_e64 v38, 0, 1, s[0:1]
	v_or_b32_e32 v40, 0x4000, v39
	v_or_b32_e32 v44, 16, v16
	;; [unrolled: 1-line block ×4, first 2 shown]
	v_ashrrev_i32_e32 v19, 31, v18
	s_ashr_i32 s29, s21, 31
	s_mov_b32 s28, s21
	v_ashrrev_i32_e32 v23, 31, v22
	v_mov_b32_e32 v21, 0
	s_lshl_b32 s55, s23, 4
	v_bitop3_b32 v48, v4, 15, v4 bitop3:0xc
	v_or_b32_e32 v50, 0x4000, v47
	s_ashr_i32 s57, s33, 31
	s_ashr_i32 s59, s50, 31
	s_add_i32 s60, s7, s6
	s_mov_b64 s[30:31], 0x60
	v_lshlrev_b32_e32 v51, 2, v0
	v_mov_b32_e32 v52, v24
	s_branch .LBB97_7
.LBB97_4:                               ;   in Loop: Header=BB97_7 Depth=1
	s_or_b64 exec, exec, s[10:11]
.LBB97_5:                               ;   in Loop: Header=BB97_7 Depth=1
	s_or_b64 exec, exec, s[8:9]
	v_subrev_u32_e32 v52, s61, v52
.LBB97_6:                               ;   in Loop: Header=BB97_7 Depth=1
	s_or_b64 exec, exec, s[6:7]
	s_add_i32 s51, s51, 1
	v_cmp_ge_i32_e32 vcc, s51, v17
	s_cbranch_vccnz .LBB97_51
.LBB97_7:                               ; =>This Loop Header: Depth=1
                                        ;     Child Loop BB97_13 Depth 2
                                        ;       Child Loop BB97_15 Depth 3
                                        ;       Child Loop BB97_18 Depth 3
	;; [unrolled: 1-line block ×5, first 2 shown]
                                        ;     Child Loop BB97_38 Depth 2
                                        ;       Child Loop BB97_40 Depth 3
                                        ;     Child Loop BB97_48 Depth 2
                                        ;       Child Loop BB97_50 Depth 3
	s_abs_i32 s7, s51
	s_mul_hi_u32 s8, s7, s58
	s_mul_i32 s9, s8, s54
	s_ashr_i32 s6, s51, 31
	s_sub_i32 s7, s7, s9
	s_xor_b32 s6, s6, s57
	s_add_i32 s9, s8, 1
	s_sub_i32 s10, s7, s54
	s_cmp_ge_u32 s7, s54
	s_cselect_b32 s8, s9, s8
	s_cselect_b32 s7, s10, s7
	s_add_i32 s9, s8, 1
	s_cmp_ge_u32 s7, s54
	s_cselect_b32 s7, s9, s8
	s_xor_b32 s7, s7, s6
	s_sub_i32 s6, s7, s6
	s_abs_i32 s8, s6
	s_mul_i32 s7, s6, s33
	s_mul_hi_u32 s9, s8, s60
	s_sub_i32 s7, s51, s7
	s_mul_i32 s10, s9, s56
	s_lshl_b32 s62, s7, 4
	s_ashr_i32 s7, s6, 31
	s_sub_i32 s8, s8, s10
	s_xor_b32 s7, s7, s59
	s_add_i32 s10, s9, 1
	s_sub_i32 s11, s8, s56
	s_cmp_ge_u32 s8, s56
	s_cselect_b32 s9, s10, s9
	s_cselect_b32 s8, s11, s8
	s_add_i32 s10, s9, 1
	s_cmp_ge_u32 s8, s56
	s_cselect_b32 s8, s10, s9
	s_xor_b32 s8, s8, s7
	s_sub_i32 s7, s8, s7
	s_mul_i32 s8, s7, s52
	s_lshl_b32 s63, s8, 7
	s_cmp_eq_u32 s7, s24
	s_cselect_b32 s61, s53, s52
	s_sub_i32 s64, s62, s20
	s_add_i32 s64, s64, 16
	s_and_saveexec_b64 s[8:9], s[2:3]
	s_xor_b64 s[34:35], exec, s[8:9]
	s_cbranch_execz .LBB97_44
; %bb.8:                                ;   in Loop: Header=BB97_7 Depth=1
	s_mul_i32 s7, s7, s50
	s_sub_i32 s6, s6, s7
	s_lshl_b32 s6, s6, 6
	s_sub_i32 s45, s6, s21
	s_add_i32 s45, s45, 64
	s_max_i32 s7, s45, 0
	s_sub_i32 s44, s6, s7
	s_and_saveexec_b64 s[6:7], s[0:1]
	s_xor_b64 s[46:47], exec, s[6:7]
	s_cbranch_execz .LBB97_34
; %bb.9:                                ;   in Loop: Header=BB97_7 Depth=1
	s_and_saveexec_b64 s[48:49], s[4:5]
	s_cbranch_execz .LBB97_33
; %bb.10:                               ;   in Loop: Header=BB97_7 Depth=1
	s_waitcnt lgkmcnt(0)
	global_load_dword v53, v21, s[42:43]
	v_mov_b32_e32 v15, 0
	v_cmp_gt_i32_e32 vcc, s61, v52
	v_mov_b32_e32 v14, v15
	v_mov_b32_e32 v13, v15
	;; [unrolled: 1-line block ×15, first 2 shown]
	s_and_saveexec_b64 s[6:7], vcc
	s_cbranch_execz .LBB97_29
; %bb.11:                               ;   in Loop: Header=BB97_7 Depth=1
	v_mov_b32_e32 v0, 0
	s_mov_b64 s[8:9], 0
	v_mov_b32_e32 v1, v0
	v_mov_b32_e32 v2, v0
	;; [unrolled: 1-line block ×15, first 2 shown]
	s_branch .LBB97_13
.LBB97_12:                              ;   in Loop: Header=BB97_13 Depth=2
	s_or_b64 exec, exec, s[10:11]
	v_add_u32_e32 v33, 0x1800, v32
	ds_read2_b32 v[34:35], v33 offset1:32
	v_add_u32_e32 v52, s27, v52
	v_cmp_le_i32_e32 vcc, s61, v52
	s_or_b64 s[8:9], vcc, s[8:9]
	s_waitcnt lgkmcnt(0)
	v_mfma_f32_16x16x32_fp8_fp8 v[0:3], v[26:27], v[34:35], v[0:3]
	ds_read2_b32 v[26:27], v33 offset0:128 offset1:160
	v_add_u32_e32 v34, 0x1c00, v32
	ds_read2_b32 v[32:33], v34 offset1:32
	s_waitcnt lgkmcnt(1)
	v_mfma_f32_16x16x32_fp8_fp8 v[0:3], v[24:25], v[26:27], v[0:3]
	ds_read2_b32 v[26:27], v34 offset0:128 offset1:160
	v_add_u32_e32 v24, s27, v55
	v_add_u32_e32 v25, 2, v38
	s_waitcnt lgkmcnt(1)
	v_mfma_f32_16x16x32_fp8_fp8 v[0:3], v[30:31], v[32:33], v[0:3]
	v_cmp_lt_i32_e32 vcc, 1, v24
	;;#ASMSTART
	s_waitcnt lgkmcnt(0)
	;;#ASMEND
	ds_write_b32 v54, v56 offset:20500
	s_waitcnt lgkmcnt(1)
	v_mfma_f32_16x16x32_fp8_fp8 v[0:3], v[28:29], v[26:27], v[0:3]
	v_cndmask_b32_e32 v38, v38, v25, vcc
	s_andn2_b64 exec, exec, s[8:9]
	s_cbranch_execz .LBB97_28
.LBB97_13:                              ;   Parent Loop BB97_7 Depth=1
                                        ; =>  This Loop Header: Depth=2
                                        ;       Child Loop BB97_15 Depth 3
                                        ;       Child Loop BB97_18 Depth 3
	;; [unrolled: 1-line block ×5, first 2 shown]
	v_cmp_gt_i32_e32 vcc, 2, v24
	s_nop 1
	v_cndmask_b32_e64 v25, -2, 0, vcc
	v_add_u32_e32 v55, v25, v24
	v_lshlrev_b32_e32 v54, 4, v55
	ds_read_b32 v24, v54 offset:20488
	s_waitcnt lgkmcnt(0)
	v_cmp_ne_u32_e32 vcc, v24, v38
	s_and_saveexec_b64 s[10:11], vcc
	s_cbranch_execz .LBB97_16
; %bb.14:                               ;   in Loop: Header=BB97_13 Depth=2
	s_mov_b64 s[12:13], 0
.LBB97_15:                              ;   Parent Loop BB97_7 Depth=1
                                        ;     Parent Loop BB97_13 Depth=2
                                        ; =>    This Inner Loop Header: Depth=3
	;;#ASMSTART
	s_sleep 0
	;;#ASMEND
	ds_read_b32 v24, v54 offset:20488
	s_waitcnt lgkmcnt(0)
	v_cmp_eq_u32_e32 vcc, v24, v38
	s_or_b64 s[12:13], vcc, s[12:13]
	s_andn2_b64 exec, exec, s[12:13]
	s_cbranch_execnz .LBB97_15
.LBB97_16:                              ;   in Loop: Header=BB97_13 Depth=2
	s_or_b64 exec, exec, s[10:11]
	v_lshlrev_b32_e32 v57, 13, v55
	v_or_b32_e32 v24, v39, v57
	ds_read2_b32 v[28:29], v24 offset1:32
	ds_read2_b32 v[32:33], v24 offset0:128 offset1:160
	v_add_u32_e32 v24, 0x400, v24
	v_add_u32_e32 v56, 1, v38
	ds_read2_b32 v[36:37], v24 offset1:32
	ds_read2_b32 v[34:35], v24 offset0:128 offset1:160
	;;#ASMSTART
	s_waitcnt lgkmcnt(0)
	;;#ASMEND
	ds_write_b32 v54, v56 offset:20488
	v_lshlrev_b32_e32 v24, 2, v55
	ds_read_b32 v25, v24 offset:20480
	v_add_u32_e32 v58, 0x5000, v24
	s_waitcnt lgkmcnt(0)
	v_cmp_ne_u32_e32 vcc, v25, v38
	s_and_saveexec_b64 s[10:11], vcc
	s_cbranch_execz .LBB97_19
; %bb.17:                               ;   in Loop: Header=BB97_13 Depth=2
	s_mov_b64 s[12:13], 0
.LBB97_18:                              ;   Parent Loop BB97_7 Depth=1
                                        ;     Parent Loop BB97_13 Depth=2
                                        ; =>    This Inner Loop Header: Depth=3
	;;#ASMSTART
	s_sleep 0
	;;#ASMEND
	ds_read_b32 v24, v58
	s_waitcnt lgkmcnt(0)
	v_cmp_eq_u32_e32 vcc, v24, v38
	s_or_b64 s[12:13], vcc, s[12:13]
	s_andn2_b64 exec, exec, s[12:13]
	s_cbranch_execnz .LBB97_18
.LBB97_19:                              ;   in Loop: Header=BB97_13 Depth=2
	s_or_b64 exec, exec, s[10:11]
	v_lshl_add_u32 v30, v55, 11, v40
	ds_read2_b32 v[26:27], v30 offset1:32
	ds_read2_b32 v[24:25], v30 offset0:128 offset1:160
	v_add_u32_e32 v59, 0x400, v30
	ds_read2_b32 v[30:31], v59 offset1:32
	ds_write_b32 v58, v56
	s_waitcnt lgkmcnt(3)
	v_mfma_f32_16x16x32_fp8_fp8 v[12:15], v[26:27], v[28:29], v[12:15]
	ds_read2_b32 v[28:29], v59 offset0:128 offset1:160
	s_waitcnt lgkmcnt(3)
	v_mfma_f32_16x16x32_fp8_fp8 v[12:15], v[24:25], v[32:33], v[12:15]
	ds_read_b32 v32, v54 offset:20492
	s_waitcnt lgkmcnt(0)
	v_cmp_ne_u32_e32 vcc, v32, v38
	v_mfma_f32_16x16x32_fp8_fp8 v[12:15], v[30:31], v[36:37], v[12:15]
	v_mfma_f32_16x16x32_fp8_fp8 v[12:15], v[28:29], v[34:35], v[12:15]
	s_and_saveexec_b64 s[10:11], vcc
	s_cbranch_execz .LBB97_22
; %bb.20:                               ;   in Loop: Header=BB97_13 Depth=2
	s_mov_b64 s[12:13], 0
.LBB97_21:                              ;   Parent Loop BB97_7 Depth=1
                                        ;     Parent Loop BB97_13 Depth=2
                                        ; =>    This Inner Loop Header: Depth=3
	;;#ASMSTART
	s_sleep 0
	;;#ASMEND
	ds_read_b32 v32, v54 offset:20492
	s_waitcnt lgkmcnt(0)
	v_cmp_eq_u32_e32 vcc, v32, v38
	s_or_b64 s[12:13], vcc, s[12:13]
	s_andn2_b64 exec, exec, s[12:13]
	s_cbranch_execnz .LBB97_21
.LBB97_22:                              ;   in Loop: Header=BB97_13 Depth=2
	s_or_b64 exec, exec, s[10:11]
	v_add_u32_e32 v32, v39, v57
	v_add_u32_e32 v33, 0x800, v32
	ds_read2_b32 v[34:35], v33 offset1:32
	s_waitcnt lgkmcnt(0)
	v_mfma_f32_16x16x32_fp8_fp8 v[8:11], v[26:27], v[34:35], v[8:11]
	ds_read2_b32 v[34:35], v33 offset0:128 offset1:160
	v_add_u32_e32 v33, 0xc00, v32
	s_waitcnt lgkmcnt(0)
	v_mfma_f32_16x16x32_fp8_fp8 v[8:11], v[24:25], v[34:35], v[8:11]
	ds_read2_b32 v[34:35], v33 offset1:32
	ds_read2_b32 v[36:37], v33 offset0:128 offset1:160
	;;#ASMSTART
	s_waitcnt lgkmcnt(0)
	;;#ASMEND
	ds_read_b32 v33, v54 offset:20496
	s_waitcnt lgkmcnt(2)
	v_mfma_f32_16x16x32_fp8_fp8 v[8:11], v[30:31], v[34:35], v[8:11]
	ds_write_b32 v54, v56 offset:20492
	s_waitcnt lgkmcnt(1)
	v_cmp_ne_u32_e32 vcc, v33, v38
	v_mfma_f32_16x16x32_fp8_fp8 v[8:11], v[28:29], v[36:37], v[8:11]
	s_and_saveexec_b64 s[10:11], vcc
	s_cbranch_execz .LBB97_25
; %bb.23:                               ;   in Loop: Header=BB97_13 Depth=2
	s_mov_b64 s[12:13], 0
.LBB97_24:                              ;   Parent Loop BB97_7 Depth=1
                                        ;     Parent Loop BB97_13 Depth=2
                                        ; =>    This Inner Loop Header: Depth=3
	;;#ASMSTART
	s_sleep 0
	;;#ASMEND
	ds_read_b32 v33, v54 offset:20496
	s_waitcnt lgkmcnt(0)
	v_cmp_eq_u32_e32 vcc, v33, v38
	s_or_b64 s[12:13], vcc, s[12:13]
	s_andn2_b64 exec, exec, s[12:13]
	s_cbranch_execnz .LBB97_24
.LBB97_25:                              ;   in Loop: Header=BB97_13 Depth=2
	s_or_b64 exec, exec, s[10:11]
	v_add_u32_e32 v33, 0x1000, v32
	ds_read2_b32 v[34:35], v33 offset1:32
	s_waitcnt lgkmcnt(0)
	v_mfma_f32_16x16x32_fp8_fp8 v[4:7], v[26:27], v[34:35], v[4:7]
	ds_read2_b32 v[34:35], v33 offset0:128 offset1:160
	v_add_u32_e32 v33, 0x1400, v32
	s_waitcnt lgkmcnt(0)
	v_mfma_f32_16x16x32_fp8_fp8 v[4:7], v[24:25], v[34:35], v[4:7]
	ds_read2_b32 v[34:35], v33 offset1:32
	ds_read2_b32 v[36:37], v33 offset0:128 offset1:160
	;;#ASMSTART
	s_waitcnt lgkmcnt(0)
	;;#ASMEND
	ds_read_b32 v33, v54 offset:20500
	s_waitcnt lgkmcnt(2)
	v_mfma_f32_16x16x32_fp8_fp8 v[4:7], v[30:31], v[34:35], v[4:7]
	ds_write_b32 v54, v56 offset:20496
	s_waitcnt lgkmcnt(1)
	v_cmp_ne_u32_e32 vcc, v33, v38
	v_mfma_f32_16x16x32_fp8_fp8 v[4:7], v[28:29], v[36:37], v[4:7]
	s_and_saveexec_b64 s[10:11], vcc
	s_cbranch_execz .LBB97_12
; %bb.26:                               ;   in Loop: Header=BB97_13 Depth=2
	s_mov_b64 s[12:13], 0
.LBB97_27:                              ;   Parent Loop BB97_7 Depth=1
                                        ;     Parent Loop BB97_13 Depth=2
                                        ; =>    This Inner Loop Header: Depth=3
	;;#ASMSTART
	s_sleep 0
	;;#ASMEND
	ds_read_b32 v33, v54 offset:20500
	s_waitcnt lgkmcnt(0)
	v_cmp_eq_u32_e32 vcc, v33, v38
	s_or_b64 s[12:13], vcc, s[12:13]
	s_andn2_b64 exec, exec, s[12:13]
	s_cbranch_execnz .LBB97_27
	s_branch .LBB97_12
.LBB97_28:                              ;   in Loop: Header=BB97_7 Depth=1
	s_or_b64 exec, exec, s[8:9]
.LBB97_29:                              ;   in Loop: Header=BB97_7 Depth=1
	s_or_b64 exec, exec, s[6:7]
	v_cmp_le_i32_e32 vcc, s45, v16
	v_cmp_eq_u32_e64 s[6:7], 2, v42
	v_cmp_eq_u32_e64 s[8:9], 3, v42
	s_waitcnt vmcnt(0)
	v_cndmask_b32_e32 v26, 0, v53, vcc
	v_pk_mul_f32 v[14:15], v[26:27], v[14:15] op_sel_hi:[0,1]
	v_pk_mul_f32 v[26:27], v[26:27], v[12:13] op_sel_hi:[0,1]
	v_cmp_eq_u32_e32 vcc, 1, v42
	v_cmp_eq_u32_e64 s[10:11], 0, v42
	v_cmp_le_i32_e64 s[14:15], s45, v44
	v_cndmask_b32_e32 v12, v26, v27, vcc
	v_cndmask_b32_e64 v12, v12, v14, s[6:7]
	v_cndmask_b32_e64 v12, v12, v15, s[8:9]
	ds_bpermute_b32 v25, v51, v12
	v_cmp_eq_u32_e64 s[12:13], 1, v43
	v_cmp_le_i32_e64 s[18:19], s45, v45
	v_cmp_eq_u32_e64 s[16:17], 3, v43
	s_waitcnt lgkmcnt(0)
	v_cndmask_b32_e64 v12, v15, v25, s[8:9]
	v_cndmask_b32_e64 v15, v26, v25, s[10:11]
	;; [unrolled: 1-line block ×4, first 2 shown]
	v_cndmask_b32_e32 v14, v27, v25, vcc
	v_pk_mul_f32 v[10:11], v[26:27], v[10:11] op_sel_hi:[0,1]
	v_pk_mul_f32 v[26:27], v[26:27], v[8:9] op_sel_hi:[0,1]
	v_cndmask_b32_e32 v8, v26, v27, vcc
	v_cndmask_b32_e64 v8, v8, v10, s[6:7]
	v_cndmask_b32_e64 v8, v8, v11, s[8:9]
	ds_bpermute_b32 v28, v51, v8
	v_cndmask_b32_e64 v25, v15, v14, s[12:13]
	v_cmp_eq_u32_e64 s[14:15], 2, v43
	s_waitcnt lgkmcnt(0)
	v_cndmask_b32_e64 v9, v11, v28, s[8:9]
	v_cndmask_b32_e64 v8, v25, v13, s[14:15]
	;; [unrolled: 1-line block ×3, first 2 shown]
	v_cndmask_b32_e32 v25, v27, v28, vcc
	v_cndmask_b32_e64 v26, v26, v28, s[10:11]
	v_cndmask_b32_e64 v28, 0, v53, s[18:19]
	v_pk_mul_f32 v[30:31], v[28:29], v[4:5] op_sel_hi:[0,1]
	v_pk_mul_f32 v[6:7], v[28:29], v[6:7] op_sel_hi:[0,1]
	v_cndmask_b32_e32 v4, v30, v31, vcc
	v_cndmask_b32_e64 v4, v4, v6, s[6:7]
	v_cndmask_b32_e64 v4, v4, v7, s[8:9]
	ds_bpermute_b32 v11, v51, v4
	v_cmp_le_i32_e64 s[18:19], s45, v46
	v_cndmask_b32_e64 v4, v26, v25, s[12:13]
	v_cndmask_b32_e64 v4, v4, v10, s[14:15]
	;; [unrolled: 1-line block ×3, first 2 shown]
	s_waitcnt lgkmcnt(0)
	v_cndmask_b32_e64 v29, v30, v11, s[10:11]
	v_cndmask_b32_e64 v30, 0, v53, s[18:19]
	v_cndmask_b32_e32 v28, v31, v11, vcc
	v_pk_mul_f32 v[32:33], v[30:31], v[2:3] op_sel_hi:[0,1]
	v_pk_mul_f32 v[30:31], v[30:31], v[0:1] op_sel_hi:[0,1]
	v_cndmask_b32_e32 v0, v30, v31, vcc
	v_cndmask_b32_e64 v0, v0, v32, s[6:7]
	v_cndmask_b32_e64 v0, v0, v33, s[8:9]
	ds_bpermute_b32 v1, v51, v0
	v_cndmask_b32_e64 v6, v6, v11, s[6:7]
	v_cndmask_b32_e64 v0, v29, v28, s[12:13]
	;; [unrolled: 1-line block ×5, first 2 shown]
	v_cmp_ne_u32_e32 vcc, 0, v42
	ds_bpermute_b32 v2, v51, v0
	s_waitcnt lgkmcnt(1)
	v_cndmask_b32_e64 v3, v33, v1, s[8:9]
	v_cndmask_b32_e64 v7, v32, v1, s[6:7]
	v_cndmask_b32_e32 v0, v31, v1, vcc
	v_cndmask_b32_e64 v1, v30, v1, s[10:11]
	v_cndmask_b32_e64 v11, v1, v0, s[12:13]
	;; [unrolled: 1-line block ×5, first 2 shown]
	ds_bpermute_b32 v8, v51, v8
	ds_bpermute_b32 v4, v51, v4
	;; [unrolled: 1-line block ×3, first 2 shown]
	s_max_i32 s6, s64, 0
	v_add_u32_e32 v27, s6, v41
	v_cmp_gt_u32_e32 vcc, 16, v27
	s_and_saveexec_b64 s[12:13], vcc
	s_cbranch_execz .LBB97_32
; %bb.30:                               ;   in Loop: Header=BB97_7 Depth=1
	v_cmp_eq_u32_e64 s[8:9], 1, v43
	v_cmp_eq_u32_e64 s[10:11], 0, v43
	v_cmp_eq_u32_e32 vcc, 3, v43
	s_waitcnt lgkmcnt(2)
	v_cndmask_b32_e64 v14, v14, v8, s[8:9]
	s_waitcnt lgkmcnt(1)
	v_cndmask_b32_e64 v25, v25, v4, s[8:9]
	v_cndmask_b32_e64 v28, v28, v2, s[8:9]
	s_waitcnt lgkmcnt(0)
	v_cndmask_b32_e64 v30, v0, v11, s[8:9]
	s_mul_i32 s8, s62, s21
	s_ashr_i32 s9, s8, 31
	s_lshl_b64 s[8:9], s[8:9], 1
	v_cndmask_b32_e64 v15, v15, v8, s[10:11]
	v_cndmask_b32_e64 v26, v26, v4, s[10:11]
	;; [unrolled: 1-line block ×4, first 2 shown]
	s_add_u32 s10, s40, s8
	s_addc_u32 s11, s41, s9
	s_ashr_i32 s45, s44, 31
	v_cvt_f16_f32_e32 v15, v15
	v_cvt_f16_f32_sdwa v14, v14 dst_sel:WORD_1 dst_unused:UNUSED_PAD src0_sel:DWORD
	v_cvt_f16_f32_e32 v26, v26
	v_cvt_f16_f32_sdwa v25, v25 dst_sel:WORD_1 dst_unused:UNUSED_PAD src0_sel:DWORD
	s_lshl_b64 s[8:9], s[44:45], 1
	s_add_u32 s8, s10, s8
	s_addc_u32 s9, s11, s9
	v_lshl_add_u64 v[0:1], v[18:19], 1, s[8:9]
	v_or_b32_e32 v14, v14, v15
	v_or_b32_e32 v25, v25, v26
	;;#ASMSTART
	global_atomic_pk_add_f16 v[0:1], v14, off
	
	;;#ASMEND
	v_lshl_add_u64 v[14:15], v[0:1], 0, 32
	;;#ASMSTART
	global_atomic_pk_add_f16 v[14:15], v25, off
	
	;;#ASMEND
	v_cvt_f16_f32_e32 v25, v29
	v_cvt_f16_f32_sdwa v26, v28 dst_sel:WORD_1 dst_unused:UNUSED_PAD src0_sel:DWORD
	v_cvt_f16_f32_e32 v28, v31
	v_cvt_f16_f32_sdwa v29, v30 dst_sel:WORD_1 dst_unused:UNUSED_PAD src0_sel:DWORD
	v_cmp_eq_u32_e64 s[6:7], 2, v43
	v_lshl_add_u64 v[14:15], v[0:1], 0, 64
	v_or_b32_e32 v25, v26, v25
	v_cmp_gt_u32_e64 s[8:9], 14, v27
	;;#ASMSTART
	global_atomic_pk_add_f16 v[14:15], v25, off
	
	;;#ASMEND
	v_lshl_add_u64 v[14:15], v[0:1], 0, s[30:31]
	v_or_b32_e32 v25, v29, v28
	;;#ASMSTART
	global_atomic_pk_add_f16 v[14:15], v25, off
	
	;;#ASMEND
	s_and_b64 exec, exec, s[8:9]
	s_cbranch_execz .LBB97_32
; %bb.31:                               ;   in Loop: Header=BB97_7 Depth=1
	v_cndmask_b32_e32 v12, v12, v8, vcc
	v_cndmask_b32_e64 v8, v13, v8, s[6:7]
	v_cndmask_b32_e32 v9, v9, v4, vcc
	v_cndmask_b32_e64 v4, v10, v4, s[6:7]
	;; [unrolled: 2-line block ×3, first 2 shown]
	v_cndmask_b32_e32 v10, v3, v11, vcc
	v_cvt_f16_f32_e32 v2, v8
	v_cvt_f16_f32_sdwa v3, v12 dst_sel:WORD_1 dst_unused:UNUSED_PAD src0_sel:DWORD
	v_cvt_f16_f32_e32 v4, v4
	v_cvt_f16_f32_sdwa v8, v9 dst_sel:WORD_1 dst_unused:UNUSED_PAD src0_sel:DWORD
	v_cndmask_b32_e64 v7, v7, v11, s[6:7]
	v_lshl_add_u64 v[0:1], s[28:29], 2, v[0:1]
	v_or_b32_e32 v2, v3, v2
	v_or_b32_e32 v4, v8, v4
	;;#ASMSTART
	global_atomic_pk_add_f16 v[0:1], v2, off
	
	;;#ASMEND
	v_lshl_add_u64 v[2:3], v[0:1], 0, 32
	;;#ASMSTART
	global_atomic_pk_add_f16 v[2:3], v4, off
	
	;;#ASMEND
	v_cvt_f16_f32_e32 v4, v6
	v_cvt_f16_f32_sdwa v5, v5 dst_sel:WORD_1 dst_unused:UNUSED_PAD src0_sel:DWORD
	v_cvt_f16_f32_e32 v6, v7
	v_cvt_f16_f32_sdwa v7, v10 dst_sel:WORD_1 dst_unused:UNUSED_PAD src0_sel:DWORD
	v_lshl_add_u64 v[2:3], v[0:1], 0, 64
	v_or_b32_e32 v4, v5, v4
	;;#ASMSTART
	global_atomic_pk_add_f16 v[2:3], v4, off
	
	;;#ASMEND
	v_lshl_add_u64 v[0:1], v[0:1], 0, s[30:31]
	v_or_b32_e32 v2, v7, v6
	;;#ASMSTART
	global_atomic_pk_add_f16 v[0:1], v2, off
	
	;;#ASMEND
.LBB97_32:                              ;   in Loop: Header=BB97_7 Depth=1
	s_or_b64 exec, exec, s[12:13]
	v_subrev_u32_e32 v52, s61, v52
.LBB97_33:                              ;   in Loop: Header=BB97_7 Depth=1
	s_or_b64 exec, exec, s[48:49]
.LBB97_34:                              ;   in Loop: Header=BB97_7 Depth=1
	s_andn2_saveexec_b64 s[6:7], s[46:47]
	s_cbranch_execz .LBB97_43
; %bb.35:                               ;   in Loop: Header=BB97_7 Depth=1
	s_lshl_b32 s16, s61, 2
	v_cmp_gt_i32_e32 vcc, s16, v52
	s_and_saveexec_b64 s[8:9], vcc
	s_cbranch_execz .LBB97_42
; %bb.36:                               ;   in Loop: Header=BB97_7 Depth=1
	s_mul_i32 s10, s44, s23
	s_ashr_i32 s11, s10, 31
	s_waitcnt lgkmcnt(0)
	s_add_u32 s10, s38, s10
	s_addc_u32 s11, s39, s11
	s_ashr_i32 s12, s63, 31
	s_add_u32 s10, s10, s63
	s_addc_u32 s11, s11, s12
	v_lshl_add_u64 v[0:1], s[10:11], 0, v[22:23]
	v_lshl_add_u64 v[8:9], v[0:1], 0, v[20:21]
	s_mov_b64 s[10:11], 0
	s_branch .LBB97_38
.LBB97_37:                              ;   in Loop: Header=BB97_38 Depth=2
	s_or_b64 exec, exec, s[12:13]
	v_lshl_or_b32 v12, v10, 11, v47
	;;#ASMSTART
	s_waitcnt vmcnt(1)
	;;#ASMEND
	ds_write2_b32 v12, v4, v5 offset1:32
	ds_write2_b32 v12, v6, v7 offset0:64 offset1:96
	v_add_u32_e32 v4, 0x400, v12
	v_add_u32_e32 v52, s26, v52
	;;#ASMSTART
	s_waitcnt vmcnt(0)
	;;#ASMEND
	ds_write2_b32 v4, v0, v1 offset1:32
	ds_write2_b32 v4, v2, v3 offset0:64 offset1:96
	v_add_u32_e32 v0, 1, v38
	v_add_u32_e32 v24, s26, v10
	v_cmp_le_i32_e32 vcc, s16, v52
	ds_write_b32 v11, v0 offset:8
	v_add_u32_e32 v0, 2, v38
	s_or_b64 s[10:11], vcc, s[10:11]
	v_cmp_lt_i32_e32 vcc, 7, v24
	s_nop 1
	v_cndmask_b32_e32 v38, v38, v0, vcc
	s_andn2_b64 exec, exec, s[10:11]
	s_cbranch_execz .LBB97_41
.LBB97_38:                              ;   Parent Loop BB97_7 Depth=1
                                        ; =>  This Loop Header: Depth=2
                                        ;       Child Loop BB97_40 Depth 3
	v_cmp_gt_i32_e32 vcc, 8, v24
	s_nop 1
	v_cndmask_b32_e64 v0, -8, 0, vcc
	v_add_u32_e32 v10, v0, v24
	v_ashrrev_i32_e32 v0, 31, v52
	v_lshrrev_b32_e32 v0, 30, v0
	v_add_u32_e32 v0, v52, v0
	v_and_b32_e32 v1, -4, v0
	v_lshlrev_b32_e32 v0, 5, v0
	v_sub_u32_e32 v2, v52, v1
	v_and_b32_e32 v0, 0xffffff80, v0
	v_ashrrev_i32_e32 v1, 31, v0
	v_mul_lo_u32 v2, s55, v2
	v_lshl_add_u64 v[0:1], v[8:9], 0, v[0:1]
	v_ashrrev_i32_e32 v3, 31, v2
	v_lshl_add_u64 v[0:1], v[0:1], 0, v[2:3]
	v_lshlrev_b32_e32 v11, 2, v10
	;;#ASMSTART
	global_load_dwordx4 v[4:7], v[0:1], off offset:0   sc0 sc1 nt  
	global_load_dwordx4 v[0:3], v[0:1], off offset:64  sc0 sc1 nt  
	
	;;#ASMEND
	ds_read_b32 v12, v11 offset:20488
	v_add_u32_e32 v11, 0x5000, v11
	s_waitcnt lgkmcnt(0)
	v_cmp_ne_u32_e32 vcc, v12, v38
	s_and_saveexec_b64 s[12:13], vcc
	s_cbranch_execz .LBB97_37
; %bb.39:                               ;   in Loop: Header=BB97_38 Depth=2
	s_mov_b64 s[14:15], 0
.LBB97_40:                              ;   Parent Loop BB97_7 Depth=1
                                        ;     Parent Loop BB97_38 Depth=2
                                        ; =>    This Inner Loop Header: Depth=3
	;;#ASMSTART
	s_sleep 0
	;;#ASMEND
	ds_read_b32 v12, v11 offset:8
	s_waitcnt lgkmcnt(0)
	v_cmp_eq_u32_e32 vcc, v12, v38
	s_or_b64 s[14:15], vcc, s[14:15]
	s_andn2_b64 exec, exec, s[14:15]
	s_cbranch_execnz .LBB97_40
	s_branch .LBB97_37
.LBB97_41:                              ;   in Loop: Header=BB97_7 Depth=1
	s_or_b64 exec, exec, s[10:11]
.LBB97_42:                              ;   in Loop: Header=BB97_7 Depth=1
	s_or_b64 exec, exec, s[8:9]
	v_subrev_u32_e32 v52, s16, v52
.LBB97_43:                              ;   in Loop: Header=BB97_7 Depth=1
	s_or_b64 exec, exec, s[6:7]
.LBB97_44:                              ;   in Loop: Header=BB97_7 Depth=1
	s_andn2_saveexec_b64 s[6:7], s[34:35]
	s_cbranch_execz .LBB97_6
; %bb.45:                               ;   in Loop: Header=BB97_7 Depth=1
	v_cmp_gt_i32_e32 vcc, s61, v52
	s_and_saveexec_b64 s[8:9], vcc
	s_cbranch_execz .LBB97_5
; %bb.46:                               ;   in Loop: Header=BB97_7 Depth=1
	s_mul_i32 s62, s62, s22
	s_ashr_i32 s10, s62, 31
	s_waitcnt lgkmcnt(0)
	s_add_u32 s11, s36, s62
	s_addc_u32 s12, s37, s10
	s_ashr_i32 s13, s63, 31
	v_cmp_le_i32_e32 vcc, s64, v48
	s_add_u32 s10, s11, s63
	s_addc_u32 s11, s12, s13
	v_cndmask_b32_e32 v0, 0, v49, vcc
	v_ashrrev_i32_e32 v1, 31, v0
	v_lshl_add_u64 v[0:1], s[10:11], 0, v[0:1]
	v_lshl_add_u64 v[8:9], v[0:1], 0, v[20:21]
	s_mov_b64 s[10:11], 0
	s_branch .LBB97_48
.LBB97_47:                              ;   in Loop: Header=BB97_48 Depth=2
	s_or_b64 exec, exec, s[12:13]
	v_lshl_add_u32 v12, v10, 11, v50
	;;#ASMSTART
	s_waitcnt vmcnt(1)
	;;#ASMEND
	ds_write2_b32 v12, v4, v5 offset1:32
	ds_write2_b32 v12, v6, v7 offset0:64 offset1:96
	v_add_u32_e32 v4, 0x400, v12
	v_add_u32_e32 v52, s25, v52
	;;#ASMSTART
	s_waitcnt vmcnt(0)
	;;#ASMEND
	ds_write2_b32 v4, v0, v1 offset1:32
	ds_write2_b32 v4, v2, v3 offset0:64 offset1:96
	v_add_u32_e32 v0, 1, v38
	v_add_u32_e32 v24, s25, v10
	v_cmp_le_i32_e32 vcc, s61, v52
	ds_write_b32 v11, v0
	v_add_u32_e32 v0, 2, v38
	s_or_b64 s[10:11], vcc, s[10:11]
	v_cmp_lt_i32_e32 vcc, 1, v24
	s_nop 1
	v_cndmask_b32_e32 v38, v38, v0, vcc
	s_andn2_b64 exec, exec, s[10:11]
	s_cbranch_execz .LBB97_4
.LBB97_48:                              ;   Parent Loop BB97_7 Depth=1
                                        ; =>  This Loop Header: Depth=2
                                        ;       Child Loop BB97_50 Depth 3
	v_cmp_gt_i32_e32 vcc, 2, v24
	s_nop 1
	v_cndmask_b32_e64 v0, -2, 0, vcc
	v_add_u32_e32 v10, v0, v24
	v_lshlrev_b32_e32 v0, 7, v52
	v_ashrrev_i32_e32 v1, 31, v0
	v_lshl_add_u64 v[0:1], v[8:9], 0, v[0:1]
	v_lshlrev_b32_e32 v11, 2, v10
	;;#ASMSTART
	global_load_dwordx4 v[4:7], v[0:1], off offset:0   
	global_load_dwordx4 v[0:3], v[0:1], off offset:64  
	
	;;#ASMEND
	ds_read_b32 v12, v11 offset:20480
	v_add_u32_e32 v11, 0x5000, v11
	s_waitcnt lgkmcnt(0)
	v_cmp_ne_u32_e32 vcc, v12, v38
	s_and_saveexec_b64 s[12:13], vcc
	s_cbranch_execz .LBB97_47
; %bb.49:                               ;   in Loop: Header=BB97_48 Depth=2
	s_mov_b64 s[14:15], 0
.LBB97_50:                              ;   Parent Loop BB97_7 Depth=1
                                        ;     Parent Loop BB97_48 Depth=2
                                        ; =>    This Inner Loop Header: Depth=3
	;;#ASMSTART
	s_sleep 0
	;;#ASMEND
	ds_read_b32 v12, v11
	s_waitcnt lgkmcnt(0)
	v_cmp_eq_u32_e32 vcc, v12, v38
	s_or_b64 s[14:15], vcc, s[14:15]
	s_andn2_b64 exec, exec, s[14:15]
	s_cbranch_execnz .LBB97_50
	s_branch .LBB97_47
.LBB97_51:
	s_endpgm
	.section	.rodata,"a",@progbits
	.p2align	6, 0x0
	.amdhsa_kernel _Z19_skinny_gemm_kernelILi1ELi4ELi2ELi16ELi4EEvPKhS1_P6__halfPKfiiiiiiii
		.amdhsa_group_segment_fixed_size 20520
		.amdhsa_private_segment_fixed_size 0
		.amdhsa_kernarg_size 64
		.amdhsa_user_sgpr_count 2
		.amdhsa_user_sgpr_dispatch_ptr 0
		.amdhsa_user_sgpr_queue_ptr 0
		.amdhsa_user_sgpr_kernarg_segment_ptr 1
		.amdhsa_user_sgpr_dispatch_id 0
		.amdhsa_user_sgpr_kernarg_preload_length 0
		.amdhsa_user_sgpr_kernarg_preload_offset 0
		.amdhsa_user_sgpr_private_segment_size 0
		.amdhsa_uses_dynamic_stack 0
		.amdhsa_enable_private_segment 0
		.amdhsa_system_sgpr_workgroup_id_x 1
		.amdhsa_system_sgpr_workgroup_id_y 0
		.amdhsa_system_sgpr_workgroup_id_z 0
		.amdhsa_system_sgpr_workgroup_info 0
		.amdhsa_system_vgpr_workitem_id 0
		.amdhsa_next_free_vgpr 60
		.amdhsa_next_free_sgpr 65
		.amdhsa_accum_offset 60
		.amdhsa_reserve_vcc 1
		.amdhsa_float_round_mode_32 0
		.amdhsa_float_round_mode_16_64 0
		.amdhsa_float_denorm_mode_32 3
		.amdhsa_float_denorm_mode_16_64 3
		.amdhsa_dx10_clamp 1
		.amdhsa_ieee_mode 1
		.amdhsa_fp16_overflow 0
		.amdhsa_tg_split 0
		.amdhsa_exception_fp_ieee_invalid_op 0
		.amdhsa_exception_fp_denorm_src 0
		.amdhsa_exception_fp_ieee_div_zero 0
		.amdhsa_exception_fp_ieee_overflow 0
		.amdhsa_exception_fp_ieee_underflow 0
		.amdhsa_exception_fp_ieee_inexact 0
		.amdhsa_exception_int_div_zero 0
	.end_amdhsa_kernel
	.section	.text._Z19_skinny_gemm_kernelILi1ELi4ELi2ELi16ELi4EEvPKhS1_P6__halfPKfiiiiiiii,"axG",@progbits,_Z19_skinny_gemm_kernelILi1ELi4ELi2ELi16ELi4EEvPKhS1_P6__halfPKfiiiiiiii,comdat
.Lfunc_end97:
	.size	_Z19_skinny_gemm_kernelILi1ELi4ELi2ELi16ELi4EEvPKhS1_P6__halfPKfiiiiiiii, .Lfunc_end97-_Z19_skinny_gemm_kernelILi1ELi4ELi2ELi16ELi4EEvPKhS1_P6__halfPKfiiiiiiii
                                        ; -- End function
	.set _Z19_skinny_gemm_kernelILi1ELi4ELi2ELi16ELi4EEvPKhS1_P6__halfPKfiiiiiiii.num_vgpr, 60
	.set _Z19_skinny_gemm_kernelILi1ELi4ELi2ELi16ELi4EEvPKhS1_P6__halfPKfiiiiiiii.num_agpr, 0
	.set _Z19_skinny_gemm_kernelILi1ELi4ELi2ELi16ELi4EEvPKhS1_P6__halfPKfiiiiiiii.numbered_sgpr, 65
	.set _Z19_skinny_gemm_kernelILi1ELi4ELi2ELi16ELi4EEvPKhS1_P6__halfPKfiiiiiiii.num_named_barrier, 0
	.set _Z19_skinny_gemm_kernelILi1ELi4ELi2ELi16ELi4EEvPKhS1_P6__halfPKfiiiiiiii.private_seg_size, 0
	.set _Z19_skinny_gemm_kernelILi1ELi4ELi2ELi16ELi4EEvPKhS1_P6__halfPKfiiiiiiii.uses_vcc, 1
	.set _Z19_skinny_gemm_kernelILi1ELi4ELi2ELi16ELi4EEvPKhS1_P6__halfPKfiiiiiiii.uses_flat_scratch, 0
	.set _Z19_skinny_gemm_kernelILi1ELi4ELi2ELi16ELi4EEvPKhS1_P6__halfPKfiiiiiiii.has_dyn_sized_stack, 0
	.set _Z19_skinny_gemm_kernelILi1ELi4ELi2ELi16ELi4EEvPKhS1_P6__halfPKfiiiiiiii.has_recursion, 0
	.set _Z19_skinny_gemm_kernelILi1ELi4ELi2ELi16ELi4EEvPKhS1_P6__halfPKfiiiiiiii.has_indirect_call, 0
	.section	.AMDGPU.csdata,"",@progbits
; Kernel info:
; codeLenInByte = 4060
; TotalNumSgprs: 71
; NumVgprs: 60
; NumAgprs: 0
; TotalNumVgprs: 60
; ScratchSize: 0
; MemoryBound: 0
; FloatMode: 240
; IeeeMode: 1
; LDSByteSize: 20520 bytes/workgroup (compile time only)
; SGPRBlocks: 8
; VGPRBlocks: 7
; NumSGPRsForWavesPerEU: 71
; NumVGPRsForWavesPerEU: 60
; AccumOffset: 60
; Occupancy: 8
; WaveLimiterHint : 0
; COMPUTE_PGM_RSRC2:SCRATCH_EN: 0
; COMPUTE_PGM_RSRC2:USER_SGPR: 2
; COMPUTE_PGM_RSRC2:TRAP_HANDLER: 0
; COMPUTE_PGM_RSRC2:TGID_X_EN: 1
; COMPUTE_PGM_RSRC2:TGID_Y_EN: 0
; COMPUTE_PGM_RSRC2:TGID_Z_EN: 0
; COMPUTE_PGM_RSRC2:TIDIG_COMP_CNT: 0
; COMPUTE_PGM_RSRC3_GFX90A:ACCUM_OFFSET: 14
; COMPUTE_PGM_RSRC3_GFX90A:TG_SPLIT: 0
	.section	.text._Z19_skinny_gemm_kernelILi1ELi4ELi2ELi16ELi8EEvPKhS1_P6__halfPKfiiiiiiii,"axG",@progbits,_Z19_skinny_gemm_kernelILi1ELi4ELi2ELi16ELi8EEvPKhS1_P6__halfPKfiiiiiiii,comdat
	.protected	_Z19_skinny_gemm_kernelILi1ELi4ELi2ELi16ELi8EEvPKhS1_P6__halfPKfiiiiiiii ; -- Begin function _Z19_skinny_gemm_kernelILi1ELi4ELi2ELi16ELi8EEvPKhS1_P6__halfPKfiiiiiiii
	.globl	_Z19_skinny_gemm_kernelILi1ELi4ELi2ELi16ELi8EEvPKhS1_P6__halfPKfiiiiiiii
	.p2align	8
	.type	_Z19_skinny_gemm_kernelILi1ELi4ELi2ELi16ELi8EEvPKhS1_P6__halfPKfiiiiiiii,@function
_Z19_skinny_gemm_kernelILi1ELi4ELi2ELi16ELi8EEvPKhS1_P6__halfPKfiiiiiiii: ; @_Z19_skinny_gemm_kernelILi1ELi4ELi2ELi16ELi8EEvPKhS1_P6__halfPKfiiiiiiii
; %bb.0:
	v_cmp_gt_u32_e32 vcc, 10, v0
	v_lshlrev_b32_e32 v1, 2, v0
	s_and_saveexec_b64 s[4:5], vcc
; %bb.1:
	v_mov_b32_e32 v2, 0
	ds_write_b32 v1, v2 offset:40960
; %bb.2:
	s_or_b64 exec, exec, s[4:5]
	s_load_dwordx8 s[20:27], s[0:1], 0x20
	s_waitcnt lgkmcnt(0)
	s_barrier
	s_add_i32 s3, s20, 15
	s_ashr_i32 s5, s3, 31
	s_add_i32 s4, s21, 63
	s_lshr_b32 s5, s5, 28
	s_ashr_i32 s6, s4, 31
	s_add_i32 s3, s3, s5
	s_ashr_i32 s33, s3, 4
	s_lshr_b32 s3, s6, 26
	s_add_i32 s4, s4, s3
	s_ashr_i32 s50, s4, 6
	s_mul_i32 s3, s50, s33
	s_mul_i32 s3, s3, s24
	s_add_i32 s4, s3, 0x12f
	s_mul_hi_i32 s4, s4, 0x6bca1af3
	s_lshr_b32 s5, s4, 31
	s_ashr_i32 s4, s4, 7
	s_add_i32 s4, s4, s5
	s_add_i32 s5, s2, 1
	s_mul_i32 s5, s4, s5
	v_cvt_f64_i32_e32 v[2:3], s3
	v_cvt_f64_u32_e32 v[4:5], s5
	v_min_f64 v[2:3], v[2:3], v[4:5]
	v_cvt_i32_f64_e32 v17, v[2:3]
	s_mul_i32 s51, s4, s2
	v_cmp_ge_i32_e32 vcc, s51, v17
	s_cbranch_vccnz .LBB98_51
; %bb.3:
	v_lshrrev_b32_e32 v2, 6, v0
	s_add_i32 s4, s26, s25
	s_load_dwordx8 s[36:43], s[0:1], 0x0
	v_cmp_le_i32_e64 s[0:1], s4, v2
	v_mov_b32_e32 v3, s25
	v_cmp_le_i32_e64 s[2:3], s25, v2
	v_mov_b32_e32 v4, s26
	v_cndmask_b32_e64 v4, 0, v4, s[0:1]
	v_cndmask_b32_e64 v3, 0, v3, s[2:3]
	s_abs_i32 s5, s24
	v_add_u32_e32 v3, v3, v4
	v_cvt_f32_u32_e32 v4, s5
	v_sub_u32_e32 v26, v2, v3
	s_ashr_i32 s6, s22, 31
	s_lshr_b32 s6, s6, 24
	v_rcp_iflag_f32_e32 v3, v4
	s_sub_i32 s9, 0, s5
	s_add_i32 s6, s22, s6
	s_ashr_i32 s6, s6, 8
	v_mul_f32_e32 v3, 0x4f7ffffe, v3
	v_cvt_u32_f32_e32 v3, v3
	s_abs_i32 s8, s6
	s_xor_b32 s7, s6, s24
	s_ashr_i32 s7, s7, 31
	v_readfirstlane_b32 s10, v3
	s_mul_i32 s9, s9, s10
	s_mul_hi_u32 s9, s10, s9
	s_add_i32 s10, s10, s9
	s_mul_hi_u32 s9, s8, s10
	s_mul_i32 s10, s9, s5
	s_sub_i32 s8, s8, s10
	s_add_i32 s10, s9, 1
	s_sub_i32 s11, s8, s5
	s_cmp_ge_u32 s8, s5
	s_cselect_b32 s9, s10, s9
	s_cselect_b32 s8, s11, s8
	s_add_i32 s10, s9, 1
	s_cmp_ge_u32 s8, s5
	s_cselect_b32 s5, s10, s9
	s_xor_b32 s5, s5, s7
	s_sub_i32 s52, s5, s7
	s_add_i32 s24, s24, -1
	s_mul_i32 s5, s52, s24
	s_add_i32 s4, s4, s27
	s_sub_i32 s53, s6, s5
	v_cmp_gt_i32_e64 s[4:5], s4, v2
	v_lshlrev_b32_e32 v2, 1, v0
	v_lshlrev_b32_e32 v3, 4, v0
	v_and_b32_e32 v1, 60, v1
	v_and_b32_e32 v2, 64, v2
	;; [unrolled: 1-line block ×3, first 2 shown]
	s_abs_i32 s54, s33
	v_or3_b32 v51, v1, v2, v4
	v_and_b32_e32 v1, 1, v0
	v_cvt_f32_u32_e32 v6, s54
	v_lshlrev_b32_e32 v2, 1, v1
	v_lshrrev_b32_e32 v4, 2, v0
	v_and_b32_e32 v16, 14, v0
	v_sub_u32_e32 v2, v0, v2
	v_and_or_b32 v53, v4, 12, v1
	v_bitop3_b32 v54, v0, 1, v0 bitop3:0xc
	v_bitop3_b32 v55, v0, 3, 1 bitop3:0x6c
	v_and_b32_e32 v20, 48, v3
	v_bfe_u32 v1, v0, 2, 4
	v_and_b32_e32 v3, 60, v0
	v_lshlrev_b32_e32 v5, 8, v0
	v_lshlrev_b32_e32 v0, 6, v0
	v_and_b32_e32 v5, 0x200, v5
	v_and_b32_e32 v0, 64, v0
	v_or3_b32 v59, v3, v5, v0
	v_rcp_iflag_f32_e32 v0, v6
	s_abs_i32 s56, s50
	v_mul_lo_u32 v22, s23, v1
	v_mul_lo_u32 v61, s22, v1
	v_cvt_f32_u32_e32 v1, s56
	v_mul_f32_e32 v0, 0x4f7ffffe, v0
	v_cvt_u32_f32_e32 v0, v0
	v_mad_u64_u32 v[18:19], s[6:7], s21, v53, v[16:17]
	v_rcp_iflag_f32_e32 v1, v1
	v_readfirstlane_b32 s7, v0
	s_sub_i32 s6, 0, s54
	s_mul_i32 s6, s6, s7
	v_mul_f32_e32 v0, 0x4f7ffffe, v1
	v_cvt_u32_f32_e32 v0, v0
	s_mul_hi_u32 s6, s7, s6
	v_add_u32_e32 v2, 1, v2
	s_add_i32 s58, s7, s6
	s_sub_i32 s6, 0, s56
	v_readfirstlane_b32 s7, v0
	v_mbcnt_lo_u32_b32 v0, -1, 0
	v_and_b32_e32 v2, 63, v2
	s_mul_i32 s6, s6, s7
	v_mbcnt_hi_u32_b32 v0, -1, v0
	s_mul_hi_u32 s6, s7, s6
	v_and_or_b32 v0, v0, 64, v2
	v_cndmask_b32_e64 v50, 0, 1, s[0:1]
	v_or_b32_e32 v52, 0x8000, v51
	v_or_b32_e32 v56, 16, v16
	v_or_b32_e32 v57, 32, v16
	v_or_b32_e32 v58, 48, v16
	v_ashrrev_i32_e32 v19, 31, v18
	s_ashr_i32 s29, s21, 31
	s_mov_b32 s28, s21
	v_ashrrev_i32_e32 v23, 31, v22
	v_mov_b32_e32 v21, 0
	s_lshl_b32 s55, s23, 4
	v_bitop3_b32 v60, v4, 15, v4 bitop3:0xc
	v_or_b32_e32 v62, 0x8000, v59
	s_ashr_i32 s57, s33, 31
	s_ashr_i32 s59, s50, 31
	s_add_i32 s60, s7, s6
	s_mov_b64 s[30:31], 0x60
	v_lshlrev_b32_e32 v63, 2, v0
	v_mov_b32_e32 v64, v26
	s_branch .LBB98_7
.LBB98_4:                               ;   in Loop: Header=BB98_7 Depth=1
	s_or_b64 exec, exec, s[10:11]
.LBB98_5:                               ;   in Loop: Header=BB98_7 Depth=1
	s_or_b64 exec, exec, s[8:9]
	v_subrev_u32_e32 v64, s61, v64
.LBB98_6:                               ;   in Loop: Header=BB98_7 Depth=1
	s_or_b64 exec, exec, s[6:7]
	s_add_i32 s51, s51, 1
	v_cmp_ge_i32_e32 vcc, s51, v17
	s_cbranch_vccnz .LBB98_51
.LBB98_7:                               ; =>This Loop Header: Depth=1
                                        ;     Child Loop BB98_13 Depth 2
                                        ;       Child Loop BB98_15 Depth 3
                                        ;       Child Loop BB98_18 Depth 3
	;; [unrolled: 1-line block ×5, first 2 shown]
                                        ;     Child Loop BB98_38 Depth 2
                                        ;       Child Loop BB98_40 Depth 3
                                        ;     Child Loop BB98_48 Depth 2
                                        ;       Child Loop BB98_50 Depth 3
	s_abs_i32 s7, s51
	s_mul_hi_u32 s8, s7, s58
	s_mul_i32 s9, s8, s54
	s_ashr_i32 s6, s51, 31
	s_sub_i32 s7, s7, s9
	s_xor_b32 s6, s6, s57
	s_add_i32 s9, s8, 1
	s_sub_i32 s10, s7, s54
	s_cmp_ge_u32 s7, s54
	s_cselect_b32 s8, s9, s8
	s_cselect_b32 s7, s10, s7
	s_add_i32 s9, s8, 1
	s_cmp_ge_u32 s7, s54
	s_cselect_b32 s7, s9, s8
	s_xor_b32 s7, s7, s6
	s_sub_i32 s6, s7, s6
	s_abs_i32 s8, s6
	s_mul_i32 s7, s6, s33
	s_mul_hi_u32 s9, s8, s60
	s_sub_i32 s7, s51, s7
	s_mul_i32 s10, s9, s56
	s_lshl_b32 s62, s7, 4
	s_ashr_i32 s7, s6, 31
	s_sub_i32 s8, s8, s10
	s_xor_b32 s7, s7, s59
	s_add_i32 s10, s9, 1
	s_sub_i32 s11, s8, s56
	s_cmp_ge_u32 s8, s56
	s_cselect_b32 s9, s10, s9
	s_cselect_b32 s8, s11, s8
	s_add_i32 s10, s9, 1
	s_cmp_ge_u32 s8, s56
	s_cselect_b32 s8, s10, s9
	s_xor_b32 s8, s8, s7
	s_sub_i32 s7, s8, s7
	s_mul_i32 s8, s7, s52
	s_lshl_b32 s63, s8, 8
	s_cmp_eq_u32 s7, s24
	s_cselect_b32 s61, s53, s52
	s_sub_i32 s64, s62, s20
	s_add_i32 s64, s64, 16
	s_and_saveexec_b64 s[8:9], s[2:3]
	s_xor_b64 s[34:35], exec, s[8:9]
	s_cbranch_execz .LBB98_44
; %bb.8:                                ;   in Loop: Header=BB98_7 Depth=1
	s_mul_i32 s7, s7, s50
	s_sub_i32 s6, s6, s7
	s_lshl_b32 s6, s6, 6
	s_sub_i32 s45, s6, s21
	s_add_i32 s45, s45, 64
	s_max_i32 s7, s45, 0
	s_sub_i32 s44, s6, s7
	s_and_saveexec_b64 s[6:7], s[0:1]
	s_xor_b64 s[46:47], exec, s[6:7]
	s_cbranch_execz .LBB98_34
; %bb.9:                                ;   in Loop: Header=BB98_7 Depth=1
	s_and_saveexec_b64 s[48:49], s[4:5]
	s_cbranch_execz .LBB98_33
; %bb.10:                               ;   in Loop: Header=BB98_7 Depth=1
	s_waitcnt lgkmcnt(0)
	global_load_dword v65, v21, s[42:43]
	v_mov_b32_e32 v15, 0
	v_cmp_gt_i32_e32 vcc, s61, v64
	v_mov_b32_e32 v14, v15
	v_mov_b32_e32 v13, v15
	;; [unrolled: 1-line block ×15, first 2 shown]
	s_and_saveexec_b64 s[6:7], vcc
	s_cbranch_execz .LBB98_29
; %bb.11:                               ;   in Loop: Header=BB98_7 Depth=1
	v_mov_b32_e32 v0, 0
	s_mov_b64 s[8:9], 0
	v_mov_b32_e32 v1, v0
	v_mov_b32_e32 v2, v0
	;; [unrolled: 1-line block ×15, first 2 shown]
	s_branch .LBB98_13
.LBB98_12:                              ;   in Loop: Header=BB98_13 Depth=2
	s_or_b64 exec, exec, s[10:11]
	v_add_u32_e32 v42, 0x3000, v68
	ds_read2_b32 v[40:41], v42 offset1:32
	v_add_u32_e32 v64, s27, v64
	v_cmp_le_i32_e32 vcc, s61, v64
	s_or_b64 s[8:9], vcc, s[8:9]
	s_waitcnt lgkmcnt(0)
	v_mfma_f32_16x16x32_fp8_fp8 v[0:3], v[24:25], v[40:41], v[0:3]
	ds_read2_b32 v[24:25], v42 offset0:128 offset1:160
	v_add_u32_e32 v40, 0x3400, v68
	s_waitcnt lgkmcnt(0)
	v_mfma_f32_16x16x32_fp8_fp8 v[0:3], v[26:27], v[24:25], v[0:3]
	ds_read2_b32 v[24:25], v40 offset1:32
	v_add_u32_e32 v26, 0x3800, v68
	v_add_u32_e32 v27, 0x3c00, v68
	s_waitcnt lgkmcnt(0)
	v_mfma_f32_16x16x32_fp8_fp8 v[0:3], v[36:37], v[24:25], v[0:3]
	ds_read2_b32 v[24:25], v40 offset0:128 offset1:160
	s_waitcnt lgkmcnt(0)
	v_mfma_f32_16x16x32_fp8_fp8 v[0:3], v[34:35], v[24:25], v[0:3]
	ds_read2_b32 v[24:25], v26 offset1:32
	ds_read2_b32 v[34:35], v27 offset1:32
	s_waitcnt lgkmcnt(1)
	v_mfma_f32_16x16x32_fp8_fp8 v[0:3], v[38:39], v[24:25], v[0:3]
	ds_read2_b32 v[24:25], v26 offset0:128 offset1:160
	v_add_u32_e32 v26, s27, v67
	v_cmp_lt_i32_e32 vcc, 1, v26
	s_waitcnt lgkmcnt(0)
	v_mfma_f32_16x16x32_fp8_fp8 v[0:3], v[32:33], v[24:25], v[0:3]
	ds_read2_b32 v[24:25], v27 offset0:128 offset1:160
	v_add_u32_e32 v32, 2, v50
	v_cndmask_b32_e32 v50, v50, v32, vcc
	v_mfma_f32_16x16x32_fp8_fp8 v[0:3], v[30:31], v[34:35], v[0:3]
	;;#ASMSTART
	s_waitcnt lgkmcnt(0)
	;;#ASMEND
	ds_write_b32 v66, v69 offset:40980
	s_waitcnt lgkmcnt(1)
	v_mfma_f32_16x16x32_fp8_fp8 v[0:3], v[28:29], v[24:25], v[0:3]
	s_andn2_b64 exec, exec, s[8:9]
	s_cbranch_execz .LBB98_28
.LBB98_13:                              ;   Parent Loop BB98_7 Depth=1
                                        ; =>  This Loop Header: Depth=2
                                        ;       Child Loop BB98_15 Depth 3
                                        ;       Child Loop BB98_18 Depth 3
	;; [unrolled: 1-line block ×5, first 2 shown]
	v_cmp_gt_i32_e32 vcc, 2, v26
	s_nop 1
	v_cndmask_b32_e64 v24, -2, 0, vcc
	v_add_u32_e32 v67, v24, v26
	v_lshlrev_b32_e32 v66, 4, v67
	ds_read_b32 v24, v66 offset:40968
	s_waitcnt lgkmcnt(0)
	v_cmp_ne_u32_e32 vcc, v24, v50
	s_and_saveexec_b64 s[10:11], vcc
	s_cbranch_execz .LBB98_16
; %bb.14:                               ;   in Loop: Header=BB98_13 Depth=2
	s_mov_b64 s[12:13], 0
.LBB98_15:                              ;   Parent Loop BB98_7 Depth=1
                                        ;     Parent Loop BB98_13 Depth=2
                                        ; =>    This Inner Loop Header: Depth=3
	;;#ASMSTART
	s_sleep 0
	;;#ASMEND
	ds_read_b32 v24, v66 offset:40968
	s_waitcnt lgkmcnt(0)
	v_cmp_eq_u32_e32 vcc, v24, v50
	s_or_b64 s[12:13], vcc, s[12:13]
	s_andn2_b64 exec, exec, s[12:13]
	s_cbranch_execnz .LBB98_15
.LBB98_16:                              ;   in Loop: Header=BB98_13 Depth=2
	s_or_b64 exec, exec, s[10:11]
	v_lshl_or_b32 v68, v67, 14, v51
	v_add_u32_e32 v24, 0x400, v68
	ds_read2_b32 v[28:29], v68 offset1:32
	ds_read2_b32 v[30:31], v68 offset0:128 offset1:160
	ds_read2_b32 v[32:33], v24 offset1:32
	ds_read2_b32 v[40:41], v24 offset0:128 offset1:160
	v_add_u32_e32 v24, 0x800, v68
	ds_read2_b32 v[42:43], v24 offset1:32
	ds_read2_b32 v[44:45], v24 offset0:128 offset1:160
	v_add_u32_e32 v24, 0xc00, v68
	v_add_u32_e32 v69, 1, v50
	ds_read2_b32 v[48:49], v24 offset1:32
	ds_read2_b32 v[46:47], v24 offset0:128 offset1:160
	;;#ASMSTART
	s_waitcnt lgkmcnt(0)
	;;#ASMEND
	ds_write_b32 v66, v69 offset:40968
	v_lshlrev_b32_e32 v24, 2, v67
	ds_read_b32 v25, v24 offset:40960
	v_add_u32_e32 v70, 0xa000, v24
	s_waitcnt lgkmcnt(0)
	v_cmp_ne_u32_e32 vcc, v25, v50
	s_and_saveexec_b64 s[10:11], vcc
	s_cbranch_execz .LBB98_19
; %bb.17:                               ;   in Loop: Header=BB98_13 Depth=2
	s_mov_b64 s[12:13], 0
.LBB98_18:                              ;   Parent Loop BB98_7 Depth=1
                                        ;     Parent Loop BB98_13 Depth=2
                                        ; =>    This Inner Loop Header: Depth=3
	;;#ASMSTART
	s_sleep 0
	;;#ASMEND
	ds_read_b32 v24, v70
	s_waitcnt lgkmcnt(0)
	v_cmp_eq_u32_e32 vcc, v24, v50
	s_or_b64 s[12:13], vcc, s[12:13]
	s_andn2_b64 exec, exec, s[12:13]
	s_cbranch_execnz .LBB98_18
.LBB98_19:                              ;   in Loop: Header=BB98_13 Depth=2
	s_or_b64 exec, exec, s[10:11]
	v_lshl_add_u32 v71, v67, 12, v52
	ds_read2_b32 v[24:25], v71 offset1:32
	ds_read2_b32 v[26:27], v71 offset0:128 offset1:160
	v_add_u32_e32 v34, 0x400, v71
	ds_read2_b32 v[36:37], v34 offset1:32
	ds_read2_b32 v[34:35], v34 offset0:128 offset1:160
	s_waitcnt lgkmcnt(3)
	v_mfma_f32_16x16x32_fp8_fp8 v[12:15], v[24:25], v[28:29], v[12:15]
	v_add_u32_e32 v28, 0x800, v71
	ds_read2_b32 v[38:39], v28 offset1:32
	ds_write_b32 v70, v69
	s_waitcnt lgkmcnt(4)
	v_mfma_f32_16x16x32_fp8_fp8 v[12:15], v[26:27], v[30:31], v[12:15]
	s_waitcnt lgkmcnt(3)
	v_mfma_f32_16x16x32_fp8_fp8 v[12:15], v[36:37], v[32:33], v[12:15]
	ds_read2_b32 v[32:33], v28 offset0:128 offset1:160
	v_add_u32_e32 v28, 0xc00, v71
	ds_read2_b32 v[30:31], v28 offset1:32
	s_waitcnt lgkmcnt(4)
	v_mfma_f32_16x16x32_fp8_fp8 v[12:15], v[34:35], v[40:41], v[12:15]
	ds_read2_b32 v[28:29], v28 offset0:128 offset1:160
	ds_read_b32 v40, v66 offset:40972
	s_waitcnt lgkmcnt(0)
	v_cmp_ne_u32_e32 vcc, v40, v50
	v_mfma_f32_16x16x32_fp8_fp8 v[12:15], v[38:39], v[42:43], v[12:15]
	v_mfma_f32_16x16x32_fp8_fp8 v[12:15], v[32:33], v[44:45], v[12:15]
	;; [unrolled: 1-line block ×4, first 2 shown]
	s_and_saveexec_b64 s[10:11], vcc
	s_cbranch_execz .LBB98_22
; %bb.20:                               ;   in Loop: Header=BB98_13 Depth=2
	s_mov_b64 s[12:13], 0
.LBB98_21:                              ;   Parent Loop BB98_7 Depth=1
                                        ;     Parent Loop BB98_13 Depth=2
                                        ; =>    This Inner Loop Header: Depth=3
	;;#ASMSTART
	s_sleep 0
	;;#ASMEND
	ds_read_b32 v40, v66 offset:40972
	s_waitcnt lgkmcnt(0)
	v_cmp_eq_u32_e32 vcc, v40, v50
	s_or_b64 s[12:13], vcc, s[12:13]
	s_andn2_b64 exec, exec, s[12:13]
	s_cbranch_execnz .LBB98_21
.LBB98_22:                              ;   in Loop: Header=BB98_13 Depth=2
	s_or_b64 exec, exec, s[10:11]
	v_add_u32_e32 v42, 0x1000, v68
	ds_read2_b32 v[40:41], v42 offset1:32
	s_waitcnt lgkmcnt(0)
	v_mfma_f32_16x16x32_fp8_fp8 v[8:11], v[24:25], v[40:41], v[8:11]
	ds_read2_b32 v[40:41], v42 offset0:128 offset1:160
	v_add_u32_e32 v42, 0x1400, v68
	s_waitcnt lgkmcnt(0)
	v_mfma_f32_16x16x32_fp8_fp8 v[8:11], v[26:27], v[40:41], v[8:11]
	ds_read2_b32 v[40:41], v42 offset1:32
	s_waitcnt lgkmcnt(0)
	v_mfma_f32_16x16x32_fp8_fp8 v[8:11], v[36:37], v[40:41], v[8:11]
	ds_read2_b32 v[40:41], v42 offset0:128 offset1:160
	v_add_u32_e32 v42, 0x1800, v68
	s_waitcnt lgkmcnt(0)
	v_mfma_f32_16x16x32_fp8_fp8 v[8:11], v[34:35], v[40:41], v[8:11]
	;; [unrolled: 7-line block ×3, first 2 shown]
	ds_read2_b32 v[40:41], v42 offset1:32
	ds_read2_b32 v[42:43], v42 offset0:128 offset1:160
	;;#ASMSTART
	s_waitcnt lgkmcnt(0)
	;;#ASMEND
	ds_write_b32 v66, v69 offset:40972
	s_waitcnt lgkmcnt(2)
	v_mfma_f32_16x16x32_fp8_fp8 v[8:11], v[30:31], v[40:41], v[8:11]
	ds_read_b32 v40, v66 offset:40976
	s_waitcnt lgkmcnt(0)
	v_cmp_ne_u32_e32 vcc, v40, v50
	v_mfma_f32_16x16x32_fp8_fp8 v[8:11], v[28:29], v[42:43], v[8:11]
	s_and_saveexec_b64 s[10:11], vcc
	s_cbranch_execz .LBB98_25
; %bb.23:                               ;   in Loop: Header=BB98_13 Depth=2
	s_mov_b64 s[12:13], 0
.LBB98_24:                              ;   Parent Loop BB98_7 Depth=1
                                        ;     Parent Loop BB98_13 Depth=2
                                        ; =>    This Inner Loop Header: Depth=3
	;;#ASMSTART
	s_sleep 0
	;;#ASMEND
	ds_read_b32 v40, v66 offset:40976
	s_waitcnt lgkmcnt(0)
	v_cmp_eq_u32_e32 vcc, v40, v50
	s_or_b64 s[12:13], vcc, s[12:13]
	s_andn2_b64 exec, exec, s[12:13]
	s_cbranch_execnz .LBB98_24
.LBB98_25:                              ;   in Loop: Header=BB98_13 Depth=2
	s_or_b64 exec, exec, s[10:11]
	v_add_u32_e32 v42, 0x2000, v68
	ds_read2_b32 v[40:41], v42 offset1:32
	s_waitcnt lgkmcnt(0)
	v_mfma_f32_16x16x32_fp8_fp8 v[4:7], v[24:25], v[40:41], v[4:7]
	ds_read2_b32 v[40:41], v42 offset0:128 offset1:160
	v_add_u32_e32 v42, 0x2400, v68
	s_waitcnt lgkmcnt(0)
	v_mfma_f32_16x16x32_fp8_fp8 v[4:7], v[26:27], v[40:41], v[4:7]
	ds_read2_b32 v[40:41], v42 offset1:32
	s_waitcnt lgkmcnt(0)
	v_mfma_f32_16x16x32_fp8_fp8 v[4:7], v[36:37], v[40:41], v[4:7]
	ds_read2_b32 v[40:41], v42 offset0:128 offset1:160
	v_add_u32_e32 v42, 0x2800, v68
	s_waitcnt lgkmcnt(0)
	v_mfma_f32_16x16x32_fp8_fp8 v[4:7], v[34:35], v[40:41], v[4:7]
	;; [unrolled: 7-line block ×3, first 2 shown]
	ds_read2_b32 v[40:41], v42 offset1:32
	ds_read2_b32 v[42:43], v42 offset0:128 offset1:160
	;;#ASMSTART
	s_waitcnt lgkmcnt(0)
	;;#ASMEND
	ds_write_b32 v66, v69 offset:40976
	s_waitcnt lgkmcnt(2)
	v_mfma_f32_16x16x32_fp8_fp8 v[4:7], v[30:31], v[40:41], v[4:7]
	ds_read_b32 v40, v66 offset:40980
	s_waitcnt lgkmcnt(0)
	v_cmp_ne_u32_e32 vcc, v40, v50
	v_mfma_f32_16x16x32_fp8_fp8 v[4:7], v[28:29], v[42:43], v[4:7]
	s_and_saveexec_b64 s[10:11], vcc
	s_cbranch_execz .LBB98_12
; %bb.26:                               ;   in Loop: Header=BB98_13 Depth=2
	s_mov_b64 s[12:13], 0
.LBB98_27:                              ;   Parent Loop BB98_7 Depth=1
                                        ;     Parent Loop BB98_13 Depth=2
                                        ; =>    This Inner Loop Header: Depth=3
	;;#ASMSTART
	s_sleep 0
	;;#ASMEND
	ds_read_b32 v40, v66 offset:40980
	s_waitcnt lgkmcnt(0)
	v_cmp_eq_u32_e32 vcc, v40, v50
	s_or_b64 s[12:13], vcc, s[12:13]
	s_andn2_b64 exec, exec, s[12:13]
	s_cbranch_execnz .LBB98_27
	s_branch .LBB98_12
.LBB98_28:                              ;   in Loop: Header=BB98_7 Depth=1
	s_or_b64 exec, exec, s[8:9]
.LBB98_29:                              ;   in Loop: Header=BB98_7 Depth=1
	s_or_b64 exec, exec, s[6:7]
	v_cmp_le_i32_e32 vcc, s45, v16
	v_cmp_eq_u32_e64 s[6:7], 2, v54
	v_cmp_eq_u32_e64 s[8:9], 3, v54
	s_waitcnt vmcnt(0)
	v_cndmask_b32_e32 v24, 0, v65, vcc
	v_pk_mul_f32 v[14:15], v[24:25], v[14:15] op_sel_hi:[0,1]
	v_pk_mul_f32 v[24:25], v[24:25], v[12:13] op_sel_hi:[0,1]
	v_cmp_eq_u32_e32 vcc, 1, v54
	v_cmp_eq_u32_e64 s[10:11], 0, v54
	v_cmp_eq_u32_e64 s[12:13], 1, v55
	v_cndmask_b32_e32 v12, v24, v25, vcc
	v_cndmask_b32_e64 v12, v12, v14, s[6:7]
	v_cndmask_b32_e64 v12, v12, v15, s[8:9]
	ds_bpermute_b32 v27, v63, v12
	v_cmp_le_i32_e64 s[14:15], s45, v56
	v_cmp_le_i32_e64 s[18:19], s45, v57
	v_cmp_eq_u32_e64 s[16:17], 3, v55
	s_waitcnt lgkmcnt(0)
	v_cndmask_b32_e64 v12, v15, v27, s[8:9]
	v_cndmask_b32_e64 v13, v14, v27, s[6:7]
	v_cndmask_b32_e32 v14, v25, v27, vcc
	v_cndmask_b32_e64 v15, v24, v27, s[10:11]
	v_cndmask_b32_e64 v25, v15, v14, s[12:13]
	;; [unrolled: 1-line block ×3, first 2 shown]
	v_pk_mul_f32 v[28:29], v[24:25], v[8:9] op_sel_hi:[0,1]
	v_pk_mul_f32 v[10:11], v[24:25], v[10:11] op_sel_hi:[0,1]
	v_cndmask_b32_e32 v8, v28, v29, vcc
	v_cndmask_b32_e64 v8, v8, v10, s[6:7]
	v_cndmask_b32_e64 v8, v8, v11, s[8:9]
	ds_bpermute_b32 v27, v63, v8
	v_cmp_eq_u32_e64 s[14:15], 2, v55
	s_waitcnt lgkmcnt(0)
	v_cndmask_b32_e64 v9, v11, v27, s[8:9]
	v_cndmask_b32_e64 v8, v25, v13, s[14:15]
	;; [unrolled: 1-line block ×4, first 2 shown]
	v_pk_mul_f32 v[30:31], v[28:29], v[4:5] op_sel_hi:[0,1]
	v_pk_mul_f32 v[6:7], v[28:29], v[6:7] op_sel_hi:[0,1]
	v_cndmask_b32_e32 v4, v30, v31, vcc
	v_cndmask_b32_e64 v4, v4, v6, s[6:7]
	v_cndmask_b32_e64 v4, v4, v7, s[8:9]
	ds_bpermute_b32 v11, v63, v4
	v_cmp_le_i32_e64 s[18:19], s45, v58
	v_cndmask_b32_e32 v24, v29, v27, vcc
	v_cndmask_b32_e64 v10, v10, v27, s[6:7]
	v_cndmask_b32_e64 v4, v25, v24, s[12:13]
	s_waitcnt lgkmcnt(0)
	v_cndmask_b32_e64 v29, v30, v11, s[10:11]
	v_cndmask_b32_e64 v30, 0, v65, s[18:19]
	v_cndmask_b32_e32 v28, v31, v11, vcc
	v_pk_mul_f32 v[32:33], v[30:31], v[2:3] op_sel_hi:[0,1]
	v_pk_mul_f32 v[30:31], v[30:31], v[0:1] op_sel_hi:[0,1]
	v_cndmask_b32_e32 v0, v30, v31, vcc
	v_cndmask_b32_e64 v0, v0, v32, s[6:7]
	v_cndmask_b32_e64 v0, v0, v33, s[8:9]
	ds_bpermute_b32 v1, v63, v0
	v_cndmask_b32_e64 v6, v6, v11, s[6:7]
	v_cndmask_b32_e64 v0, v29, v28, s[12:13]
	;; [unrolled: 1-line block ×5, first 2 shown]
	v_cmp_ne_u32_e32 vcc, 0, v54
	ds_bpermute_b32 v2, v63, v0
	s_waitcnt lgkmcnt(1)
	v_cndmask_b32_e64 v3, v33, v1, s[8:9]
	v_cndmask_b32_e64 v7, v32, v1, s[6:7]
	v_cndmask_b32_e32 v0, v31, v1, vcc
	v_cndmask_b32_e64 v1, v30, v1, s[10:11]
	v_cndmask_b32_e64 v11, v1, v0, s[12:13]
	;; [unrolled: 1-line block ×7, first 2 shown]
	ds_bpermute_b32 v8, v63, v8
	ds_bpermute_b32 v4, v63, v4
	;; [unrolled: 1-line block ×3, first 2 shown]
	s_max_i32 s6, s64, 0
	v_add_u32_e32 v27, s6, v53
	v_cmp_gt_u32_e32 vcc, 16, v27
	s_and_saveexec_b64 s[12:13], vcc
	s_cbranch_execz .LBB98_32
; %bb.30:                               ;   in Loop: Header=BB98_7 Depth=1
	v_cmp_eq_u32_e64 s[8:9], 1, v55
	v_cmp_eq_u32_e64 s[10:11], 0, v55
	v_cmp_eq_u32_e32 vcc, 3, v55
	s_waitcnt lgkmcnt(2)
	v_cndmask_b32_e64 v14, v14, v8, s[8:9]
	s_waitcnt lgkmcnt(1)
	v_cndmask_b32_e64 v24, v24, v4, s[8:9]
	v_cndmask_b32_e64 v28, v28, v2, s[8:9]
	s_waitcnt lgkmcnt(0)
	v_cndmask_b32_e64 v30, v0, v11, s[8:9]
	s_mul_i32 s8, s62, s21
	s_ashr_i32 s9, s8, 31
	s_lshl_b64 s[8:9], s[8:9], 1
	v_cndmask_b32_e64 v15, v15, v8, s[10:11]
	v_cndmask_b32_e64 v25, v25, v4, s[10:11]
	;; [unrolled: 1-line block ×4, first 2 shown]
	s_add_u32 s10, s40, s8
	s_addc_u32 s11, s41, s9
	s_ashr_i32 s45, s44, 31
	v_cvt_f16_f32_e32 v15, v15
	v_cvt_f16_f32_sdwa v14, v14 dst_sel:WORD_1 dst_unused:UNUSED_PAD src0_sel:DWORD
	v_cvt_f16_f32_e32 v25, v25
	v_cvt_f16_f32_sdwa v24, v24 dst_sel:WORD_1 dst_unused:UNUSED_PAD src0_sel:DWORD
	s_lshl_b64 s[8:9], s[44:45], 1
	s_add_u32 s8, s10, s8
	s_addc_u32 s9, s11, s9
	v_lshl_add_u64 v[0:1], v[18:19], 1, s[8:9]
	v_or_b32_e32 v14, v14, v15
	v_or_b32_e32 v24, v24, v25
	;;#ASMSTART
	global_atomic_pk_add_f16 v[0:1], v14, off
	
	;;#ASMEND
	v_lshl_add_u64 v[14:15], v[0:1], 0, 32
	;;#ASMSTART
	global_atomic_pk_add_f16 v[14:15], v24, off
	
	;;#ASMEND
	v_cvt_f16_f32_e32 v24, v29
	v_cvt_f16_f32_sdwa v25, v28 dst_sel:WORD_1 dst_unused:UNUSED_PAD src0_sel:DWORD
	v_cvt_f16_f32_e32 v28, v31
	v_cvt_f16_f32_sdwa v29, v30 dst_sel:WORD_1 dst_unused:UNUSED_PAD src0_sel:DWORD
	v_cmp_eq_u32_e64 s[6:7], 2, v55
	v_lshl_add_u64 v[14:15], v[0:1], 0, 64
	v_or_b32_e32 v24, v25, v24
	v_cmp_gt_u32_e64 s[8:9], 14, v27
	;;#ASMSTART
	global_atomic_pk_add_f16 v[14:15], v24, off
	
	;;#ASMEND
	v_lshl_add_u64 v[14:15], v[0:1], 0, s[30:31]
	v_or_b32_e32 v24, v29, v28
	;;#ASMSTART
	global_atomic_pk_add_f16 v[14:15], v24, off
	
	;;#ASMEND
	s_and_b64 exec, exec, s[8:9]
	s_cbranch_execz .LBB98_32
; %bb.31:                               ;   in Loop: Header=BB98_7 Depth=1
	v_cndmask_b32_e32 v12, v12, v8, vcc
	v_cndmask_b32_e64 v8, v13, v8, s[6:7]
	v_cndmask_b32_e32 v9, v9, v4, vcc
	v_cndmask_b32_e64 v4, v10, v4, s[6:7]
	;; [unrolled: 2-line block ×3, first 2 shown]
	v_cndmask_b32_e32 v10, v3, v11, vcc
	v_cvt_f16_f32_e32 v2, v8
	v_cvt_f16_f32_sdwa v3, v12 dst_sel:WORD_1 dst_unused:UNUSED_PAD src0_sel:DWORD
	v_cvt_f16_f32_e32 v4, v4
	v_cvt_f16_f32_sdwa v8, v9 dst_sel:WORD_1 dst_unused:UNUSED_PAD src0_sel:DWORD
	v_cndmask_b32_e64 v7, v7, v11, s[6:7]
	v_lshl_add_u64 v[0:1], s[28:29], 2, v[0:1]
	v_or_b32_e32 v2, v3, v2
	v_or_b32_e32 v4, v8, v4
	;;#ASMSTART
	global_atomic_pk_add_f16 v[0:1], v2, off
	
	;;#ASMEND
	v_lshl_add_u64 v[2:3], v[0:1], 0, 32
	;;#ASMSTART
	global_atomic_pk_add_f16 v[2:3], v4, off
	
	;;#ASMEND
	v_cvt_f16_f32_e32 v4, v6
	v_cvt_f16_f32_sdwa v5, v5 dst_sel:WORD_1 dst_unused:UNUSED_PAD src0_sel:DWORD
	v_cvt_f16_f32_e32 v6, v7
	v_cvt_f16_f32_sdwa v7, v10 dst_sel:WORD_1 dst_unused:UNUSED_PAD src0_sel:DWORD
	v_lshl_add_u64 v[2:3], v[0:1], 0, 64
	v_or_b32_e32 v4, v5, v4
	;;#ASMSTART
	global_atomic_pk_add_f16 v[2:3], v4, off
	
	;;#ASMEND
	v_lshl_add_u64 v[0:1], v[0:1], 0, s[30:31]
	v_or_b32_e32 v2, v7, v6
	;;#ASMSTART
	global_atomic_pk_add_f16 v[0:1], v2, off
	
	;;#ASMEND
.LBB98_32:                              ;   in Loop: Header=BB98_7 Depth=1
	s_or_b64 exec, exec, s[12:13]
	v_subrev_u32_e32 v64, s61, v64
.LBB98_33:                              ;   in Loop: Header=BB98_7 Depth=1
	s_or_b64 exec, exec, s[48:49]
.LBB98_34:                              ;   in Loop: Header=BB98_7 Depth=1
	s_andn2_saveexec_b64 s[6:7], s[46:47]
	s_cbranch_execz .LBB98_43
; %bb.35:                               ;   in Loop: Header=BB98_7 Depth=1
	s_lshl_b32 s16, s61, 2
	v_cmp_gt_i32_e32 vcc, s16, v64
	s_and_saveexec_b64 s[8:9], vcc
	s_cbranch_execz .LBB98_42
; %bb.36:                               ;   in Loop: Header=BB98_7 Depth=1
	s_mul_i32 s10, s44, s23
	s_ashr_i32 s11, s10, 31
	s_waitcnt lgkmcnt(0)
	s_add_u32 s10, s38, s10
	s_addc_u32 s11, s39, s11
	s_ashr_i32 s12, s63, 31
	s_add_u32 s10, s10, s63
	s_addc_u32 s11, s11, s12
	v_lshl_add_u64 v[0:1], s[10:11], 0, v[22:23]
	v_lshl_add_u64 v[24:25], v[0:1], 0, v[20:21]
	s_mov_b64 s[10:11], 0
	s_branch .LBB98_38
.LBB98_37:                              ;   in Loop: Header=BB98_38 Depth=2
	s_or_b64 exec, exec, s[12:13]
	v_lshl_or_b32 v28, v26, 12, v59
	;;#ASMSTART
	s_waitcnt vmcnt(3)
	;;#ASMEND
	ds_write2_b32 v28, v12, v13 offset1:32
	ds_write2_b32 v28, v14, v15 offset0:64 offset1:96
	v_add_u32_e32 v12, 0x400, v28
	;;#ASMSTART
	s_waitcnt vmcnt(2)
	;;#ASMEND
	ds_write2_b32 v12, v8, v9 offset1:32
	ds_write2_b32 v12, v10, v11 offset0:64 offset1:96
	v_add_u32_e32 v8, 0x800, v28
	;; [unrolled: 6-line block ×3, first 2 shown]
	v_add_u32_e32 v64, s26, v64
	;;#ASMSTART
	s_waitcnt vmcnt(0)
	;;#ASMEND
	ds_write2_b32 v4, v0, v1 offset1:32
	ds_write2_b32 v4, v2, v3 offset0:64 offset1:96
	v_add_u32_e32 v0, 1, v50
	v_add_u32_e32 v26, s26, v26
	v_cmp_le_i32_e32 vcc, s16, v64
	ds_write_b32 v27, v0 offset:8
	v_add_u32_e32 v0, 2, v50
	s_or_b64 s[10:11], vcc, s[10:11]
	v_cmp_lt_i32_e32 vcc, 7, v26
	s_nop 1
	v_cndmask_b32_e32 v50, v50, v0, vcc
	s_andn2_b64 exec, exec, s[10:11]
	s_cbranch_execz .LBB98_41
.LBB98_38:                              ;   Parent Loop BB98_7 Depth=1
                                        ; =>  This Loop Header: Depth=2
                                        ;       Child Loop BB98_40 Depth 3
	v_cmp_gt_i32_e32 vcc, 8, v26
	s_nop 1
	v_cndmask_b32_e64 v0, -8, 0, vcc
	v_add_u32_e32 v26, v0, v26
	v_ashrrev_i32_e32 v0, 31, v64
	v_lshrrev_b32_e32 v0, 30, v0
	v_add_u32_e32 v0, v64, v0
	v_and_b32_e32 v1, -4, v0
	v_lshlrev_b32_e32 v0, 6, v0
	v_sub_u32_e32 v2, v64, v1
	v_and_b32_e32 v0, 0xffffff00, v0
	v_ashrrev_i32_e32 v1, 31, v0
	v_mul_lo_u32 v2, s55, v2
	v_lshl_add_u64 v[0:1], v[24:25], 0, v[0:1]
	v_ashrrev_i32_e32 v3, 31, v2
	v_lshl_add_u64 v[0:1], v[0:1], 0, v[2:3]
	v_lshlrev_b32_e32 v27, 2, v26
	;;#ASMSTART
	global_load_dwordx4 v[12:15], v[0:1], off offset:0    sc0 sc1 nt  
	global_load_dwordx4 v[8:11], v[0:1], off offset:64   sc0 sc1 nt  
	global_load_dwordx4 v[4:7], v[0:1], off offset:128  sc0 sc1 nt  
	global_load_dwordx4 v[0:3], v[0:1], off offset:192  sc0 sc1 nt  
	
	;;#ASMEND
	ds_read_b32 v28, v27 offset:40968
	v_add_u32_e32 v27, 0xa000, v27
	s_waitcnt lgkmcnt(0)
	v_cmp_ne_u32_e32 vcc, v28, v50
	s_and_saveexec_b64 s[12:13], vcc
	s_cbranch_execz .LBB98_37
; %bb.39:                               ;   in Loop: Header=BB98_38 Depth=2
	s_mov_b64 s[14:15], 0
.LBB98_40:                              ;   Parent Loop BB98_7 Depth=1
                                        ;     Parent Loop BB98_38 Depth=2
                                        ; =>    This Inner Loop Header: Depth=3
	;;#ASMSTART
	s_sleep 0
	;;#ASMEND
	ds_read_b32 v28, v27 offset:8
	s_waitcnt lgkmcnt(0)
	v_cmp_eq_u32_e32 vcc, v28, v50
	s_or_b64 s[14:15], vcc, s[14:15]
	s_andn2_b64 exec, exec, s[14:15]
	s_cbranch_execnz .LBB98_40
	s_branch .LBB98_37
.LBB98_41:                              ;   in Loop: Header=BB98_7 Depth=1
	s_or_b64 exec, exec, s[10:11]
.LBB98_42:                              ;   in Loop: Header=BB98_7 Depth=1
	s_or_b64 exec, exec, s[8:9]
	v_subrev_u32_e32 v64, s16, v64
.LBB98_43:                              ;   in Loop: Header=BB98_7 Depth=1
	s_or_b64 exec, exec, s[6:7]
.LBB98_44:                              ;   in Loop: Header=BB98_7 Depth=1
	s_andn2_saveexec_b64 s[6:7], s[34:35]
	s_cbranch_execz .LBB98_6
; %bb.45:                               ;   in Loop: Header=BB98_7 Depth=1
	v_cmp_gt_i32_e32 vcc, s61, v64
	s_and_saveexec_b64 s[8:9], vcc
	s_cbranch_execz .LBB98_5
; %bb.46:                               ;   in Loop: Header=BB98_7 Depth=1
	s_mul_i32 s62, s62, s22
	s_ashr_i32 s10, s62, 31
	s_waitcnt lgkmcnt(0)
	s_add_u32 s11, s36, s62
	s_addc_u32 s12, s37, s10
	s_ashr_i32 s13, s63, 31
	v_cmp_le_i32_e32 vcc, s64, v60
	s_add_u32 s10, s11, s63
	s_addc_u32 s11, s12, s13
	v_cndmask_b32_e32 v0, 0, v61, vcc
	v_ashrrev_i32_e32 v1, 31, v0
	v_lshl_add_u64 v[0:1], s[10:11], 0, v[0:1]
	v_lshl_add_u64 v[24:25], v[0:1], 0, v[20:21]
	s_mov_b64 s[10:11], 0
	s_branch .LBB98_48
.LBB98_47:                              ;   in Loop: Header=BB98_48 Depth=2
	s_or_b64 exec, exec, s[12:13]
	v_lshl_add_u32 v28, v26, 12, v62
	;;#ASMSTART
	s_waitcnt vmcnt(3)
	;;#ASMEND
	ds_write2_b32 v28, v12, v13 offset1:32
	ds_write2_b32 v28, v14, v15 offset0:64 offset1:96
	v_add_u32_e32 v12, 0x400, v28
	;;#ASMSTART
	s_waitcnt vmcnt(2)
	;;#ASMEND
	ds_write2_b32 v12, v8, v9 offset1:32
	ds_write2_b32 v12, v10, v11 offset0:64 offset1:96
	v_add_u32_e32 v8, 0x800, v28
	;; [unrolled: 6-line block ×3, first 2 shown]
	v_add_u32_e32 v64, s25, v64
	;;#ASMSTART
	s_waitcnt vmcnt(0)
	;;#ASMEND
	ds_write2_b32 v4, v0, v1 offset1:32
	ds_write2_b32 v4, v2, v3 offset0:64 offset1:96
	v_add_u32_e32 v0, 1, v50
	v_add_u32_e32 v26, s25, v26
	v_cmp_le_i32_e32 vcc, s61, v64
	ds_write_b32 v27, v0
	v_add_u32_e32 v0, 2, v50
	s_or_b64 s[10:11], vcc, s[10:11]
	v_cmp_lt_i32_e32 vcc, 1, v26
	s_nop 1
	v_cndmask_b32_e32 v50, v50, v0, vcc
	s_andn2_b64 exec, exec, s[10:11]
	s_cbranch_execz .LBB98_4
.LBB98_48:                              ;   Parent Loop BB98_7 Depth=1
                                        ; =>  This Loop Header: Depth=2
                                        ;       Child Loop BB98_50 Depth 3
	v_cmp_gt_i32_e32 vcc, 2, v26
	s_nop 1
	v_cndmask_b32_e64 v0, -2, 0, vcc
	v_add_u32_e32 v26, v0, v26
	v_lshlrev_b32_e32 v0, 8, v64
	v_ashrrev_i32_e32 v1, 31, v0
	v_lshl_add_u64 v[0:1], v[24:25], 0, v[0:1]
	v_lshlrev_b32_e32 v27, 2, v26
	;;#ASMSTART
	global_load_dwordx4 v[12:15], v[0:1], off offset:0    
	global_load_dwordx4 v[8:11], v[0:1], off offset:64   
	;; [unrolled: 1-line block ×4, first 2 shown]
	
	;;#ASMEND
	ds_read_b32 v28, v27 offset:40960
	v_add_u32_e32 v27, 0xa000, v27
	s_waitcnt lgkmcnt(0)
	v_cmp_ne_u32_e32 vcc, v28, v50
	s_and_saveexec_b64 s[12:13], vcc
	s_cbranch_execz .LBB98_47
; %bb.49:                               ;   in Loop: Header=BB98_48 Depth=2
	s_mov_b64 s[14:15], 0
.LBB98_50:                              ;   Parent Loop BB98_7 Depth=1
                                        ;     Parent Loop BB98_48 Depth=2
                                        ; =>    This Inner Loop Header: Depth=3
	;;#ASMSTART
	s_sleep 0
	;;#ASMEND
	ds_read_b32 v28, v27
	s_waitcnt lgkmcnt(0)
	v_cmp_eq_u32_e32 vcc, v28, v50
	s_or_b64 s[14:15], vcc, s[14:15]
	s_andn2_b64 exec, exec, s[14:15]
	s_cbranch_execnz .LBB98_50
	s_branch .LBB98_47
.LBB98_51:
	s_endpgm
	.section	.rodata,"a",@progbits
	.p2align	6, 0x0
	.amdhsa_kernel _Z19_skinny_gemm_kernelILi1ELi4ELi2ELi16ELi8EEvPKhS1_P6__halfPKfiiiiiiii
		.amdhsa_group_segment_fixed_size 41000
		.amdhsa_private_segment_fixed_size 0
		.amdhsa_kernarg_size 64
		.amdhsa_user_sgpr_count 2
		.amdhsa_user_sgpr_dispatch_ptr 0
		.amdhsa_user_sgpr_queue_ptr 0
		.amdhsa_user_sgpr_kernarg_segment_ptr 1
		.amdhsa_user_sgpr_dispatch_id 0
		.amdhsa_user_sgpr_kernarg_preload_length 0
		.amdhsa_user_sgpr_kernarg_preload_offset 0
		.amdhsa_user_sgpr_private_segment_size 0
		.amdhsa_uses_dynamic_stack 0
		.amdhsa_enable_private_segment 0
		.amdhsa_system_sgpr_workgroup_id_x 1
		.amdhsa_system_sgpr_workgroup_id_y 0
		.amdhsa_system_sgpr_workgroup_id_z 0
		.amdhsa_system_sgpr_workgroup_info 0
		.amdhsa_system_vgpr_workitem_id 0
		.amdhsa_next_free_vgpr 72
		.amdhsa_next_free_sgpr 65
		.amdhsa_accum_offset 72
		.amdhsa_reserve_vcc 1
		.amdhsa_float_round_mode_32 0
		.amdhsa_float_round_mode_16_64 0
		.amdhsa_float_denorm_mode_32 3
		.amdhsa_float_denorm_mode_16_64 3
		.amdhsa_dx10_clamp 1
		.amdhsa_ieee_mode 1
		.amdhsa_fp16_overflow 0
		.amdhsa_tg_split 0
		.amdhsa_exception_fp_ieee_invalid_op 0
		.amdhsa_exception_fp_denorm_src 0
		.amdhsa_exception_fp_ieee_div_zero 0
		.amdhsa_exception_fp_ieee_overflow 0
		.amdhsa_exception_fp_ieee_underflow 0
		.amdhsa_exception_fp_ieee_inexact 0
		.amdhsa_exception_int_div_zero 0
	.end_amdhsa_kernel
	.section	.text._Z19_skinny_gemm_kernelILi1ELi4ELi2ELi16ELi8EEvPKhS1_P6__halfPKfiiiiiiii,"axG",@progbits,_Z19_skinny_gemm_kernelILi1ELi4ELi2ELi16ELi8EEvPKhS1_P6__halfPKfiiiiiiii,comdat
.Lfunc_end98:
	.size	_Z19_skinny_gemm_kernelILi1ELi4ELi2ELi16ELi8EEvPKhS1_P6__halfPKfiiiiiiii, .Lfunc_end98-_Z19_skinny_gemm_kernelILi1ELi4ELi2ELi16ELi8EEvPKhS1_P6__halfPKfiiiiiiii
                                        ; -- End function
	.set _Z19_skinny_gemm_kernelILi1ELi4ELi2ELi16ELi8EEvPKhS1_P6__halfPKfiiiiiiii.num_vgpr, 72
	.set _Z19_skinny_gemm_kernelILi1ELi4ELi2ELi16ELi8EEvPKhS1_P6__halfPKfiiiiiiii.num_agpr, 0
	.set _Z19_skinny_gemm_kernelILi1ELi4ELi2ELi16ELi8EEvPKhS1_P6__halfPKfiiiiiiii.numbered_sgpr, 65
	.set _Z19_skinny_gemm_kernelILi1ELi4ELi2ELi16ELi8EEvPKhS1_P6__halfPKfiiiiiiii.num_named_barrier, 0
	.set _Z19_skinny_gemm_kernelILi1ELi4ELi2ELi16ELi8EEvPKhS1_P6__halfPKfiiiiiiii.private_seg_size, 0
	.set _Z19_skinny_gemm_kernelILi1ELi4ELi2ELi16ELi8EEvPKhS1_P6__halfPKfiiiiiiii.uses_vcc, 1
	.set _Z19_skinny_gemm_kernelILi1ELi4ELi2ELi16ELi8EEvPKhS1_P6__halfPKfiiiiiiii.uses_flat_scratch, 0
	.set _Z19_skinny_gemm_kernelILi1ELi4ELi2ELi16ELi8EEvPKhS1_P6__halfPKfiiiiiiii.has_dyn_sized_stack, 0
	.set _Z19_skinny_gemm_kernelILi1ELi4ELi2ELi16ELi8EEvPKhS1_P6__halfPKfiiiiiiii.has_recursion, 0
	.set _Z19_skinny_gemm_kernelILi1ELi4ELi2ELi16ELi8EEvPKhS1_P6__halfPKfiiiiiiii.has_indirect_call, 0
	.section	.AMDGPU.csdata,"",@progbits
; Kernel info:
; codeLenInByte = 4700
; TotalNumSgprs: 71
; NumVgprs: 72
; NumAgprs: 0
; TotalNumVgprs: 72
; ScratchSize: 0
; MemoryBound: 0
; FloatMode: 240
; IeeeMode: 1
; LDSByteSize: 41000 bytes/workgroup (compile time only)
; SGPRBlocks: 8
; VGPRBlocks: 8
; NumSGPRsForWavesPerEU: 71
; NumVGPRsForWavesPerEU: 72
; AccumOffset: 72
; Occupancy: 7
; WaveLimiterHint : 0
; COMPUTE_PGM_RSRC2:SCRATCH_EN: 0
; COMPUTE_PGM_RSRC2:USER_SGPR: 2
; COMPUTE_PGM_RSRC2:TRAP_HANDLER: 0
; COMPUTE_PGM_RSRC2:TGID_X_EN: 1
; COMPUTE_PGM_RSRC2:TGID_Y_EN: 0
; COMPUTE_PGM_RSRC2:TGID_Z_EN: 0
; COMPUTE_PGM_RSRC2:TIDIG_COMP_CNT: 0
; COMPUTE_PGM_RSRC3_GFX90A:ACCUM_OFFSET: 17
; COMPUTE_PGM_RSRC3_GFX90A:TG_SPLIT: 0
	.section	.text._Z19_skinny_gemm_kernelILi1ELi4ELi2ELi32ELi4EEvPKhS1_P6__halfPKfiiiiiiii,"axG",@progbits,_Z19_skinny_gemm_kernelILi1ELi4ELi2ELi32ELi4EEvPKhS1_P6__halfPKfiiiiiiii,comdat
	.protected	_Z19_skinny_gemm_kernelILi1ELi4ELi2ELi32ELi4EEvPKhS1_P6__halfPKfiiiiiiii ; -- Begin function _Z19_skinny_gemm_kernelILi1ELi4ELi2ELi32ELi4EEvPKhS1_P6__halfPKfiiiiiiii
	.globl	_Z19_skinny_gemm_kernelILi1ELi4ELi2ELi32ELi4EEvPKhS1_P6__halfPKfiiiiiiii
	.p2align	8
	.type	_Z19_skinny_gemm_kernelILi1ELi4ELi2ELi32ELi4EEvPKhS1_P6__halfPKfiiiiiiii,@function
_Z19_skinny_gemm_kernelILi1ELi4ELi2ELi32ELi4EEvPKhS1_P6__halfPKfiiiiiiii: ; @_Z19_skinny_gemm_kernelILi1ELi4ELi2ELi32ELi4EEvPKhS1_P6__halfPKfiiiiiiii
; %bb.0:
	v_cmp_gt_u32_e32 vcc, 10, v0
	s_and_saveexec_b64 s[4:5], vcc
; %bb.1:
	v_lshlrev_b32_e32 v1, 2, v0
	v_mov_b32_e32 v2, 0
	ds_write_b32 v1, v2 offset:20480
; %bb.2:
	s_or_b64 exec, exec, s[4:5]
	s_load_dwordx8 s[20:27], s[0:1], 0x20
	s_waitcnt lgkmcnt(0)
	s_barrier
	s_add_i32 s3, s20, 31
	s_ashr_i32 s5, s3, 31
	s_add_i32 s4, s21, 0x7f
	s_lshr_b32 s5, s5, 27
	s_ashr_i32 s6, s4, 31
	s_add_i32 s3, s3, s5
	s_ashr_i32 s14, s3, 5
	s_lshr_b32 s3, s6, 25
	s_add_i32 s4, s4, s3
	s_ashr_i32 s15, s4, 7
	s_mul_i32 s3, s15, s14
	s_mul_i32 s3, s3, s24
	s_add_i32 s4, s3, 0x12f
	s_mul_hi_i32 s4, s4, 0x6bca1af3
	s_lshr_b32 s5, s4, 31
	s_ashr_i32 s4, s4, 7
	s_add_i32 s4, s4, s5
	s_add_i32 s5, s2, 1
	s_mul_i32 s5, s4, s5
	v_cvt_f64_i32_e32 v[2:3], s3
	v_cvt_f64_u32_e32 v[4:5], s5
	v_min_f64 v[2:3], v[2:3], v[4:5]
	v_cvt_i32_f64_e32 v78, v[2:3]
	s_mul_i32 s33, s4, s2
	v_cmp_ge_i32_e32 vcc, s33, v78
	s_cbranch_vccnz .LBB99_54
; %bb.3:
	s_load_dwordx8 s[72:79], s[0:1], 0x0
	v_lshrrev_b32_e32 v1, 6, v0
	s_add_i32 s0, s26, s25
	v_cmp_le_i32_e64 s[28:29], s0, v1
	v_mov_b32_e32 v2, s25
	v_cmp_le_i32_e64 s[30:31], s25, v1
	v_mov_b32_e32 v3, s26
	v_cndmask_b32_e64 v3, 0, v3, s[28:29]
	v_cndmask_b32_e64 v2, 0, v2, s[30:31]
	s_abs_i32 s1, s24
	v_add_u32_e32 v2, v2, v3
	v_cvt_f32_u32_e32 v3, s1
	v_sub_u32_e32 v72, v1, v2
	s_ashr_i32 s2, s22, 31
	s_lshr_b32 s2, s2, 26
	v_rcp_iflag_f32_e32 v2, v3
	s_sub_i32 s5, 0, s1
	s_add_i32 s2, s22, s2
	s_ashr_i32 s2, s2, 6
	v_mul_f32_e32 v2, 0x4f7ffffe, v2
	v_cvt_u32_f32_e32 v2, v2
	s_abs_i32 s4, s2
	s_xor_b32 s3, s2, s24
	s_ashr_i32 s3, s3, 31
	v_readfirstlane_b32 s6, v2
	s_mul_i32 s5, s5, s6
	s_mul_hi_u32 s5, s6, s5
	s_add_i32 s6, s6, s5
	s_mul_hi_u32 s5, s4, s6
	s_mul_i32 s6, s5, s1
	s_sub_i32 s4, s4, s6
	s_add_i32 s6, s5, 1
	s_sub_i32 s7, s4, s1
	s_cmp_ge_u32 s4, s1
	s_cselect_b32 s5, s6, s5
	s_cselect_b32 s4, s7, s4
	s_add_i32 s6, s5, 1
	s_cmp_ge_u32 s4, s1
	v_lshrrev_b32_e32 v2, 3, v0
	v_lshrrev_b32_e32 v7, 1, v0
	s_cselect_b32 s1, s6, s5
	s_add_i32 s0, s0, s27
	v_and_b32_e32 v80, 31, v0
	v_and_b32_e32 v3, 4, v2
	;; [unrolled: 1-line block ×3, first 2 shown]
	v_lshlrev_b32_e32 v7, 4, v0
	v_cmp_gt_i32_e64 s[36:37], s0, v1
	v_lshlrev_b32_e32 v1, 2, v80
	v_lshlrev_b32_e32 v2, 6, v3
	v_and_b32_e32 v7, 0x200, v7
	s_abs_i32 s97, s14
                                        ; implicit-def: $vgpr127 : SGPR spill to VGPR lane
	v_or_b32_e32 v4, 0x4000, v1
	v_or_b32_e32 v82, v1, v2
	v_and_b32_e32 v5, 1, v0
	v_or_b32_e32 v94, v1, v7
	v_cvt_f32_u32_e32 v1, s97
	v_writelane_b32 v127, s14, 0
	v_or_b32_e32 v81, v4, v2
	v_lshlrev_b32_e32 v2, 1, v5
	v_writelane_b32 v127, s15, 1
	v_sub_u32_e32 v2, v0, v2
	s_waitcnt lgkmcnt(0)
	v_writelane_b32 v127, s72, 2
	v_add_u32_e32 v2, 1, v2
	v_and_b32_e32 v6, 63, v2
	v_writelane_b32 v127, s73, 3
	v_bitop3_b32 v83, v0, 1, v0 bitop3:0xc
	v_bitop3_b32 v84, v0, 3, 1 bitop3:0x6c
	;; [unrolled: 1-line block ×8, first 2 shown]
	v_and_b32_e32 v2, 30, v0
	v_bitop3_b32 v95, v0, 31, v0 bitop3:0xc
	v_rcp_iflag_f32_e32 v0, v1
	s_abs_i32 s98, s15
	v_writelane_b32 v127, s74, 4
	v_cvt_f32_u32_e32 v1, s98
	v_writelane_b32 v127, s75, 5
	v_writelane_b32 v127, s76, 6
	;; [unrolled: 1-line block ×3, first 2 shown]
	v_mul_f32_e32 v0, 0x4f7ffffe, v0
	v_writelane_b32 v127, s78, 8
	v_cvt_u32_f32_e32 v0, v0
	v_rcp_iflag_f32_e32 v1, v1
	v_writelane_b32 v127, s79, 9
	v_cndmask_b32_e64 v79, 0, 1, s[28:29]
	s_xor_b32 s1, s1, s3
	v_writelane_b32 v127, s28, 10
	s_sub_i32 s17, s1, s3
	s_add_i32 s34, s24, -1
	v_writelane_b32 v127, s29, 11
	s_mul_i32 s1, s17, s34
	v_writelane_b32 v127, s30, 12
	s_sub_i32 s35, s2, s1
	v_readfirstlane_b32 s1, v0
	v_mul_f32_e32 v0, 0x4f7ffffe, v1
	v_writelane_b32 v127, s31, 13
	v_cvt_u32_f32_e32 v0, v0
	v_writelane_b32 v127, s17, 14
	s_sub_i32 s0, 0, s97
	v_writelane_b32 v127, s34, 15
	s_mul_i32 s0, s0, s1
	v_writelane_b32 v127, s35, 16
	s_mul_hi_u32 s0, s1, s0
	v_writelane_b32 v127, s36, 17
	s_ashr_i32 s38, s14, 31
	s_add_i32 s39, s1, s0
	s_sub_i32 s0, 0, s98
	v_readfirstlane_b32 s1, v0
	v_writelane_b32 v127, s37, 18
	s_mul_i32 s0, s0, s1
	v_mbcnt_lo_u32_b32 v0, -1, 0
	v_writelane_b32 v127, s38, 19
	s_ashr_i32 s40, s15, 31
	s_mul_hi_u32 s0, s1, s0
	v_mbcnt_hi_u32_b32 v0, -1, v0
	v_writelane_b32 v127, s39, 20
	v_mov_b32_e32 v65, 0
	v_mul_lo_u32 v8, s23, v80
	v_or_b32_e32 v98, v5, v3
	s_add_i32 s41, s1, s0
	v_and_or_b32 v0, v0, 64, v6
	v_writelane_b32 v127, s40, 21
	v_ashrrev_i32_e32 v9, 31, v8
	v_mov_b32_e32 v67, v65
	s_lshl_b32 s24, s23, 5
	v_mul_lo_u32 v96, s22, v80
	v_or_b32_e32 v97, v4, v7
	v_or_b32_e32 v99, 2, v98
	v_lshlrev_b32_e32 v64, 1, v2
	v_lshlrev_b32_e32 v100, 2, v0
	v_mov_b32_e32 v101, v72
	v_writelane_b32 v127, s41, 22
	scratch_store_dwordx2 off, v[8:9], off  ; 8-byte Folded Spill
	s_branch .LBB99_7
.LBB99_4:                               ;   in Loop: Header=BB99_7 Depth=1
	s_or_b64 exec, exec, s[4:5]
.LBB99_5:                               ;   in Loop: Header=BB99_7 Depth=1
	s_or_b64 exec, exec, s[2:3]
	v_subrev_u32_e32 v101, s99, v101
.LBB99_6:                               ;   in Loop: Header=BB99_7 Depth=1
	s_or_b64 exec, exec, s[0:1]
	s_add_i32 s33, s33, 1
	v_cmp_ge_i32_e32 vcc, s33, v78
	s_cbranch_vccnz .LBB99_54
.LBB99_7:                               ; =>This Loop Header: Depth=1
                                        ;     Child Loop BB99_13 Depth 2
                                        ;       Child Loop BB99_15 Depth 3
                                        ;       Child Loop BB99_18 Depth 3
	;; [unrolled: 1-line block ×5, first 2 shown]
                                        ;     Child Loop BB99_32 Depth 2
                                        ;     Child Loop BB99_41 Depth 2
                                        ;       Child Loop BB99_43 Depth 3
                                        ;     Child Loop BB99_51 Depth 2
                                        ;       Child Loop BB99_53 Depth 3
	s_abs_i32 s1, s33
	s_mul_hi_u32 s2, s1, s39
	s_mul_i32 s3, s2, s97
	s_ashr_i32 s0, s33, 31
	s_sub_i32 s1, s1, s3
	s_xor_b32 s0, s0, s38
	s_add_i32 s3, s2, 1
	s_sub_i32 s4, s1, s97
	s_cmp_ge_u32 s1, s97
	s_cselect_b32 s2, s3, s2
	s_cselect_b32 s1, s4, s1
	s_add_i32 s3, s2, 1
	s_cmp_ge_u32 s1, s97
	s_cselect_b32 s1, s3, s2
	s_xor_b32 s1, s1, s0
	s_sub_i32 s0, s1, s0
	s_abs_i32 s2, s0
	s_mul_i32 s1, s0, s14
	s_mul_hi_u32 s3, s2, s41
	s_sub_i32 s1, s33, s1
	s_mul_i32 s4, s3, s98
	s_lshl_b32 s96, s1, 5
	s_ashr_i32 s1, s0, 31
	s_sub_i32 s2, s2, s4
	s_xor_b32 s1, s1, s40
	s_add_i32 s4, s3, 1
	s_sub_i32 s5, s2, s98
	s_cmp_ge_u32 s2, s98
	s_cselect_b32 s3, s4, s3
	s_cselect_b32 s2, s5, s2
	s_add_i32 s4, s3, 1
	s_cmp_ge_u32 s2, s98
	s_cselect_b32 s2, s4, s3
	s_xor_b32 s2, s2, s1
	s_sub_i32 s1, s2, s1
	s_mul_i32 s2, s1, s17
	s_lshl_b32 s46, s2, 6
	s_cmp_eq_u32 s1, s34
	s_cselect_b32 s99, s35, s17
	s_sub_i32 s2, s96, s20
	s_add_i32 s71, s2, 32
	s_and_saveexec_b64 s[2:3], s[30:31]
	s_xor_b64 s[4:5], exec, s[2:3]
	s_cbranch_execz .LBB99_47
; %bb.8:                                ;   in Loop: Header=BB99_7 Depth=1
	s_mul_i32 s1, s1, s15
	s_sub_i32 s0, s0, s1
	s_lshl_b32 s0, s0, 7
	s_sub_i32 s70, s0, s21
	s_addk_i32 s70, 0x80
	s_max_i32 s1, s70, 0
	s_sub_i32 s0, s0, s1
	s_and_saveexec_b64 s[2:3], s[28:29]
	s_xor_b64 s[2:3], exec, s[2:3]
	s_cbranch_execz .LBB99_37
; %bb.9:                                ;   in Loop: Header=BB99_7 Depth=1
	s_and_saveexec_b64 s[8:9], s[36:37]
	s_cbranch_execz .LBB99_36
; %bb.10:                               ;   in Loop: Header=BB99_7 Depth=1
	global_load_dword v102, v65, s[78:79]
	v_writelane_b32 v127, s8, 23
	v_mov_b32_e32 v63, 0
	v_cmp_gt_i32_e32 vcc, s99, v101
	v_writelane_b32 v127, s9, 24
	v_mov_b32_e32 v62, v63
	v_mov_b32_e32 v61, v63
	;; [unrolled: 1-line block ×63, first 2 shown]
	s_and_saveexec_b64 s[6:7], vcc
	s_cbranch_execz .LBB99_29
; %bb.11:                               ;   in Loop: Header=BB99_7 Depth=1
	v_mov_b32_e32 v0, 0
	s_mov_b64 s[8:9], 0
	v_mov_b32_e32 v1, v0
	v_mov_b32_e32 v2, v0
	;; [unrolled: 1-line block ×63, first 2 shown]
	s_branch .LBB99_13
.LBB99_12:                              ;   in Loop: Header=BB99_13 Depth=2
	s_or_b64 exec, exec, s[10:11]
	v_add_u32_e32 v107, 0x1800, v106
	ds_read2_b32 v[108:109], v107 offset1:32
	v_add_u32_e32 v101, s27, v101
	s_waitcnt lgkmcnt(0)
	v_mfma_f32_32x32x16_fp8_fp8 v[0:15], v[76:77], v[108:109], v[0:15]
	ds_read2_b32 v[76:77], v107 offset0:128 offset1:160
	s_waitcnt lgkmcnt(0)
	v_mfma_f32_32x32x16_fp8_fp8 v[0:15], v[74:75], v[76:77], v[0:15]
	v_add_u32_e32 v76, 0x1c00, v106
	ds_read2_b32 v[74:75], v76 offset1:32
	ds_read2_b32 v[76:77], v76 offset0:128 offset1:160
	ds_write_b32 v104, v105 offset:20508
	s_waitcnt lgkmcnt(2)
	v_mfma_f32_32x32x16_fp8_fp8 v[0:15], v[72:73], v[74:75], v[0:15]
	v_add_u32_e32 v72, s27, v103
	v_add_u32_e32 v73, 2, v79
	v_cmp_lt_i32_e32 vcc, 1, v72
	s_nop 1
	v_cndmask_b32_e32 v79, v79, v73, vcc
	v_cmp_le_i32_e32 vcc, s99, v101
	s_waitcnt lgkmcnt(1)
	v_mfma_f32_32x32x16_fp8_fp8 v[0:15], v[70:71], v[76:77], v[0:15]
	s_or_b64 s[8:9], vcc, s[8:9]
	s_andn2_b64 exec, exec, s[8:9]
	s_cbranch_execz .LBB99_28
.LBB99_13:                              ;   Parent Loop BB99_7 Depth=1
                                        ; =>  This Loop Header: Depth=2
                                        ;       Child Loop BB99_15 Depth 3
                                        ;       Child Loop BB99_18 Depth 3
	;; [unrolled: 1-line block ×5, first 2 shown]
	v_cmp_gt_i32_e32 vcc, 2, v72
	s_nop 1
	v_cndmask_b32_e64 v70, -2, 0, vcc
	v_add_u32_e32 v103, v70, v72
	v_lshlrev_b32_e32 v104, 5, v103
	ds_read_b32 v70, v104 offset:20480
	s_waitcnt lgkmcnt(0)
	v_cmp_ne_u32_e32 vcc, v70, v79
	s_and_saveexec_b64 s[10:11], vcc
	s_cbranch_execz .LBB99_16
; %bb.14:                               ;   in Loop: Header=BB99_13 Depth=2
	s_mov_b64 s[12:13], 0
.LBB99_15:                              ;   Parent Loop BB99_7 Depth=1
                                        ;     Parent Loop BB99_13 Depth=2
                                        ; =>    This Inner Loop Header: Depth=3
	;;#ASMSTART
	s_sleep 0
	;;#ASMEND
	ds_read_b32 v70, v104 offset:20480
	s_waitcnt lgkmcnt(0)
	v_cmp_eq_u32_e32 vcc, v70, v79
	s_or_b64 s[12:13], vcc, s[12:13]
	s_andn2_b64 exec, exec, s[12:13]
	s_cbranch_execnz .LBB99_15
.LBB99_16:                              ;   in Loop: Header=BB99_13 Depth=2
	s_or_b64 exec, exec, s[10:11]
	v_lshl_add_u32 v70, v103, 11, v81
	ds_read2_b32 v[76:77], v70 offset1:32
	ds_read2_b32 v[74:75], v70 offset0:128 offset1:160
	v_add_u32_e32 v70, 0x400, v70
	ds_read2_b32 v[72:73], v70 offset1:32
	ds_read_b32 v106, v104 offset:20484
	ds_read2_b32 v[70:71], v70 offset0:128 offset1:160
	v_add_u32_e32 v105, 1, v79
	ds_write_b32 v104, v105 offset:20480
	s_waitcnt lgkmcnt(2)
	v_cmp_ne_u32_e32 vcc, v106, v79
	s_and_saveexec_b64 s[10:11], vcc
	s_cbranch_execz .LBB99_19
; %bb.17:                               ;   in Loop: Header=BB99_13 Depth=2
	s_mov_b64 s[12:13], 0
.LBB99_18:                              ;   Parent Loop BB99_7 Depth=1
                                        ;     Parent Loop BB99_13 Depth=2
                                        ; =>    This Inner Loop Header: Depth=3
	;;#ASMSTART
	s_sleep 0
	;;#ASMEND
	ds_read_b32 v106, v104 offset:20484
	s_waitcnt lgkmcnt(0)
	v_cmp_eq_u32_e32 vcc, v106, v79
	s_or_b64 s[12:13], vcc, s[12:13]
	s_andn2_b64 exec, exec, s[12:13]
	s_cbranch_execnz .LBB99_18
.LBB99_19:                              ;   in Loop: Header=BB99_13 Depth=2
	s_or_b64 exec, exec, s[10:11]
	v_lshlrev_b32_e32 v106, 13, v103
	v_or_b32_e32 v107, v82, v106
	ds_read2_b32 v[108:109], v107 offset1:32
	ds_write_b32 v104, v105 offset:20484
	s_waitcnt lgkmcnt(1)
	v_mfma_f32_32x32x16_fp8_fp8 v[48:63], v[76:77], v[108:109], v[48:63]
	ds_read2_b32 v[108:109], v107 offset0:128 offset1:160
	v_add_u32_e32 v107, 0x400, v107
	s_waitcnt lgkmcnt(0)
	v_mfma_f32_32x32x16_fp8_fp8 v[48:63], v[74:75], v[108:109], v[48:63]
	ds_read2_b32 v[108:109], v107 offset1:32
	s_waitcnt lgkmcnt(0)
	v_mfma_f32_32x32x16_fp8_fp8 v[48:63], v[72:73], v[108:109], v[48:63]
	ds_read2_b32 v[108:109], v107 offset0:128 offset1:160
	ds_read_b32 v107, v104 offset:20492
	s_waitcnt lgkmcnt(0)
	v_cmp_ne_u32_e32 vcc, v107, v79
	v_mfma_f32_32x32x16_fp8_fp8 v[48:63], v[70:71], v[108:109], v[48:63]
	s_and_saveexec_b64 s[10:11], vcc
	s_cbranch_execz .LBB99_22
; %bb.20:                               ;   in Loop: Header=BB99_13 Depth=2
	s_mov_b64 s[12:13], 0
.LBB99_21:                              ;   Parent Loop BB99_7 Depth=1
                                        ;     Parent Loop BB99_13 Depth=2
                                        ; =>    This Inner Loop Header: Depth=3
	;;#ASMSTART
	s_sleep 0
	;;#ASMEND
	ds_read_b32 v107, v104 offset:20492
	s_waitcnt lgkmcnt(0)
	v_cmp_eq_u32_e32 vcc, v107, v79
	s_or_b64 s[12:13], vcc, s[12:13]
	s_andn2_b64 exec, exec, s[12:13]
	s_cbranch_execnz .LBB99_21
.LBB99_22:                              ;   in Loop: Header=BB99_13 Depth=2
	s_or_b64 exec, exec, s[10:11]
	v_add_u32_e32 v106, v82, v106
	v_add_u32_e32 v107, 0x800, v106
	ds_read2_b32 v[108:109], v107 offset1:32
	ds_write_b32 v104, v105 offset:20492
	s_waitcnt lgkmcnt(1)
	v_mfma_f32_32x32x16_fp8_fp8 v[32:47], v[76:77], v[108:109], v[32:47]
	ds_read2_b32 v[108:109], v107 offset0:128 offset1:160
	v_add_u32_e32 v107, 0xc00, v106
	s_waitcnt lgkmcnt(0)
	v_mfma_f32_32x32x16_fp8_fp8 v[32:47], v[74:75], v[108:109], v[32:47]
	ds_read2_b32 v[108:109], v107 offset1:32
	s_waitcnt lgkmcnt(0)
	v_mfma_f32_32x32x16_fp8_fp8 v[32:47], v[72:73], v[108:109], v[32:47]
	ds_read2_b32 v[108:109], v107 offset0:128 offset1:160
	ds_read_b32 v107, v104 offset:20500
	s_waitcnt lgkmcnt(0)
	v_cmp_ne_u32_e32 vcc, v107, v79
	v_mfma_f32_32x32x16_fp8_fp8 v[32:47], v[70:71], v[108:109], v[32:47]
	s_and_saveexec_b64 s[10:11], vcc
	s_cbranch_execz .LBB99_25
; %bb.23:                               ;   in Loop: Header=BB99_13 Depth=2
	s_mov_b64 s[12:13], 0
.LBB99_24:                              ;   Parent Loop BB99_7 Depth=1
                                        ;     Parent Loop BB99_13 Depth=2
                                        ; =>    This Inner Loop Header: Depth=3
	;;#ASMSTART
	s_sleep 0
	;;#ASMEND
	ds_read_b32 v107, v104 offset:20500
	s_waitcnt lgkmcnt(0)
	v_cmp_eq_u32_e32 vcc, v107, v79
	s_or_b64 s[12:13], vcc, s[12:13]
	s_andn2_b64 exec, exec, s[12:13]
	s_cbranch_execnz .LBB99_24
.LBB99_25:                              ;   in Loop: Header=BB99_13 Depth=2
	s_or_b64 exec, exec, s[10:11]
	v_add_u32_e32 v107, 0x1000, v106
	ds_read2_b32 v[108:109], v107 offset1:32
	s_waitcnt lgkmcnt(0)
	v_mfma_f32_32x32x16_fp8_fp8 v[16:31], v[76:77], v[108:109], v[16:31]
	ds_read2_b32 v[108:109], v107 offset0:128 offset1:160
	v_add_u32_e32 v107, 0x1400, v106
	s_waitcnt lgkmcnt(0)
	v_mfma_f32_32x32x16_fp8_fp8 v[16:31], v[74:75], v[108:109], v[16:31]
	ds_read2_b32 v[108:109], v107 offset1:32
	s_waitcnt lgkmcnt(0)
	v_mfma_f32_32x32x16_fp8_fp8 v[16:31], v[72:73], v[108:109], v[16:31]
	ds_read_b32 v110, v104 offset:20508
	ds_read2_b32 v[108:109], v107 offset0:128 offset1:160
	ds_write_b32 v104, v105 offset:20500
	s_waitcnt lgkmcnt(2)
	v_cmp_ne_u32_e32 vcc, v110, v79
	s_waitcnt lgkmcnt(1)
	v_mfma_f32_32x32x16_fp8_fp8 v[16:31], v[70:71], v[108:109], v[16:31]
	s_and_saveexec_b64 s[10:11], vcc
	s_cbranch_execz .LBB99_12
; %bb.26:                               ;   in Loop: Header=BB99_13 Depth=2
	s_mov_b64 s[12:13], 0
.LBB99_27:                              ;   Parent Loop BB99_7 Depth=1
                                        ;     Parent Loop BB99_13 Depth=2
                                        ; =>    This Inner Loop Header: Depth=3
	;;#ASMSTART
	s_sleep 0
	;;#ASMEND
	ds_read_b32 v107, v104 offset:20508
	s_waitcnt lgkmcnt(0)
	v_cmp_eq_u32_e32 vcc, v107, v79
	s_or_b64 s[12:13], vcc, s[12:13]
	s_andn2_b64 exec, exec, s[12:13]
	s_cbranch_execnz .LBB99_27
	s_branch .LBB99_12
.LBB99_28:                              ;   in Loop: Header=BB99_7 Depth=1
	s_or_b64 exec, exec, s[8:9]
.LBB99_29:                              ;   in Loop: Header=BB99_7 Depth=1
	v_writelane_b32 v127, s71, 25
	v_writelane_b32 v127, s46, 26
	s_or_b64 exec, exec, s[6:7]
	v_cmp_le_i32_e32 vcc, s70, v80
	v_cmp_eq_u32_e64 s[64:65], 1, v83
	v_cmp_eq_u32_e64 s[36:37], 2, v83
	s_waitcnt vmcnt(0)
	v_cndmask_b32_e32 v70, 0, v102, vcc
	v_pk_mul_f32 v[48:49], v[70:71], v[48:49] op_sel_hi:[0,1]
	v_pk_mul_f32 v[62:63], v[70:71], v[62:63] op_sel_hi:[0,1]
	;; [unrolled: 1-line block ×8, first 2 shown]
	v_cndmask_b32_e64 v70, v48, v49, s[64:65]
	v_cndmask_b32_e64 v70, v70, v50, s[36:37]
	v_cmp_eq_u32_e64 s[40:41], 3, v83
	v_cmp_eq_u32_e64 s[42:43], 4, v83
	v_cmp_eq_u32_e64 s[44:45], 5, v83
	v_cndmask_b32_e64 v70, v70, v51, s[40:41]
	v_cndmask_b32_e64 v70, v70, v52, s[42:43]
	v_cndmask_b32_e64 v70, v70, v53, s[44:45]
	v_cmp_eq_u32_e64 s[46:47], 6, v83
	v_cmp_eq_u32_e64 s[48:49], 7, v83
	v_cmp_eq_u32_e64 s[50:51], 8, v83
	v_cndmask_b32_e64 v70, v70, v54, s[46:47]
	;; [unrolled: 6-line block ×4, first 2 shown]
	v_cndmask_b32_e64 v70, v70, v61, s[60:61]
	v_cndmask_b32_e64 v70, v70, v62, s[62:63]
	v_cmp_eq_u32_e64 s[66:67], 15, v83
	s_mul_i32 s6, s96, s21
	s_ashr_i32 s7, s6, 31
	v_cndmask_b32_e64 v70, v70, v63, s[66:67]
	ds_bpermute_b32 v70, v100, v70
	s_lshl_b64 s[6:7], s[6:7], 1
	v_cmp_eq_u32_e64 s[34:35], 0, v83
	s_add_u32 s68, s76, s6
	v_cmp_eq_u32_e32 vcc, 1, v84
	s_waitcnt lgkmcnt(0)
	v_cndmask_b32_e64 v63, v63, v70, s[66:67]
	v_cndmask_b32_e64 v62, v62, v70, s[62:63]
	v_cndmask_b32_e64 v61, v61, v70, s[60:61]
	v_cndmask_b32_e64 v60, v60, v70, s[58:59]
	v_cndmask_b32_e64 v59, v59, v70, s[56:57]
	v_cndmask_b32_e64 v58, v58, v70, s[54:55]
	v_cndmask_b32_e64 v57, v57, v70, s[52:53]
	v_cndmask_b32_e64 v56, v56, v70, s[50:51]
	v_cndmask_b32_e64 v73, v55, v70, s[48:49]
	v_cndmask_b32_e64 v74, v54, v70, s[46:47]
	v_cndmask_b32_e64 v75, v53, v70, s[44:45]
	v_cndmask_b32_e64 v76, v52, v70, s[42:43]
	v_cndmask_b32_e64 v77, v51, v70, s[40:41]
	v_cndmask_b32_e64 v103, v50, v70, s[36:37]
	v_cndmask_b32_e64 v104, v49, v70, s[64:65]
	v_cndmask_b32_e64 v70, v48, v70, s[34:35]
	s_addc_u32 s69, s77, s7
	v_cndmask_b32_e32 v48, v70, v104, vcc
	v_cmp_eq_u32_e64 s[6:7], 2, v84
	v_cmp_eq_u32_e64 s[8:9], 3, v84
	v_cmp_eq_u32_e64 s[10:11], 4, v84
	v_cndmask_b32_e64 v48, v48, v103, s[6:7]
	v_cndmask_b32_e64 v48, v48, v77, s[8:9]
	;; [unrolled: 1-line block ×3, first 2 shown]
	v_cmp_eq_u32_e64 s[12:13], 5, v84
	v_cmp_eq_u32_e64 s[14:15], 6, v84
	;; [unrolled: 1-line block ×3, first 2 shown]
	v_cndmask_b32_e64 v48, v48, v75, s[12:13]
	v_cndmask_b32_e64 v48, v48, v74, s[14:15]
	;; [unrolled: 1-line block ×3, first 2 shown]
	v_cmp_eq_u32_e64 s[18:19], 8, v84
	v_cmp_eq_u32_e64 s[74:75], 9, v84
	;; [unrolled: 1-line block ×3, first 2 shown]
	v_cndmask_b32_e64 v48, v48, v56, s[18:19]
	v_cndmask_b32_e64 v48, v48, v57, s[74:75]
	s_ashr_i32 s1, s0, 31
	v_cndmask_b32_e64 v48, v48, v58, s[76:77]
	v_cmp_eq_u32_e64 s[78:79], 11, v84
	s_lshl_b64 s[38:39], s[0:1], 1
	v_cmp_eq_u32_e64 s[80:81], 12, v84
	v_cndmask_b32_e64 v48, v48, v59, s[78:79]
	s_add_u32 s38, s68, s38
	v_cndmask_b32_e64 v48, v48, v60, s[80:81]
	v_cmp_eq_u32_e64 s[28:29], 13, v84
	s_addc_u32 s39, s69, s39
	v_cmp_eq_u32_e64 s[30:31], 14, v84
	v_cndmask_b32_e64 v48, v48, v61, s[28:29]
	v_writelane_b32 v127, s38, 27
	v_cndmask_b32_e64 v48, v48, v62, s[30:31]
	v_or_b32_e32 v68, 64, v80
	v_writelane_b32 v127, s39, 28
	v_cmp_eq_u32_e64 s[38:39], 15, v84
	v_cmp_eq_u32_e64 s[72:73], 9, v85
	;; [unrolled: 1-line block ×3, first 2 shown]
	v_cndmask_b32_e64 v48, v48, v63, s[38:39]
	ds_bpermute_b32 v71, v100, v48
	v_or_b32_e32 v48, 32, v80
	v_cmp_le_i32_e64 s[68:69], s70, v48
	v_cmp_eq_u32_e64 s[86:87], 6, v86
	v_cmp_eq_u32_e64 s[90:91], 7, v86
	v_cndmask_b32_e64 v48, 0, v102, s[68:69]
	v_cmp_le_i32_e64 s[68:69], s70, v68
	v_or_b32_e32 v68, 0x60, v80
	s_waitcnt lgkmcnt(0)
	v_cndmask_b32_e64 v54, v58, v71, s[76:77]
	v_cndmask_b32_e64 v58, v74, v71, s[14:15]
	;; [unrolled: 1-line block ×3, first 2 shown]
	v_cmp_le_i32_e64 s[68:69], s70, v68
	v_cndmask_b32_e64 v49, v63, v71, s[38:39]
	v_pk_mul_f32 v[30:31], v[74:75], v[30:31] op_sel_hi:[0,1]
	v_pk_mul_f32 v[28:29], v[74:75], v[28:29] op_sel_hi:[0,1]
	;; [unrolled: 1-line block ×8, first 2 shown]
	v_cndmask_b32_e64 v74, 0, v102, s[68:69]
	v_pk_mul_f32 v[32:33], v[48:49], v[32:33] op_sel_hi:[0,1]
	v_cmp_eq_u32_e64 s[68:69], 0, v84
	v_pk_mul_f32 v[0:1], v[74:75], v[0:1] op_sel_hi:[0,1]
	v_cndmask_b32_e64 v50, v62, v71, s[30:31]
	v_cndmask_b32_e64 v51, v61, v71, s[28:29]
	;; [unrolled: 1-line block ×11, first 2 shown]
	v_cndmask_b32_e32 v63, v104, v71, vcc
	v_pk_mul_f32 v[46:47], v[48:49], v[46:47] op_sel_hi:[0,1]
	v_pk_mul_f32 v[44:45], v[48:49], v[44:45] op_sel_hi:[0,1]
	;; [unrolled: 1-line block ×7, first 2 shown]
	v_cndmask_b32_e64 v48, v32, v33, s[64:65]
	v_cndmask_b32_e64 v73, v16, v17, s[64:65]
	v_cndmask_b32_e64 v70, v70, v71, s[68:69]
	v_pk_mul_f32 v[2:3], v[74:75], v[2:3] op_sel_hi:[0,1]
	v_cndmask_b32_e64 v71, v0, v1, s[64:65]
	v_cndmask_b32_e64 v48, v48, v34, s[36:37]
	v_cndmask_b32_e64 v73, v73, v18, s[36:37]
	v_cndmask_b32_e64 v71, v71, v2, s[36:37]
	v_cndmask_b32_e64 v48, v48, v35, s[40:41]
	v_cndmask_b32_e64 v73, v73, v19, s[40:41]
	v_pk_mul_f32 v[4:5], v[74:75], v[4:5] op_sel_hi:[0,1]
	v_cndmask_b32_e64 v71, v71, v3, s[40:41]
	v_cndmask_b32_e64 v48, v48, v36, s[42:43]
	v_cndmask_b32_e64 v73, v73, v20, s[42:43]
	;; [unrolled: 7-line block ×7, first 2 shown]
	v_cndmask_b32_e64 v71, v71, v14, s[62:63]
	v_cndmask_b32_e64 v48, v48, v47, s[66:67]
	;; [unrolled: 1-line block ×4, first 2 shown]
	ds_bpermute_b32 v48, v100, v48
	ds_bpermute_b32 v73, v100, v73
	;; [unrolled: 1-line block ×3, first 2 shown]
	v_cmp_eq_u32_e64 s[70:71], 7, v85
	v_cmp_eq_u32_e64 s[84:85], 13, v87
	s_waitcnt lgkmcnt(2)
	v_cndmask_b32_e64 v34, v34, v48, s[36:37]
	s_waitcnt lgkmcnt(1)
	v_cndmask_b32_e64 v18, v18, v73, s[36:37]
	;; [unrolled: 2-line block ×3, first 2 shown]
	v_cmp_ne_u32_e64 s[36:37], 0, v83
	v_cndmask_b32_e64 v33, v33, v48, s[64:65]
	v_cndmask_b32_e64 v17, v17, v73, s[64:65]
	v_cmp_eq_u32_e64 s[64:65], 1, v85
	v_cndmask_b32_e64 v1, v1, v71, s[36:37]
	v_cndmask_b32_e64 v32, v32, v48, s[34:35]
	;; [unrolled: 1-line block ×8, first 2 shown]
	v_cmp_eq_u32_e64 s[66:67], 2, v85
	v_cndmask_b32_e64 v46, v46, v48, s[62:63]
	v_cndmask_b32_e64 v30, v30, v73, s[62:63]
	;; [unrolled: 1-line block ×36, first 2 shown]
	v_cndmask_b32_e32 v48, v32, v33, vcc
	v_cndmask_b32_e32 v73, v16, v17, vcc
	;; [unrolled: 1-line block ×3, first 2 shown]
	v_cndmask_b32_e64 v74, v74, v62, s[66:67]
	v_cmp_eq_u32_e64 s[62:63], 3, v85
	v_cndmask_b32_e64 v48, v48, v34, s[6:7]
	v_cndmask_b32_e64 v73, v73, v18, s[6:7]
	v_cndmask_b32_e64 v71, v71, v2, s[6:7]
	v_cndmask_b32_e64 v74, v74, v61, s[62:63]
	v_cmp_eq_u32_e64 s[60:61], 4, v85
	v_cndmask_b32_e64 v48, v48, v35, s[8:9]
	v_cndmask_b32_e64 v73, v73, v19, s[8:9]
	v_cndmask_b32_e64 v71, v71, v3, s[8:9]
	v_cndmask_b32_e64 v74, v74, v60, s[60:61]
	v_cmp_eq_u32_e64 s[58:59], 5, v85
	v_cndmask_b32_e64 v48, v48, v36, s[10:11]
	v_cndmask_b32_e64 v73, v73, v20, s[10:11]
	v_cndmask_b32_e64 v71, v71, v4, s[10:11]
	v_cndmask_b32_e64 v74, v74, v59, s[58:59]
	v_cmp_eq_u32_e64 s[56:57], 6, v85
	v_cndmask_b32_e64 v48, v48, v37, s[12:13]
	v_cndmask_b32_e64 v73, v73, v21, s[12:13]
	v_cndmask_b32_e64 v71, v71, v5, s[12:13]
	v_cndmask_b32_e64 v74, v74, v58, s[56:57]
	v_cndmask_b32_e64 v48, v48, v38, s[14:15]
	;; [unrolled: 1-line block ×5, first 2 shown]
	v_cmp_eq_u32_e64 s[52:53], 8, v85
	v_cndmask_b32_e64 v48, v48, v39, s[16:17]
	v_cndmask_b32_e64 v73, v73, v23, s[16:17]
	;; [unrolled: 1-line block ×8, first 2 shown]
	v_cmp_eq_u32_e64 s[48:49], 10, v85
	v_cndmask_b32_e64 v48, v48, v41, s[74:75]
	v_cndmask_b32_e64 v73, v73, v25, s[74:75]
	v_cndmask_b32_e64 v71, v71, v9, s[74:75]
	v_cndmask_b32_e64 v74, v74, v54, s[48:49]
	v_cmp_eq_u32_e64 s[50:51], 11, v85
	v_cndmask_b32_e64 v48, v48, v42, s[76:77]
	v_cndmask_b32_e64 v73, v73, v26, s[76:77]
	v_cndmask_b32_e64 v71, v71, v10, s[76:77]
	v_cndmask_b32_e64 v74, v74, v53, s[50:51]
	;; [unrolled: 5-line block ×6, first 2 shown]
	v_cndmask_b32_e64 v48, v48, v47, s[38:39]
	v_cndmask_b32_e64 v73, v73, v31, s[38:39]
	;; [unrolled: 1-line block ×3, first 2 shown]
	ds_bpermute_b32 v74, v100, v74
	ds_bpermute_b32 v48, v100, v48
	;; [unrolled: 1-line block ×4, first 2 shown]
	v_cmp_eq_u32_e64 s[46:47], 0, v85
	s_waitcnt lgkmcnt(3)
	v_cndmask_b32_e64 v63, v63, v74, s[64:65]
	v_cmp_eq_u32_e64 s[34:35], 1, v86
	v_cndmask_b32_e64 v70, v70, v74, s[46:47]
	s_waitcnt lgkmcnt(2)
	v_cndmask_b32_e32 v33, v33, v48, vcc
	s_waitcnt lgkmcnt(1)
	v_cndmask_b32_e32 v17, v17, v73, vcc
	;; [unrolled: 2-line block ×3, first 2 shown]
	v_cndmask_b32_e64 v32, v32, v48, s[68:69]
	v_cndmask_b32_e64 v16, v16, v73, s[68:69]
	;; [unrolled: 1-line block ×24, first 2 shown]
	v_cmp_eq_u32_e64 s[38:39], 2, v86
	v_cndmask_b32_e64 v45, v45, v48, s[28:29]
	v_cndmask_b32_e64 v29, v29, v73, s[28:29]
	;; [unrolled: 1-line block ×40, first 2 shown]
	v_cmp_eq_u32_e64 s[28:29], 3, v86
	v_cndmask_b32_e64 v48, v48, v34, s[66:67]
	v_cndmask_b32_e64 v73, v73, v18, s[66:67]
	;; [unrolled: 1-line block ×8, first 2 shown]
	v_cmp_eq_u32_e64 s[78:79], 5, v86
	v_cndmask_b32_e64 v48, v48, v36, s[60:61]
	v_cndmask_b32_e64 v73, v73, v20, s[60:61]
	;; [unrolled: 1-line block ×12, first 2 shown]
	v_cmp_eq_u32_e64 s[18:19], 8, v86
	v_cndmask_b32_e64 v48, v48, v39, s[70:71]
	v_cndmask_b32_e64 v73, v73, v23, s[70:71]
	v_cndmask_b32_e64 v71, v71, v7, s[70:71]
	v_cndmask_b32_e64 v74, v74, v56, s[18:19]
	v_cmp_eq_u32_e64 s[16:17], 9, v86
	v_cndmask_b32_e64 v48, v48, v40, s[52:53]
	v_cndmask_b32_e64 v73, v73, v24, s[52:53]
	v_cndmask_b32_e64 v71, v71, v8, s[52:53]
	v_cndmask_b32_e64 v74, v74, v55, s[16:17]
	;; [unrolled: 5-line block ×7, first 2 shown]
	v_cmp_eq_u32_e32 vcc, 15, v86
	v_cndmask_b32_e64 v48, v48, v46, s[40:41]
	v_cndmask_b32_e64 v73, v73, v30, s[40:41]
	;; [unrolled: 1-line block ×3, first 2 shown]
	v_cndmask_b32_e32 v74, v74, v49, vcc
	v_cndmask_b32_e64 v48, v48, v47, s[36:37]
	v_cndmask_b32_e64 v73, v73, v31, s[36:37]
	v_cndmask_b32_e64 v71, v71, v15, s[36:37]
	ds_bpermute_b32 v74, v100, v74
	ds_bpermute_b32 v48, v100, v48
	;; [unrolled: 1-line block ×4, first 2 shown]
	v_cmp_eq_u32_e64 s[8:9], 0, v86
	s_waitcnt lgkmcnt(3)
	v_cndmask_b32_e64 v63, v63, v74, s[34:35]
	s_waitcnt lgkmcnt(2)
	v_cndmask_b32_e64 v47, v47, v48, s[36:37]
	v_cndmask_b32_e64 v70, v70, v74, s[8:9]
	s_waitcnt lgkmcnt(1)
	v_cndmask_b32_e64 v31, v31, v73, s[36:37]
	s_waitcnt lgkmcnt(0)
	v_cndmask_b32_e64 v15, v15, v71, s[36:37]
	v_cmp_eq_u32_e64 s[36:37], 1, v87
	v_cndmask_b32_e64 v33, v33, v48, s[64:65]
	v_cndmask_b32_e64 v17, v17, v73, s[64:65]
	;; [unrolled: 1-line block ×6, first 2 shown]
	v_cndmask_b32_e32 v49, v49, v74, vcc
	v_cndmask_b32_e64 v50, v50, v74, s[6:7]
	v_cndmask_b32_e64 v51, v51, v74, s[30:31]
	;; [unrolled: 1-line block ×17, first 2 shown]
	v_cmp_eq_u32_e64 s[40:41], 2, v87
	v_cndmask_b32_e64 v45, v45, v48, s[42:43]
	v_cndmask_b32_e64 v29, v29, v73, s[42:43]
	;; [unrolled: 1-line block ×40, first 2 shown]
	v_cmp_eq_u32_e64 s[42:43], 3, v87
	v_cndmask_b32_e64 v48, v48, v34, s[38:39]
	v_cndmask_b32_e64 v73, v73, v18, s[38:39]
	v_cndmask_b32_e64 v71, v71, v2, s[38:39]
	v_cndmask_b32_e64 v74, v74, v61, s[42:43]
	v_cmp_eq_u32_e64 s[44:45], 4, v87
	v_cndmask_b32_e64 v48, v48, v35, s[28:29]
	v_cndmask_b32_e64 v73, v73, v19, s[28:29]
	v_cndmask_b32_e64 v71, v71, v3, s[28:29]
	v_cndmask_b32_e64 v74, v74, v60, s[44:45]
	;; [unrolled: 5-line block ×10, first 2 shown]
	v_cndmask_b32_e64 v48, v48, v44, s[10:11]
	v_cndmask_b32_e64 v73, v73, v28, s[10:11]
	;; [unrolled: 1-line block ×4, first 2 shown]
	v_cmp_eq_u32_e64 s[88:89], 14, v87
	v_cndmask_b32_e64 v48, v48, v45, s[30:31]
	v_cndmask_b32_e64 v73, v73, v29, s[30:31]
	;; [unrolled: 1-line block ×4, first 2 shown]
	v_cmp_eq_u32_e64 s[92:93], 15, v87
	v_cndmask_b32_e64 v48, v48, v46, s[6:7]
	v_cndmask_b32_e64 v73, v73, v30, s[6:7]
	;; [unrolled: 1-line block ×4, first 2 shown]
	v_cndmask_b32_e32 v48, v48, v47, vcc
	v_cndmask_b32_e32 v73, v73, v31, vcc
	;; [unrolled: 1-line block ×3, first 2 shown]
	ds_bpermute_b32 v74, v100, v74
	ds_bpermute_b32 v48, v100, v48
	;; [unrolled: 1-line block ×4, first 2 shown]
	v_cmp_eq_u32_e64 s[60:61], 0, v87
	s_waitcnt lgkmcnt(3)
	v_cndmask_b32_e64 v63, v63, v74, s[36:37]
	s_waitcnt lgkmcnt(2)
	v_cndmask_b32_e32 v47, v47, v48, vcc
	v_cndmask_b32_e64 v70, v70, v74, s[60:61]
	s_waitcnt lgkmcnt(1)
	v_cndmask_b32_e32 v31, v31, v73, vcc
	s_waitcnt lgkmcnt(0)
	v_cndmask_b32_e32 v15, v15, v71, vcc
	v_cmp_eq_u32_e32 vcc, 1, v88
	v_cndmask_b32_e64 v49, v49, v74, s[92:93]
	v_cndmask_b32_e64 v50, v50, v74, s[88:89]
	;; [unrolled: 1-line block ×14, first 2 shown]
	v_cndmask_b32_e32 v74, v70, v63, vcc
	v_cndmask_b32_e64 v46, v46, v48, s[6:7]
	v_cndmask_b32_e64 v30, v30, v73, s[6:7]
	;; [unrolled: 1-line block ×3, first 2 shown]
	v_cmp_eq_u32_e64 s[6:7], 2, v88
	v_cndmask_b32_e64 v1, v1, v71, s[34:35]
	v_cndmask_b32_e64 v0, v0, v71, s[8:9]
	v_cndmask_b32_e64 v74, v74, v62, s[6:7]
	v_cndmask_b32_e64 v45, v45, v48, s[30:31]
	v_cndmask_b32_e64 v29, v29, v73, s[30:31]
	v_cndmask_b32_e64 v13, v13, v71, s[30:31]
	v_cmp_eq_u32_e64 s[30:31], 3, v88
	v_cndmask_b32_e64 v12, v12, v71, s[10:11]
	v_cndmask_b32_e64 v11, v11, v71, s[12:13]
	;; [unrolled: 1-line block ×13, first 2 shown]
	v_cmp_eq_u32_e64 s[46:47], 4, v88
	v_cndmask_b32_e64 v71, v71, v2, s[40:41]
	v_cmp_eq_u32_e64 s[52:53], 5, v88
	v_cndmask_b32_e64 v74, v74, v60, s[46:47]
	v_cndmask_b32_e64 v71, v71, v3, s[42:43]
	;; [unrolled: 1-line block ×3, first 2 shown]
	v_cmp_eq_u32_e64 s[58:59], 6, v88
	v_cndmask_b32_e64 v71, v71, v4, s[44:45]
	v_cmp_eq_u32_e64 s[64:65], 7, v88
	v_cndmask_b32_e64 v74, v74, v58, s[58:59]
	v_cndmask_b32_e64 v33, v33, v48, s[34:35]
	;; [unrolled: 1-line block ×17, first 2 shown]
	v_cmp_eq_u32_e64 s[70:71], 8, v88
	v_cndmask_b32_e64 v39, v39, v48, s[90:91]
	v_cndmask_b32_e64 v23, v23, v73, s[90:91]
	v_cndmask_b32_e64 v38, v38, v48, s[86:87]
	v_cndmask_b32_e64 v22, v22, v73, s[86:87]
	v_cndmask_b32_e64 v37, v37, v48, s[78:79]
	v_cndmask_b32_e64 v21, v21, v73, s[78:79]
	v_cndmask_b32_e64 v36, v36, v48, s[82:83]
	v_cndmask_b32_e64 v20, v20, v73, s[82:83]
	v_cndmask_b32_e64 v35, v35, v48, s[28:29]
	v_cndmask_b32_e64 v19, v19, v73, s[28:29]
	v_cndmask_b32_e64 v34, v34, v48, s[38:39]
	v_cndmask_b32_e64 v18, v18, v73, s[38:39]
	v_cndmask_b32_e64 v48, v32, v33, s[36:37]
	v_cndmask_b32_e64 v73, v16, v17, s[36:37]
	v_cndmask_b32_e64 v71, v71, v6, s[54:55]
	v_cndmask_b32_e64 v74, v74, v56, s[70:71]
	v_cmp_eq_u32_e64 s[66:67], 9, v88
	v_cndmask_b32_e64 v48, v48, v34, s[40:41]
	v_cndmask_b32_e64 v73, v73, v18, s[40:41]
	v_cndmask_b32_e64 v71, v71, v7, s[68:69]
	v_cndmask_b32_e64 v74, v74, v55, s[66:67]
	v_cmp_eq_u32_e64 s[62:63], 10, v88
	v_cndmask_b32_e64 v48, v48, v35, s[42:43]
	v_cndmask_b32_e64 v73, v73, v19, s[42:43]
	v_cndmask_b32_e64 v71, v71, v8, s[72:73]
	v_cndmask_b32_e64 v74, v74, v54, s[62:63]
	;; [unrolled: 5-line block ×7, first 2 shown]
	v_cndmask_b32_e64 v48, v48, v41, s[74:75]
	v_cndmask_b32_e64 v73, v73, v25, s[74:75]
	v_cndmask_b32_e64 v71, v71, v14, s[88:89]
	ds_bpermute_b32 v74, v100, v74
	v_cndmask_b32_e64 v48, v48, v42, s[56:57]
	v_cndmask_b32_e64 v73, v73, v26, s[56:57]
	;; [unrolled: 1-line block ×5, first 2 shown]
	ds_bpermute_b32 v71, v100, v71
	v_cndmask_b32_e64 v48, v48, v44, s[80:81]
	v_cndmask_b32_e64 v73, v73, v28, s[80:81]
	;; [unrolled: 1-line block ×6, first 2 shown]
	v_cmp_eq_u32_e64 s[48:49], 0, v88
	s_waitcnt lgkmcnt(1)
	v_cndmask_b32_e32 v63, v63, v74, vcc
	v_cndmask_b32_e64 v48, v48, v47, s[92:93]
	v_cndmask_b32_e64 v73, v73, v31, s[92:93]
	;; [unrolled: 1-line block ×3, first 2 shown]
	v_cmp_eq_u32_e64 s[8:9], 1, v89
	v_cndmask_b32_e64 v49, v49, v74, s[94:95]
	v_cndmask_b32_e64 v50, v50, v74, s[90:91]
	;; [unrolled: 1-line block ×14, first 2 shown]
	ds_bpermute_b32 v48, v100, v48
	ds_bpermute_b32 v73, v100, v73
	s_waitcnt lgkmcnt(2)
	v_cndmask_b32_e64 v74, v15, v71, s[92:93]
	v_cndmask_b32_e64 v15, v70, v63, s[8:9]
	v_cmp_eq_u32_e64 s[10:11], 2, v89
	v_cndmask_b32_e64 v77, v14, v71, s[88:89]
	v_cmp_eq_u32_e64 s[12:13], 3, v89
	v_cndmask_b32_e64 v14, v15, v62, s[10:11]
	v_cndmask_b32_e64 v103, v13, v71, s[84:85]
	;; [unrolled: 1-line block ×3, first 2 shown]
	v_cmp_eq_u32_e64 s[14:15], 4, v89
	v_cndmask_b32_e64 v106, v12, v71, s[80:81]
	v_cmp_eq_u32_e64 s[16:17], 5, v89
	v_cndmask_b32_e64 v12, v13, v60, s[14:15]
	v_cndmask_b32_e64 v108, v11, v71, s[76:77]
	v_cndmask_b32_e64 v11, v12, v59, s[16:17]
	v_cmp_eq_u32_e64 s[18:19], 6, v89
	v_cndmask_b32_e64 v110, v10, v71, s[56:57]
	s_waitcnt lgkmcnt(1)
	v_cndmask_b32_e64 v41, v41, v48, s[74:75]
	v_cndmask_b32_e64 v10, v11, v58, s[18:19]
	s_waitcnt lgkmcnt(0)
	v_cndmask_b32_e64 v111, v25, v73, s[74:75]
	v_cndmask_b32_e64 v112, v9, v71, s[74:75]
	v_cmp_eq_u32_e64 s[74:75], 7, v89
	v_cndmask_b32_e64 v40, v40, v48, s[72:73]
	v_cndmask_b32_e64 v113, v24, v73, s[72:73]
	;; [unrolled: 1-line block ×4, first 2 shown]
	v_cmp_eq_u32_e64 s[72:73], 8, v89
	v_cndmask_b32_e64 v43, v43, v48, s[76:77]
	v_cndmask_b32_e64 v107, v27, v73, s[76:77]
	;; [unrolled: 1-line block ×3, first 2 shown]
	v_cmp_eq_u32_e64 s[76:77], 9, v89
	v_cndmask_b32_e64 v104, v44, v48, s[80:81]
	v_cndmask_b32_e64 v105, v28, v73, s[80:81]
	v_cndmask_b32_e64 v117, v7, v71, s[68:69]
	v_cndmask_b32_e64 v7, v8, v55, s[76:77]
	v_cmp_eq_u32_e64 s[80:81], 10, v89
	v_cndmask_b32_e64 v120, v6, v71, s[54:55]
	v_cmp_eq_u32_e64 s[28:29], 11, v89
	v_cndmask_b32_e64 v6, v7, v54, s[80:81]
	v_cndmask_b32_e64 v123, v5, v71, s[50:51]
	;; [unrolled: 1-line block ×3, first 2 shown]
	v_cmp_eq_u32_e64 s[34:35], 12, v89
	v_cndmask_b32_e64 v126, v4, v71, s[44:45]
	v_cmp_eq_u32_e64 s[38:39], 13, v89
	v_cndmask_b32_e64 v4, v5, v52, s[34:35]
	v_cndmask_b32_e64 v75, v46, v48, s[88:89]
	;; [unrolled: 1-line block ×7, first 2 shown]
	v_cmp_eq_u32_e64 s[40:41], 14, v89
	v_cndmask_b32_e64 v5, v17, v73, s[36:37]
	v_cndmask_b32_e64 v6, v1, v71, s[36:37]
	;; [unrolled: 1-line block ×7, first 2 shown]
	v_cndmask_b32_e32 v13, v12, v4, vcc
	v_cndmask_b32_e32 v15, v14, v5, vcc
	;; [unrolled: 1-line block ×3, first 2 shown]
	v_cndmask_b32_e64 v91, v35, v48, s[42:43]
	v_cndmask_b32_e64 v92, v19, v73, s[42:43]
	;; [unrolled: 1-line block ×33, first 2 shown]
	v_cmp_eq_u32_e64 s[56:57], 15, v89
	v_cndmask_b32_e64 v13, v13, v41, s[66:67]
	v_cndmask_b32_e64 v15, v15, v111, s[66:67]
	;; [unrolled: 1-line block ×7, first 2 shown]
	ds_bpermute_b32 v17, v100, v1
	v_cndmask_b32_e64 v13, v13, v43, s[78:79]
	v_cndmask_b32_e64 v15, v15, v107, s[78:79]
	;; [unrolled: 1-line block ×20, first 2 shown]
	v_cmp_eq_u32_e64 s[54:55], 0, v89
	s_waitcnt lgkmcnt(0)
	v_cndmask_b32_e64 v25, v56, v17, s[72:73]
	v_cndmask_b32_e64 v22, v63, v17, s[8:9]
	ds_bpermute_b32 v13, v100, v13
	ds_bpermute_b32 v15, v100, v15
	;; [unrolled: 1-line block ×3, first 2 shown]
	v_cndmask_b32_e64 v0, v70, v17, s[54:55]
	v_cmp_eq_u32_e64 s[36:37], 1, v90
	v_cndmask_b32_e64 v7, v49, v17, s[56:57]
	v_cndmask_b32_e64 v8, v50, v17, s[40:41]
	;; [unrolled: 1-line block ×14, first 2 shown]
	v_cmp_eq_u32_e64 s[42:43], 2, v90
	v_cmp_eq_u32_e64 s[44:45], 3, v90
	;; [unrolled: 1-line block ×3, first 2 shown]
	v_cndmask_b32_e64 v19, v17, v21, s[42:43]
	v_cndmask_b32_e64 v35, v19, v2, s[44:45]
	;; [unrolled: 1-line block ×3, first 2 shown]
	v_cmp_eq_u32_e64 s[60:61], 5, v90
	s_waitcnt lgkmcnt(2)
	v_cndmask_b32_e64 v57, v42, v13, s[62:63]
	s_waitcnt lgkmcnt(0)
	v_cndmask_b32_e64 v48, v110, v56, s[62:63]
	v_cndmask_b32_e64 v38, v37, v28, s[60:61]
	;; [unrolled: 1-line block ×3, first 2 shown]
	v_cmp_eq_u32_e64 s[62:63], 6, v90
	v_cndmask_b32_e64 v58, v41, v13, s[66:67]
	v_cndmask_b32_e64 v49, v112, v56, s[66:67]
	;; [unrolled: 1-line block ×4, first 2 shown]
	v_cmp_eq_u32_e64 s[66:67], 7, v90
	v_cmp_eq_u32_e64 s[68:69], 8, v90
	v_cndmask_b32_e64 v59, v40, v13, s[70:71]
	v_cndmask_b32_e64 v41, v39, v26, s[66:67]
	;; [unrolled: 1-line block ×6, first 2 shown]
	v_cmp_eq_u32_e64 s[64:65], 9, v90
	v_cndmask_b32_e64 v61, v118, v13, s[58:59]
	v_cndmask_b32_e64 v52, v120, v56, s[58:59]
	v_cndmask_b32_e64 v42, v41, v24, s[64:65]
	v_cndmask_b32_e64 v41, v119, v15, s[58:59]
	v_cmp_eq_u32_e64 s[58:59], 10, v90
	v_cndmask_b32_e64 v29, v47, v13, s[94:95]
	v_cndmask_b32_e64 v47, v43, v13, s[78:79]
	;; [unrolled: 1-line block ×6, first 2 shown]
	v_cmp_eq_u32_e64 s[52:53], 11, v90
	v_cndmask_b32_e64 v63, v124, v13, s[46:47]
	v_cndmask_b32_e64 v54, v126, v56, s[46:47]
	v_cndmask_b32_e64 v55, v43, v11, s[52:53]
	v_cndmask_b32_e64 v43, v125, v15, s[46:47]
	v_cmp_eq_u32_e64 s[46:47], 12, v90
	v_cndmask_b32_e64 v70, v91, v13, s[30:31]
	v_cndmask_b32_e64 v71, v92, v15, s[30:31]
	v_cndmask_b32_e64 v69, v55, v10, s[46:47]
	v_cndmask_b32_e64 v55, v93, v56, s[30:31]
	v_cmp_eq_u32_e64 s[30:31], 13, v90
	v_cndmask_b32_e64 v68, v68, v13, s[6:7]
	v_cndmask_b32_e64 v46, v46, v15, s[6:7]
	v_cndmask_b32_e64 v69, v69, v9, s[30:31]
	v_cndmask_b32_e64 v73, v3, v56, s[6:7]
	v_cmp_eq_u32_e64 s[6:7], 14, v90
	v_cndmask_b32_e64 v18, v74, v56, s[94:95]
	v_cndmask_b32_e64 v30, v75, v13, s[90:91]
	;; [unrolled: 1-line block ×3, first 2 shown]
	v_cndmask_b32_e32 v69, v4, v13, vcc
	v_cndmask_b32_e32 v74, v5, v15, vcc
	;; [unrolled: 1-line block ×3, first 2 shown]
	v_cmp_eq_u32_e32 vcc, 15, v90
	v_cndmask_b32_e64 v32, v77, v56, s[90:91]
	v_cndmask_b32_e64 v77, v12, v13, s[48:49]
	v_cndmask_b32_e32 v3, v3, v7, vcc
	v_cndmask_b32_e64 v16, v76, v15, s[90:91]
	ds_bpermute_b32 v76, v100, v3
	v_cndmask_b32_e64 v3, v77, v69, s[8:9]
	v_cndmask_b32_e64 v3, v3, v68, s[10:11]
	v_cndmask_b32_e64 v3, v3, v70, s[12:13]
	v_cndmask_b32_e64 v3, v3, v63, s[14:15]
	v_cndmask_b32_e64 v3, v3, v62, s[16:17]
	v_cndmask_b32_e64 v3, v3, v61, s[18:19]
	v_cndmask_b32_e64 v3, v3, v60, s[74:75]
	v_cndmask_b32_e64 v3, v3, v59, s[72:73]
	v_cndmask_b32_e64 v3, v3, v58, s[76:77]
	v_cndmask_b32_e64 v3, v3, v57, s[80:81]
	v_cndmask_b32_e64 v20, v31, v15, s[94:95]
	v_cndmask_b32_e64 v31, v45, v13, s[86:87]
	v_cndmask_b32_e64 v45, v104, v13, s[82:83]
	v_cndmask_b32_e64 v91, v14, v15, s[48:49]
	v_cndmask_b32_e64 v3, v3, v47, s[28:29]
	s_waitcnt lgkmcnt(0)
	v_cndmask_b32_e64 v6, v27, v76, s[62:63]
	v_cndmask_b32_e64 v3, v3, v45, s[34:35]
	;; [unrolled: 1-line block ×11, first 2 shown]
	ds_bpermute_b32 v23, v100, v3
	v_cndmask_b32_e64 v27, v27, v42, s[16:17]
	v_cndmask_b32_e64 v27, v27, v41, s[18:19]
	;; [unrolled: 1-line block ×14, first 2 shown]
	v_cndmask_b32_e32 v15, v7, v76, vcc
	v_cndmask_b32_e64 v7, v26, v76, s[66:67]
	s_waitcnt lgkmcnt(0)
	v_cndmask_b32_e64 v26, v47, v23, s[28:29]
	v_cndmask_b32_e64 v44, v57, v23, s[80:81]
	;; [unrolled: 1-line block ×36, first 2 shown]
	ds_bpermute_b32 v69, v100, v27
	v_cndmask_b32_e64 v27, v56, v75, s[8:9]
	v_cndmask_b32_e64 v23, v23, v57, s[66:67]
	;; [unrolled: 1-line block ×18, first 2 shown]
	v_cndmask_b32_e32 v23, v23, v21, vcc
	v_cndmask_b32_e64 v27, v27, v35, s[28:29]
	ds_bpermute_b32 v77, v100, v23
	v_cndmask_b32_e64 v27, v27, v34, s[34:35]
	v_cndmask_b32_e64 v27, v27, v33, s[38:39]
	;; [unrolled: 1-line block ×4, first 2 shown]
	v_cmp_eq_u32_e64 s[48:49], 0, v90
	v_cndmask_b32_e64 v11, v11, v76, s[52:53]
	v_cndmask_b32_e64 v5, v28, v76, s[60:61]
	ds_bpermute_b32 v70, v100, v27
	s_waitcnt lgkmcnt(2)
	v_cndmask_b32_e64 v92, v20, v69, s[56:57]
	v_cndmask_b32_e64 v0, v0, v76, s[48:49]
	s_waitcnt lgkmcnt(1)
	v_cndmask_b32_e32 v31, v21, v77, vcc
	v_cndmask_b32_e64 v30, v22, v77, s[6:7]
	v_cndmask_b32_e64 v28, v25, v77, s[46:47]
	;; [unrolled: 1-line block ×38, first 2 shown]
	v_cndmask_b32_e32 v16, v16, v92, vcc
	ds_bpermute_b32 v91, v100, v16
	s_waitcnt lgkmcnt(1)
	v_cndmask_b32_e64 v93, v18, v70, s[56:57]
	v_cndmask_b32_e64 v29, v24, v77, s[30:31]
	;; [unrolled: 1-line block ×7, first 2 shown]
	s_waitcnt lgkmcnt(0)
	v_cndmask_b32_e64 v46, v44, v91, s[6:7]
	v_cndmask_b32_e64 v44, v57, v91, s[46:47]
	;; [unrolled: 1-line block ×37, first 2 shown]
	v_cndmask_b32_e32 v32, v32, v93, vcc
	v_cndmask_b32_e32 v47, v92, v91, vcc
	ds_bpermute_b32 v92, v100, v32
	v_readlane_b32 s71, v127, 25
	v_cndmask_b32_e64 v45, v45, v91, s[30:31]
	v_cndmask_b32_e64 v33, v74, v91, s[36:37]
	v_readlane_b32 s28, v127, 10
	s_waitcnt lgkmcnt(0)
	v_cndmask_b32_e64 v62, v57, v92, s[6:7]
	v_readlane_b32 s6, v127, 27
	v_cndmask_b32_e64 v61, v58, v92, s[30:31]
	v_cndmask_b32_e64 v57, v49, v92, s[64:65]
	;; [unrolled: 1-line block ×3, first 2 shown]
	v_readlane_b32 s7, v127, 28
	v_readlane_b32 s30, v127, 12
	;; [unrolled: 1-line block ×3, first 2 shown]
	s_mov_b32 s1, 0
	s_max_i32 s70, s71, 0
	v_subrev_u32_e32 v101, s99, v101
	v_cndmask_b32_e64 v42, v37, v91, s[58:59]
	v_cndmask_b32_e64 v37, v60, v91, s[60:61]
	;; [unrolled: 1-line block ×5, first 2 shown]
	v_cndmask_b32_e32 v63, v93, v92, vcc
	v_cndmask_b32_e64 v60, v59, v92, s[46:47]
	v_cndmask_b32_e64 v59, v68, v92, s[52:53]
	;; [unrolled: 1-line block ×11, first 2 shown]
	v_lshl_add_u64 v[70:71], s[6:7], 0, v[64:65]
	s_mov_b64 s[6:7], 0
	s_mov_b32 s16, 0
	v_readlane_b32 s29, v127, 11
	v_readlane_b32 s31, v127, 13
	;; [unrolled: 1-line block ×10, first 2 shown]
	s_mov_b64 s[42:43], 0x80
	s_mov_b64 s[44:45], 0xc0
	v_readlane_b32 s46, v127, 26
                                        ; implicit-def: $sgpr8_sgpr9
	s_branch .LBB99_32
.LBB99_30:                              ;   in Loop: Header=BB99_32 Depth=2
	s_or_b64 exec, exec, s[12:13]
	s_andn2_b64 s[8:9], s[8:9], exec
	s_and_b64 s[12:13], s[14:15], exec
	s_or_b64 s[8:9], s[8:9], s[12:13]
.LBB99_31:                              ;   in Loop: Header=BB99_32 Depth=2
	s_or_b64 exec, exec, s[10:11]
	s_and_b64 s[10:11], exec, s[8:9]
	s_or_b64 s[6:7], s[10:11], s[6:7]
	s_andn2_b64 exec, exec, s[6:7]
	s_cbranch_execz .LBB99_35
.LBB99_32:                              ;   Parent Loop BB99_7 Depth=1
                                        ; =>  This Inner Loop Header: Depth=2
	s_and_b32 s12, s1, 24
	v_or_b32_e32 v73, s12, v98
	v_add_u32_e32 v68, s70, v73
	v_cmp_gt_u32_e32 vcc, 32, v68
	s_or_b64 s[8:9], s[8:9], exec
	s_and_saveexec_b64 s[10:11], vcc
	s_cbranch_execz .LBB99_31
; %bb.33:                               ;   in Loop: Header=BB99_32 Depth=2
	s_add_i32 s13, s16, 1
	s_set_gpr_idx_on s16, gpr_idx(SRC0)
	v_mov_b32_e32 v68, v0
	s_set_gpr_idx_off
	v_cvt_f16_f32_e32 v68, v68
	s_set_gpr_idx_on s13, gpr_idx(SRC0)
	v_mov_b32_e32 v69, v0
	s_set_gpr_idx_off
	v_cvt_f16_f32_sdwa v69, v69 dst_sel:WORD_1 dst_unused:UNUSED_PAD src0_sel:DWORD
	v_mul_lo_u32 v74, v73, s21
	v_ashrrev_i32_e32 v75, 31, v74
	v_lshl_add_u64 v[74:75], v[74:75], 1, v[70:71]
	v_or_b32_e32 v68, v69, v68
	;;#ASMSTART
	global_atomic_pk_add_f16 v[74:75], v68, off
	
	;;#ASMEND
	s_set_gpr_idx_on s16, gpr_idx(SRC0)
	v_mov_b32_e32 v68, v16
	s_set_gpr_idx_off
	v_cvt_f16_f32_e32 v68, v68
	s_set_gpr_idx_on s13, gpr_idx(SRC0)
	v_mov_b32_e32 v69, v16
	s_set_gpr_idx_off
	v_cvt_f16_f32_sdwa v69, v69 dst_sel:WORD_1 dst_unused:UNUSED_PAD src0_sel:DWORD
	v_lshl_add_u64 v[76:77], v[74:75], 0, 64
	v_or_b32_e32 v73, s12, v99
	s_mov_b64 s[14:15], -1
	v_or_b32_e32 v68, v69, v68
	;;#ASMSTART
	global_atomic_pk_add_f16 v[76:77], v68, off
	
	;;#ASMEND
	s_set_gpr_idx_on s16, gpr_idx(SRC0)
	v_mov_b32_e32 v68, v32
	s_set_gpr_idx_off
	v_cvt_f16_f32_e32 v68, v68
	s_set_gpr_idx_on s13, gpr_idx(SRC0)
	v_mov_b32_e32 v69, v32
	s_set_gpr_idx_off
	v_cvt_f16_f32_sdwa v69, v69 dst_sel:WORD_1 dst_unused:UNUSED_PAD src0_sel:DWORD
	v_lshl_add_u64 v[76:77], v[74:75], 0, s[42:43]
	v_lshl_add_u64 v[74:75], v[74:75], 0, s[44:45]
	v_or_b32_e32 v68, v69, v68
	;;#ASMSTART
	global_atomic_pk_add_f16 v[76:77], v68, off
	
	;;#ASMEND
	s_set_gpr_idx_on s16, gpr_idx(SRC0)
	v_mov_b32_e32 v68, v48
	s_set_gpr_idx_off
	v_cvt_f16_f32_e32 v68, v68
	s_set_gpr_idx_on s13, gpr_idx(SRC0)
	v_mov_b32_e32 v69, v48
	s_set_gpr_idx_off
	v_cvt_f16_f32_sdwa v69, v69 dst_sel:WORD_1 dst_unused:UNUSED_PAD src0_sel:DWORD
	s_nop 0
	v_or_b32_e32 v68, v69, v68
	;;#ASMSTART
	global_atomic_pk_add_f16 v[74:75], v68, off
	
	;;#ASMEND
	v_add_u32_e32 v68, s70, v73
	v_cmp_gt_u32_e32 vcc, 32, v68
	s_and_saveexec_b64 s[12:13], vcc
	s_cbranch_execz .LBB99_30
; %bb.34:                               ;   in Loop: Header=BB99_32 Depth=2
	s_add_i32 s14, s16, 2
	s_add_i32 s15, s16, 3
	s_set_gpr_idx_on s14, gpr_idx(SRC0)
	v_mov_b32_e32 v68, v0
	s_set_gpr_idx_off
	v_cvt_f16_f32_e32 v68, v68
	s_set_gpr_idx_on s15, gpr_idx(SRC0)
	v_mov_b32_e32 v69, v0
	s_set_gpr_idx_off
	v_cvt_f16_f32_sdwa v69, v69 dst_sel:WORD_1 dst_unused:UNUSED_PAD src0_sel:DWORD
	v_mul_lo_u32 v74, v73, s21
	v_ashrrev_i32_e32 v75, 31, v74
	v_lshl_add_u64 v[74:75], v[74:75], 1, v[70:71]
	v_or_b32_e32 v68, v69, v68
	;;#ASMSTART
	global_atomic_pk_add_f16 v[74:75], v68, off
	
	;;#ASMEND
	s_set_gpr_idx_on s14, gpr_idx(SRC0)
	v_mov_b32_e32 v68, v16
	s_set_gpr_idx_off
	v_cvt_f16_f32_e32 v68, v68
	s_set_gpr_idx_on s15, gpr_idx(SRC0)
	v_mov_b32_e32 v69, v16
	s_set_gpr_idx_off
	v_cvt_f16_f32_sdwa v69, v69 dst_sel:WORD_1 dst_unused:UNUSED_PAD src0_sel:DWORD
	v_lshl_add_u64 v[76:77], v[74:75], 0, 64
	s_add_i32 s16, s16, 4
	s_add_i32 s1, s1, 8
	v_or_b32_e32 v68, v69, v68
	;;#ASMSTART
	global_atomic_pk_add_f16 v[76:77], v68, off
	
	;;#ASMEND
	s_set_gpr_idx_on s14, gpr_idx(SRC0)
	v_mov_b32_e32 v68, v32
	s_set_gpr_idx_off
	v_cvt_f16_f32_e32 v68, v68
	s_set_gpr_idx_on s15, gpr_idx(SRC0)
	v_mov_b32_e32 v69, v32
	s_set_gpr_idx_off
	v_cvt_f16_f32_sdwa v69, v69 dst_sel:WORD_1 dst_unused:UNUSED_PAD src0_sel:DWORD
	v_lshl_add_u64 v[76:77], v[74:75], 0, s[42:43]
	s_cmp_eq_u32 s16, 16
	v_lshl_add_u64 v[74:75], v[74:75], 0, s[44:45]
	v_or_b32_e32 v68, v69, v68
	;;#ASMSTART
	global_atomic_pk_add_f16 v[76:77], v68, off
	
	;;#ASMEND
	s_set_gpr_idx_on s14, gpr_idx(SRC0)
	v_mov_b32_e32 v68, v48
	s_set_gpr_idx_off
	v_cvt_f16_f32_e32 v68, v68
	s_set_gpr_idx_on s15, gpr_idx(SRC0)
	v_mov_b32_e32 v69, v48
	s_set_gpr_idx_off
	v_cvt_f16_f32_sdwa v69, v69 dst_sel:WORD_1 dst_unused:UNUSED_PAD src0_sel:DWORD
	s_cselect_b64 s[14:15], -1, 0
	s_orn2_b64 s[14:15], s[14:15], exec
	v_or_b32_e32 v68, v69, v68
	;;#ASMSTART
	global_atomic_pk_add_f16 v[74:75], v68, off
	
	;;#ASMEND
	s_branch .LBB99_30
.LBB99_35:                              ;   in Loop: Header=BB99_7 Depth=1
	s_or_b64 exec, exec, s[6:7]
	v_readlane_b32 s72, v127, 2
	v_readlane_b32 s8, v127, 23
	;; [unrolled: 1-line block ×12, first 2 shown]
.LBB99_36:                              ;   in Loop: Header=BB99_7 Depth=1
	s_or_b64 exec, exec, s[8:9]
.LBB99_37:                              ;   in Loop: Header=BB99_7 Depth=1
	s_andn2_saveexec_b64 s[2:3], s[2:3]
	s_cbranch_execz .LBB99_46
; %bb.38:                               ;   in Loop: Header=BB99_7 Depth=1
	s_lshl_b32 s12, s99, 2
	v_cmp_gt_i32_e32 vcc, s12, v101
	s_and_saveexec_b64 s[6:7], vcc
	s_cbranch_execz .LBB99_45
; %bb.39:                               ;   in Loop: Header=BB99_7 Depth=1
	scratch_load_dwordx2 v[0:1], off, off   ; 8-byte Folded Reload
	s_mul_i32 s0, s0, s23
	s_ashr_i32 s1, s0, 31
	s_add_u32 s0, s74, s0
	s_addc_u32 s1, s75, s1
	s_ashr_i32 s8, s46, 31
	s_add_u32 s0, s0, s46
	s_addc_u32 s1, s1, s8
	s_waitcnt vmcnt(0)
	v_lshl_add_u64 v[0:1], s[0:1], 0, v[0:1]
	v_lshl_add_u64 v[8:9], v[0:1], 0, v[66:67]
	s_mov_b64 s[0:1], 0
	s_branch .LBB99_41
.LBB99_40:                              ;   in Loop: Header=BB99_41 Depth=2
	s_or_b64 exec, exec, s[8:9]
	v_lshl_or_b32 v12, v10, 11, v94
	;;#ASMSTART
	s_waitcnt vmcnt(1)
	;;#ASMEND
	ds_write2_b32 v12, v4, v5 offset1:32
	ds_write2_b32 v12, v6, v7 offset0:64 offset1:96
	v_add_u32_e32 v4, 0x400, v12
	v_add_u32_e32 v101, s26, v101
	;;#ASMSTART
	s_waitcnt vmcnt(0)
	;;#ASMEND
	ds_write2_b32 v4, v0, v1 offset1:32
	ds_write2_b32 v4, v2, v3 offset0:64 offset1:96
	v_add_u32_e32 v0, 1, v79
	v_add_u32_e32 v72, s26, v10
	v_cmp_le_i32_e32 vcc, s12, v101
	ds_write_b32 v11, v0 offset:8
	v_add_u32_e32 v0, 2, v79
	s_or_b64 s[0:1], vcc, s[0:1]
	v_cmp_lt_i32_e32 vcc, 7, v72
	s_nop 1
	v_cndmask_b32_e32 v79, v79, v0, vcc
	s_andn2_b64 exec, exec, s[0:1]
	s_cbranch_execz .LBB99_44
.LBB99_41:                              ;   Parent Loop BB99_7 Depth=1
                                        ; =>  This Loop Header: Depth=2
                                        ;       Child Loop BB99_43 Depth 3
	v_cmp_gt_i32_e32 vcc, 8, v72
	s_nop 1
	v_cndmask_b32_e64 v0, -8, 0, vcc
	v_add_u32_e32 v10, v0, v72
	v_ashrrev_i32_e32 v0, 31, v101
	v_lshrrev_b32_e32 v0, 30, v0
	v_add_u32_e32 v0, v101, v0
	v_and_b32_e32 v1, -4, v0
	v_lshlrev_b32_e32 v0, 4, v0
	v_sub_u32_e32 v2, v101, v1
	v_and_b32_e32 v0, 0xffffffc0, v0
	v_ashrrev_i32_e32 v1, 31, v0
	v_mul_lo_u32 v2, s24, v2
	v_lshl_add_u64 v[0:1], v[8:9], 0, v[0:1]
	v_ashrrev_i32_e32 v3, 31, v2
	v_lshl_add_u64 v[0:1], v[0:1], 0, v[2:3]
	v_lshlrev_b32_e32 v11, 2, v10
	;;#ASMSTART
	global_load_dwordx4 v[4:7], v[0:1], off offset:0   sc0 sc1 nt  
	global_load_dwordx4 v[0:3], v[0:1], off offset:32  sc0 sc1 nt  
	
	;;#ASMEND
	ds_read_b32 v12, v11 offset:20488
	v_add_u32_e32 v11, 0x5000, v11
	s_waitcnt lgkmcnt(0)
	v_cmp_ne_u32_e32 vcc, v12, v79
	s_and_saveexec_b64 s[8:9], vcc
	s_cbranch_execz .LBB99_40
; %bb.42:                               ;   in Loop: Header=BB99_41 Depth=2
	s_mov_b64 s[10:11], 0
.LBB99_43:                              ;   Parent Loop BB99_7 Depth=1
                                        ;     Parent Loop BB99_41 Depth=2
                                        ; =>    This Inner Loop Header: Depth=3
	;;#ASMSTART
	s_sleep 0
	;;#ASMEND
	ds_read_b32 v12, v11 offset:8
	s_waitcnt lgkmcnt(0)
	v_cmp_eq_u32_e32 vcc, v12, v79
	s_or_b64 s[10:11], vcc, s[10:11]
	s_andn2_b64 exec, exec, s[10:11]
	s_cbranch_execnz .LBB99_43
	s_branch .LBB99_40
.LBB99_44:                              ;   in Loop: Header=BB99_7 Depth=1
	s_or_b64 exec, exec, s[0:1]
.LBB99_45:                              ;   in Loop: Header=BB99_7 Depth=1
	s_or_b64 exec, exec, s[6:7]
	v_subrev_u32_e32 v101, s12, v101
.LBB99_46:                              ;   in Loop: Header=BB99_7 Depth=1
	s_or_b64 exec, exec, s[2:3]
.LBB99_47:                              ;   in Loop: Header=BB99_7 Depth=1
	s_andn2_saveexec_b64 s[0:1], s[4:5]
	s_cbranch_execz .LBB99_6
; %bb.48:                               ;   in Loop: Header=BB99_7 Depth=1
	v_cmp_gt_i32_e32 vcc, s99, v101
	s_and_saveexec_b64 s[2:3], vcc
	s_cbranch_execz .LBB99_5
; %bb.49:                               ;   in Loop: Header=BB99_7 Depth=1
	s_mul_i32 s96, s96, s22
	s_ashr_i32 s4, s96, 31
	s_add_u32 s5, s72, s96
	s_addc_u32 s6, s73, s4
	s_ashr_i32 s7, s46, 31
	v_cmp_le_i32_e32 vcc, s71, v95
	s_add_u32 s4, s5, s46
	s_addc_u32 s5, s6, s7
	v_cndmask_b32_e32 v0, 0, v96, vcc
	v_ashrrev_i32_e32 v1, 31, v0
	v_lshl_add_u64 v[0:1], s[4:5], 0, v[0:1]
	v_lshl_add_u64 v[8:9], v[0:1], 0, v[66:67]
	s_mov_b64 s[4:5], 0
	s_branch .LBB99_51
.LBB99_50:                              ;   in Loop: Header=BB99_51 Depth=2
	s_or_b64 exec, exec, s[6:7]
	v_lshl_add_u32 v12, v10, 11, v97
	;;#ASMSTART
	s_waitcnt vmcnt(1)
	;;#ASMEND
	ds_write2_b32 v12, v4, v5 offset1:32
	ds_write2_b32 v12, v6, v7 offset0:64 offset1:96
	v_add_u32_e32 v4, 0x400, v12
	v_add_u32_e32 v101, s25, v101
	;;#ASMSTART
	s_waitcnt vmcnt(0)
	;;#ASMEND
	ds_write2_b32 v4, v0, v1 offset1:32
	ds_write2_b32 v4, v2, v3 offset0:64 offset1:96
	v_add_u32_e32 v0, 1, v79
	v_add_u32_e32 v72, s25, v10
	v_cmp_le_i32_e32 vcc, s99, v101
	ds_write_b32 v11, v0
	v_add_u32_e32 v0, 2, v79
	s_or_b64 s[4:5], vcc, s[4:5]
	v_cmp_lt_i32_e32 vcc, 1, v72
	s_nop 1
	v_cndmask_b32_e32 v79, v79, v0, vcc
	s_andn2_b64 exec, exec, s[4:5]
	s_cbranch_execz .LBB99_4
.LBB99_51:                              ;   Parent Loop BB99_7 Depth=1
                                        ; =>  This Loop Header: Depth=2
                                        ;       Child Loop BB99_53 Depth 3
	v_cmp_gt_i32_e32 vcc, 2, v72
	s_nop 1
	v_cndmask_b32_e64 v0, -2, 0, vcc
	v_add_u32_e32 v10, v0, v72
	v_lshlrev_b32_e32 v0, 6, v101
	v_ashrrev_i32_e32 v1, 31, v0
	v_lshl_add_u64 v[0:1], v[8:9], 0, v[0:1]
	v_lshlrev_b32_e32 v11, 2, v10
	;;#ASMSTART
	global_load_dwordx4 v[4:7], v[0:1], off offset:0   
	global_load_dwordx4 v[0:3], v[0:1], off offset:32  
	
	;;#ASMEND
	ds_read_b32 v12, v11 offset:20480
	v_add_u32_e32 v11, 0x5000, v11
	s_waitcnt lgkmcnt(0)
	v_cmp_ne_u32_e32 vcc, v12, v79
	s_and_saveexec_b64 s[6:7], vcc
	s_cbranch_execz .LBB99_50
; %bb.52:                               ;   in Loop: Header=BB99_51 Depth=2
	s_mov_b64 s[8:9], 0
.LBB99_53:                              ;   Parent Loop BB99_7 Depth=1
                                        ;     Parent Loop BB99_51 Depth=2
                                        ; =>    This Inner Loop Header: Depth=3
	;;#ASMSTART
	s_sleep 0
	;;#ASMEND
	ds_read_b32 v12, v11
	s_waitcnt lgkmcnt(0)
	v_cmp_eq_u32_e32 vcc, v12, v79
	s_or_b64 s[8:9], vcc, s[8:9]
	s_andn2_b64 exec, exec, s[8:9]
	s_cbranch_execnz .LBB99_53
	s_branch .LBB99_50
.LBB99_54:
	s_endpgm
	.section	.rodata,"a",@progbits
	.p2align	6, 0x0
	.amdhsa_kernel _Z19_skinny_gemm_kernelILi1ELi4ELi2ELi32ELi4EEvPKhS1_P6__halfPKfiiiiiiii
		.amdhsa_group_segment_fixed_size 20520
		.amdhsa_private_segment_fixed_size 12
		.amdhsa_kernarg_size 64
		.amdhsa_user_sgpr_count 2
		.amdhsa_user_sgpr_dispatch_ptr 0
		.amdhsa_user_sgpr_queue_ptr 0
		.amdhsa_user_sgpr_kernarg_segment_ptr 1
		.amdhsa_user_sgpr_dispatch_id 0
		.amdhsa_user_sgpr_kernarg_preload_length 0
		.amdhsa_user_sgpr_kernarg_preload_offset 0
		.amdhsa_user_sgpr_private_segment_size 0
		.amdhsa_uses_dynamic_stack 0
		.amdhsa_enable_private_segment 1
		.amdhsa_system_sgpr_workgroup_id_x 1
		.amdhsa_system_sgpr_workgroup_id_y 0
		.amdhsa_system_sgpr_workgroup_id_z 0
		.amdhsa_system_sgpr_workgroup_info 0
		.amdhsa_system_vgpr_workitem_id 0
		.amdhsa_next_free_vgpr 128
		.amdhsa_next_free_sgpr 100
		.amdhsa_accum_offset 128
		.amdhsa_reserve_vcc 1
		.amdhsa_float_round_mode_32 0
		.amdhsa_float_round_mode_16_64 0
		.amdhsa_float_denorm_mode_32 3
		.amdhsa_float_denorm_mode_16_64 3
		.amdhsa_dx10_clamp 1
		.amdhsa_ieee_mode 1
		.amdhsa_fp16_overflow 0
		.amdhsa_tg_split 0
		.amdhsa_exception_fp_ieee_invalid_op 0
		.amdhsa_exception_fp_denorm_src 0
		.amdhsa_exception_fp_ieee_div_zero 0
		.amdhsa_exception_fp_ieee_overflow 0
		.amdhsa_exception_fp_ieee_underflow 0
		.amdhsa_exception_fp_ieee_inexact 0
		.amdhsa_exception_int_div_zero 0
	.end_amdhsa_kernel
	.section	.text._Z19_skinny_gemm_kernelILi1ELi4ELi2ELi32ELi4EEvPKhS1_P6__halfPKfiiiiiiii,"axG",@progbits,_Z19_skinny_gemm_kernelILi1ELi4ELi2ELi32ELi4EEvPKhS1_P6__halfPKfiiiiiiii,comdat
.Lfunc_end99:
	.size	_Z19_skinny_gemm_kernelILi1ELi4ELi2ELi32ELi4EEvPKhS1_P6__halfPKfiiiiiiii, .Lfunc_end99-_Z19_skinny_gemm_kernelILi1ELi4ELi2ELi32ELi4EEvPKhS1_P6__halfPKfiiiiiiii
                                        ; -- End function
	.set _Z19_skinny_gemm_kernelILi1ELi4ELi2ELi32ELi4EEvPKhS1_P6__halfPKfiiiiiiii.num_vgpr, 128
	.set _Z19_skinny_gemm_kernelILi1ELi4ELi2ELi32ELi4EEvPKhS1_P6__halfPKfiiiiiiii.num_agpr, 0
	.set _Z19_skinny_gemm_kernelILi1ELi4ELi2ELi32ELi4EEvPKhS1_P6__halfPKfiiiiiiii.numbered_sgpr, 100
	.set _Z19_skinny_gemm_kernelILi1ELi4ELi2ELi32ELi4EEvPKhS1_P6__halfPKfiiiiiiii.num_named_barrier, 0
	.set _Z19_skinny_gemm_kernelILi1ELi4ELi2ELi32ELi4EEvPKhS1_P6__halfPKfiiiiiiii.private_seg_size, 12
	.set _Z19_skinny_gemm_kernelILi1ELi4ELi2ELi32ELi4EEvPKhS1_P6__halfPKfiiiiiiii.uses_vcc, 1
	.set _Z19_skinny_gemm_kernelILi1ELi4ELi2ELi32ELi4EEvPKhS1_P6__halfPKfiiiiiiii.uses_flat_scratch, 0
	.set _Z19_skinny_gemm_kernelILi1ELi4ELi2ELi32ELi4EEvPKhS1_P6__halfPKfiiiiiiii.has_dyn_sized_stack, 0
	.set _Z19_skinny_gemm_kernelILi1ELi4ELi2ELi32ELi4EEvPKhS1_P6__halfPKfiiiiiiii.has_recursion, 0
	.set _Z19_skinny_gemm_kernelILi1ELi4ELi2ELi32ELi4EEvPKhS1_P6__halfPKfiiiiiiii.has_indirect_call, 0
	.section	.AMDGPU.csdata,"",@progbits
; Kernel info:
; codeLenInByte = 14032
; TotalNumSgprs: 106
; NumVgprs: 128
; NumAgprs: 0
; TotalNumVgprs: 128
; ScratchSize: 12
; MemoryBound: 0
; FloatMode: 240
; IeeeMode: 1
; LDSByteSize: 20520 bytes/workgroup (compile time only)
; SGPRBlocks: 13
; VGPRBlocks: 15
; NumSGPRsForWavesPerEU: 106
; NumVGPRsForWavesPerEU: 128
; AccumOffset: 128
; Occupancy: 4
; WaveLimiterHint : 0
; COMPUTE_PGM_RSRC2:SCRATCH_EN: 1
; COMPUTE_PGM_RSRC2:USER_SGPR: 2
; COMPUTE_PGM_RSRC2:TRAP_HANDLER: 0
; COMPUTE_PGM_RSRC2:TGID_X_EN: 1
; COMPUTE_PGM_RSRC2:TGID_Y_EN: 0
; COMPUTE_PGM_RSRC2:TGID_Z_EN: 0
; COMPUTE_PGM_RSRC2:TIDIG_COMP_CNT: 0
; COMPUTE_PGM_RSRC3_GFX90A:ACCUM_OFFSET: 31
; COMPUTE_PGM_RSRC3_GFX90A:TG_SPLIT: 0
	.section	.text._Z19_skinny_gemm_kernelILi1ELi4ELi2ELi32ELi8EEvPKhS1_P6__halfPKfiiiiiiii,"axG",@progbits,_Z19_skinny_gemm_kernelILi1ELi4ELi2ELi32ELi8EEvPKhS1_P6__halfPKfiiiiiiii,comdat
	.protected	_Z19_skinny_gemm_kernelILi1ELi4ELi2ELi32ELi8EEvPKhS1_P6__halfPKfiiiiiiii ; -- Begin function _Z19_skinny_gemm_kernelILi1ELi4ELi2ELi32ELi8EEvPKhS1_P6__halfPKfiiiiiiii
	.globl	_Z19_skinny_gemm_kernelILi1ELi4ELi2ELi32ELi8EEvPKhS1_P6__halfPKfiiiiiiii
	.p2align	8
	.type	_Z19_skinny_gemm_kernelILi1ELi4ELi2ELi32ELi8EEvPKhS1_P6__halfPKfiiiiiiii,@function
_Z19_skinny_gemm_kernelILi1ELi4ELi2ELi32ELi8EEvPKhS1_P6__halfPKfiiiiiiii: ; @_Z19_skinny_gemm_kernelILi1ELi4ELi2ELi32ELi8EEvPKhS1_P6__halfPKfiiiiiiii
; %bb.0:
	v_cmp_gt_u32_e32 vcc, 10, v0
	s_and_saveexec_b64 s[4:5], vcc
; %bb.1:
	v_lshlrev_b32_e32 v1, 2, v0
	v_mov_b32_e32 v2, 0
	ds_write_b32 v1, v2 offset:40960
; %bb.2:
	s_or_b64 exec, exec, s[4:5]
	s_load_dwordx8 s[20:27], s[0:1], 0x20
	s_waitcnt lgkmcnt(0)
	s_barrier
	s_add_i32 s3, s20, 31
	s_ashr_i32 s5, s3, 31
	s_add_i32 s4, s21, 0x7f
	s_lshr_b32 s5, s5, 27
	s_ashr_i32 s6, s4, 31
	s_add_i32 s3, s3, s5
	s_ashr_i32 s14, s3, 5
	s_lshr_b32 s3, s6, 25
	s_add_i32 s4, s4, s3
	s_ashr_i32 s15, s4, 7
	s_mul_i32 s3, s15, s14
	s_mul_i32 s3, s3, s24
	s_add_i32 s4, s3, 0x12f
	s_mul_hi_i32 s4, s4, 0x6bca1af3
	s_lshr_b32 s5, s4, 31
	s_ashr_i32 s4, s4, 7
	s_add_i32 s4, s4, s5
	s_add_i32 s5, s2, 1
	s_mul_i32 s5, s4, s5
	v_cvt_f64_i32_e32 v[2:3], s3
	v_cvt_f64_u32_e32 v[4:5], s5
	v_min_f64 v[2:3], v[2:3], v[4:5]
	v_cvt_i32_f64_e32 v86, v[2:3]
	s_mul_i32 s33, s4, s2
	v_cmp_ge_i32_e32 vcc, s33, v86
	s_cbranch_vccnz .LBB100_54
; %bb.3:
	s_load_dwordx8 s[72:79], s[0:1], 0x0
	v_lshrrev_b32_e32 v1, 6, v0
	s_add_i32 s0, s26, s25
	v_cmp_le_i32_e64 s[28:29], s0, v1
	v_mov_b32_e32 v2, s25
	v_cmp_le_i32_e64 s[30:31], s25, v1
	v_mov_b32_e32 v3, s26
	v_cndmask_b32_e64 v3, 0, v3, s[28:29]
	v_cndmask_b32_e64 v2, 0, v2, s[30:31]
	s_abs_i32 s1, s24
	v_add_u32_e32 v2, v2, v3
	v_cvt_f32_u32_e32 v3, s1
	v_sub_u32_e32 v72, v1, v2
	s_ashr_i32 s2, s22, 31
	s_lshr_b32 s2, s2, 25
	v_rcp_iflag_f32_e32 v2, v3
	s_sub_i32 s5, 0, s1
	s_add_i32 s2, s22, s2
	s_ashr_i32 s2, s2, 7
	v_mul_f32_e32 v2, 0x4f7ffffe, v2
	v_cvt_u32_f32_e32 v2, v2
	s_abs_i32 s4, s2
	s_xor_b32 s3, s2, s24
	s_ashr_i32 s3, s3, 31
	v_readfirstlane_b32 s6, v2
	s_mul_i32 s5, s5, s6
	s_mul_hi_u32 s5, s6, s5
	s_add_i32 s6, s6, s5
	s_mul_hi_u32 s5, s4, s6
	s_mul_i32 s6, s5, s1
	s_sub_i32 s4, s4, s6
	s_add_i32 s6, s5, 1
	s_sub_i32 s7, s4, s1
	s_cmp_ge_u32 s4, s1
	s_cselect_b32 s5, s6, s5
	s_cselect_b32 s4, s7, s4
	s_add_i32 s6, s5, 1
	s_cmp_ge_u32 s4, s1
	v_lshrrev_b32_e32 v2, 3, v0
	v_lshrrev_b32_e32 v7, 1, v0
	s_cselect_b32 s1, s6, s5
	s_add_i32 s0, s0, s27
	v_and_b32_e32 v88, 31, v0
	v_and_b32_e32 v3, 4, v2
	;; [unrolled: 1-line block ×3, first 2 shown]
	v_lshlrev_b32_e32 v7, 4, v0
	v_cmp_gt_i32_e64 s[36:37], s0, v1
	v_lshlrev_b32_e32 v1, 2, v88
	v_lshlrev_b32_e32 v2, 6, v3
	v_and_b32_e32 v7, 0x200, v7
	s_abs_i32 s97, s14
                                        ; implicit-def: $vgpr127 : SGPR spill to VGPR lane
	v_or_b32_e32 v4, 0x8000, v1
	v_or_b32_e32 v90, v1, v2
	v_and_b32_e32 v5, 1, v0
	v_or_b32_e32 v102, v1, v7
	v_cvt_f32_u32_e32 v1, s97
	v_writelane_b32 v127, s14, 0
	v_or_b32_e32 v89, v4, v2
	v_lshlrev_b32_e32 v2, 1, v5
	v_writelane_b32 v127, s15, 1
	v_sub_u32_e32 v2, v0, v2
	s_waitcnt lgkmcnt(0)
	v_writelane_b32 v127, s72, 2
	v_add_u32_e32 v2, 1, v2
	v_and_b32_e32 v6, 63, v2
	v_writelane_b32 v127, s73, 3
	v_bitop3_b32 v91, v0, 1, v0 bitop3:0xc
	v_bitop3_b32 v92, v0, 3, 1 bitop3:0x6c
	;; [unrolled: 1-line block ×8, first 2 shown]
	v_and_b32_e32 v2, 30, v0
	v_bitop3_b32 v103, v0, 31, v0 bitop3:0xc
	v_rcp_iflag_f32_e32 v0, v1
	s_abs_i32 s98, s15
	v_writelane_b32 v127, s74, 4
	v_cvt_f32_u32_e32 v1, s98
	v_writelane_b32 v127, s75, 5
	v_writelane_b32 v127, s76, 6
	;; [unrolled: 1-line block ×3, first 2 shown]
	v_mul_f32_e32 v0, 0x4f7ffffe, v0
	v_writelane_b32 v127, s78, 8
	v_cvt_u32_f32_e32 v0, v0
	v_rcp_iflag_f32_e32 v1, v1
	v_writelane_b32 v127, s79, 9
	v_cndmask_b32_e64 v87, 0, 1, s[28:29]
	s_xor_b32 s1, s1, s3
	v_writelane_b32 v127, s28, 10
	s_sub_i32 s17, s1, s3
	s_add_i32 s34, s24, -1
	v_writelane_b32 v127, s29, 11
	s_mul_i32 s1, s17, s34
	v_writelane_b32 v127, s30, 12
	s_sub_i32 s35, s2, s1
	v_readfirstlane_b32 s1, v0
	v_mul_f32_e32 v0, 0x4f7ffffe, v1
	v_writelane_b32 v127, s31, 13
	v_cvt_u32_f32_e32 v0, v0
	v_writelane_b32 v127, s17, 14
	s_sub_i32 s0, 0, s97
	v_writelane_b32 v127, s34, 15
	s_mul_i32 s0, s0, s1
	v_writelane_b32 v127, s35, 16
	s_mul_hi_u32 s0, s1, s0
	v_writelane_b32 v127, s36, 17
	s_ashr_i32 s38, s14, 31
	s_add_i32 s39, s1, s0
	s_sub_i32 s0, 0, s98
	v_readfirstlane_b32 s1, v0
	v_writelane_b32 v127, s37, 18
	s_mul_i32 s0, s0, s1
	v_mbcnt_lo_u32_b32 v0, -1, 0
	v_writelane_b32 v127, s38, 19
	s_ashr_i32 s40, s15, 31
	s_mul_hi_u32 s0, s1, s0
	v_mbcnt_hi_u32_b32 v0, -1, v0
	v_writelane_b32 v127, s39, 20
	v_mov_b32_e32 v65, 0
	v_mul_lo_u32 v8, s23, v88
	v_or_b32_e32 v106, v5, v3
	s_add_i32 s41, s1, s0
	v_and_or_b32 v0, v0, 64, v6
	v_writelane_b32 v127, s40, 21
	v_ashrrev_i32_e32 v9, 31, v8
	v_mov_b32_e32 v67, v65
	s_lshl_b32 s24, s23, 5
	v_mul_lo_u32 v104, s22, v88
	v_or_b32_e32 v105, v4, v7
	v_or_b32_e32 v107, 2, v106
	v_lshlrev_b32_e32 v64, 1, v2
	v_lshlrev_b32_e32 v108, 2, v0
	v_mov_b32_e32 v109, v72
	v_writelane_b32 v127, s41, 22
	scratch_store_dwordx2 off, v[8:9], off  ; 8-byte Folded Spill
	s_branch .LBB100_7
.LBB100_4:                              ;   in Loop: Header=BB100_7 Depth=1
	s_or_b64 exec, exec, s[4:5]
.LBB100_5:                              ;   in Loop: Header=BB100_7 Depth=1
	s_or_b64 exec, exec, s[2:3]
	v_subrev_u32_e32 v109, s99, v109
.LBB100_6:                              ;   in Loop: Header=BB100_7 Depth=1
	s_or_b64 exec, exec, s[0:1]
	s_add_i32 s33, s33, 1
	v_cmp_ge_i32_e32 vcc, s33, v86
	s_cbranch_vccnz .LBB100_54
.LBB100_7:                              ; =>This Loop Header: Depth=1
                                        ;     Child Loop BB100_13 Depth 2
                                        ;       Child Loop BB100_15 Depth 3
                                        ;       Child Loop BB100_18 Depth 3
	;; [unrolled: 1-line block ×5, first 2 shown]
                                        ;     Child Loop BB100_32 Depth 2
                                        ;     Child Loop BB100_41 Depth 2
                                        ;       Child Loop BB100_43 Depth 3
                                        ;     Child Loop BB100_51 Depth 2
                                        ;       Child Loop BB100_53 Depth 3
	s_abs_i32 s1, s33
	s_mul_hi_u32 s2, s1, s39
	s_mul_i32 s3, s2, s97
	s_ashr_i32 s0, s33, 31
	s_sub_i32 s1, s1, s3
	s_xor_b32 s0, s0, s38
	s_add_i32 s3, s2, 1
	s_sub_i32 s4, s1, s97
	s_cmp_ge_u32 s1, s97
	s_cselect_b32 s2, s3, s2
	s_cselect_b32 s1, s4, s1
	s_add_i32 s3, s2, 1
	s_cmp_ge_u32 s1, s97
	s_cselect_b32 s1, s3, s2
	s_xor_b32 s1, s1, s0
	s_sub_i32 s0, s1, s0
	s_abs_i32 s2, s0
	s_mul_i32 s1, s0, s14
	s_mul_hi_u32 s3, s2, s41
	s_sub_i32 s1, s33, s1
	s_mul_i32 s4, s3, s98
	s_lshl_b32 s96, s1, 5
	s_ashr_i32 s1, s0, 31
	s_sub_i32 s2, s2, s4
	s_xor_b32 s1, s1, s40
	s_add_i32 s4, s3, 1
	s_sub_i32 s5, s2, s98
	s_cmp_ge_u32 s2, s98
	s_cselect_b32 s3, s4, s3
	s_cselect_b32 s2, s5, s2
	s_add_i32 s4, s3, 1
	s_cmp_ge_u32 s2, s98
	s_cselect_b32 s2, s4, s3
	s_xor_b32 s2, s2, s1
	s_sub_i32 s1, s2, s1
	s_mul_i32 s2, s1, s17
	s_lshl_b32 s46, s2, 7
	s_cmp_eq_u32 s1, s34
	s_cselect_b32 s99, s35, s17
	s_sub_i32 s2, s96, s20
	s_add_i32 s71, s2, 32
	s_and_saveexec_b64 s[2:3], s[30:31]
	s_xor_b64 s[4:5], exec, s[2:3]
	s_cbranch_execz .LBB100_47
; %bb.8:                                ;   in Loop: Header=BB100_7 Depth=1
	s_mul_i32 s1, s1, s15
	s_sub_i32 s0, s0, s1
	s_lshl_b32 s0, s0, 7
	s_sub_i32 s70, s0, s21
	s_addk_i32 s70, 0x80
	s_max_i32 s1, s70, 0
	s_sub_i32 s0, s0, s1
	s_and_saveexec_b64 s[2:3], s[28:29]
	s_xor_b64 s[2:3], exec, s[2:3]
	s_cbranch_execz .LBB100_37
; %bb.9:                                ;   in Loop: Header=BB100_7 Depth=1
	s_and_saveexec_b64 s[8:9], s[36:37]
	s_cbranch_execz .LBB100_36
; %bb.10:                               ;   in Loop: Header=BB100_7 Depth=1
	global_load_dword v110, v65, s[78:79]
	v_writelane_b32 v127, s8, 23
	v_mov_b32_e32 v63, 0
	v_cmp_gt_i32_e32 vcc, s99, v109
	v_writelane_b32 v127, s9, 24
	v_mov_b32_e32 v62, v63
	v_mov_b32_e32 v61, v63
	;; [unrolled: 1-line block ×63, first 2 shown]
	s_and_saveexec_b64 s[6:7], vcc
	s_cbranch_execz .LBB100_29
; %bb.11:                               ;   in Loop: Header=BB100_7 Depth=1
	v_mov_b32_e32 v0, 0
	s_mov_b64 s[8:9], 0
	v_mov_b32_e32 v1, v0
	v_mov_b32_e32 v2, v0
	;; [unrolled: 1-line block ×63, first 2 shown]
	s_branch .LBB100_13
.LBB100_12:                             ;   in Loop: Header=BB100_13 Depth=2
	s_or_b64 exec, exec, s[10:11]
	v_add_u32_e32 v115, 0x3000, v114
	ds_read2_b32 v[116:117], v115 offset1:32
	v_add_u32_e32 v109, s27, v109
	s_waitcnt lgkmcnt(0)
	v_mfma_f32_32x32x16_fp8_fp8 v[0:15], v[84:85], v[116:117], v[0:15]
	ds_read2_b32 v[84:85], v115 offset0:128 offset1:160
	s_waitcnt lgkmcnt(0)
	v_mfma_f32_32x32x16_fp8_fp8 v[0:15], v[82:83], v[84:85], v[0:15]
	v_add_u32_e32 v84, 0x3400, v114
	ds_read2_b32 v[82:83], v84 offset1:32
	s_waitcnt lgkmcnt(0)
	v_mfma_f32_32x32x16_fp8_fp8 v[0:15], v[80:81], v[82:83], v[0:15]
	ds_read2_b32 v[80:81], v84 offset0:128 offset1:160
	s_waitcnt lgkmcnt(0)
	v_mfma_f32_32x32x16_fp8_fp8 v[0:15], v[78:79], v[80:81], v[0:15]
	v_add_u32_e32 v80, 0x3800, v114
	ds_read2_b32 v[78:79], v80 offset1:32
	;; [unrolled: 7-line block ×3, first 2 shown]
	ds_read2_b32 v[76:77], v76 offset0:128 offset1:160
	ds_write_b32 v112, v113 offset:40988
	s_waitcnt lgkmcnt(2)
	v_mfma_f32_32x32x16_fp8_fp8 v[0:15], v[72:73], v[74:75], v[0:15]
	v_add_u32_e32 v72, s27, v111
	v_add_u32_e32 v73, 2, v87
	v_cmp_lt_i32_e32 vcc, 1, v72
	s_nop 1
	v_cndmask_b32_e32 v87, v87, v73, vcc
	v_cmp_le_i32_e32 vcc, s99, v109
	s_waitcnt lgkmcnt(1)
	v_mfma_f32_32x32x16_fp8_fp8 v[0:15], v[70:71], v[76:77], v[0:15]
	s_or_b64 s[8:9], vcc, s[8:9]
	s_andn2_b64 exec, exec, s[8:9]
	s_cbranch_execz .LBB100_28
.LBB100_13:                             ;   Parent Loop BB100_7 Depth=1
                                        ; =>  This Loop Header: Depth=2
                                        ;       Child Loop BB100_15 Depth 3
                                        ;       Child Loop BB100_18 Depth 3
	;; [unrolled: 1-line block ×5, first 2 shown]
	v_cmp_gt_i32_e32 vcc, 2, v72
	s_nop 1
	v_cndmask_b32_e64 v70, -2, 0, vcc
	v_add_u32_e32 v111, v70, v72
	v_lshlrev_b32_e32 v112, 5, v111
	ds_read_b32 v70, v112 offset:40960
	s_waitcnt lgkmcnt(0)
	v_cmp_ne_u32_e32 vcc, v70, v87
	s_and_saveexec_b64 s[10:11], vcc
	s_cbranch_execz .LBB100_16
; %bb.14:                               ;   in Loop: Header=BB100_13 Depth=2
	s_mov_b64 s[12:13], 0
.LBB100_15:                             ;   Parent Loop BB100_7 Depth=1
                                        ;     Parent Loop BB100_13 Depth=2
                                        ; =>    This Inner Loop Header: Depth=3
	;;#ASMSTART
	s_sleep 0
	;;#ASMEND
	ds_read_b32 v70, v112 offset:40960
	s_waitcnt lgkmcnt(0)
	v_cmp_eq_u32_e32 vcc, v70, v87
	s_or_b64 s[12:13], vcc, s[12:13]
	s_andn2_b64 exec, exec, s[12:13]
	s_cbranch_execnz .LBB100_15
.LBB100_16:                             ;   in Loop: Header=BB100_13 Depth=2
	s_or_b64 exec, exec, s[10:11]
	v_lshl_add_u32 v70, v111, 12, v89
	v_add_u32_e32 v71, 0x400, v70
	ds_read2_b32 v[84:85], v70 offset1:32
	ds_read2_b32 v[82:83], v70 offset0:128 offset1:160
	ds_read2_b32 v[80:81], v71 offset1:32
	ds_read2_b32 v[78:79], v71 offset0:128 offset1:160
	v_add_u32_e32 v71, 0x800, v70
	v_add_u32_e32 v70, 0xc00, v70
	ds_read2_b32 v[76:77], v71 offset1:32
	ds_read2_b32 v[74:75], v71 offset0:128 offset1:160
	ds_read2_b32 v[72:73], v70 offset1:32
	ds_read_b32 v114, v112 offset:40964
	ds_read2_b32 v[70:71], v70 offset0:128 offset1:160
	v_add_u32_e32 v113, 1, v87
	ds_write_b32 v112, v113 offset:40960
	s_waitcnt lgkmcnt(2)
	v_cmp_ne_u32_e32 vcc, v114, v87
	s_and_saveexec_b64 s[10:11], vcc
	s_cbranch_execz .LBB100_19
; %bb.17:                               ;   in Loop: Header=BB100_13 Depth=2
	s_mov_b64 s[12:13], 0
.LBB100_18:                             ;   Parent Loop BB100_7 Depth=1
                                        ;     Parent Loop BB100_13 Depth=2
                                        ; =>    This Inner Loop Header: Depth=3
	;;#ASMSTART
	s_sleep 0
	;;#ASMEND
	ds_read_b32 v114, v112 offset:40964
	s_waitcnt lgkmcnt(0)
	v_cmp_eq_u32_e32 vcc, v114, v87
	s_or_b64 s[12:13], vcc, s[12:13]
	s_andn2_b64 exec, exec, s[12:13]
	s_cbranch_execnz .LBB100_18
.LBB100_19:                             ;   in Loop: Header=BB100_13 Depth=2
	s_or_b64 exec, exec, s[10:11]
	v_lshl_or_b32 v114, v111, 14, v90
	ds_read2_b32 v[116:117], v114 offset1:32
	v_add_u32_e32 v115, 0x400, v114
	s_waitcnt lgkmcnt(0)
	v_mfma_f32_32x32x16_fp8_fp8 v[48:63], v[84:85], v[116:117], v[48:63]
	ds_read2_b32 v[116:117], v114 offset0:128 offset1:160
	s_waitcnt lgkmcnt(0)
	v_mfma_f32_32x32x16_fp8_fp8 v[48:63], v[82:83], v[116:117], v[48:63]
	ds_read2_b32 v[116:117], v115 offset1:32
	s_waitcnt lgkmcnt(0)
	v_mfma_f32_32x32x16_fp8_fp8 v[48:63], v[80:81], v[116:117], v[48:63]
	ds_read2_b32 v[116:117], v115 offset0:128 offset1:160
	v_add_u32_e32 v115, 0x800, v114
	s_waitcnt lgkmcnt(0)
	v_mfma_f32_32x32x16_fp8_fp8 v[48:63], v[78:79], v[116:117], v[48:63]
	ds_read2_b32 v[116:117], v115 offset1:32
	s_waitcnt lgkmcnt(0)
	v_mfma_f32_32x32x16_fp8_fp8 v[48:63], v[76:77], v[116:117], v[48:63]
	ds_read2_b32 v[116:117], v115 offset0:128 offset1:160
	v_add_u32_e32 v115, 0xc00, v114
	s_waitcnt lgkmcnt(0)
	v_mfma_f32_32x32x16_fp8_fp8 v[48:63], v[74:75], v[116:117], v[48:63]
	ds_read2_b32 v[116:117], v115 offset1:32
	s_waitcnt lgkmcnt(0)
	v_mfma_f32_32x32x16_fp8_fp8 v[48:63], v[72:73], v[116:117], v[48:63]
	ds_read_b32 v118, v112 offset:40972
	ds_read2_b32 v[116:117], v115 offset0:128 offset1:160
	ds_write_b32 v112, v113 offset:40964
	s_waitcnt lgkmcnt(2)
	v_cmp_ne_u32_e32 vcc, v118, v87
	s_waitcnt lgkmcnt(1)
	v_mfma_f32_32x32x16_fp8_fp8 v[48:63], v[70:71], v[116:117], v[48:63]
	s_and_saveexec_b64 s[10:11], vcc
	s_cbranch_execz .LBB100_22
; %bb.20:                               ;   in Loop: Header=BB100_13 Depth=2
	s_mov_b64 s[12:13], 0
.LBB100_21:                             ;   Parent Loop BB100_7 Depth=1
                                        ;     Parent Loop BB100_13 Depth=2
                                        ; =>    This Inner Loop Header: Depth=3
	;;#ASMSTART
	s_sleep 0
	;;#ASMEND
	ds_read_b32 v115, v112 offset:40972
	s_waitcnt lgkmcnt(0)
	v_cmp_eq_u32_e32 vcc, v115, v87
	s_or_b64 s[12:13], vcc, s[12:13]
	s_andn2_b64 exec, exec, s[12:13]
	s_cbranch_execnz .LBB100_21
.LBB100_22:                             ;   in Loop: Header=BB100_13 Depth=2
	s_or_b64 exec, exec, s[10:11]
	v_add_u32_e32 v115, 0x1000, v114
	ds_read2_b32 v[116:117], v115 offset1:32
	s_waitcnt lgkmcnt(0)
	v_mfma_f32_32x32x16_fp8_fp8 v[32:47], v[84:85], v[116:117], v[32:47]
	ds_read2_b32 v[116:117], v115 offset0:128 offset1:160
	v_add_u32_e32 v115, 0x1400, v114
	s_waitcnt lgkmcnt(0)
	v_mfma_f32_32x32x16_fp8_fp8 v[32:47], v[82:83], v[116:117], v[32:47]
	ds_read2_b32 v[116:117], v115 offset1:32
	s_waitcnt lgkmcnt(0)
	v_mfma_f32_32x32x16_fp8_fp8 v[32:47], v[80:81], v[116:117], v[32:47]
	ds_read2_b32 v[116:117], v115 offset0:128 offset1:160
	v_add_u32_e32 v115, 0x1800, v114
	s_waitcnt lgkmcnt(0)
	v_mfma_f32_32x32x16_fp8_fp8 v[32:47], v[78:79], v[116:117], v[32:47]
	;; [unrolled: 7-line block ×3, first 2 shown]
	ds_read2_b32 v[116:117], v115 offset1:32
	s_waitcnt lgkmcnt(0)
	v_mfma_f32_32x32x16_fp8_fp8 v[32:47], v[72:73], v[116:117], v[32:47]
	ds_read_b32 v118, v112 offset:40980
	ds_read2_b32 v[116:117], v115 offset0:128 offset1:160
	ds_write_b32 v112, v113 offset:40972
	s_waitcnt lgkmcnt(2)
	v_cmp_ne_u32_e32 vcc, v118, v87
	s_waitcnt lgkmcnt(1)
	v_mfma_f32_32x32x16_fp8_fp8 v[32:47], v[70:71], v[116:117], v[32:47]
	s_and_saveexec_b64 s[10:11], vcc
	s_cbranch_execz .LBB100_25
; %bb.23:                               ;   in Loop: Header=BB100_13 Depth=2
	s_mov_b64 s[12:13], 0
.LBB100_24:                             ;   Parent Loop BB100_7 Depth=1
                                        ;     Parent Loop BB100_13 Depth=2
                                        ; =>    This Inner Loop Header: Depth=3
	;;#ASMSTART
	s_sleep 0
	;;#ASMEND
	ds_read_b32 v115, v112 offset:40980
	s_waitcnt lgkmcnt(0)
	v_cmp_eq_u32_e32 vcc, v115, v87
	s_or_b64 s[12:13], vcc, s[12:13]
	s_andn2_b64 exec, exec, s[12:13]
	s_cbranch_execnz .LBB100_24
.LBB100_25:                             ;   in Loop: Header=BB100_13 Depth=2
	s_or_b64 exec, exec, s[10:11]
	v_add_u32_e32 v115, 0x2000, v114
	ds_read2_b32 v[116:117], v115 offset1:32
	s_waitcnt lgkmcnt(0)
	v_mfma_f32_32x32x16_fp8_fp8 v[16:31], v[84:85], v[116:117], v[16:31]
	ds_read2_b32 v[116:117], v115 offset0:128 offset1:160
	v_add_u32_e32 v115, 0x2400, v114
	s_waitcnt lgkmcnt(0)
	v_mfma_f32_32x32x16_fp8_fp8 v[16:31], v[82:83], v[116:117], v[16:31]
	ds_read2_b32 v[116:117], v115 offset1:32
	s_waitcnt lgkmcnt(0)
	v_mfma_f32_32x32x16_fp8_fp8 v[16:31], v[80:81], v[116:117], v[16:31]
	ds_read2_b32 v[116:117], v115 offset0:128 offset1:160
	v_add_u32_e32 v115, 0x2800, v114
	s_waitcnt lgkmcnt(0)
	v_mfma_f32_32x32x16_fp8_fp8 v[16:31], v[78:79], v[116:117], v[16:31]
	;; [unrolled: 7-line block ×3, first 2 shown]
	ds_read2_b32 v[116:117], v115 offset1:32
	s_waitcnt lgkmcnt(0)
	v_mfma_f32_32x32x16_fp8_fp8 v[16:31], v[72:73], v[116:117], v[16:31]
	ds_read_b32 v118, v112 offset:40988
	ds_read2_b32 v[116:117], v115 offset0:128 offset1:160
	ds_write_b32 v112, v113 offset:40980
	s_waitcnt lgkmcnt(2)
	v_cmp_ne_u32_e32 vcc, v118, v87
	s_waitcnt lgkmcnt(1)
	v_mfma_f32_32x32x16_fp8_fp8 v[16:31], v[70:71], v[116:117], v[16:31]
	s_and_saveexec_b64 s[10:11], vcc
	s_cbranch_execz .LBB100_12
; %bb.26:                               ;   in Loop: Header=BB100_13 Depth=2
	s_mov_b64 s[12:13], 0
.LBB100_27:                             ;   Parent Loop BB100_7 Depth=1
                                        ;     Parent Loop BB100_13 Depth=2
                                        ; =>    This Inner Loop Header: Depth=3
	;;#ASMSTART
	s_sleep 0
	;;#ASMEND
	ds_read_b32 v115, v112 offset:40988
	s_waitcnt lgkmcnt(0)
	v_cmp_eq_u32_e32 vcc, v115, v87
	s_or_b64 s[12:13], vcc, s[12:13]
	s_andn2_b64 exec, exec, s[12:13]
	s_cbranch_execnz .LBB100_27
	s_branch .LBB100_12
.LBB100_28:                             ;   in Loop: Header=BB100_7 Depth=1
	s_or_b64 exec, exec, s[8:9]
.LBB100_29:                             ;   in Loop: Header=BB100_7 Depth=1
	v_writelane_b32 v127, s71, 25
	v_writelane_b32 v127, s46, 26
	s_or_b64 exec, exec, s[6:7]
	v_cmp_le_i32_e32 vcc, s70, v88
	v_cmp_eq_u32_e64 s[64:65], 1, v91
	v_cmp_eq_u32_e64 s[36:37], 2, v91
	s_waitcnt vmcnt(0)
	v_cndmask_b32_e32 v70, 0, v110, vcc
	v_pk_mul_f32 v[48:49], v[70:71], v[48:49] op_sel_hi:[0,1]
	v_pk_mul_f32 v[62:63], v[70:71], v[62:63] op_sel_hi:[0,1]
	;; [unrolled: 1-line block ×8, first 2 shown]
	v_cndmask_b32_e64 v70, v48, v49, s[64:65]
	v_cndmask_b32_e64 v70, v70, v50, s[36:37]
	v_cmp_eq_u32_e64 s[40:41], 3, v91
	v_cmp_eq_u32_e64 s[42:43], 4, v91
	v_cmp_eq_u32_e64 s[44:45], 5, v91
	v_cndmask_b32_e64 v70, v70, v51, s[40:41]
	v_cndmask_b32_e64 v70, v70, v52, s[42:43]
	v_cndmask_b32_e64 v70, v70, v53, s[44:45]
	v_cmp_eq_u32_e64 s[46:47], 6, v91
	v_cmp_eq_u32_e64 s[48:49], 7, v91
	v_cmp_eq_u32_e64 s[50:51], 8, v91
	v_cndmask_b32_e64 v70, v70, v54, s[46:47]
	v_cndmask_b32_e64 v70, v70, v55, s[48:49]
	v_cndmask_b32_e64 v70, v70, v56, s[50:51]
	v_cmp_eq_u32_e64 s[52:53], 9, v91
	v_cmp_eq_u32_e64 s[54:55], 10, v91
	v_cmp_eq_u32_e64 s[56:57], 11, v91
	v_cndmask_b32_e64 v70, v70, v57, s[52:53]
	v_cndmask_b32_e64 v70, v70, v58, s[54:55]
	v_cndmask_b32_e64 v70, v70, v59, s[56:57]
	v_cmp_eq_u32_e64 s[58:59], 12, v91
	v_cmp_eq_u32_e64 s[60:61], 13, v91
	v_cmp_eq_u32_e64 s[62:63], 14, v91
	v_cndmask_b32_e64 v70, v70, v60, s[58:59]
	v_cndmask_b32_e64 v70, v70, v61, s[60:61]
	v_cndmask_b32_e64 v70, v70, v62, s[62:63]
	v_cmp_eq_u32_e64 s[66:67], 15, v91
	s_mul_i32 s6, s96, s21
	s_ashr_i32 s7, s6, 31
	v_cndmask_b32_e64 v70, v70, v63, s[66:67]
	ds_bpermute_b32 v70, v108, v70
	s_lshl_b64 s[6:7], s[6:7], 1
	v_cmp_eq_u32_e64 s[34:35], 0, v91
	s_add_u32 s68, s76, s6
	v_cmp_eq_u32_e32 vcc, 1, v92
	s_waitcnt lgkmcnt(0)
	v_cndmask_b32_e64 v63, v63, v70, s[66:67]
	v_cndmask_b32_e64 v62, v62, v70, s[62:63]
	;; [unrolled: 1-line block ×16, first 2 shown]
	s_addc_u32 s69, s77, s7
	v_cndmask_b32_e32 v48, v70, v79, vcc
	v_cmp_eq_u32_e64 s[6:7], 2, v92
	v_cmp_eq_u32_e64 s[8:9], 3, v92
	;; [unrolled: 1-line block ×3, first 2 shown]
	v_cndmask_b32_e64 v48, v48, v78, s[6:7]
	v_cndmask_b32_e64 v48, v48, v77, s[8:9]
	;; [unrolled: 1-line block ×3, first 2 shown]
	v_cmp_eq_u32_e64 s[12:13], 5, v92
	v_cmp_eq_u32_e64 s[14:15], 6, v92
	;; [unrolled: 1-line block ×3, first 2 shown]
	v_cndmask_b32_e64 v48, v48, v75, s[12:13]
	v_cndmask_b32_e64 v48, v48, v74, s[14:15]
	v_cndmask_b32_e64 v48, v48, v73, s[16:17]
	v_cmp_eq_u32_e64 s[18:19], 8, v92
	v_cmp_eq_u32_e64 s[74:75], 9, v92
	;; [unrolled: 1-line block ×3, first 2 shown]
	v_cndmask_b32_e64 v48, v48, v56, s[18:19]
	v_cndmask_b32_e64 v48, v48, v57, s[74:75]
	s_ashr_i32 s1, s0, 31
	v_cndmask_b32_e64 v48, v48, v58, s[76:77]
	v_cmp_eq_u32_e64 s[78:79], 11, v92
	s_lshl_b64 s[38:39], s[0:1], 1
	v_cmp_eq_u32_e64 s[80:81], 12, v92
	v_cndmask_b32_e64 v48, v48, v59, s[78:79]
	s_add_u32 s38, s68, s38
	v_cndmask_b32_e64 v48, v48, v60, s[80:81]
	v_cmp_eq_u32_e64 s[28:29], 13, v92
	s_addc_u32 s39, s69, s39
	v_cmp_eq_u32_e64 s[30:31], 14, v92
	v_cndmask_b32_e64 v48, v48, v61, s[28:29]
	v_writelane_b32 v127, s38, 27
	v_cndmask_b32_e64 v48, v48, v62, s[30:31]
	v_or_b32_e32 v68, 64, v88
	v_writelane_b32 v127, s39, 28
	v_cmp_eq_u32_e64 s[38:39], 15, v92
	v_cmp_eq_u32_e64 s[72:73], 9, v93
	v_cmp_eq_u32_e64 s[82:83], 4, v94
	v_cndmask_b32_e64 v48, v48, v63, s[38:39]
	ds_bpermute_b32 v71, v108, v48
	v_or_b32_e32 v48, 32, v88
	v_cmp_le_i32_e64 s[68:69], s70, v48
	v_cmp_eq_u32_e64 s[86:87], 6, v94
	v_cmp_eq_u32_e64 s[90:91], 7, v94
	v_cndmask_b32_e64 v48, 0, v110, s[68:69]
	v_cmp_le_i32_e64 s[68:69], s70, v68
	v_or_b32_e32 v68, 0x60, v88
	s_waitcnt lgkmcnt(0)
	v_cndmask_b32_e64 v54, v58, v71, s[76:77]
	v_cndmask_b32_e64 v58, v74, v71, s[14:15]
	;; [unrolled: 1-line block ×3, first 2 shown]
	v_cmp_le_i32_e64 s[68:69], s70, v68
	v_cndmask_b32_e64 v49, v63, v71, s[38:39]
	v_pk_mul_f32 v[30:31], v[74:75], v[30:31] op_sel_hi:[0,1]
	v_pk_mul_f32 v[28:29], v[74:75], v[28:29] op_sel_hi:[0,1]
	;; [unrolled: 1-line block ×8, first 2 shown]
	v_cndmask_b32_e64 v74, 0, v110, s[68:69]
	v_pk_mul_f32 v[32:33], v[48:49], v[32:33] op_sel_hi:[0,1]
	v_cmp_eq_u32_e64 s[68:69], 0, v92
	v_pk_mul_f32 v[0:1], v[74:75], v[0:1] op_sel_hi:[0,1]
	v_cndmask_b32_e64 v50, v62, v71, s[30:31]
	v_cndmask_b32_e64 v51, v61, v71, s[28:29]
	;; [unrolled: 1-line block ×11, first 2 shown]
	v_cndmask_b32_e32 v63, v79, v71, vcc
	v_pk_mul_f32 v[46:47], v[48:49], v[46:47] op_sel_hi:[0,1]
	v_pk_mul_f32 v[44:45], v[48:49], v[44:45] op_sel_hi:[0,1]
	;; [unrolled: 1-line block ×7, first 2 shown]
	v_cndmask_b32_e64 v48, v32, v33, s[64:65]
	v_cndmask_b32_e64 v73, v16, v17, s[64:65]
	v_cndmask_b32_e64 v70, v70, v71, s[68:69]
	v_pk_mul_f32 v[2:3], v[74:75], v[2:3] op_sel_hi:[0,1]
	v_cndmask_b32_e64 v71, v0, v1, s[64:65]
	v_cndmask_b32_e64 v48, v48, v34, s[36:37]
	v_cndmask_b32_e64 v73, v73, v18, s[36:37]
	v_cndmask_b32_e64 v71, v71, v2, s[36:37]
	v_cndmask_b32_e64 v48, v48, v35, s[40:41]
	v_cndmask_b32_e64 v73, v73, v19, s[40:41]
	v_pk_mul_f32 v[4:5], v[74:75], v[4:5] op_sel_hi:[0,1]
	v_cndmask_b32_e64 v71, v71, v3, s[40:41]
	v_cndmask_b32_e64 v48, v48, v36, s[42:43]
	v_cndmask_b32_e64 v73, v73, v20, s[42:43]
	;; [unrolled: 7-line block ×7, first 2 shown]
	v_cndmask_b32_e64 v71, v71, v14, s[62:63]
	v_cndmask_b32_e64 v48, v48, v47, s[66:67]
	;; [unrolled: 1-line block ×4, first 2 shown]
	ds_bpermute_b32 v48, v108, v48
	ds_bpermute_b32 v73, v108, v73
	ds_bpermute_b32 v71, v108, v71
	v_cmp_eq_u32_e64 s[70:71], 7, v93
	v_cmp_eq_u32_e64 s[84:85], 13, v95
	s_waitcnt lgkmcnt(2)
	v_cndmask_b32_e64 v34, v34, v48, s[36:37]
	s_waitcnt lgkmcnt(1)
	v_cndmask_b32_e64 v18, v18, v73, s[36:37]
	;; [unrolled: 2-line block ×3, first 2 shown]
	v_cmp_ne_u32_e64 s[36:37], 0, v91
	v_cndmask_b32_e64 v33, v33, v48, s[64:65]
	v_cndmask_b32_e64 v17, v17, v73, s[64:65]
	v_cmp_eq_u32_e64 s[64:65], 1, v93
	v_cndmask_b32_e64 v1, v1, v71, s[36:37]
	v_cndmask_b32_e64 v32, v32, v48, s[34:35]
	;; [unrolled: 1-line block ×8, first 2 shown]
	v_cmp_eq_u32_e64 s[66:67], 2, v93
	v_cndmask_b32_e64 v46, v46, v48, s[62:63]
	v_cndmask_b32_e64 v30, v30, v73, s[62:63]
	;; [unrolled: 1-line block ×36, first 2 shown]
	v_cndmask_b32_e32 v48, v32, v33, vcc
	v_cndmask_b32_e32 v73, v16, v17, vcc
	;; [unrolled: 1-line block ×3, first 2 shown]
	v_cndmask_b32_e64 v74, v74, v62, s[66:67]
	v_cmp_eq_u32_e64 s[62:63], 3, v93
	v_cndmask_b32_e64 v48, v48, v34, s[6:7]
	v_cndmask_b32_e64 v73, v73, v18, s[6:7]
	v_cndmask_b32_e64 v71, v71, v2, s[6:7]
	v_cndmask_b32_e64 v74, v74, v61, s[62:63]
	v_cmp_eq_u32_e64 s[60:61], 4, v93
	v_cndmask_b32_e64 v48, v48, v35, s[8:9]
	v_cndmask_b32_e64 v73, v73, v19, s[8:9]
	v_cndmask_b32_e64 v71, v71, v3, s[8:9]
	;; [unrolled: 5-line block ×4, first 2 shown]
	v_cndmask_b32_e64 v74, v74, v58, s[56:57]
	v_cndmask_b32_e64 v48, v48, v38, s[14:15]
	v_cndmask_b32_e64 v73, v73, v22, s[14:15]
	v_cndmask_b32_e64 v71, v71, v6, s[14:15]
	v_cndmask_b32_e64 v74, v74, v57, s[70:71]
	v_cmp_eq_u32_e64 s[52:53], 8, v93
	v_cndmask_b32_e64 v48, v48, v39, s[16:17]
	v_cndmask_b32_e64 v73, v73, v23, s[16:17]
	;; [unrolled: 1-line block ×8, first 2 shown]
	v_cmp_eq_u32_e64 s[48:49], 10, v93
	v_cndmask_b32_e64 v48, v48, v41, s[74:75]
	v_cndmask_b32_e64 v73, v73, v25, s[74:75]
	v_cndmask_b32_e64 v71, v71, v9, s[74:75]
	v_cndmask_b32_e64 v74, v74, v54, s[48:49]
	v_cmp_eq_u32_e64 s[50:51], 11, v93
	v_cndmask_b32_e64 v48, v48, v42, s[76:77]
	v_cndmask_b32_e64 v73, v73, v26, s[76:77]
	v_cndmask_b32_e64 v71, v71, v10, s[76:77]
	v_cndmask_b32_e64 v74, v74, v53, s[50:51]
	;; [unrolled: 5-line block ×6, first 2 shown]
	v_cndmask_b32_e64 v48, v48, v47, s[38:39]
	v_cndmask_b32_e64 v73, v73, v31, s[38:39]
	;; [unrolled: 1-line block ×3, first 2 shown]
	ds_bpermute_b32 v74, v108, v74
	ds_bpermute_b32 v48, v108, v48
	;; [unrolled: 1-line block ×4, first 2 shown]
	v_cmp_eq_u32_e64 s[46:47], 0, v93
	s_waitcnt lgkmcnt(3)
	v_cndmask_b32_e64 v63, v63, v74, s[64:65]
	v_cmp_eq_u32_e64 s[34:35], 1, v94
	v_cndmask_b32_e64 v70, v70, v74, s[46:47]
	s_waitcnt lgkmcnt(2)
	v_cndmask_b32_e32 v33, v33, v48, vcc
	s_waitcnt lgkmcnt(1)
	v_cndmask_b32_e32 v17, v17, v73, vcc
	;; [unrolled: 2-line block ×3, first 2 shown]
	v_cndmask_b32_e64 v32, v32, v48, s[68:69]
	v_cndmask_b32_e64 v16, v16, v73, s[68:69]
	;; [unrolled: 1-line block ×24, first 2 shown]
	v_cmp_eq_u32_e64 s[38:39], 2, v94
	v_cndmask_b32_e64 v45, v45, v48, s[28:29]
	v_cndmask_b32_e64 v29, v29, v73, s[28:29]
	;; [unrolled: 1-line block ×40, first 2 shown]
	v_cmp_eq_u32_e64 s[28:29], 3, v94
	v_cndmask_b32_e64 v48, v48, v34, s[66:67]
	v_cndmask_b32_e64 v73, v73, v18, s[66:67]
	;; [unrolled: 1-line block ×8, first 2 shown]
	v_cmp_eq_u32_e64 s[78:79], 5, v94
	v_cndmask_b32_e64 v48, v48, v36, s[60:61]
	v_cndmask_b32_e64 v73, v73, v20, s[60:61]
	;; [unrolled: 1-line block ×12, first 2 shown]
	v_cmp_eq_u32_e64 s[18:19], 8, v94
	v_cndmask_b32_e64 v48, v48, v39, s[70:71]
	v_cndmask_b32_e64 v73, v73, v23, s[70:71]
	v_cndmask_b32_e64 v71, v71, v7, s[70:71]
	v_cndmask_b32_e64 v74, v74, v56, s[18:19]
	v_cmp_eq_u32_e64 s[16:17], 9, v94
	v_cndmask_b32_e64 v48, v48, v40, s[52:53]
	v_cndmask_b32_e64 v73, v73, v24, s[52:53]
	v_cndmask_b32_e64 v71, v71, v8, s[52:53]
	v_cndmask_b32_e64 v74, v74, v55, s[16:17]
	;; [unrolled: 5-line block ×7, first 2 shown]
	v_cmp_eq_u32_e32 vcc, 15, v94
	v_cndmask_b32_e64 v48, v48, v46, s[40:41]
	v_cndmask_b32_e64 v73, v73, v30, s[40:41]
	;; [unrolled: 1-line block ×3, first 2 shown]
	v_cndmask_b32_e32 v74, v74, v49, vcc
	v_cndmask_b32_e64 v48, v48, v47, s[36:37]
	v_cndmask_b32_e64 v73, v73, v31, s[36:37]
	;; [unrolled: 1-line block ×3, first 2 shown]
	ds_bpermute_b32 v74, v108, v74
	ds_bpermute_b32 v48, v108, v48
	;; [unrolled: 1-line block ×4, first 2 shown]
	v_cmp_eq_u32_e64 s[8:9], 0, v94
	s_waitcnt lgkmcnt(3)
	v_cndmask_b32_e64 v63, v63, v74, s[34:35]
	s_waitcnt lgkmcnt(2)
	v_cndmask_b32_e64 v47, v47, v48, s[36:37]
	v_cndmask_b32_e64 v70, v70, v74, s[8:9]
	s_waitcnt lgkmcnt(1)
	v_cndmask_b32_e64 v31, v31, v73, s[36:37]
	s_waitcnt lgkmcnt(0)
	v_cndmask_b32_e64 v15, v15, v71, s[36:37]
	v_cmp_eq_u32_e64 s[36:37], 1, v95
	v_cndmask_b32_e64 v33, v33, v48, s[64:65]
	v_cndmask_b32_e64 v17, v17, v73, s[64:65]
	;; [unrolled: 1-line block ×6, first 2 shown]
	v_cndmask_b32_e32 v49, v49, v74, vcc
	v_cndmask_b32_e64 v50, v50, v74, s[6:7]
	v_cndmask_b32_e64 v51, v51, v74, s[30:31]
	;; [unrolled: 1-line block ×17, first 2 shown]
	v_cmp_eq_u32_e64 s[40:41], 2, v95
	v_cndmask_b32_e64 v45, v45, v48, s[42:43]
	v_cndmask_b32_e64 v29, v29, v73, s[42:43]
	;; [unrolled: 1-line block ×40, first 2 shown]
	v_cmp_eq_u32_e64 s[42:43], 3, v95
	v_cndmask_b32_e64 v48, v48, v34, s[38:39]
	v_cndmask_b32_e64 v73, v73, v18, s[38:39]
	v_cndmask_b32_e64 v71, v71, v2, s[38:39]
	v_cndmask_b32_e64 v74, v74, v61, s[42:43]
	v_cmp_eq_u32_e64 s[44:45], 4, v95
	v_cndmask_b32_e64 v48, v48, v35, s[28:29]
	v_cndmask_b32_e64 v73, v73, v19, s[28:29]
	v_cndmask_b32_e64 v71, v71, v3, s[28:29]
	v_cndmask_b32_e64 v74, v74, v60, s[44:45]
	;; [unrolled: 5-line block ×10, first 2 shown]
	v_cndmask_b32_e64 v48, v48, v44, s[10:11]
	v_cndmask_b32_e64 v73, v73, v28, s[10:11]
	;; [unrolled: 1-line block ×4, first 2 shown]
	v_cmp_eq_u32_e64 s[88:89], 14, v95
	v_cndmask_b32_e64 v48, v48, v45, s[30:31]
	v_cndmask_b32_e64 v73, v73, v29, s[30:31]
	;; [unrolled: 1-line block ×4, first 2 shown]
	v_cmp_eq_u32_e64 s[92:93], 15, v95
	v_cndmask_b32_e64 v48, v48, v46, s[6:7]
	v_cndmask_b32_e64 v73, v73, v30, s[6:7]
	;; [unrolled: 1-line block ×4, first 2 shown]
	v_cndmask_b32_e32 v48, v48, v47, vcc
	v_cndmask_b32_e32 v73, v73, v31, vcc
	;; [unrolled: 1-line block ×3, first 2 shown]
	ds_bpermute_b32 v74, v108, v74
	ds_bpermute_b32 v48, v108, v48
	;; [unrolled: 1-line block ×4, first 2 shown]
	v_cmp_eq_u32_e64 s[60:61], 0, v95
	s_waitcnt lgkmcnt(3)
	v_cndmask_b32_e64 v63, v63, v74, s[36:37]
	s_waitcnt lgkmcnt(2)
	v_cndmask_b32_e32 v47, v47, v48, vcc
	v_cndmask_b32_e64 v70, v70, v74, s[60:61]
	s_waitcnt lgkmcnt(1)
	v_cndmask_b32_e32 v31, v31, v73, vcc
	s_waitcnt lgkmcnt(0)
	v_cndmask_b32_e32 v15, v15, v71, vcc
	v_cmp_eq_u32_e32 vcc, 1, v96
	v_cndmask_b32_e64 v49, v49, v74, s[92:93]
	v_cndmask_b32_e64 v50, v50, v74, s[88:89]
	;; [unrolled: 1-line block ×14, first 2 shown]
	v_cndmask_b32_e32 v74, v70, v63, vcc
	v_cndmask_b32_e64 v46, v46, v48, s[6:7]
	v_cndmask_b32_e64 v30, v30, v73, s[6:7]
	;; [unrolled: 1-line block ×3, first 2 shown]
	v_cmp_eq_u32_e64 s[6:7], 2, v96
	v_cndmask_b32_e64 v1, v1, v71, s[34:35]
	v_cndmask_b32_e64 v0, v0, v71, s[8:9]
	;; [unrolled: 1-line block ×6, first 2 shown]
	v_cmp_eq_u32_e64 s[30:31], 3, v96
	v_cndmask_b32_e64 v12, v12, v71, s[10:11]
	v_cndmask_b32_e64 v11, v11, v71, s[12:13]
	;; [unrolled: 1-line block ×13, first 2 shown]
	v_cmp_eq_u32_e64 s[46:47], 4, v96
	v_cndmask_b32_e64 v71, v71, v2, s[40:41]
	v_cmp_eq_u32_e64 s[52:53], 5, v96
	v_cndmask_b32_e64 v74, v74, v60, s[46:47]
	v_cndmask_b32_e64 v71, v71, v3, s[42:43]
	;; [unrolled: 1-line block ×3, first 2 shown]
	v_cmp_eq_u32_e64 s[58:59], 6, v96
	v_cndmask_b32_e64 v71, v71, v4, s[44:45]
	v_cmp_eq_u32_e64 s[64:65], 7, v96
	v_cndmask_b32_e64 v74, v74, v58, s[58:59]
	v_cndmask_b32_e64 v33, v33, v48, s[34:35]
	v_cndmask_b32_e64 v17, v17, v73, s[34:35]
	v_cndmask_b32_e64 v32, v32, v48, s[8:9]
	v_cndmask_b32_e64 v16, v16, v73, s[8:9]
	v_cndmask_b32_e64 v71, v71, v5, s[50:51]
	v_cndmask_b32_e64 v44, v44, v48, s[10:11]
	v_cndmask_b32_e64 v28, v28, v73, s[10:11]
	v_cndmask_b32_e64 v43, v43, v48, s[12:13]
	v_cndmask_b32_e64 v27, v27, v73, s[12:13]
	v_cndmask_b32_e64 v42, v42, v48, s[14:15]
	v_cndmask_b32_e64 v26, v26, v73, s[14:15]
	v_cndmask_b32_e64 v41, v41, v48, s[16:17]
	v_cndmask_b32_e64 v25, v25, v73, s[16:17]
	v_cndmask_b32_e64 v74, v74, v57, s[64:65]
	v_cndmask_b32_e64 v40, v40, v48, s[18:19]
	v_cndmask_b32_e64 v24, v24, v73, s[18:19]
	v_cmp_eq_u32_e64 s[70:71], 8, v96
	v_cndmask_b32_e64 v39, v39, v48, s[90:91]
	v_cndmask_b32_e64 v23, v23, v73, s[90:91]
	;; [unrolled: 1-line block ×16, first 2 shown]
	v_cmp_eq_u32_e64 s[66:67], 9, v96
	v_cndmask_b32_e64 v48, v48, v34, s[40:41]
	v_cndmask_b32_e64 v73, v73, v18, s[40:41]
	v_cndmask_b32_e64 v71, v71, v7, s[68:69]
	v_cndmask_b32_e64 v74, v74, v55, s[66:67]
	v_cmp_eq_u32_e64 s[62:63], 10, v96
	v_cndmask_b32_e64 v48, v48, v35, s[42:43]
	v_cndmask_b32_e64 v73, v73, v19, s[42:43]
	v_cndmask_b32_e64 v71, v71, v8, s[72:73]
	v_cndmask_b32_e64 v74, v74, v54, s[62:63]
	;; [unrolled: 5-line block ×7, first 2 shown]
	v_cndmask_b32_e64 v48, v48, v41, s[74:75]
	v_cndmask_b32_e64 v73, v73, v25, s[74:75]
	;; [unrolled: 1-line block ×3, first 2 shown]
	ds_bpermute_b32 v74, v108, v74
	v_cndmask_b32_e64 v48, v48, v42, s[56:57]
	v_cndmask_b32_e64 v73, v73, v26, s[56:57]
	;; [unrolled: 1-line block ×5, first 2 shown]
	ds_bpermute_b32 v71, v108, v71
	v_cndmask_b32_e64 v48, v48, v44, s[80:81]
	v_cndmask_b32_e64 v73, v73, v28, s[80:81]
	;; [unrolled: 1-line block ×6, first 2 shown]
	v_cmp_eq_u32_e64 s[48:49], 0, v96
	s_waitcnt lgkmcnt(1)
	v_cndmask_b32_e32 v63, v63, v74, vcc
	v_cndmask_b32_e64 v48, v48, v47, s[92:93]
	v_cndmask_b32_e64 v73, v73, v31, s[92:93]
	;; [unrolled: 1-line block ×3, first 2 shown]
	v_cmp_eq_u32_e64 s[8:9], 1, v97
	v_cndmask_b32_e64 v49, v49, v74, s[94:95]
	v_cndmask_b32_e64 v50, v50, v74, s[90:91]
	v_cndmask_b32_e64 v51, v51, v74, s[86:87]
	v_cndmask_b32_e64 v52, v52, v74, s[82:83]
	v_cndmask_b32_e64 v53, v53, v74, s[78:79]
	v_cndmask_b32_e64 v54, v54, v74, s[62:63]
	v_cndmask_b32_e64 v55, v55, v74, s[66:67]
	v_cndmask_b32_e64 v56, v56, v74, s[70:71]
	v_cndmask_b32_e64 v57, v57, v74, s[64:65]
	v_cndmask_b32_e64 v58, v58, v74, s[58:59]
	v_cndmask_b32_e64 v59, v59, v74, s[52:53]
	v_cndmask_b32_e64 v60, v60, v74, s[46:47]
	v_cndmask_b32_e64 v61, v61, v74, s[30:31]
	v_cndmask_b32_e64 v62, v62, v74, s[6:7]
	ds_bpermute_b32 v48, v108, v48
	ds_bpermute_b32 v73, v108, v73
	s_waitcnt lgkmcnt(2)
	v_cndmask_b32_e64 v74, v15, v71, s[92:93]
	v_cndmask_b32_e64 v15, v70, v63, s[8:9]
	v_cmp_eq_u32_e64 s[10:11], 2, v97
	v_cndmask_b32_e64 v77, v14, v71, s[88:89]
	v_cmp_eq_u32_e64 s[12:13], 3, v97
	v_cndmask_b32_e64 v14, v15, v62, s[10:11]
	v_cndmask_b32_e64 v79, v13, v71, s[84:85]
	;; [unrolled: 1-line block ×3, first 2 shown]
	v_cmp_eq_u32_e64 s[14:15], 4, v97
	v_cndmask_b32_e64 v82, v12, v71, s[80:81]
	v_cmp_eq_u32_e64 s[16:17], 5, v97
	v_cndmask_b32_e64 v12, v13, v60, s[14:15]
	v_cndmask_b32_e64 v84, v11, v71, s[76:77]
	;; [unrolled: 1-line block ×3, first 2 shown]
	v_cmp_eq_u32_e64 s[18:19], 6, v97
	v_cndmask_b32_e64 v110, v10, v71, s[56:57]
	s_waitcnt lgkmcnt(1)
	v_cndmask_b32_e64 v41, v41, v48, s[74:75]
	v_cndmask_b32_e64 v10, v11, v58, s[18:19]
	s_waitcnt lgkmcnt(0)
	v_cndmask_b32_e64 v111, v25, v73, s[74:75]
	v_cndmask_b32_e64 v112, v9, v71, s[74:75]
	v_cmp_eq_u32_e64 s[74:75], 7, v97
	v_cndmask_b32_e64 v40, v40, v48, s[72:73]
	v_cndmask_b32_e64 v113, v24, v73, s[72:73]
	;; [unrolled: 1-line block ×4, first 2 shown]
	v_cmp_eq_u32_e64 s[72:73], 8, v97
	v_cndmask_b32_e64 v43, v43, v48, s[76:77]
	v_cndmask_b32_e64 v83, v27, v73, s[76:77]
	;; [unrolled: 1-line block ×3, first 2 shown]
	v_cmp_eq_u32_e64 s[76:77], 9, v97
	v_cndmask_b32_e64 v80, v44, v48, s[80:81]
	v_cndmask_b32_e64 v81, v28, v73, s[80:81]
	;; [unrolled: 1-line block ×4, first 2 shown]
	v_cmp_eq_u32_e64 s[80:81], 10, v97
	v_cndmask_b32_e64 v120, v6, v71, s[54:55]
	v_cmp_eq_u32_e64 s[28:29], 11, v97
	v_cndmask_b32_e64 v6, v7, v54, s[80:81]
	v_cndmask_b32_e64 v123, v5, v71, s[50:51]
	;; [unrolled: 1-line block ×3, first 2 shown]
	v_cmp_eq_u32_e64 s[34:35], 12, v97
	v_cndmask_b32_e64 v126, v4, v71, s[44:45]
	v_cmp_eq_u32_e64 s[38:39], 13, v97
	v_cndmask_b32_e64 v4, v5, v52, s[34:35]
	v_cndmask_b32_e64 v75, v46, v48, s[88:89]
	;; [unrolled: 1-line block ×7, first 2 shown]
	v_cmp_eq_u32_e64 s[40:41], 14, v97
	v_cndmask_b32_e64 v5, v17, v73, s[36:37]
	v_cndmask_b32_e64 v6, v1, v71, s[36:37]
	;; [unrolled: 1-line block ×7, first 2 shown]
	v_cndmask_b32_e32 v13, v12, v4, vcc
	v_cndmask_b32_e32 v15, v14, v5, vcc
	v_cndmask_b32_e32 v0, v44, v6, vcc
	v_cndmask_b32_e64 v99, v35, v48, s[42:43]
	v_cndmask_b32_e64 v100, v19, v73, s[42:43]
	;; [unrolled: 1-line block ×33, first 2 shown]
	v_cmp_eq_u32_e64 s[56:57], 15, v97
	v_cndmask_b32_e64 v13, v13, v41, s[66:67]
	v_cndmask_b32_e64 v15, v15, v111, s[66:67]
	;; [unrolled: 1-line block ×7, first 2 shown]
	ds_bpermute_b32 v17, v108, v1
	v_cndmask_b32_e64 v13, v13, v43, s[78:79]
	v_cndmask_b32_e64 v15, v15, v83, s[78:79]
	;; [unrolled: 1-line block ×20, first 2 shown]
	v_cmp_eq_u32_e64 s[54:55], 0, v97
	s_waitcnt lgkmcnt(0)
	v_cndmask_b32_e64 v25, v56, v17, s[72:73]
	v_cndmask_b32_e64 v22, v63, v17, s[8:9]
	ds_bpermute_b32 v13, v108, v13
	ds_bpermute_b32 v15, v108, v15
	;; [unrolled: 1-line block ×3, first 2 shown]
	v_cndmask_b32_e64 v0, v70, v17, s[54:55]
	v_cmp_eq_u32_e64 s[36:37], 1, v98
	v_cndmask_b32_e64 v7, v49, v17, s[56:57]
	v_cndmask_b32_e64 v8, v50, v17, s[40:41]
	;; [unrolled: 1-line block ×14, first 2 shown]
	v_cmp_eq_u32_e64 s[42:43], 2, v98
	v_cmp_eq_u32_e64 s[44:45], 3, v98
	;; [unrolled: 1-line block ×3, first 2 shown]
	v_cndmask_b32_e64 v19, v17, v21, s[42:43]
	v_cndmask_b32_e64 v35, v19, v2, s[44:45]
	;; [unrolled: 1-line block ×3, first 2 shown]
	v_cmp_eq_u32_e64 s[60:61], 5, v98
	s_waitcnt lgkmcnt(2)
	v_cndmask_b32_e64 v57, v42, v13, s[62:63]
	s_waitcnt lgkmcnt(0)
	v_cndmask_b32_e64 v48, v110, v56, s[62:63]
	v_cndmask_b32_e64 v38, v37, v28, s[60:61]
	;; [unrolled: 1-line block ×3, first 2 shown]
	v_cmp_eq_u32_e64 s[62:63], 6, v98
	v_cndmask_b32_e64 v58, v41, v13, s[66:67]
	v_cndmask_b32_e64 v49, v112, v56, s[66:67]
	;; [unrolled: 1-line block ×4, first 2 shown]
	v_cmp_eq_u32_e64 s[66:67], 7, v98
	v_cmp_eq_u32_e64 s[68:69], 8, v98
	v_cndmask_b32_e64 v59, v40, v13, s[70:71]
	v_cndmask_b32_e64 v41, v39, v26, s[66:67]
	;; [unrolled: 1-line block ×6, first 2 shown]
	v_cmp_eq_u32_e64 s[64:65], 9, v98
	v_cndmask_b32_e64 v61, v118, v13, s[58:59]
	v_cndmask_b32_e64 v52, v120, v56, s[58:59]
	;; [unrolled: 1-line block ×4, first 2 shown]
	v_cmp_eq_u32_e64 s[58:59], 10, v98
	v_cndmask_b32_e64 v29, v47, v13, s[94:95]
	v_cndmask_b32_e64 v47, v43, v13, s[78:79]
	;; [unrolled: 1-line block ×6, first 2 shown]
	v_cmp_eq_u32_e64 s[52:53], 11, v98
	v_cndmask_b32_e64 v63, v124, v13, s[46:47]
	v_cndmask_b32_e64 v54, v126, v56, s[46:47]
	v_cndmask_b32_e64 v55, v43, v11, s[52:53]
	v_cndmask_b32_e64 v43, v125, v15, s[46:47]
	v_cmp_eq_u32_e64 s[46:47], 12, v98
	v_cndmask_b32_e64 v70, v99, v13, s[30:31]
	v_cndmask_b32_e64 v71, v100, v15, s[30:31]
	v_cndmask_b32_e64 v69, v55, v10, s[46:47]
	v_cndmask_b32_e64 v55, v101, v56, s[30:31]
	;; [unrolled: 5-line block ×3, first 2 shown]
	v_cmp_eq_u32_e64 s[6:7], 14, v98
	v_cndmask_b32_e64 v18, v74, v56, s[94:95]
	v_cndmask_b32_e64 v30, v75, v13, s[90:91]
	;; [unrolled: 1-line block ×3, first 2 shown]
	v_cndmask_b32_e32 v69, v4, v13, vcc
	v_cndmask_b32_e32 v74, v5, v15, vcc
	;; [unrolled: 1-line block ×3, first 2 shown]
	v_cmp_eq_u32_e32 vcc, 15, v98
	v_cndmask_b32_e64 v32, v77, v56, s[90:91]
	v_cndmask_b32_e64 v77, v12, v13, s[48:49]
	v_cndmask_b32_e32 v3, v3, v7, vcc
	v_cndmask_b32_e64 v16, v76, v15, s[90:91]
	ds_bpermute_b32 v76, v108, v3
	v_cndmask_b32_e64 v3, v77, v69, s[8:9]
	v_cndmask_b32_e64 v3, v3, v68, s[10:11]
	;; [unrolled: 1-line block ×16, first 2 shown]
	s_waitcnt lgkmcnt(0)
	v_cndmask_b32_e64 v6, v27, v76, s[62:63]
	v_cndmask_b32_e64 v3, v3, v45, s[34:35]
	;; [unrolled: 1-line block ×11, first 2 shown]
	ds_bpermute_b32 v23, v108, v3
	v_cndmask_b32_e64 v27, v27, v42, s[16:17]
	v_cndmask_b32_e64 v27, v27, v41, s[18:19]
	;; [unrolled: 1-line block ×13, first 2 shown]
	v_cndmask_b32_e32 v15, v7, v76, vcc
	v_cndmask_b32_e64 v7, v26, v76, s[66:67]
	s_waitcnt lgkmcnt(0)
	v_cndmask_b32_e64 v26, v47, v23, s[28:29]
	v_cndmask_b32_e64 v44, v57, v23, s[80:81]
	;; [unrolled: 1-line block ×36, first 2 shown]
	ds_bpermute_b32 v69, v108, v27
	v_cndmask_b32_e64 v27, v56, v75, s[8:9]
	v_cndmask_b32_e64 v23, v23, v57, s[66:67]
	;; [unrolled: 1-line block ×18, first 2 shown]
	v_cndmask_b32_e32 v23, v23, v21, vcc
	v_cndmask_b32_e64 v27, v27, v35, s[28:29]
	ds_bpermute_b32 v77, v108, v23
	v_cndmask_b32_e64 v27, v27, v34, s[34:35]
	v_cndmask_b32_e64 v27, v27, v33, s[38:39]
	;; [unrolled: 1-line block ×4, first 2 shown]
	v_cmp_eq_u32_e64 s[48:49], 0, v98
	v_cndmask_b32_e64 v11, v11, v76, s[52:53]
	v_cndmask_b32_e64 v5, v28, v76, s[60:61]
	ds_bpermute_b32 v70, v108, v27
	s_waitcnt lgkmcnt(2)
	v_cndmask_b32_e64 v79, v20, v69, s[56:57]
	v_cndmask_b32_e64 v0, v0, v76, s[48:49]
	s_waitcnt lgkmcnt(1)
	v_cndmask_b32_e32 v31, v21, v77, vcc
	v_cndmask_b32_e64 v30, v22, v77, s[6:7]
	v_cndmask_b32_e64 v28, v25, v77, s[46:47]
	;; [unrolled: 1-line block ×38, first 2 shown]
	v_cndmask_b32_e32 v16, v16, v79, vcc
	ds_bpermute_b32 v78, v108, v16
	s_waitcnt lgkmcnt(1)
	v_cndmask_b32_e64 v80, v18, v70, s[56:57]
	v_cndmask_b32_e64 v29, v24, v77, s[30:31]
	;; [unrolled: 1-line block ×7, first 2 shown]
	s_waitcnt lgkmcnt(0)
	v_cndmask_b32_e64 v46, v44, v78, s[6:7]
	v_cndmask_b32_e64 v44, v57, v78, s[46:47]
	;; [unrolled: 1-line block ×37, first 2 shown]
	v_cndmask_b32_e32 v32, v32, v80, vcc
	v_cndmask_b32_e32 v47, v79, v78, vcc
	ds_bpermute_b32 v79, v108, v32
	v_readlane_b32 s71, v127, 25
	v_cndmask_b32_e64 v45, v45, v78, s[30:31]
	v_cndmask_b32_e64 v33, v74, v78, s[36:37]
	v_readlane_b32 s28, v127, 10
	s_waitcnt lgkmcnt(0)
	v_cndmask_b32_e64 v62, v57, v79, s[6:7]
	v_readlane_b32 s6, v127, 27
	v_cndmask_b32_e64 v61, v58, v79, s[30:31]
	v_cndmask_b32_e64 v57, v49, v79, s[64:65]
	;; [unrolled: 1-line block ×3, first 2 shown]
	v_readlane_b32 s7, v127, 28
	v_readlane_b32 s30, v127, 12
	;; [unrolled: 1-line block ×3, first 2 shown]
	s_mov_b32 s1, 0
	s_max_i32 s70, s71, 0
	v_subrev_u32_e32 v109, s99, v109
	v_cndmask_b32_e64 v42, v37, v78, s[58:59]
	v_cndmask_b32_e64 v37, v60, v78, s[60:61]
	;; [unrolled: 1-line block ×5, first 2 shown]
	v_cndmask_b32_e32 v63, v80, v79, vcc
	v_cndmask_b32_e64 v60, v59, v79, s[46:47]
	v_cndmask_b32_e64 v59, v68, v79, s[52:53]
	;; [unrolled: 1-line block ×11, first 2 shown]
	v_lshl_add_u64 v[70:71], s[6:7], 0, v[64:65]
	s_mov_b64 s[6:7], 0
	s_mov_b32 s16, 0
	v_readlane_b32 s29, v127, 11
	v_readlane_b32 s31, v127, 13
	;; [unrolled: 1-line block ×10, first 2 shown]
	s_mov_b64 s[42:43], 0x80
	s_mov_b64 s[44:45], 0xc0
	v_readlane_b32 s46, v127, 26
                                        ; implicit-def: $sgpr8_sgpr9
	s_branch .LBB100_32
.LBB100_30:                             ;   in Loop: Header=BB100_32 Depth=2
	s_or_b64 exec, exec, s[12:13]
	s_andn2_b64 s[8:9], s[8:9], exec
	s_and_b64 s[12:13], s[14:15], exec
	s_or_b64 s[8:9], s[8:9], s[12:13]
.LBB100_31:                             ;   in Loop: Header=BB100_32 Depth=2
	s_or_b64 exec, exec, s[10:11]
	s_and_b64 s[10:11], exec, s[8:9]
	s_or_b64 s[6:7], s[10:11], s[6:7]
	s_andn2_b64 exec, exec, s[6:7]
	s_cbranch_execz .LBB100_35
.LBB100_32:                             ;   Parent Loop BB100_7 Depth=1
                                        ; =>  This Inner Loop Header: Depth=2
	s_and_b32 s12, s1, 24
	v_or_b32_e32 v73, s12, v106
	v_add_u32_e32 v68, s70, v73
	v_cmp_gt_u32_e32 vcc, 32, v68
	s_or_b64 s[8:9], s[8:9], exec
	s_and_saveexec_b64 s[10:11], vcc
	s_cbranch_execz .LBB100_31
; %bb.33:                               ;   in Loop: Header=BB100_32 Depth=2
	s_add_i32 s13, s16, 1
	s_set_gpr_idx_on s16, gpr_idx(SRC0)
	v_mov_b32_e32 v68, v0
	s_set_gpr_idx_off
	v_cvt_f16_f32_e32 v68, v68
	s_set_gpr_idx_on s13, gpr_idx(SRC0)
	v_mov_b32_e32 v69, v0
	s_set_gpr_idx_off
	v_cvt_f16_f32_sdwa v69, v69 dst_sel:WORD_1 dst_unused:UNUSED_PAD src0_sel:DWORD
	v_mul_lo_u32 v74, v73, s21
	v_ashrrev_i32_e32 v75, 31, v74
	v_lshl_add_u64 v[74:75], v[74:75], 1, v[70:71]
	v_or_b32_e32 v68, v69, v68
	;;#ASMSTART
	global_atomic_pk_add_f16 v[74:75], v68, off
	
	;;#ASMEND
	s_set_gpr_idx_on s16, gpr_idx(SRC0)
	v_mov_b32_e32 v68, v16
	s_set_gpr_idx_off
	v_cvt_f16_f32_e32 v68, v68
	s_set_gpr_idx_on s13, gpr_idx(SRC0)
	v_mov_b32_e32 v69, v16
	s_set_gpr_idx_off
	v_cvt_f16_f32_sdwa v69, v69 dst_sel:WORD_1 dst_unused:UNUSED_PAD src0_sel:DWORD
	v_lshl_add_u64 v[76:77], v[74:75], 0, 64
	v_or_b32_e32 v73, s12, v107
	s_mov_b64 s[14:15], -1
	v_or_b32_e32 v68, v69, v68
	;;#ASMSTART
	global_atomic_pk_add_f16 v[76:77], v68, off
	
	;;#ASMEND
	s_set_gpr_idx_on s16, gpr_idx(SRC0)
	v_mov_b32_e32 v68, v32
	s_set_gpr_idx_off
	v_cvt_f16_f32_e32 v68, v68
	s_set_gpr_idx_on s13, gpr_idx(SRC0)
	v_mov_b32_e32 v69, v32
	s_set_gpr_idx_off
	v_cvt_f16_f32_sdwa v69, v69 dst_sel:WORD_1 dst_unused:UNUSED_PAD src0_sel:DWORD
	v_lshl_add_u64 v[76:77], v[74:75], 0, s[42:43]
	v_lshl_add_u64 v[74:75], v[74:75], 0, s[44:45]
	v_or_b32_e32 v68, v69, v68
	;;#ASMSTART
	global_atomic_pk_add_f16 v[76:77], v68, off
	
	;;#ASMEND
	s_set_gpr_idx_on s16, gpr_idx(SRC0)
	v_mov_b32_e32 v68, v48
	s_set_gpr_idx_off
	v_cvt_f16_f32_e32 v68, v68
	s_set_gpr_idx_on s13, gpr_idx(SRC0)
	v_mov_b32_e32 v69, v48
	s_set_gpr_idx_off
	v_cvt_f16_f32_sdwa v69, v69 dst_sel:WORD_1 dst_unused:UNUSED_PAD src0_sel:DWORD
	s_nop 0
	v_or_b32_e32 v68, v69, v68
	;;#ASMSTART
	global_atomic_pk_add_f16 v[74:75], v68, off
	
	;;#ASMEND
	v_add_u32_e32 v68, s70, v73
	v_cmp_gt_u32_e32 vcc, 32, v68
	s_and_saveexec_b64 s[12:13], vcc
	s_cbranch_execz .LBB100_30
; %bb.34:                               ;   in Loop: Header=BB100_32 Depth=2
	s_add_i32 s14, s16, 2
	s_add_i32 s15, s16, 3
	s_set_gpr_idx_on s14, gpr_idx(SRC0)
	v_mov_b32_e32 v68, v0
	s_set_gpr_idx_off
	v_cvt_f16_f32_e32 v68, v68
	s_set_gpr_idx_on s15, gpr_idx(SRC0)
	v_mov_b32_e32 v69, v0
	s_set_gpr_idx_off
	v_cvt_f16_f32_sdwa v69, v69 dst_sel:WORD_1 dst_unused:UNUSED_PAD src0_sel:DWORD
	v_mul_lo_u32 v74, v73, s21
	v_ashrrev_i32_e32 v75, 31, v74
	v_lshl_add_u64 v[74:75], v[74:75], 1, v[70:71]
	v_or_b32_e32 v68, v69, v68
	;;#ASMSTART
	global_atomic_pk_add_f16 v[74:75], v68, off
	
	;;#ASMEND
	s_set_gpr_idx_on s14, gpr_idx(SRC0)
	v_mov_b32_e32 v68, v16
	s_set_gpr_idx_off
	v_cvt_f16_f32_e32 v68, v68
	s_set_gpr_idx_on s15, gpr_idx(SRC0)
	v_mov_b32_e32 v69, v16
	s_set_gpr_idx_off
	v_cvt_f16_f32_sdwa v69, v69 dst_sel:WORD_1 dst_unused:UNUSED_PAD src0_sel:DWORD
	v_lshl_add_u64 v[76:77], v[74:75], 0, 64
	s_add_i32 s16, s16, 4
	s_add_i32 s1, s1, 8
	v_or_b32_e32 v68, v69, v68
	;;#ASMSTART
	global_atomic_pk_add_f16 v[76:77], v68, off
	
	;;#ASMEND
	s_set_gpr_idx_on s14, gpr_idx(SRC0)
	v_mov_b32_e32 v68, v32
	s_set_gpr_idx_off
	v_cvt_f16_f32_e32 v68, v68
	s_set_gpr_idx_on s15, gpr_idx(SRC0)
	v_mov_b32_e32 v69, v32
	s_set_gpr_idx_off
	v_cvt_f16_f32_sdwa v69, v69 dst_sel:WORD_1 dst_unused:UNUSED_PAD src0_sel:DWORD
	v_lshl_add_u64 v[76:77], v[74:75], 0, s[42:43]
	s_cmp_eq_u32 s16, 16
	v_lshl_add_u64 v[74:75], v[74:75], 0, s[44:45]
	v_or_b32_e32 v68, v69, v68
	;;#ASMSTART
	global_atomic_pk_add_f16 v[76:77], v68, off
	
	;;#ASMEND
	s_set_gpr_idx_on s14, gpr_idx(SRC0)
	v_mov_b32_e32 v68, v48
	s_set_gpr_idx_off
	v_cvt_f16_f32_e32 v68, v68
	s_set_gpr_idx_on s15, gpr_idx(SRC0)
	v_mov_b32_e32 v69, v48
	s_set_gpr_idx_off
	v_cvt_f16_f32_sdwa v69, v69 dst_sel:WORD_1 dst_unused:UNUSED_PAD src0_sel:DWORD
	s_cselect_b64 s[14:15], -1, 0
	s_orn2_b64 s[14:15], s[14:15], exec
	v_or_b32_e32 v68, v69, v68
	;;#ASMSTART
	global_atomic_pk_add_f16 v[74:75], v68, off
	
	;;#ASMEND
	s_branch .LBB100_30
.LBB100_35:                             ;   in Loop: Header=BB100_7 Depth=1
	s_or_b64 exec, exec, s[6:7]
	v_readlane_b32 s72, v127, 2
	v_readlane_b32 s8, v127, 23
	;; [unrolled: 1-line block ×12, first 2 shown]
.LBB100_36:                             ;   in Loop: Header=BB100_7 Depth=1
	s_or_b64 exec, exec, s[8:9]
.LBB100_37:                             ;   in Loop: Header=BB100_7 Depth=1
	s_andn2_saveexec_b64 s[2:3], s[2:3]
	s_cbranch_execz .LBB100_46
; %bb.38:                               ;   in Loop: Header=BB100_7 Depth=1
	s_lshl_b32 s12, s99, 2
	v_cmp_gt_i32_e32 vcc, s12, v109
	s_and_saveexec_b64 s[6:7], vcc
	s_cbranch_execz .LBB100_45
; %bb.39:                               ;   in Loop: Header=BB100_7 Depth=1
	scratch_load_dwordx2 v[0:1], off, off   ; 8-byte Folded Reload
	s_mul_i32 s0, s0, s23
	s_ashr_i32 s1, s0, 31
	s_add_u32 s0, s74, s0
	s_addc_u32 s1, s75, s1
	s_ashr_i32 s8, s46, 31
	s_add_u32 s0, s0, s46
	s_addc_u32 s1, s1, s8
	s_waitcnt vmcnt(0)
	v_lshl_add_u64 v[0:1], s[0:1], 0, v[0:1]
	v_lshl_add_u64 v[16:17], v[0:1], 0, v[66:67]
	s_mov_b64 s[0:1], 0
	s_branch .LBB100_41
.LBB100_40:                             ;   in Loop: Header=BB100_41 Depth=2
	s_or_b64 exec, exec, s[8:9]
	v_lshl_or_b32 v20, v18, 12, v102
	;;#ASMSTART
	s_waitcnt vmcnt(3)
	;;#ASMEND
	ds_write2_b32 v20, v12, v13 offset1:32
	ds_write2_b32 v20, v14, v15 offset0:64 offset1:96
	v_add_u32_e32 v12, 0x400, v20
	;;#ASMSTART
	s_waitcnt vmcnt(2)
	;;#ASMEND
	ds_write2_b32 v12, v8, v9 offset1:32
	ds_write2_b32 v12, v10, v11 offset0:64 offset1:96
	v_add_u32_e32 v8, 0x800, v20
	;;#ASMSTART
	s_waitcnt vmcnt(1)
	;;#ASMEND
	ds_write2_b32 v8, v4, v5 offset1:32
	ds_write2_b32 v8, v6, v7 offset0:64 offset1:96
	v_add_u32_e32 v4, 0xc00, v20
	v_add_u32_e32 v109, s26, v109
	;;#ASMSTART
	s_waitcnt vmcnt(0)
	;;#ASMEND
	ds_write2_b32 v4, v0, v1 offset1:32
	ds_write2_b32 v4, v2, v3 offset0:64 offset1:96
	v_add_u32_e32 v0, 1, v87
	v_add_u32_e32 v72, s26, v18
	v_cmp_le_i32_e32 vcc, s12, v109
	ds_write_b32 v19, v0 offset:8
	v_add_u32_e32 v0, 2, v87
	s_or_b64 s[0:1], vcc, s[0:1]
	v_cmp_lt_i32_e32 vcc, 7, v72
	s_nop 1
	v_cndmask_b32_e32 v87, v87, v0, vcc
	s_andn2_b64 exec, exec, s[0:1]
	s_cbranch_execz .LBB100_44
.LBB100_41:                             ;   Parent Loop BB100_7 Depth=1
                                        ; =>  This Loop Header: Depth=2
                                        ;       Child Loop BB100_43 Depth 3
	v_cmp_gt_i32_e32 vcc, 8, v72
	s_nop 1
	v_cndmask_b32_e64 v0, -8, 0, vcc
	v_add_u32_e32 v18, v0, v72
	v_ashrrev_i32_e32 v0, 31, v109
	v_lshrrev_b32_e32 v0, 30, v0
	v_add_u32_e32 v0, v109, v0
	v_and_b32_e32 v1, -4, v0
	v_lshlrev_b32_e32 v0, 5, v0
	v_sub_u32_e32 v2, v109, v1
	v_and_b32_e32 v0, 0xffffff80, v0
	v_ashrrev_i32_e32 v1, 31, v0
	v_mul_lo_u32 v2, s24, v2
	v_lshl_add_u64 v[0:1], v[16:17], 0, v[0:1]
	v_ashrrev_i32_e32 v3, 31, v2
	v_lshl_add_u64 v[0:1], v[0:1], 0, v[2:3]
	v_lshlrev_b32_e32 v19, 2, v18
	;;#ASMSTART
	global_load_dwordx4 v[12:15], v[0:1], off offset:0   sc0 sc1 nt  
	global_load_dwordx4 v[8:11], v[0:1], off offset:32  sc0 sc1 nt  
	global_load_dwordx4 v[4:7], v[0:1], off offset:64  sc0 sc1 nt  
	;; [unrolled: 1-line block ×3, first 2 shown]
	
	;;#ASMEND
	ds_read_b32 v20, v19 offset:40968
	v_add_u32_e32 v19, 0xa000, v19
	s_waitcnt lgkmcnt(0)
	v_cmp_ne_u32_e32 vcc, v20, v87
	s_and_saveexec_b64 s[8:9], vcc
	s_cbranch_execz .LBB100_40
; %bb.42:                               ;   in Loop: Header=BB100_41 Depth=2
	s_mov_b64 s[10:11], 0
.LBB100_43:                             ;   Parent Loop BB100_7 Depth=1
                                        ;     Parent Loop BB100_41 Depth=2
                                        ; =>    This Inner Loop Header: Depth=3
	;;#ASMSTART
	s_sleep 0
	;;#ASMEND
	ds_read_b32 v20, v19 offset:8
	s_waitcnt lgkmcnt(0)
	v_cmp_eq_u32_e32 vcc, v20, v87
	s_or_b64 s[10:11], vcc, s[10:11]
	s_andn2_b64 exec, exec, s[10:11]
	s_cbranch_execnz .LBB100_43
	s_branch .LBB100_40
.LBB100_44:                             ;   in Loop: Header=BB100_7 Depth=1
	s_or_b64 exec, exec, s[0:1]
.LBB100_45:                             ;   in Loop: Header=BB100_7 Depth=1
	s_or_b64 exec, exec, s[6:7]
	v_subrev_u32_e32 v109, s12, v109
.LBB100_46:                             ;   in Loop: Header=BB100_7 Depth=1
	s_or_b64 exec, exec, s[2:3]
.LBB100_47:                             ;   in Loop: Header=BB100_7 Depth=1
	s_andn2_saveexec_b64 s[0:1], s[4:5]
	s_cbranch_execz .LBB100_6
; %bb.48:                               ;   in Loop: Header=BB100_7 Depth=1
	v_cmp_gt_i32_e32 vcc, s99, v109
	s_and_saveexec_b64 s[2:3], vcc
	s_cbranch_execz .LBB100_5
; %bb.49:                               ;   in Loop: Header=BB100_7 Depth=1
	s_mul_i32 s96, s96, s22
	s_ashr_i32 s4, s96, 31
	s_add_u32 s5, s72, s96
	s_addc_u32 s6, s73, s4
	s_ashr_i32 s7, s46, 31
	v_cmp_le_i32_e32 vcc, s71, v103
	s_add_u32 s4, s5, s46
	s_addc_u32 s5, s6, s7
	v_cndmask_b32_e32 v0, 0, v104, vcc
	v_ashrrev_i32_e32 v1, 31, v0
	v_lshl_add_u64 v[0:1], s[4:5], 0, v[0:1]
	v_lshl_add_u64 v[16:17], v[0:1], 0, v[66:67]
	s_mov_b64 s[4:5], 0
	s_branch .LBB100_51
.LBB100_50:                             ;   in Loop: Header=BB100_51 Depth=2
	s_or_b64 exec, exec, s[6:7]
	v_lshl_add_u32 v20, v18, 12, v105
	;;#ASMSTART
	s_waitcnt vmcnt(3)
	;;#ASMEND
	ds_write2_b32 v20, v12, v13 offset1:32
	ds_write2_b32 v20, v14, v15 offset0:64 offset1:96
	v_add_u32_e32 v12, 0x400, v20
	;;#ASMSTART
	s_waitcnt vmcnt(2)
	;;#ASMEND
	ds_write2_b32 v12, v8, v9 offset1:32
	ds_write2_b32 v12, v10, v11 offset0:64 offset1:96
	v_add_u32_e32 v8, 0x800, v20
	;; [unrolled: 6-line block ×3, first 2 shown]
	v_add_u32_e32 v109, s25, v109
	;;#ASMSTART
	s_waitcnt vmcnt(0)
	;;#ASMEND
	ds_write2_b32 v4, v0, v1 offset1:32
	ds_write2_b32 v4, v2, v3 offset0:64 offset1:96
	v_add_u32_e32 v0, 1, v87
	v_add_u32_e32 v72, s25, v18
	v_cmp_le_i32_e32 vcc, s99, v109
	ds_write_b32 v19, v0
	v_add_u32_e32 v0, 2, v87
	s_or_b64 s[4:5], vcc, s[4:5]
	v_cmp_lt_i32_e32 vcc, 1, v72
	s_nop 1
	v_cndmask_b32_e32 v87, v87, v0, vcc
	s_andn2_b64 exec, exec, s[4:5]
	s_cbranch_execz .LBB100_4
.LBB100_51:                             ;   Parent Loop BB100_7 Depth=1
                                        ; =>  This Loop Header: Depth=2
                                        ;       Child Loop BB100_53 Depth 3
	v_cmp_gt_i32_e32 vcc, 2, v72
	s_nop 1
	v_cndmask_b32_e64 v0, -2, 0, vcc
	v_add_u32_e32 v18, v0, v72
	v_lshlrev_b32_e32 v0, 7, v109
	v_ashrrev_i32_e32 v1, 31, v0
	v_lshl_add_u64 v[0:1], v[16:17], 0, v[0:1]
	v_lshlrev_b32_e32 v19, 2, v18
	;;#ASMSTART
	global_load_dwordx4 v[12:15], v[0:1], off offset:0   
	global_load_dwordx4 v[8:11], v[0:1], off offset:32  
	global_load_dwordx4 v[4:7], v[0:1], off offset:64  
	global_load_dwordx4 v[0:3], v[0:1], off offset:96  
	
	;;#ASMEND
	ds_read_b32 v20, v19 offset:40960
	v_add_u32_e32 v19, 0xa000, v19
	s_waitcnt lgkmcnt(0)
	v_cmp_ne_u32_e32 vcc, v20, v87
	s_and_saveexec_b64 s[6:7], vcc
	s_cbranch_execz .LBB100_50
; %bb.52:                               ;   in Loop: Header=BB100_51 Depth=2
	s_mov_b64 s[8:9], 0
.LBB100_53:                             ;   Parent Loop BB100_7 Depth=1
                                        ;     Parent Loop BB100_51 Depth=2
                                        ; =>    This Inner Loop Header: Depth=3
	;;#ASMSTART
	s_sleep 0
	;;#ASMEND
	ds_read_b32 v20, v19
	s_waitcnt lgkmcnt(0)
	v_cmp_eq_u32_e32 vcc, v20, v87
	s_or_b64 s[8:9], vcc, s[8:9]
	s_andn2_b64 exec, exec, s[8:9]
	s_cbranch_execnz .LBB100_53
	s_branch .LBB100_50
.LBB100_54:
	s_endpgm
	.section	.rodata,"a",@progbits
	.p2align	6, 0x0
	.amdhsa_kernel _Z19_skinny_gemm_kernelILi1ELi4ELi2ELi32ELi8EEvPKhS1_P6__halfPKfiiiiiiii
		.amdhsa_group_segment_fixed_size 41000
		.amdhsa_private_segment_fixed_size 12
		.amdhsa_kernarg_size 64
		.amdhsa_user_sgpr_count 2
		.amdhsa_user_sgpr_dispatch_ptr 0
		.amdhsa_user_sgpr_queue_ptr 0
		.amdhsa_user_sgpr_kernarg_segment_ptr 1
		.amdhsa_user_sgpr_dispatch_id 0
		.amdhsa_user_sgpr_kernarg_preload_length 0
		.amdhsa_user_sgpr_kernarg_preload_offset 0
		.amdhsa_user_sgpr_private_segment_size 0
		.amdhsa_uses_dynamic_stack 0
		.amdhsa_enable_private_segment 1
		.amdhsa_system_sgpr_workgroup_id_x 1
		.amdhsa_system_sgpr_workgroup_id_y 0
		.amdhsa_system_sgpr_workgroup_id_z 0
		.amdhsa_system_sgpr_workgroup_info 0
		.amdhsa_system_vgpr_workitem_id 0
		.amdhsa_next_free_vgpr 128
		.amdhsa_next_free_sgpr 100
		.amdhsa_accum_offset 128
		.amdhsa_reserve_vcc 1
		.amdhsa_float_round_mode_32 0
		.amdhsa_float_round_mode_16_64 0
		.amdhsa_float_denorm_mode_32 3
		.amdhsa_float_denorm_mode_16_64 3
		.amdhsa_dx10_clamp 1
		.amdhsa_ieee_mode 1
		.amdhsa_fp16_overflow 0
		.amdhsa_tg_split 0
		.amdhsa_exception_fp_ieee_invalid_op 0
		.amdhsa_exception_fp_denorm_src 0
		.amdhsa_exception_fp_ieee_div_zero 0
		.amdhsa_exception_fp_ieee_overflow 0
		.amdhsa_exception_fp_ieee_underflow 0
		.amdhsa_exception_fp_ieee_inexact 0
		.amdhsa_exception_int_div_zero 0
	.end_amdhsa_kernel
	.section	.text._Z19_skinny_gemm_kernelILi1ELi4ELi2ELi32ELi8EEvPKhS1_P6__halfPKfiiiiiiii,"axG",@progbits,_Z19_skinny_gemm_kernelILi1ELi4ELi2ELi32ELi8EEvPKhS1_P6__halfPKfiiiiiiii,comdat
.Lfunc_end100:
	.size	_Z19_skinny_gemm_kernelILi1ELi4ELi2ELi32ELi8EEvPKhS1_P6__halfPKfiiiiiiii, .Lfunc_end100-_Z19_skinny_gemm_kernelILi1ELi4ELi2ELi32ELi8EEvPKhS1_P6__halfPKfiiiiiiii
                                        ; -- End function
	.set _Z19_skinny_gemm_kernelILi1ELi4ELi2ELi32ELi8EEvPKhS1_P6__halfPKfiiiiiiii.num_vgpr, 128
	.set _Z19_skinny_gemm_kernelILi1ELi4ELi2ELi32ELi8EEvPKhS1_P6__halfPKfiiiiiiii.num_agpr, 0
	.set _Z19_skinny_gemm_kernelILi1ELi4ELi2ELi32ELi8EEvPKhS1_P6__halfPKfiiiiiiii.numbered_sgpr, 100
	.set _Z19_skinny_gemm_kernelILi1ELi4ELi2ELi32ELi8EEvPKhS1_P6__halfPKfiiiiiiii.num_named_barrier, 0
	.set _Z19_skinny_gemm_kernelILi1ELi4ELi2ELi32ELi8EEvPKhS1_P6__halfPKfiiiiiiii.private_seg_size, 12
	.set _Z19_skinny_gemm_kernelILi1ELi4ELi2ELi32ELi8EEvPKhS1_P6__halfPKfiiiiiiii.uses_vcc, 1
	.set _Z19_skinny_gemm_kernelILi1ELi4ELi2ELi32ELi8EEvPKhS1_P6__halfPKfiiiiiiii.uses_flat_scratch, 0
	.set _Z19_skinny_gemm_kernelILi1ELi4ELi2ELi32ELi8EEvPKhS1_P6__halfPKfiiiiiiii.has_dyn_sized_stack, 0
	.set _Z19_skinny_gemm_kernelILi1ELi4ELi2ELi32ELi8EEvPKhS1_P6__halfPKfiiiiiiii.has_recursion, 0
	.set _Z19_skinny_gemm_kernelILi1ELi4ELi2ELi32ELi8EEvPKhS1_P6__halfPKfiiiiiiii.has_indirect_call, 0
	.section	.AMDGPU.csdata,"",@progbits
; Kernel info:
; codeLenInByte = 14692
; TotalNumSgprs: 106
; NumVgprs: 128
; NumAgprs: 0
; TotalNumVgprs: 128
; ScratchSize: 12
; MemoryBound: 0
; FloatMode: 240
; IeeeMode: 1
; LDSByteSize: 41000 bytes/workgroup (compile time only)
; SGPRBlocks: 13
; VGPRBlocks: 15
; NumSGPRsForWavesPerEU: 106
; NumVGPRsForWavesPerEU: 128
; AccumOffset: 128
; Occupancy: 4
; WaveLimiterHint : 0
; COMPUTE_PGM_RSRC2:SCRATCH_EN: 1
; COMPUTE_PGM_RSRC2:USER_SGPR: 2
; COMPUTE_PGM_RSRC2:TRAP_HANDLER: 0
; COMPUTE_PGM_RSRC2:TGID_X_EN: 1
; COMPUTE_PGM_RSRC2:TGID_Y_EN: 0
; COMPUTE_PGM_RSRC2:TGID_Z_EN: 0
; COMPUTE_PGM_RSRC2:TIDIG_COMP_CNT: 0
; COMPUTE_PGM_RSRC3_GFX90A:ACCUM_OFFSET: 31
; COMPUTE_PGM_RSRC3_GFX90A:TG_SPLIT: 0
	.section	.text._Z19_skinny_gemm_kernelILi1ELi4ELi3ELi8ELi4EEvPKhS1_P6__halfPKfiiiiiiii,"axG",@progbits,_Z19_skinny_gemm_kernelILi1ELi4ELi3ELi8ELi4EEvPKhS1_P6__halfPKfiiiiiiii,comdat
	.protected	_Z19_skinny_gemm_kernelILi1ELi4ELi3ELi8ELi4EEvPKhS1_P6__halfPKfiiiiiiii ; -- Begin function _Z19_skinny_gemm_kernelILi1ELi4ELi3ELi8ELi4EEvPKhS1_P6__halfPKfiiiiiiii
	.globl	_Z19_skinny_gemm_kernelILi1ELi4ELi3ELi8ELi4EEvPKhS1_P6__halfPKfiiiiiiii
	.p2align	8
	.type	_Z19_skinny_gemm_kernelILi1ELi4ELi3ELi8ELi4EEvPKhS1_P6__halfPKfiiiiiiii,@function
_Z19_skinny_gemm_kernelILi1ELi4ELi3ELi8ELi4EEvPKhS1_P6__halfPKfiiiiiiii: ; @_Z19_skinny_gemm_kernelILi1ELi4ELi3ELi8ELi4EEvPKhS1_P6__halfPKfiiiiiiii
; %bb.0:
	v_cmp_gt_u32_e32 vcc, 15, v0
	v_lshlrev_b32_e32 v1, 2, v0
	s_and_saveexec_b64 s[4:5], vcc
; %bb.1:
	v_mov_b32_e32 v2, 0
	ds_write_b32 v1, v2 offset:55296
; %bb.2:
	s_or_b64 exec, exec, s[4:5]
	s_load_dwordx8 s[12:19], s[0:1], 0x20
	s_waitcnt lgkmcnt(0)
	s_barrier
	s_add_i32 s3, s12, 7
	s_ashr_i32 s5, s3, 31
	s_add_i32 s4, s13, 63
	s_lshr_b32 s5, s5, 29
	s_ashr_i32 s6, s4, 31
	s_add_i32 s3, s3, s5
	s_ashr_i32 s33, s3, 3
	s_lshr_b32 s3, s6, 26
	s_add_i32 s4, s4, s3
	s_ashr_i32 s44, s4, 6
	s_mul_i32 s3, s44, s33
	s_mul_i32 s3, s3, s16
	s_add_i32 s4, s3, 0x12f
	s_mul_hi_i32 s4, s4, 0x6bca1af3
	s_lshr_b32 s5, s4, 31
	s_ashr_i32 s4, s4, 7
	s_add_i32 s4, s4, s5
	s_add_i32 s5, s2, 1
	s_mul_i32 s5, s4, s5
	v_cvt_f64_i32_e32 v[2:3], s3
	v_cvt_f64_u32_e32 v[4:5], s5
	v_min_f64 v[2:3], v[2:3], v[4:5]
	v_cvt_i32_f64_e32 v17, v[2:3]
	s_mul_i32 s45, s4, s2
	v_cmp_ge_i32_e32 vcc, s45, v17
	s_cbranch_vccnz .LBB101_50
; %bb.3:
	v_lshrrev_b32_e32 v2, 6, v0
	s_add_i32 s4, s18, s17
	s_load_dwordx8 s[20:27], s[0:1], 0x0
	v_cmp_le_i32_e64 s[0:1], s4, v2
	v_mov_b32_e32 v3, s17
	v_cmp_le_i32_e64 s[2:3], s17, v2
	v_mov_b32_e32 v4, s18
	v_cndmask_b32_e64 v4, 0, v4, s[0:1]
	v_cndmask_b32_e64 v3, 0, v3, s[2:3]
	s_abs_i32 s5, s16
	v_add_u32_e32 v3, v3, v4
	v_cvt_f32_u32_e32 v4, s5
	v_sub_u32_e32 v30, v2, v3
	s_ashr_i32 s6, s14, 31
	s_lshr_b32 s6, s6, 24
	v_rcp_iflag_f32_e32 v3, v4
	s_sub_i32 s9, 0, s5
	s_add_i32 s6, s14, s6
	s_ashr_i32 s6, s6, 8
	v_mul_f32_e32 v3, 0x4f7ffffe, v3
	v_cvt_u32_f32_e32 v3, v3
	s_abs_i32 s8, s6
	s_xor_b32 s7, s6, s16
	s_ashr_i32 s7, s7, 31
	v_readfirstlane_b32 s10, v3
	s_mul_i32 s9, s9, s10
	s_mul_hi_u32 s9, s10, s9
	s_add_i32 s10, s10, s9
	s_mul_hi_u32 s9, s8, s10
	s_mul_i32 s10, s9, s5
	s_sub_i32 s8, s8, s10
	s_add_i32 s10, s9, 1
	s_sub_i32 s11, s8, s5
	s_cmp_ge_u32 s8, s5
	s_cselect_b32 s9, s10, s9
	s_cselect_b32 s8, s11, s8
	s_add_i32 s10, s9, 1
	s_cmp_ge_u32 s8, s5
	s_cselect_b32 s5, s10, s9
	s_xor_b32 s5, s5, s7
	s_sub_i32 s46, s5, s7
	s_add_i32 s16, s16, -1
	s_mul_i32 s5, s46, s16
	s_add_i32 s4, s4, s19
	s_sub_i32 s47, s6, s5
	v_cmp_gt_i32_e64 s[4:5], s4, v2
	v_and_b32_e32 v2, 1, v0
	v_lshlrev_b32_e32 v3, 1, v0
	v_and_b32_e32 v3, 0x7c, v3
	v_lshlrev_b32_e32 v4, 8, v2
	v_lshlrev_b32_e32 v5, 4, v0
	s_mov_b32 s7, 0xc000
	s_movk_i32 s6, 0x7c
	v_and_b32_e32 v6, 0x200, v5
	v_or3_b32 v38, v3, v4, s7
	v_lshrrev_b32_e32 v3, 3, v0
	v_cmp_eq_u32_e32 vcc, 0, v2
	v_and_or_b32 v39, v1, s6, v6
	v_lshlrev_b32_e32 v1, 1, v2
	v_and_or_b32 v2, v3, 6, v2
	v_sub_u32_e32 v44, 8, v2
	v_mul_lo_u32 v18, s13, v2
	v_bfe_u32 v2, v0, 2, 4
	v_lshlrev_b32_e32 v4, 8, v0
	v_lshlrev_b32_e32 v6, 6, v0
	v_mul_lo_u32 v24, s15, v2
	v_and_b32_e32 v2, 60, v0
	v_and_b32_e32 v4, 0x200, v4
	;; [unrolled: 1-line block ×3, first 2 shown]
	s_abs_i32 s49, s33
	v_or3_b32 v45, v2, v4, v6
	v_cvt_f32_u32_e32 v6, s49
	v_lshlrev_b32_e32 v4, 7, v0
	v_and_b32_e32 v16, 14, v0
	v_bitop3_b32 v40, v0, 1, v0 bitop3:0xc
	v_sub_u32_e32 v1, v0, v1
	v_bfe_u32 v2, v0, 3, 3
	v_and_b32_e32 v4, 0x200, v4
	v_lshlrev_b32_e32 v0, 5, v0
	v_lshl_or_b32 v4, v2, 2, v4
	v_and_b32_e32 v0, 0x60, v0
	v_or3_b32 v46, v4, v0, s7
	v_rcp_iflag_f32_e32 v0, v6
	s_abs_i32 s50, s44
	v_mul_lo_u32 v48, s14, v2
	v_cvt_f32_u32_e32 v2, s50
	v_mul_f32_e32 v0, 0x4f7ffffe, v0
	v_cvt_u32_f32_e32 v0, v0
	s_sub_i32 s6, 0, s49
	v_rcp_iflag_f32_e32 v2, v2
	v_add_u32_e32 v1, 1, v1
	v_readfirstlane_b32 s7, v0
	s_mul_i32 s6, s6, s7
	v_mul_f32_e32 v0, 0x4f7ffffe, v2
	v_cvt_u32_f32_e32 v0, v0
	s_mul_hi_u32 s6, s7, s6
	s_add_i32 s52, s7, s6
	s_sub_i32 s6, 0, s50
	v_readfirstlane_b32 s7, v0
	v_mbcnt_lo_u32_b32 v0, -1, 0
	v_and_b32_e32 v1, 63, v1
	s_mul_i32 s6, s6, s7
	v_mbcnt_hi_u32_b32 v0, -1, v0
	v_mov_b32_e32 v7, 0xeeee
	v_mov_b32_e32 v8, 0x4444
	;; [unrolled: 1-line block ×3, first 2 shown]
	s_mul_hi_u32 s6, s7, s6
	v_and_or_b32 v0, v0, 64, v1
	v_cndmask_b32_e64 v36, 0, 1, s[0:1]
	s_mov_b32 s29, 0
	v_cndmask_b32_e32 v37, v7, v8, vcc
	v_or_b32_e32 v41, 16, v16
	v_or_b32_e32 v42, 32, v16
	;; [unrolled: 1-line block ×3, first 2 shown]
	v_ashrrev_i32_e32 v19, 31, v18
	v_and_b32_e32 v22, 48, v5
	v_ashrrev_i32_e32 v25, 31, v24
	v_mov_b32_e32 v23, v21
	s_lshl_b32 s48, s15, 4
	v_bitop3_b32 v47, v3, 7, v3 bitop3:0xc
	v_and_b32_e32 v26, 0x70, v5
	v_mov_b32_e32 v27, v21
	s_lshl_b32 s28, s17, 8
	s_ashr_i32 s51, s33, 31
	s_ashr_i32 s53, s44, 31
	s_add_i32 s54, s7, s6
	s_mov_b64 s[30:31], 0x60
	v_lshlrev_b32_e32 v49, 2, v0
	v_mov_b32_e32 v50, v30
	s_branch .LBB101_7
.LBB101_4:                              ;   in Loop: Header=BB101_7 Depth=1
	s_or_b64 exec, exec, s[10:11]
.LBB101_5:                              ;   in Loop: Header=BB101_7 Depth=1
	s_or_b64 exec, exec, s[8:9]
	v_subrev_u32_e32 v50, s55, v50
.LBB101_6:                              ;   in Loop: Header=BB101_7 Depth=1
	s_or_b64 exec, exec, s[6:7]
	s_add_i32 s45, s45, 1
	v_cmp_ge_i32_e32 vcc, s45, v17
	s_cbranch_vccnz .LBB101_50
.LBB101_7:                              ; =>This Loop Header: Depth=1
                                        ;     Child Loop BB101_13 Depth 2
                                        ;       Child Loop BB101_15 Depth 3
                                        ;       Child Loop BB101_18 Depth 3
	;; [unrolled: 1-line block ×5, first 2 shown]
                                        ;     Child Loop BB101_37 Depth 2
                                        ;       Child Loop BB101_39 Depth 3
                                        ;     Child Loop BB101_47 Depth 2
                                        ;       Child Loop BB101_49 Depth 3
	s_abs_i32 s7, s45
	s_mul_hi_u32 s8, s7, s52
	s_mul_i32 s9, s8, s49
	s_ashr_i32 s6, s45, 31
	s_sub_i32 s7, s7, s9
	s_xor_b32 s6, s6, s51
	s_add_i32 s9, s8, 1
	s_sub_i32 s10, s7, s49
	s_cmp_ge_u32 s7, s49
	s_cselect_b32 s8, s9, s8
	s_cselect_b32 s7, s10, s7
	s_add_i32 s9, s8, 1
	s_cmp_ge_u32 s7, s49
	s_cselect_b32 s7, s9, s8
	s_xor_b32 s7, s7, s6
	s_sub_i32 s6, s7, s6
	s_abs_i32 s8, s6
	s_mul_i32 s7, s6, s33
	s_mul_hi_u32 s9, s8, s54
	s_sub_i32 s7, s45, s7
	s_mul_i32 s10, s9, s50
	s_lshl_b32 s56, s7, 3
	s_ashr_i32 s7, s6, 31
	s_sub_i32 s8, s8, s10
	s_xor_b32 s7, s7, s53
	s_add_i32 s10, s9, 1
	s_sub_i32 s11, s8, s50
	s_cmp_ge_u32 s8, s50
	s_cselect_b32 s9, s10, s9
	s_cselect_b32 s8, s11, s8
	s_add_i32 s10, s9, 1
	s_cmp_ge_u32 s8, s50
	s_cselect_b32 s8, s10, s9
	s_xor_b32 s8, s8, s7
	s_sub_i32 s7, s8, s7
	s_mul_i32 s8, s7, s46
	s_lshl_b32 s57, s8, 8
	s_cmp_eq_u32 s7, s16
	s_cselect_b32 s55, s47, s46
	s_sub_i32 s58, s56, s12
	s_add_i32 s58, s58, 8
	s_and_saveexec_b64 s[8:9], s[2:3]
	s_xor_b64 s[34:35], exec, s[8:9]
	s_cbranch_execz .LBB101_43
; %bb.8:                                ;   in Loop: Header=BB101_7 Depth=1
	s_mul_i32 s7, s7, s44
	s_sub_i32 s6, s6, s7
	s_lshl_b32 s6, s6, 6
	s_sub_i32 s37, s6, s13
	s_add_i32 s37, s37, 64
	s_max_i32 s7, s37, 0
	s_sub_i32 s36, s6, s7
	s_and_saveexec_b64 s[6:7], s[0:1]
	s_xor_b64 s[38:39], exec, s[6:7]
	s_cbranch_execz .LBB101_33
; %bb.9:                                ;   in Loop: Header=BB101_7 Depth=1
	s_and_saveexec_b64 s[40:41], s[4:5]
	s_cbranch_execz .LBB101_32
; %bb.10:                               ;   in Loop: Header=BB101_7 Depth=1
	s_waitcnt lgkmcnt(0)
	global_load_dword v20, v21, s[26:27]
	v_mov_b32_e32 v15, 0
	v_cmp_gt_i32_e32 vcc, s55, v50
	v_mov_b32_e32 v14, v15
	v_mov_b32_e32 v13, v15
	v_mov_b32_e32 v12, v15
	v_mov_b32_e32 v11, v15
	v_mov_b32_e32 v10, v15
	v_mov_b32_e32 v9, v15
	v_mov_b32_e32 v8, v15
	v_mov_b32_e32 v7, v15
	v_mov_b32_e32 v6, v15
	v_mov_b32_e32 v5, v15
	v_mov_b32_e32 v4, v15
	v_mov_b32_e32 v3, v15
	v_mov_b32_e32 v2, v15
	v_mov_b32_e32 v1, v15
	v_mov_b32_e32 v0, v15
	s_and_saveexec_b64 s[6:7], vcc
	s_cbranch_execz .LBB101_29
; %bb.11:                               ;   in Loop: Header=BB101_7 Depth=1
	v_mov_b32_e32 v0, 0
	s_mov_b64 s[8:9], 0
	v_mov_b32_e32 v1, v0
	v_mov_b32_e32 v2, v0
	;; [unrolled: 1-line block ×15, first 2 shown]
	s_branch .LBB101_13
.LBB101_12:                             ;   in Loop: Header=BB101_13 Depth=2
	s_or_b64 exec, exec, s[10:11]
	v_add_u32_e32 v55, 0x3000, v54
	ds_read2_b32 v[56:57], v55 offset1:32
	ds_read2_b32 v[58:59], v55 offset0:64 offset1:96
	v_add_u32_e32 v55, 0x3400, v54
	ds_read2_b32 v[60:61], v55 offset1:32
	ds_read2_b32 v[62:63], v55 offset0:64 offset1:96
	v_add_u32_e32 v50, s19, v50
	v_cmp_le_i32_e32 vcc, s55, v50
	s_waitcnt lgkmcnt(2)
	v_smfmac_f32_16x16x64_fp8_fp8 v[0:3], v[34:35], v[56:59], v37 cbsz:7 abid:1
	v_add_u32_e32 v34, 0x3800, v54
	ds_read2_b32 v[56:57], v34 offset1:32
	ds_read2_b32 v[58:59], v34 offset0:64 offset1:96
	v_add_u32_e32 v34, 0x3c00, v54
	s_waitcnt lgkmcnt(2)
	v_smfmac_f32_16x16x64_fp8_fp8 v[0:3], v[32:33], v[60:63], v37 cbsz:7 abid:1
	ds_read2_b32 v[32:33], v34 offset1:32
	ds_read2_b32 v[34:35], v34 offset0:64 offset1:96
	s_or_b64 s[8:9], vcc, s[8:9]
	ds_write_b32 v53, v52 offset:55320
	s_waitcnt lgkmcnt(3)
	v_smfmac_f32_16x16x64_fp8_fp8 v[0:3], v[30:31], v[56:59], v37 cbsz:7 abid:1
	v_add_u32_e32 v30, s19, v51
	v_add_u32_e32 v31, 2, v36
	v_cmp_lt_i32_e32 vcc, 2, v30
	s_waitcnt lgkmcnt(1)
	v_smfmac_f32_16x16x64_fp8_fp8 v[0:3], v[28:29], v[32:35], v37 cbsz:7 abid:1
	v_cndmask_b32_e32 v36, v36, v31, vcc
	s_andn2_b64 exec, exec, s[8:9]
	s_cbranch_execz .LBB101_28
.LBB101_13:                             ;   Parent Loop BB101_7 Depth=1
                                        ; =>  This Loop Header: Depth=2
                                        ;       Child Loop BB101_15 Depth 3
                                        ;       Child Loop BB101_18 Depth 3
	;; [unrolled: 1-line block ×5, first 2 shown]
	v_cmp_gt_i32_e32 vcc, 3, v30
	s_nop 1
	v_cndmask_b32_e64 v28, -3, 0, vcc
	v_add_u32_e32 v51, v28, v30
	v_lshlrev_b32_e32 v28, 2, v51
	ds_read_b32 v29, v28 offset:55296
	v_add_u32_e32 v53, 0xd800, v28
	s_waitcnt lgkmcnt(0)
	v_cmp_ne_u32_e32 vcc, v29, v36
	s_and_saveexec_b64 s[10:11], vcc
	s_cbranch_execz .LBB101_16
; %bb.14:                               ;   in Loop: Header=BB101_13 Depth=2
	s_mov_b64 s[42:43], 0
.LBB101_15:                             ;   Parent Loop BB101_7 Depth=1
                                        ;     Parent Loop BB101_13 Depth=2
                                        ; =>    This Inner Loop Header: Depth=3
	;;#ASMSTART
	s_sleep 0
	;;#ASMEND
	ds_read_b32 v28, v53
	s_waitcnt lgkmcnt(0)
	v_cmp_eq_u32_e32 vcc, v28, v36
	s_or_b64 s[42:43], vcc, s[42:43]
	s_andn2_b64 exec, exec, s[42:43]
	s_cbranch_execnz .LBB101_15
.LBB101_16:                             ;   in Loop: Header=BB101_13 Depth=2
	s_or_b64 exec, exec, s[10:11]
	v_lshl_add_u32 v28, v51, 11, v38
	ds_read2_b32 v[34:35], v28 offset1:32
	ds_read2_b32 v[32:33], v28 offset0:128 offset1:160
	v_add_u32_e32 v28, 0x400, v28
	v_add_u32_e32 v52, 1, v36
	ds_read2_b32 v[30:31], v28 offset1:32
	ds_read2_b32 v[28:29], v28 offset0:128 offset1:160
	;;#ASMSTART
	s_waitcnt lgkmcnt(0)
	;;#ASMEND
	ds_write_b32 v53, v52
	v_lshlrev_b32_e32 v53, 4, v51
	ds_read_b32 v54, v53 offset:55308
	s_waitcnt lgkmcnt(0)
	v_cmp_ne_u32_e32 vcc, v54, v36
	s_and_saveexec_b64 s[10:11], vcc
	s_cbranch_execz .LBB101_19
; %bb.17:                               ;   in Loop: Header=BB101_13 Depth=2
	s_mov_b64 s[42:43], 0
.LBB101_18:                             ;   Parent Loop BB101_7 Depth=1
                                        ;     Parent Loop BB101_13 Depth=2
                                        ; =>    This Inner Loop Header: Depth=3
	;;#ASMSTART
	s_sleep 0
	;;#ASMEND
	ds_read_b32 v54, v53 offset:55308
	s_waitcnt lgkmcnt(0)
	v_cmp_eq_u32_e32 vcc, v54, v36
	s_or_b64 s[42:43], vcc, s[42:43]
	s_andn2_b64 exec, exec, s[42:43]
	s_cbranch_execnz .LBB101_18
.LBB101_19:                             ;   in Loop: Header=BB101_13 Depth=2
	s_or_b64 exec, exec, s[10:11]
	v_lshl_or_b32 v54, v51, 14, v39
	ds_read2_b32 v[56:57], v54 offset1:32
	ds_read2_b32 v[58:59], v54 offset0:64 offset1:96
	v_add_u32_e32 v55, 0x400, v54
	ds_read2_b32 v[60:61], v55 offset1:32
	ds_read2_b32 v[62:63], v55 offset0:64 offset1:96
	v_add_u32_e32 v55, 0x800, v54
	s_waitcnt lgkmcnt(2)
	v_smfmac_f32_16x16x64_fp8_fp8 v[12:15], v[34:35], v[56:59], v37 cbsz:7 abid:1
	ds_read2_b32 v[56:57], v55 offset1:32
	ds_read2_b32 v[58:59], v55 offset0:64 offset1:96
	v_add_u32_e32 v55, 0xc00, v54
	s_waitcnt lgkmcnt(2)
	v_smfmac_f32_16x16x64_fp8_fp8 v[12:15], v[32:33], v[60:63], v37 cbsz:7 abid:1
	ds_read2_b32 v[60:61], v55 offset1:32
	ds_read2_b32 v[62:63], v55 offset0:64 offset1:96
	ds_read_b32 v55, v53 offset:55312
	ds_write_b32 v53, v52 offset:55308
	s_waitcnt lgkmcnt(4)
	v_smfmac_f32_16x16x64_fp8_fp8 v[12:15], v[30:31], v[56:59], v37 cbsz:7 abid:1
	s_waitcnt lgkmcnt(1)
	v_cmp_ne_u32_e32 vcc, v55, v36
	v_smfmac_f32_16x16x64_fp8_fp8 v[12:15], v[28:29], v[60:63], v37 cbsz:7 abid:1
	s_and_saveexec_b64 s[10:11], vcc
	s_cbranch_execz .LBB101_22
; %bb.20:                               ;   in Loop: Header=BB101_13 Depth=2
	s_mov_b64 s[42:43], 0
.LBB101_21:                             ;   Parent Loop BB101_7 Depth=1
                                        ;     Parent Loop BB101_13 Depth=2
                                        ; =>    This Inner Loop Header: Depth=3
	;;#ASMSTART
	s_sleep 0
	;;#ASMEND
	ds_read_b32 v55, v53 offset:55312
	s_waitcnt lgkmcnt(0)
	v_cmp_eq_u32_e32 vcc, v55, v36
	s_or_b64 s[42:43], vcc, s[42:43]
	s_andn2_b64 exec, exec, s[42:43]
	s_cbranch_execnz .LBB101_21
.LBB101_22:                             ;   in Loop: Header=BB101_13 Depth=2
	s_or_b64 exec, exec, s[10:11]
	v_add_u32_e32 v55, 0x1000, v54
	ds_read2_b32 v[56:57], v55 offset1:32
	ds_read2_b32 v[58:59], v55 offset0:64 offset1:96
	v_add_u32_e32 v55, 0x1400, v54
	ds_read2_b32 v[60:61], v55 offset1:32
	ds_read2_b32 v[62:63], v55 offset0:64 offset1:96
	v_add_u32_e32 v55, 0x1800, v54
	s_waitcnt lgkmcnt(2)
	v_smfmac_f32_16x16x64_fp8_fp8 v[8:11], v[34:35], v[56:59], v37 cbsz:7 abid:1
	ds_read2_b32 v[56:57], v55 offset1:32
	ds_read2_b32 v[58:59], v55 offset0:64 offset1:96
	v_add_u32_e32 v55, 0x1c00, v54
	s_waitcnt lgkmcnt(2)
	v_smfmac_f32_16x16x64_fp8_fp8 v[8:11], v[32:33], v[60:63], v37 cbsz:7 abid:1
	ds_read2_b32 v[60:61], v55 offset1:32
	ds_read2_b32 v[62:63], v55 offset0:64 offset1:96
	ds_read_b32 v55, v53 offset:55316
	ds_write_b32 v53, v52 offset:55312
	s_waitcnt lgkmcnt(4)
	v_smfmac_f32_16x16x64_fp8_fp8 v[8:11], v[30:31], v[56:59], v37 cbsz:7 abid:1
	s_waitcnt lgkmcnt(1)
	v_cmp_ne_u32_e32 vcc, v55, v36
	v_smfmac_f32_16x16x64_fp8_fp8 v[8:11], v[28:29], v[60:63], v37 cbsz:7 abid:1
	s_and_saveexec_b64 s[10:11], vcc
	s_cbranch_execz .LBB101_25
; %bb.23:                               ;   in Loop: Header=BB101_13 Depth=2
	s_mov_b64 s[42:43], 0
.LBB101_24:                             ;   Parent Loop BB101_7 Depth=1
                                        ;     Parent Loop BB101_13 Depth=2
                                        ; =>    This Inner Loop Header: Depth=3
	;;#ASMSTART
	s_sleep 0
	;;#ASMEND
	ds_read_b32 v55, v53 offset:55316
	s_waitcnt lgkmcnt(0)
	v_cmp_eq_u32_e32 vcc, v55, v36
	s_or_b64 s[42:43], vcc, s[42:43]
	s_andn2_b64 exec, exec, s[42:43]
	s_cbranch_execnz .LBB101_24
.LBB101_25:                             ;   in Loop: Header=BB101_13 Depth=2
	s_or_b64 exec, exec, s[10:11]
	v_add_u32_e32 v55, 0x2000, v54
	ds_read2_b32 v[56:57], v55 offset1:32
	ds_read2_b32 v[58:59], v55 offset0:64 offset1:96
	v_add_u32_e32 v55, 0x2400, v54
	ds_read2_b32 v[60:61], v55 offset1:32
	ds_read2_b32 v[62:63], v55 offset0:64 offset1:96
	v_add_u32_e32 v55, 0x2800, v54
	s_waitcnt lgkmcnt(2)
	v_smfmac_f32_16x16x64_fp8_fp8 v[4:7], v[34:35], v[56:59], v37 cbsz:7 abid:1
	ds_read2_b32 v[56:57], v55 offset1:32
	ds_read2_b32 v[58:59], v55 offset0:64 offset1:96
	v_add_u32_e32 v55, 0x2c00, v54
	s_waitcnt lgkmcnt(2)
	v_smfmac_f32_16x16x64_fp8_fp8 v[4:7], v[32:33], v[60:63], v37 cbsz:7 abid:1
	ds_read2_b32 v[60:61], v55 offset1:32
	ds_read2_b32 v[62:63], v55 offset0:64 offset1:96
	ds_read_b32 v55, v53 offset:55320
	ds_write_b32 v53, v52 offset:55316
	s_waitcnt lgkmcnt(4)
	v_smfmac_f32_16x16x64_fp8_fp8 v[4:7], v[30:31], v[56:59], v37 cbsz:7 abid:1
	s_waitcnt lgkmcnt(1)
	v_cmp_ne_u32_e32 vcc, v55, v36
	v_smfmac_f32_16x16x64_fp8_fp8 v[4:7], v[28:29], v[60:63], v37 cbsz:7 abid:1
	s_and_saveexec_b64 s[10:11], vcc
	s_cbranch_execz .LBB101_12
; %bb.26:                               ;   in Loop: Header=BB101_13 Depth=2
	s_mov_b64 s[42:43], 0
.LBB101_27:                             ;   Parent Loop BB101_7 Depth=1
                                        ;     Parent Loop BB101_13 Depth=2
                                        ; =>    This Inner Loop Header: Depth=3
	;;#ASMSTART
	s_sleep 0
	;;#ASMEND
	ds_read_b32 v55, v53 offset:55320
	s_waitcnt lgkmcnt(0)
	v_cmp_eq_u32_e32 vcc, v55, v36
	s_or_b64 s[42:43], vcc, s[42:43]
	s_andn2_b64 exec, exec, s[42:43]
	s_cbranch_execnz .LBB101_27
	s_branch .LBB101_12
.LBB101_28:                             ;   in Loop: Header=BB101_7 Depth=1
	s_or_b64 exec, exec, s[8:9]
.LBB101_29:                             ;   in Loop: Header=BB101_7 Depth=1
	s_or_b64 exec, exec, s[6:7]
	v_cmp_le_i32_e32 vcc, s37, v16
	v_mov_b32_e32 v32, v13
	v_mov_b32_e32 v33, v14
	;; [unrolled: 1-line block ×3, first 2 shown]
	s_waitcnt vmcnt(0)
	v_cndmask_b32_e32 v28, 0, v20, vcc
	v_pk_add_f32 v[12:13], v[32:33], v[12:13]
	v_cmp_eq_u32_e32 vcc, 1, v40
	v_pk_mul_f32 v[12:13], v[28:29], v[12:13] op_sel_hi:[0,1]
	v_cmp_eq_u32_e64 s[6:7], 2, v40
	v_cndmask_b32_e32 v28, v12, v13, vcc
	v_cmp_le_i32_e64 s[10:11], s37, v41
	v_mov_b32_e32 v32, v9
	v_mov_b32_e32 v33, v10
	;; [unrolled: 1-line block ×3, first 2 shown]
	v_cndmask_b32_e64 v14, v28, v14, s[6:7]
	v_cndmask_b32_e64 v28, 0, v20, s[10:11]
	v_pk_add_f32 v[8:9], v[32:33], v[8:9]
	v_cmp_eq_u32_e64 s[8:9], 3, v40
	v_pk_mul_f32 v[8:9], v[28:29], v[8:9] op_sel_hi:[0,1]
	v_cmp_le_i32_e64 s[10:11], s37, v42
	v_mov_b32_e32 v32, v5
	v_mov_b32_e32 v33, v6
	;; [unrolled: 1-line block ×3, first 2 shown]
	v_cndmask_b32_e64 v14, v14, v15, s[8:9]
	v_cndmask_b32_e32 v15, v8, v9, vcc
	v_cndmask_b32_e64 v28, 0, v20, s[10:11]
	v_pk_add_f32 v[4:5], v[32:33], v[4:5]
	v_cndmask_b32_e64 v10, v15, v10, s[6:7]
	v_pk_mul_f32 v[4:5], v[28:29], v[4:5] op_sel_hi:[0,1]
	v_cndmask_b32_e64 v10, v10, v11, s[8:9]
	v_cndmask_b32_e32 v11, v4, v5, vcc
	v_cmp_le_i32_e32 vcc, s37, v43
	v_mov_b32_e32 v28, v1
	v_mov_b32_e32 v29, v2
	;; [unrolled: 1-line block ×3, first 2 shown]
	v_cndmask_b32_e32 v20, 0, v20, vcc
	v_pk_add_f32 v[0:1], v[28:29], v[0:1]
	v_cndmask_b32_e64 v6, v11, v6, s[6:7]
	v_pk_mul_f32 v[0:1], v[20:21], v[0:1] op_sel_hi:[0,1]
	v_cmp_ne_u32_e32 vcc, 0, v40
	v_cndmask_b32_e64 v6, v6, v7, s[8:9]
	ds_bpermute_b32 v14, v49, v14
	v_cndmask_b32_e32 v7, v0, v1, vcc
	v_cndmask_b32_e64 v2, v7, v2, s[6:7]
	v_cndmask_b32_e64 v2, v2, v3, s[8:9]
	ds_bpermute_b32 v10, v49, v10
	ds_bpermute_b32 v6, v49, v6
	ds_bpermute_b32 v2, v49, v2
	v_cmp_lt_i32_e32 vcc, s58, v44
	s_and_saveexec_b64 s[8:9], vcc
	s_cbranch_execz .LBB101_31
; %bb.30:                               ;   in Loop: Header=BB101_7 Depth=1
	s_mul_i32 s6, s56, s13
	s_ashr_i32 s7, s6, 31
	s_lshl_b64 s[6:7], s[6:7], 1
	s_add_u32 s10, s24, s6
	s_addc_u32 s11, s25, s7
	s_ashr_i32 s37, s36, 31
	s_lshl_b64 s[6:7], s[36:37], 1
	s_add_u32 s10, s10, s6
	s_addc_u32 s11, s11, s7
	v_cmp_ne_u32_e32 vcc, 0, v40
	v_cmp_eq_u32_e64 s[6:7], 0, v40
	v_lshlrev_b32_e32 v20, 1, v16
	s_waitcnt lgkmcnt(0)
	v_cndmask_b32_e32 v7, v1, v2, vcc
	v_cndmask_b32_e64 v11, v0, v2, s[6:7]
	v_cndmask_b32_e32 v5, v5, v6, vcc
	v_cndmask_b32_e64 v4, v4, v6, s[6:7]
	;; [unrolled: 2-line block ×4, first 2 shown]
	v_cvt_f16_f32_e32 v8, v8
	v_cvt_f16_f32_sdwa v6, v6 dst_sel:WORD_1 dst_unused:UNUSED_PAD src0_sel:DWORD
	v_cvt_f16_f32_e32 v9, v3
	v_cvt_f16_f32_sdwa v10, v2 dst_sel:WORD_1 dst_unused:UNUSED_PAD src0_sel:DWORD
	v_lshl_add_u64 v[0:1], v[18:19], 1, s[10:11]
	v_lshl_add_u64 v[0:1], v[0:1], 0, v[20:21]
	v_or_b32_e32 v2, v6, v8
	v_or_b32_e32 v6, v10, v9
	;;#ASMSTART
	global_atomic_pk_add_f16 v[0:1], v2, off
	
	;;#ASMEND
	v_lshl_add_u64 v[2:3], v[0:1], 0, 32
	;;#ASMSTART
	global_atomic_pk_add_f16 v[2:3], v6, off
	
	;;#ASMEND
	v_cvt_f16_f32_e32 v4, v4
	v_cvt_f16_f32_sdwa v5, v5 dst_sel:WORD_1 dst_unused:UNUSED_PAD src0_sel:DWORD
	v_cvt_f16_f32_e32 v6, v11
	v_cvt_f16_f32_sdwa v7, v7 dst_sel:WORD_1 dst_unused:UNUSED_PAD src0_sel:DWORD
	v_lshl_add_u64 v[2:3], v[0:1], 0, 64
	v_or_b32_e32 v4, v5, v4
	;;#ASMSTART
	global_atomic_pk_add_f16 v[2:3], v4, off
	
	;;#ASMEND
	v_lshl_add_u64 v[0:1], v[0:1], 0, s[30:31]
	v_or_b32_e32 v2, v7, v6
	;;#ASMSTART
	global_atomic_pk_add_f16 v[0:1], v2, off
	
	;;#ASMEND
.LBB101_31:                             ;   in Loop: Header=BB101_7 Depth=1
	s_or_b64 exec, exec, s[8:9]
	v_subrev_u32_e32 v50, s55, v50
.LBB101_32:                             ;   in Loop: Header=BB101_7 Depth=1
	s_or_b64 exec, exec, s[40:41]
.LBB101_33:                             ;   in Loop: Header=BB101_7 Depth=1
	s_andn2_saveexec_b64 s[6:7], s[38:39]
	s_cbranch_execz .LBB101_42
; %bb.34:                               ;   in Loop: Header=BB101_7 Depth=1
	s_lshl_b32 s40, s55, 2
	v_cmp_gt_i32_e32 vcc, s40, v50
	s_and_saveexec_b64 s[8:9], vcc
	s_cbranch_execz .LBB101_41
; %bb.35:                               ;   in Loop: Header=BB101_7 Depth=1
	s_mul_i32 s10, s36, s15
	s_ashr_i32 s11, s10, 31
	s_waitcnt lgkmcnt(0)
	s_add_u32 s10, s22, s10
	s_addc_u32 s11, s23, s11
	s_ashr_i32 s36, s57, 31
	s_add_u32 s10, s10, s57
	s_addc_u32 s11, s11, s36
	v_lshl_add_u64 v[0:1], s[10:11], 0, v[24:25]
	v_lshl_add_u64 v[28:29], v[0:1], 0, v[22:23]
	s_mov_b64 s[10:11], 0
	s_branch .LBB101_37
.LBB101_36:                             ;   in Loop: Header=BB101_37 Depth=2
	s_or_b64 exec, exec, s[36:37]
	v_lshl_or_b32 v31, v20, 12, v45
	;;#ASMSTART
	s_waitcnt vmcnt(3)
	;;#ASMEND
	ds_write2_b32 v31, v12, v13 offset1:32
	ds_write2_b32 v31, v14, v15 offset0:64 offset1:96
	v_add_u32_e32 v12, 0x400, v31
	;;#ASMSTART
	s_waitcnt vmcnt(2)
	;;#ASMEND
	ds_write2_b32 v12, v8, v9 offset1:32
	ds_write2_b32 v12, v10, v11 offset0:64 offset1:96
	v_add_u32_e32 v8, 0x800, v31
	;; [unrolled: 6-line block ×4, first 2 shown]
	v_add_u32_e32 v50, s18, v50
	ds_write_b32 v30, v0 offset:12
	v_add_u32_e32 v30, s18, v20
	v_cmp_le_i32_e32 vcc, s40, v50
	v_add_u32_e32 v0, 2, v36
	s_or_b64 s[10:11], vcc, s[10:11]
	v_cmp_lt_i32_e32 vcc, 11, v30
	s_nop 1
	v_cndmask_b32_e32 v36, v36, v0, vcc
	s_andn2_b64 exec, exec, s[10:11]
	s_cbranch_execz .LBB101_40
.LBB101_37:                             ;   Parent Loop BB101_7 Depth=1
                                        ; =>  This Loop Header: Depth=2
                                        ;       Child Loop BB101_39 Depth 3
	v_cmp_gt_i32_e32 vcc, 12, v30
	s_nop 1
	v_cndmask_b32_e64 v0, -12, 0, vcc
	v_add_u32_e32 v20, v0, v30
	v_ashrrev_i32_e32 v0, 31, v50
	v_lshrrev_b32_e32 v0, 30, v0
	v_add_u32_e32 v0, v50, v0
	v_and_b32_e32 v1, -4, v0
	v_lshlrev_b32_e32 v0, 6, v0
	v_sub_u32_e32 v2, v50, v1
	v_and_b32_e32 v0, 0xffffff00, v0
	v_ashrrev_i32_e32 v1, 31, v0
	v_mul_lo_u32 v2, s48, v2
	v_lshl_add_u64 v[0:1], v[28:29], 0, v[0:1]
	v_ashrrev_i32_e32 v3, 31, v2
	v_lshl_add_u64 v[0:1], v[0:1], 0, v[2:3]
	v_lshlrev_b32_e32 v30, 2, v20
	;;#ASMSTART
	global_load_dwordx4 v[12:15], v[0:1], off offset:0    sc0 sc1 nt  
	global_load_dwordx4 v[8:11], v[0:1], off offset:64   sc0 sc1 nt  
	global_load_dwordx4 v[4:7], v[0:1], off offset:128  sc0 sc1 nt  
	global_load_dwordx4 v[0:3], v[0:1], off offset:192  sc0 sc1 nt  
	
	;;#ASMEND
	ds_read_b32 v31, v30 offset:55308
	v_add_u32_e32 v30, 0xd800, v30
	s_waitcnt lgkmcnt(0)
	v_cmp_ne_u32_e32 vcc, v31, v36
	s_and_saveexec_b64 s[36:37], vcc
	s_cbranch_execz .LBB101_36
; %bb.38:                               ;   in Loop: Header=BB101_37 Depth=2
	s_mov_b64 s[38:39], 0
.LBB101_39:                             ;   Parent Loop BB101_7 Depth=1
                                        ;     Parent Loop BB101_37 Depth=2
                                        ; =>    This Inner Loop Header: Depth=3
	;;#ASMSTART
	s_sleep 0
	;;#ASMEND
	ds_read_b32 v31, v30 offset:12
	s_waitcnt lgkmcnt(0)
	v_cmp_eq_u32_e32 vcc, v31, v36
	s_or_b64 s[38:39], vcc, s[38:39]
	s_andn2_b64 exec, exec, s[38:39]
	s_cbranch_execnz .LBB101_39
	s_branch .LBB101_36
.LBB101_40:                             ;   in Loop: Header=BB101_7 Depth=1
	s_or_b64 exec, exec, s[10:11]
.LBB101_41:                             ;   in Loop: Header=BB101_7 Depth=1
	s_or_b64 exec, exec, s[8:9]
	v_subrev_u32_e32 v50, s40, v50
.LBB101_42:                             ;   in Loop: Header=BB101_7 Depth=1
	s_or_b64 exec, exec, s[6:7]
.LBB101_43:                             ;   in Loop: Header=BB101_7 Depth=1
	s_andn2_saveexec_b64 s[6:7], s[34:35]
	s_cbranch_execz .LBB101_6
; %bb.44:                               ;   in Loop: Header=BB101_7 Depth=1
	v_cmp_gt_i32_e32 vcc, s55, v50
	s_and_saveexec_b64 s[8:9], vcc
	s_cbranch_execz .LBB101_5
; %bb.45:                               ;   in Loop: Header=BB101_7 Depth=1
	s_mul_i32 s56, s56, s14
	s_ashr_i32 s10, s56, 31
	s_waitcnt lgkmcnt(0)
	s_add_u32 s11, s20, s56
	s_addc_u32 s34, s21, s10
	s_ashr_i32 s35, s57, 31
	v_cmp_le_i32_e32 vcc, s58, v47
	s_add_u32 s10, s11, s57
	s_addc_u32 s11, s34, s35
	v_cndmask_b32_e32 v0, 0, v48, vcc
	v_ashrrev_i32_e32 v1, 31, v0
	v_lshl_add_u64 v[0:1], s[10:11], 0, v[0:1]
	v_lshlrev_b32_e32 v2, 8, v50
	v_lshl_add_u64 v[0:1], v[0:1], 0, v[26:27]
	v_ashrrev_i32_e32 v3, 31, v2
	v_lshl_add_u64 v[8:9], v[0:1], 0, v[2:3]
	s_mov_b64 s[10:11], 0
	s_branch .LBB101_47
.LBB101_46:                             ;   in Loop: Header=BB101_47 Depth=2
	s_or_b64 exec, exec, s[34:35]
	;;#ASMSTART
	s_waitcnt vmcnt(1)
	v_pack_b32_f16 v12, v4, v5, op_sel:[0,0]
	v_pack_b32_f16 v13, v4, v5, op_sel:[1,1]
	;; [unrolled: 1-line block ×4, first 2 shown]
	v_swap_b32 v12, v4
	v_swap_b32 v13, v6
	v_swap_b32 v14, v5
	v_swap_b32 v15, v7
	;;#ASMEND
	v_add_u32_e32 v50, s17, v50
	v_lshl_add_u32 v12, v10, 11, v46
	ds_write2_b32 v12, v4, v5 offset1:32
	ds_write2_b32 v12, v6, v7 offset0:64 offset1:96
	;;#ASMSTART
	s_waitcnt vmcnt(0)
	v_pack_b32_f16 v4, v0, v1, op_sel:[0,0]
	v_pack_b32_f16 v5, v0, v1, op_sel:[1,1]
	;; [unrolled: 1-line block ×4, first 2 shown]
	v_swap_b32 v4, v0
	v_swap_b32 v5, v2
	;; [unrolled: 1-line block ×4, first 2 shown]
	;;#ASMEND
	v_add_u32_e32 v30, s17, v10
	v_add_u32_e32 v4, 0x400, v12
	ds_write2_b32 v4, v0, v1 offset1:32
	ds_write2_b32 v4, v2, v3 offset0:64 offset1:96
	v_add_u32_e32 v0, 1, v36
	v_cmp_le_i32_e32 vcc, s55, v50
	ds_write_b32 v11, v0
	v_add_u32_e32 v0, 2, v36
	s_or_b64 s[10:11], vcc, s[10:11]
	v_cmp_lt_i32_e32 vcc, 2, v30
	v_lshl_add_u64 v[8:9], v[8:9], 0, s[28:29]
	s_nop 0
	v_cndmask_b32_e32 v36, v36, v0, vcc
	s_andn2_b64 exec, exec, s[10:11]
	s_cbranch_execz .LBB101_4
.LBB101_47:                             ;   Parent Loop BB101_7 Depth=1
                                        ; =>  This Loop Header: Depth=2
                                        ;       Child Loop BB101_49 Depth 3
	v_cmp_gt_i32_e32 vcc, 3, v30
	s_nop 1
	v_cndmask_b32_e64 v0, -3, 0, vcc
	v_add_u32_e32 v10, v0, v30
	v_lshlrev_b32_e32 v11, 2, v10
	;;#ASMSTART
	global_load_dwordx4 v[4:7], v[8:9], off offset:0  
	global_load_dwordx4 v[0:3], v[8:9], off offset:128
	
	;;#ASMEND
	ds_read_b32 v12, v11 offset:55296
	v_add_u32_e32 v11, 0xd800, v11
	s_waitcnt lgkmcnt(0)
	v_cmp_ne_u32_e32 vcc, v12, v36
	s_and_saveexec_b64 s[34:35], vcc
	s_cbranch_execz .LBB101_46
; %bb.48:                               ;   in Loop: Header=BB101_47 Depth=2
	s_mov_b64 s[36:37], 0
.LBB101_49:                             ;   Parent Loop BB101_7 Depth=1
                                        ;     Parent Loop BB101_47 Depth=2
                                        ; =>    This Inner Loop Header: Depth=3
	;;#ASMSTART
	s_sleep 0
	;;#ASMEND
	ds_read_b32 v12, v11
	s_waitcnt lgkmcnt(0)
	v_cmp_eq_u32_e32 vcc, v12, v36
	s_or_b64 s[36:37], vcc, s[36:37]
	s_andn2_b64 exec, exec, s[36:37]
	s_cbranch_execnz .LBB101_49
	s_branch .LBB101_46
.LBB101_50:
	s_endpgm
	.section	.rodata,"a",@progbits
	.p2align	6, 0x0
	.amdhsa_kernel _Z19_skinny_gemm_kernelILi1ELi4ELi3ELi8ELi4EEvPKhS1_P6__halfPKfiiiiiiii
		.amdhsa_group_segment_fixed_size 55356
		.amdhsa_private_segment_fixed_size 0
		.amdhsa_kernarg_size 64
		.amdhsa_user_sgpr_count 2
		.amdhsa_user_sgpr_dispatch_ptr 0
		.amdhsa_user_sgpr_queue_ptr 0
		.amdhsa_user_sgpr_kernarg_segment_ptr 1
		.amdhsa_user_sgpr_dispatch_id 0
		.amdhsa_user_sgpr_kernarg_preload_length 0
		.amdhsa_user_sgpr_kernarg_preload_offset 0
		.amdhsa_user_sgpr_private_segment_size 0
		.amdhsa_uses_dynamic_stack 0
		.amdhsa_enable_private_segment 0
		.amdhsa_system_sgpr_workgroup_id_x 1
		.amdhsa_system_sgpr_workgroup_id_y 0
		.amdhsa_system_sgpr_workgroup_id_z 0
		.amdhsa_system_sgpr_workgroup_info 0
		.amdhsa_system_vgpr_workitem_id 0
		.amdhsa_next_free_vgpr 64
		.amdhsa_next_free_sgpr 59
		.amdhsa_accum_offset 64
		.amdhsa_reserve_vcc 1
		.amdhsa_float_round_mode_32 0
		.amdhsa_float_round_mode_16_64 0
		.amdhsa_float_denorm_mode_32 3
		.amdhsa_float_denorm_mode_16_64 3
		.amdhsa_dx10_clamp 1
		.amdhsa_ieee_mode 1
		.amdhsa_fp16_overflow 0
		.amdhsa_tg_split 0
		.amdhsa_exception_fp_ieee_invalid_op 0
		.amdhsa_exception_fp_denorm_src 0
		.amdhsa_exception_fp_ieee_div_zero 0
		.amdhsa_exception_fp_ieee_overflow 0
		.amdhsa_exception_fp_ieee_underflow 0
		.amdhsa_exception_fp_ieee_inexact 0
		.amdhsa_exception_int_div_zero 0
	.end_amdhsa_kernel
	.section	.text._Z19_skinny_gemm_kernelILi1ELi4ELi3ELi8ELi4EEvPKhS1_P6__halfPKfiiiiiiii,"axG",@progbits,_Z19_skinny_gemm_kernelILi1ELi4ELi3ELi8ELi4EEvPKhS1_P6__halfPKfiiiiiiii,comdat
.Lfunc_end101:
	.size	_Z19_skinny_gemm_kernelILi1ELi4ELi3ELi8ELi4EEvPKhS1_P6__halfPKfiiiiiiii, .Lfunc_end101-_Z19_skinny_gemm_kernelILi1ELi4ELi3ELi8ELi4EEvPKhS1_P6__halfPKfiiiiiiii
                                        ; -- End function
	.set _Z19_skinny_gemm_kernelILi1ELi4ELi3ELi8ELi4EEvPKhS1_P6__halfPKfiiiiiiii.num_vgpr, 64
	.set _Z19_skinny_gemm_kernelILi1ELi4ELi3ELi8ELi4EEvPKhS1_P6__halfPKfiiiiiiii.num_agpr, 0
	.set _Z19_skinny_gemm_kernelILi1ELi4ELi3ELi8ELi4EEvPKhS1_P6__halfPKfiiiiiiii.numbered_sgpr, 59
	.set _Z19_skinny_gemm_kernelILi1ELi4ELi3ELi8ELi4EEvPKhS1_P6__halfPKfiiiiiiii.num_named_barrier, 0
	.set _Z19_skinny_gemm_kernelILi1ELi4ELi3ELi8ELi4EEvPKhS1_P6__halfPKfiiiiiiii.private_seg_size, 0
	.set _Z19_skinny_gemm_kernelILi1ELi4ELi3ELi8ELi4EEvPKhS1_P6__halfPKfiiiiiiii.uses_vcc, 1
	.set _Z19_skinny_gemm_kernelILi1ELi4ELi3ELi8ELi4EEvPKhS1_P6__halfPKfiiiiiiii.uses_flat_scratch, 0
	.set _Z19_skinny_gemm_kernelILi1ELi4ELi3ELi8ELi4EEvPKhS1_P6__halfPKfiiiiiiii.has_dyn_sized_stack, 0
	.set _Z19_skinny_gemm_kernelILi1ELi4ELi3ELi8ELi4EEvPKhS1_P6__halfPKfiiiiiiii.has_recursion, 0
	.set _Z19_skinny_gemm_kernelILi1ELi4ELi3ELi8ELi4EEvPKhS1_P6__halfPKfiiiiiiii.has_indirect_call, 0
	.section	.AMDGPU.csdata,"",@progbits
; Kernel info:
; codeLenInByte = 4164
; TotalNumSgprs: 65
; NumVgprs: 64
; NumAgprs: 0
; TotalNumVgprs: 64
; ScratchSize: 0
; MemoryBound: 0
; FloatMode: 240
; IeeeMode: 1
; LDSByteSize: 55356 bytes/workgroup (compile time only)
; SGPRBlocks: 8
; VGPRBlocks: 7
; NumSGPRsForWavesPerEU: 65
; NumVGPRsForWavesPerEU: 64
; AccumOffset: 64
; Occupancy: 8
; WaveLimiterHint : 0
; COMPUTE_PGM_RSRC2:SCRATCH_EN: 0
; COMPUTE_PGM_RSRC2:USER_SGPR: 2
; COMPUTE_PGM_RSRC2:TRAP_HANDLER: 0
; COMPUTE_PGM_RSRC2:TGID_X_EN: 1
; COMPUTE_PGM_RSRC2:TGID_Y_EN: 0
; COMPUTE_PGM_RSRC2:TGID_Z_EN: 0
; COMPUTE_PGM_RSRC2:TIDIG_COMP_CNT: 0
; COMPUTE_PGM_RSRC3_GFX90A:ACCUM_OFFSET: 15
; COMPUTE_PGM_RSRC3_GFX90A:TG_SPLIT: 0
	.section	.text._Z19_skinny_gemm_kernelILi1ELi4ELi3ELi16ELi4EEvPKhS1_P6__halfPKfiiiiiiii,"axG",@progbits,_Z19_skinny_gemm_kernelILi1ELi4ELi3ELi16ELi4EEvPKhS1_P6__halfPKfiiiiiiii,comdat
	.protected	_Z19_skinny_gemm_kernelILi1ELi4ELi3ELi16ELi4EEvPKhS1_P6__halfPKfiiiiiiii ; -- Begin function _Z19_skinny_gemm_kernelILi1ELi4ELi3ELi16ELi4EEvPKhS1_P6__halfPKfiiiiiiii
	.globl	_Z19_skinny_gemm_kernelILi1ELi4ELi3ELi16ELi4EEvPKhS1_P6__halfPKfiiiiiiii
	.p2align	8
	.type	_Z19_skinny_gemm_kernelILi1ELi4ELi3ELi16ELi4EEvPKhS1_P6__halfPKfiiiiiiii,@function
_Z19_skinny_gemm_kernelILi1ELi4ELi3ELi16ELi4EEvPKhS1_P6__halfPKfiiiiiiii: ; @_Z19_skinny_gemm_kernelILi1ELi4ELi3ELi16ELi4EEvPKhS1_P6__halfPKfiiiiiiii
; %bb.0:
	v_cmp_gt_u32_e32 vcc, 15, v0
	v_lshlrev_b32_e32 v1, 2, v0
	s_and_saveexec_b64 s[4:5], vcc
; %bb.1:
	v_mov_b32_e32 v2, 0
	ds_write_b32 v1, v2 offset:30720
; %bb.2:
	s_or_b64 exec, exec, s[4:5]
	s_load_dwordx8 s[20:27], s[0:1], 0x20
	s_waitcnt lgkmcnt(0)
	s_barrier
	s_add_i32 s3, s20, 15
	s_ashr_i32 s5, s3, 31
	s_add_i32 s4, s21, 63
	s_lshr_b32 s5, s5, 28
	s_ashr_i32 s6, s4, 31
	s_add_i32 s3, s3, s5
	s_ashr_i32 s33, s3, 4
	s_lshr_b32 s3, s6, 26
	s_add_i32 s4, s4, s3
	s_ashr_i32 s50, s4, 6
	s_mul_i32 s3, s50, s33
	s_mul_i32 s3, s3, s24
	s_add_i32 s4, s3, 0x12f
	s_mul_hi_i32 s4, s4, 0x6bca1af3
	s_lshr_b32 s5, s4, 31
	s_ashr_i32 s4, s4, 7
	s_add_i32 s4, s4, s5
	s_add_i32 s5, s2, 1
	s_mul_i32 s5, s4, s5
	v_cvt_f64_i32_e32 v[2:3], s3
	v_cvt_f64_u32_e32 v[4:5], s5
	v_min_f64 v[2:3], v[2:3], v[4:5]
	v_cvt_i32_f64_e32 v17, v[2:3]
	s_mul_i32 s51, s4, s2
	v_cmp_ge_i32_e32 vcc, s51, v17
	s_cbranch_vccnz .LBB102_51
; %bb.3:
	v_lshrrev_b32_e32 v2, 6, v0
	s_add_i32 s4, s26, s25
	s_load_dwordx8 s[36:43], s[0:1], 0x0
	v_cmp_le_i32_e64 s[0:1], s4, v2
	v_mov_b32_e32 v3, s25
	v_cmp_le_i32_e64 s[2:3], s25, v2
	v_mov_b32_e32 v4, s26
	v_cndmask_b32_e64 v4, 0, v4, s[0:1]
	v_cndmask_b32_e64 v3, 0, v3, s[2:3]
	s_abs_i32 s5, s24
	v_add_u32_e32 v3, v3, v4
	v_cvt_f32_u32_e32 v4, s5
	v_sub_u32_e32 v24, v2, v3
	s_ashr_i32 s6, s22, 31
	s_lshr_b32 s6, s6, 25
	v_rcp_iflag_f32_e32 v3, v4
	s_sub_i32 s9, 0, s5
	s_add_i32 s6, s22, s6
	s_ashr_i32 s6, s6, 7
	v_mul_f32_e32 v3, 0x4f7ffffe, v3
	v_cvt_u32_f32_e32 v3, v3
	s_abs_i32 s8, s6
	s_xor_b32 s7, s6, s24
	s_ashr_i32 s7, s7, 31
	v_readfirstlane_b32 s10, v3
	s_mul_i32 s9, s9, s10
	s_mul_hi_u32 s9, s10, s9
	s_add_i32 s10, s10, s9
	s_mul_hi_u32 s9, s8, s10
	s_mul_i32 s10, s9, s5
	s_sub_i32 s8, s8, s10
	s_add_i32 s10, s9, 1
	s_sub_i32 s11, s8, s5
	s_cmp_ge_u32 s8, s5
	s_cselect_b32 s9, s10, s9
	s_cselect_b32 s8, s11, s8
	s_add_i32 s10, s9, 1
	s_cmp_ge_u32 s8, s5
	s_cselect_b32 s5, s10, s9
	s_xor_b32 s5, s5, s7
	s_sub_i32 s52, s5, s7
	s_add_i32 s24, s24, -1
	s_mul_i32 s5, s52, s24
	s_add_i32 s4, s4, s27
	s_sub_i32 s53, s6, s5
	v_cmp_gt_i32_e64 s[4:5], s4, v2
	v_lshlrev_b32_e32 v2, 1, v0
	v_lshlrev_b32_e32 v3, 4, v0
	v_and_b32_e32 v1, 60, v1
	v_and_b32_e32 v2, 64, v2
	;; [unrolled: 1-line block ×3, first 2 shown]
	s_abs_i32 s54, s33
	v_or3_b32 v39, v1, v2, v4
	v_and_b32_e32 v1, 1, v0
	v_cvt_f32_u32_e32 v6, s54
	v_lshlrev_b32_e32 v2, 1, v1
	v_lshrrev_b32_e32 v4, 2, v0
	v_and_b32_e32 v16, 14, v0
	v_sub_u32_e32 v2, v0, v2
	v_and_or_b32 v41, v4, 12, v1
	v_bitop3_b32 v42, v0, 1, v0 bitop3:0xc
	v_bitop3_b32 v43, v0, 3, 1 bitop3:0x6c
	v_and_b32_e32 v20, 48, v3
	v_bfe_u32 v1, v0, 2, 4
	v_and_b32_e32 v3, 60, v0
	v_lshlrev_b32_e32 v5, 8, v0
	v_lshlrev_b32_e32 v0, 6, v0
	v_and_b32_e32 v5, 0x200, v5
	v_and_b32_e32 v0, 64, v0
	v_or3_b32 v47, v3, v5, v0
	v_rcp_iflag_f32_e32 v0, v6
	s_abs_i32 s56, s50
	v_mul_lo_u32 v22, s23, v1
	v_mul_lo_u32 v49, s22, v1
	v_cvt_f32_u32_e32 v1, s56
	v_mul_f32_e32 v0, 0x4f7ffffe, v0
	v_cvt_u32_f32_e32 v0, v0
	v_mad_u64_u32 v[18:19], s[6:7], s21, v41, v[16:17]
	v_rcp_iflag_f32_e32 v1, v1
	v_readfirstlane_b32 s7, v0
	s_sub_i32 s6, 0, s54
	s_mul_i32 s6, s6, s7
	v_mul_f32_e32 v0, 0x4f7ffffe, v1
	v_cvt_u32_f32_e32 v0, v0
	s_mul_hi_u32 s6, s7, s6
	v_add_u32_e32 v2, 1, v2
	s_add_i32 s58, s7, s6
	s_sub_i32 s6, 0, s56
	v_readfirstlane_b32 s7, v0
	v_mbcnt_lo_u32_b32 v0, -1, 0
	v_and_b32_e32 v2, 63, v2
	s_mul_i32 s6, s6, s7
	v_mbcnt_hi_u32_b32 v0, -1, v0
	s_mul_hi_u32 s6, s7, s6
	v_and_or_b32 v0, v0, 64, v2
	v_cndmask_b32_e64 v38, 0, 1, s[0:1]
	v_or_b32_e32 v40, 0x6000, v39
	v_or_b32_e32 v44, 16, v16
	;; [unrolled: 1-line block ×4, first 2 shown]
	v_ashrrev_i32_e32 v19, 31, v18
	s_ashr_i32 s29, s21, 31
	s_mov_b32 s28, s21
	v_ashrrev_i32_e32 v23, 31, v22
	v_mov_b32_e32 v21, 0
	s_lshl_b32 s55, s23, 4
	v_bitop3_b32 v48, v4, 15, v4 bitop3:0xc
	v_or_b32_e32 v50, 0x6000, v47
	s_ashr_i32 s57, s33, 31
	s_ashr_i32 s59, s50, 31
	s_add_i32 s60, s7, s6
	s_mov_b64 s[30:31], 0x60
	v_lshlrev_b32_e32 v51, 2, v0
	v_mov_b32_e32 v52, v24
	s_branch .LBB102_7
.LBB102_4:                              ;   in Loop: Header=BB102_7 Depth=1
	s_or_b64 exec, exec, s[10:11]
.LBB102_5:                              ;   in Loop: Header=BB102_7 Depth=1
	s_or_b64 exec, exec, s[8:9]
	v_subrev_u32_e32 v52, s61, v52
.LBB102_6:                              ;   in Loop: Header=BB102_7 Depth=1
	s_or_b64 exec, exec, s[6:7]
	s_add_i32 s51, s51, 1
	v_cmp_ge_i32_e32 vcc, s51, v17
	s_cbranch_vccnz .LBB102_51
.LBB102_7:                              ; =>This Loop Header: Depth=1
                                        ;     Child Loop BB102_13 Depth 2
                                        ;       Child Loop BB102_15 Depth 3
                                        ;       Child Loop BB102_18 Depth 3
	;; [unrolled: 1-line block ×5, first 2 shown]
                                        ;     Child Loop BB102_38 Depth 2
                                        ;       Child Loop BB102_40 Depth 3
                                        ;     Child Loop BB102_48 Depth 2
                                        ;       Child Loop BB102_50 Depth 3
	s_abs_i32 s7, s51
	s_mul_hi_u32 s8, s7, s58
	s_mul_i32 s9, s8, s54
	s_ashr_i32 s6, s51, 31
	s_sub_i32 s7, s7, s9
	s_xor_b32 s6, s6, s57
	s_add_i32 s9, s8, 1
	s_sub_i32 s10, s7, s54
	s_cmp_ge_u32 s7, s54
	s_cselect_b32 s8, s9, s8
	s_cselect_b32 s7, s10, s7
	s_add_i32 s9, s8, 1
	s_cmp_ge_u32 s7, s54
	s_cselect_b32 s7, s9, s8
	s_xor_b32 s7, s7, s6
	s_sub_i32 s6, s7, s6
	s_abs_i32 s8, s6
	s_mul_i32 s7, s6, s33
	s_mul_hi_u32 s9, s8, s60
	s_sub_i32 s7, s51, s7
	s_mul_i32 s10, s9, s56
	s_lshl_b32 s62, s7, 4
	s_ashr_i32 s7, s6, 31
	s_sub_i32 s8, s8, s10
	s_xor_b32 s7, s7, s59
	s_add_i32 s10, s9, 1
	s_sub_i32 s11, s8, s56
	s_cmp_ge_u32 s8, s56
	s_cselect_b32 s9, s10, s9
	s_cselect_b32 s8, s11, s8
	s_add_i32 s10, s9, 1
	s_cmp_ge_u32 s8, s56
	s_cselect_b32 s8, s10, s9
	s_xor_b32 s8, s8, s7
	s_sub_i32 s7, s8, s7
	s_mul_i32 s8, s7, s52
	s_lshl_b32 s63, s8, 7
	s_cmp_eq_u32 s7, s24
	s_cselect_b32 s61, s53, s52
	s_sub_i32 s64, s62, s20
	s_add_i32 s64, s64, 16
	s_and_saveexec_b64 s[8:9], s[2:3]
	s_xor_b64 s[34:35], exec, s[8:9]
	s_cbranch_execz .LBB102_44
; %bb.8:                                ;   in Loop: Header=BB102_7 Depth=1
	s_mul_i32 s7, s7, s50
	s_sub_i32 s6, s6, s7
	s_lshl_b32 s6, s6, 6
	s_sub_i32 s45, s6, s21
	s_add_i32 s45, s45, 64
	s_max_i32 s7, s45, 0
	s_sub_i32 s44, s6, s7
	s_and_saveexec_b64 s[6:7], s[0:1]
	s_xor_b64 s[46:47], exec, s[6:7]
	s_cbranch_execz .LBB102_34
; %bb.9:                                ;   in Loop: Header=BB102_7 Depth=1
	s_and_saveexec_b64 s[48:49], s[4:5]
	s_cbranch_execz .LBB102_33
; %bb.10:                               ;   in Loop: Header=BB102_7 Depth=1
	s_waitcnt lgkmcnt(0)
	global_load_dword v53, v21, s[42:43]
	v_mov_b32_e32 v15, 0
	v_cmp_gt_i32_e32 vcc, s61, v52
	v_mov_b32_e32 v14, v15
	v_mov_b32_e32 v13, v15
	;; [unrolled: 1-line block ×15, first 2 shown]
	s_and_saveexec_b64 s[6:7], vcc
	s_cbranch_execz .LBB102_29
; %bb.11:                               ;   in Loop: Header=BB102_7 Depth=1
	v_mov_b32_e32 v0, 0
	s_mov_b64 s[8:9], 0
	v_mov_b32_e32 v1, v0
	v_mov_b32_e32 v2, v0
	v_mov_b32_e32 v3, v0
	v_mov_b32_e32 v4, v0
	v_mov_b32_e32 v5, v0
	v_mov_b32_e32 v6, v0
	v_mov_b32_e32 v7, v0
	v_mov_b32_e32 v8, v0
	v_mov_b32_e32 v9, v0
	v_mov_b32_e32 v10, v0
	v_mov_b32_e32 v11, v0
	v_mov_b32_e32 v12, v0
	v_mov_b32_e32 v13, v0
	v_mov_b32_e32 v14, v0
	v_mov_b32_e32 v15, v0
	s_branch .LBB102_13
.LBB102_12:                             ;   in Loop: Header=BB102_13 Depth=2
	s_or_b64 exec, exec, s[10:11]
	v_add_u32_e32 v33, 0x1800, v32
	ds_read2_b32 v[34:35], v33 offset1:32
	v_add_u32_e32 v52, s27, v52
	v_cmp_le_i32_e32 vcc, s61, v52
	s_or_b64 s[8:9], vcc, s[8:9]
	s_waitcnt lgkmcnt(0)
	v_mfma_f32_16x16x32_fp8_fp8 v[0:3], v[26:27], v[34:35], v[0:3]
	ds_read2_b32 v[26:27], v33 offset0:128 offset1:160
	v_add_u32_e32 v34, 0x1c00, v32
	ds_read2_b32 v[32:33], v34 offset1:32
	s_waitcnt lgkmcnt(1)
	v_mfma_f32_16x16x32_fp8_fp8 v[0:3], v[24:25], v[26:27], v[0:3]
	ds_read2_b32 v[26:27], v34 offset0:128 offset1:160
	v_add_u32_e32 v24, s27, v55
	v_add_u32_e32 v25, 2, v38
	s_waitcnt lgkmcnt(1)
	v_mfma_f32_16x16x32_fp8_fp8 v[0:3], v[30:31], v[32:33], v[0:3]
	v_cmp_lt_i32_e32 vcc, 2, v24
	;;#ASMSTART
	s_waitcnt lgkmcnt(0)
	;;#ASMEND
	ds_write_b32 v54, v56 offset:30744
	s_waitcnt lgkmcnt(1)
	v_mfma_f32_16x16x32_fp8_fp8 v[0:3], v[28:29], v[26:27], v[0:3]
	v_cndmask_b32_e32 v38, v38, v25, vcc
	s_andn2_b64 exec, exec, s[8:9]
	s_cbranch_execz .LBB102_28
.LBB102_13:                             ;   Parent Loop BB102_7 Depth=1
                                        ; =>  This Loop Header: Depth=2
                                        ;       Child Loop BB102_15 Depth 3
                                        ;       Child Loop BB102_18 Depth 3
	;; [unrolled: 1-line block ×5, first 2 shown]
	v_cmp_gt_i32_e32 vcc, 3, v24
	s_nop 1
	v_cndmask_b32_e64 v25, -3, 0, vcc
	v_add_u32_e32 v55, v25, v24
	v_lshlrev_b32_e32 v54, 4, v55
	ds_read_b32 v24, v54 offset:30732
	s_waitcnt lgkmcnt(0)
	v_cmp_ne_u32_e32 vcc, v24, v38
	s_and_saveexec_b64 s[10:11], vcc
	s_cbranch_execz .LBB102_16
; %bb.14:                               ;   in Loop: Header=BB102_13 Depth=2
	s_mov_b64 s[12:13], 0
.LBB102_15:                             ;   Parent Loop BB102_7 Depth=1
                                        ;     Parent Loop BB102_13 Depth=2
                                        ; =>    This Inner Loop Header: Depth=3
	;;#ASMSTART
	s_sleep 0
	;;#ASMEND
	ds_read_b32 v24, v54 offset:30732
	s_waitcnt lgkmcnt(0)
	v_cmp_eq_u32_e32 vcc, v24, v38
	s_or_b64 s[12:13], vcc, s[12:13]
	s_andn2_b64 exec, exec, s[12:13]
	s_cbranch_execnz .LBB102_15
.LBB102_16:                             ;   in Loop: Header=BB102_13 Depth=2
	s_or_b64 exec, exec, s[10:11]
	v_lshlrev_b32_e32 v57, 13, v55
	v_or_b32_e32 v24, v39, v57
	ds_read2_b32 v[28:29], v24 offset1:32
	ds_read2_b32 v[32:33], v24 offset0:128 offset1:160
	v_add_u32_e32 v24, 0x400, v24
	v_add_u32_e32 v56, 1, v38
	ds_read2_b32 v[36:37], v24 offset1:32
	ds_read2_b32 v[34:35], v24 offset0:128 offset1:160
	;;#ASMSTART
	s_waitcnt lgkmcnt(0)
	;;#ASMEND
	ds_write_b32 v54, v56 offset:30732
	v_lshlrev_b32_e32 v24, 2, v55
	ds_read_b32 v25, v24 offset:30720
	v_add_u32_e32 v58, 0x7800, v24
	s_waitcnt lgkmcnt(0)
	v_cmp_ne_u32_e32 vcc, v25, v38
	s_and_saveexec_b64 s[10:11], vcc
	s_cbranch_execz .LBB102_19
; %bb.17:                               ;   in Loop: Header=BB102_13 Depth=2
	s_mov_b64 s[12:13], 0
.LBB102_18:                             ;   Parent Loop BB102_7 Depth=1
                                        ;     Parent Loop BB102_13 Depth=2
                                        ; =>    This Inner Loop Header: Depth=3
	;;#ASMSTART
	s_sleep 0
	;;#ASMEND
	ds_read_b32 v24, v58
	s_waitcnt lgkmcnt(0)
	v_cmp_eq_u32_e32 vcc, v24, v38
	s_or_b64 s[12:13], vcc, s[12:13]
	s_andn2_b64 exec, exec, s[12:13]
	s_cbranch_execnz .LBB102_18
.LBB102_19:                             ;   in Loop: Header=BB102_13 Depth=2
	s_or_b64 exec, exec, s[10:11]
	v_lshl_add_u32 v30, v55, 11, v40
	ds_read2_b32 v[26:27], v30 offset1:32
	ds_read2_b32 v[24:25], v30 offset0:128 offset1:160
	v_add_u32_e32 v59, 0x400, v30
	ds_read2_b32 v[30:31], v59 offset1:32
	ds_write_b32 v58, v56
	s_waitcnt lgkmcnt(3)
	v_mfma_f32_16x16x32_fp8_fp8 v[12:15], v[26:27], v[28:29], v[12:15]
	ds_read2_b32 v[28:29], v59 offset0:128 offset1:160
	s_waitcnt lgkmcnt(3)
	v_mfma_f32_16x16x32_fp8_fp8 v[12:15], v[24:25], v[32:33], v[12:15]
	ds_read_b32 v32, v54 offset:30736
	s_waitcnt lgkmcnt(0)
	v_cmp_ne_u32_e32 vcc, v32, v38
	v_mfma_f32_16x16x32_fp8_fp8 v[12:15], v[30:31], v[36:37], v[12:15]
	v_mfma_f32_16x16x32_fp8_fp8 v[12:15], v[28:29], v[34:35], v[12:15]
	s_and_saveexec_b64 s[10:11], vcc
	s_cbranch_execz .LBB102_22
; %bb.20:                               ;   in Loop: Header=BB102_13 Depth=2
	s_mov_b64 s[12:13], 0
.LBB102_21:                             ;   Parent Loop BB102_7 Depth=1
                                        ;     Parent Loop BB102_13 Depth=2
                                        ; =>    This Inner Loop Header: Depth=3
	;;#ASMSTART
	s_sleep 0
	;;#ASMEND
	ds_read_b32 v32, v54 offset:30736
	s_waitcnt lgkmcnt(0)
	v_cmp_eq_u32_e32 vcc, v32, v38
	s_or_b64 s[12:13], vcc, s[12:13]
	s_andn2_b64 exec, exec, s[12:13]
	s_cbranch_execnz .LBB102_21
.LBB102_22:                             ;   in Loop: Header=BB102_13 Depth=2
	s_or_b64 exec, exec, s[10:11]
	v_add_u32_e32 v32, v39, v57
	v_add_u32_e32 v33, 0x800, v32
	ds_read2_b32 v[34:35], v33 offset1:32
	s_waitcnt lgkmcnt(0)
	v_mfma_f32_16x16x32_fp8_fp8 v[8:11], v[26:27], v[34:35], v[8:11]
	ds_read2_b32 v[34:35], v33 offset0:128 offset1:160
	v_add_u32_e32 v33, 0xc00, v32
	s_waitcnt lgkmcnt(0)
	v_mfma_f32_16x16x32_fp8_fp8 v[8:11], v[24:25], v[34:35], v[8:11]
	ds_read2_b32 v[34:35], v33 offset1:32
	ds_read2_b32 v[36:37], v33 offset0:128 offset1:160
	;;#ASMSTART
	s_waitcnt lgkmcnt(0)
	;;#ASMEND
	ds_read_b32 v33, v54 offset:30740
	s_waitcnt lgkmcnt(2)
	v_mfma_f32_16x16x32_fp8_fp8 v[8:11], v[30:31], v[34:35], v[8:11]
	ds_write_b32 v54, v56 offset:30736
	s_waitcnt lgkmcnt(1)
	v_cmp_ne_u32_e32 vcc, v33, v38
	v_mfma_f32_16x16x32_fp8_fp8 v[8:11], v[28:29], v[36:37], v[8:11]
	s_and_saveexec_b64 s[10:11], vcc
	s_cbranch_execz .LBB102_25
; %bb.23:                               ;   in Loop: Header=BB102_13 Depth=2
	s_mov_b64 s[12:13], 0
.LBB102_24:                             ;   Parent Loop BB102_7 Depth=1
                                        ;     Parent Loop BB102_13 Depth=2
                                        ; =>    This Inner Loop Header: Depth=3
	;;#ASMSTART
	s_sleep 0
	;;#ASMEND
	ds_read_b32 v33, v54 offset:30740
	s_waitcnt lgkmcnt(0)
	v_cmp_eq_u32_e32 vcc, v33, v38
	s_or_b64 s[12:13], vcc, s[12:13]
	s_andn2_b64 exec, exec, s[12:13]
	s_cbranch_execnz .LBB102_24
.LBB102_25:                             ;   in Loop: Header=BB102_13 Depth=2
	s_or_b64 exec, exec, s[10:11]
	v_add_u32_e32 v33, 0x1000, v32
	ds_read2_b32 v[34:35], v33 offset1:32
	s_waitcnt lgkmcnt(0)
	v_mfma_f32_16x16x32_fp8_fp8 v[4:7], v[26:27], v[34:35], v[4:7]
	ds_read2_b32 v[34:35], v33 offset0:128 offset1:160
	v_add_u32_e32 v33, 0x1400, v32
	s_waitcnt lgkmcnt(0)
	v_mfma_f32_16x16x32_fp8_fp8 v[4:7], v[24:25], v[34:35], v[4:7]
	ds_read2_b32 v[34:35], v33 offset1:32
	ds_read2_b32 v[36:37], v33 offset0:128 offset1:160
	;;#ASMSTART
	s_waitcnt lgkmcnt(0)
	;;#ASMEND
	ds_read_b32 v33, v54 offset:30744
	s_waitcnt lgkmcnt(2)
	v_mfma_f32_16x16x32_fp8_fp8 v[4:7], v[30:31], v[34:35], v[4:7]
	ds_write_b32 v54, v56 offset:30740
	s_waitcnt lgkmcnt(1)
	v_cmp_ne_u32_e32 vcc, v33, v38
	v_mfma_f32_16x16x32_fp8_fp8 v[4:7], v[28:29], v[36:37], v[4:7]
	s_and_saveexec_b64 s[10:11], vcc
	s_cbranch_execz .LBB102_12
; %bb.26:                               ;   in Loop: Header=BB102_13 Depth=2
	s_mov_b64 s[12:13], 0
.LBB102_27:                             ;   Parent Loop BB102_7 Depth=1
                                        ;     Parent Loop BB102_13 Depth=2
                                        ; =>    This Inner Loop Header: Depth=3
	;;#ASMSTART
	s_sleep 0
	;;#ASMEND
	ds_read_b32 v33, v54 offset:30744
	s_waitcnt lgkmcnt(0)
	v_cmp_eq_u32_e32 vcc, v33, v38
	s_or_b64 s[12:13], vcc, s[12:13]
	s_andn2_b64 exec, exec, s[12:13]
	s_cbranch_execnz .LBB102_27
	s_branch .LBB102_12
.LBB102_28:                             ;   in Loop: Header=BB102_7 Depth=1
	s_or_b64 exec, exec, s[8:9]
.LBB102_29:                             ;   in Loop: Header=BB102_7 Depth=1
	s_or_b64 exec, exec, s[6:7]
	v_cmp_le_i32_e32 vcc, s45, v16
	v_cmp_eq_u32_e64 s[6:7], 2, v42
	v_cmp_eq_u32_e64 s[8:9], 3, v42
	s_waitcnt vmcnt(0)
	v_cndmask_b32_e32 v26, 0, v53, vcc
	v_pk_mul_f32 v[14:15], v[26:27], v[14:15] op_sel_hi:[0,1]
	v_pk_mul_f32 v[26:27], v[26:27], v[12:13] op_sel_hi:[0,1]
	v_cmp_eq_u32_e32 vcc, 1, v42
	v_cmp_eq_u32_e64 s[10:11], 0, v42
	v_cmp_le_i32_e64 s[14:15], s45, v44
	v_cndmask_b32_e32 v12, v26, v27, vcc
	v_cndmask_b32_e64 v12, v12, v14, s[6:7]
	v_cndmask_b32_e64 v12, v12, v15, s[8:9]
	ds_bpermute_b32 v25, v51, v12
	v_cmp_eq_u32_e64 s[12:13], 1, v43
	v_cmp_le_i32_e64 s[18:19], s45, v45
	v_cmp_eq_u32_e64 s[16:17], 3, v43
	s_waitcnt lgkmcnt(0)
	v_cndmask_b32_e64 v12, v15, v25, s[8:9]
	v_cndmask_b32_e64 v15, v26, v25, s[10:11]
	;; [unrolled: 1-line block ×4, first 2 shown]
	v_cndmask_b32_e32 v14, v27, v25, vcc
	v_pk_mul_f32 v[10:11], v[26:27], v[10:11] op_sel_hi:[0,1]
	v_pk_mul_f32 v[26:27], v[26:27], v[8:9] op_sel_hi:[0,1]
	v_cndmask_b32_e32 v8, v26, v27, vcc
	v_cndmask_b32_e64 v8, v8, v10, s[6:7]
	v_cndmask_b32_e64 v8, v8, v11, s[8:9]
	ds_bpermute_b32 v28, v51, v8
	v_cndmask_b32_e64 v25, v15, v14, s[12:13]
	v_cmp_eq_u32_e64 s[14:15], 2, v43
	s_waitcnt lgkmcnt(0)
	v_cndmask_b32_e64 v9, v11, v28, s[8:9]
	v_cndmask_b32_e64 v8, v25, v13, s[14:15]
	;; [unrolled: 1-line block ×3, first 2 shown]
	v_cndmask_b32_e32 v25, v27, v28, vcc
	v_cndmask_b32_e64 v26, v26, v28, s[10:11]
	v_cndmask_b32_e64 v28, 0, v53, s[18:19]
	v_pk_mul_f32 v[30:31], v[28:29], v[4:5] op_sel_hi:[0,1]
	v_pk_mul_f32 v[6:7], v[28:29], v[6:7] op_sel_hi:[0,1]
	v_cndmask_b32_e32 v4, v30, v31, vcc
	v_cndmask_b32_e64 v4, v4, v6, s[6:7]
	v_cndmask_b32_e64 v4, v4, v7, s[8:9]
	ds_bpermute_b32 v11, v51, v4
	v_cmp_le_i32_e64 s[18:19], s45, v46
	v_cndmask_b32_e64 v4, v26, v25, s[12:13]
	v_cndmask_b32_e64 v4, v4, v10, s[14:15]
	;; [unrolled: 1-line block ×3, first 2 shown]
	s_waitcnt lgkmcnt(0)
	v_cndmask_b32_e64 v29, v30, v11, s[10:11]
	v_cndmask_b32_e64 v30, 0, v53, s[18:19]
	v_cndmask_b32_e32 v28, v31, v11, vcc
	v_pk_mul_f32 v[32:33], v[30:31], v[2:3] op_sel_hi:[0,1]
	v_pk_mul_f32 v[30:31], v[30:31], v[0:1] op_sel_hi:[0,1]
	v_cndmask_b32_e32 v0, v30, v31, vcc
	v_cndmask_b32_e64 v0, v0, v32, s[6:7]
	v_cndmask_b32_e64 v0, v0, v33, s[8:9]
	ds_bpermute_b32 v1, v51, v0
	v_cndmask_b32_e64 v6, v6, v11, s[6:7]
	v_cndmask_b32_e64 v0, v29, v28, s[12:13]
	;; [unrolled: 1-line block ×5, first 2 shown]
	v_cmp_ne_u32_e32 vcc, 0, v42
	ds_bpermute_b32 v2, v51, v0
	s_waitcnt lgkmcnt(1)
	v_cndmask_b32_e64 v3, v33, v1, s[8:9]
	v_cndmask_b32_e64 v7, v32, v1, s[6:7]
	v_cndmask_b32_e32 v0, v31, v1, vcc
	v_cndmask_b32_e64 v1, v30, v1, s[10:11]
	v_cndmask_b32_e64 v11, v1, v0, s[12:13]
	;; [unrolled: 1-line block ×5, first 2 shown]
	ds_bpermute_b32 v8, v51, v8
	ds_bpermute_b32 v4, v51, v4
	;; [unrolled: 1-line block ×3, first 2 shown]
	s_max_i32 s6, s64, 0
	v_add_u32_e32 v27, s6, v41
	v_cmp_gt_u32_e32 vcc, 16, v27
	s_and_saveexec_b64 s[12:13], vcc
	s_cbranch_execz .LBB102_32
; %bb.30:                               ;   in Loop: Header=BB102_7 Depth=1
	v_cmp_eq_u32_e64 s[8:9], 1, v43
	v_cmp_eq_u32_e64 s[10:11], 0, v43
	v_cmp_eq_u32_e32 vcc, 3, v43
	s_waitcnt lgkmcnt(2)
	v_cndmask_b32_e64 v14, v14, v8, s[8:9]
	s_waitcnt lgkmcnt(1)
	v_cndmask_b32_e64 v25, v25, v4, s[8:9]
	v_cndmask_b32_e64 v28, v28, v2, s[8:9]
	s_waitcnt lgkmcnt(0)
	v_cndmask_b32_e64 v30, v0, v11, s[8:9]
	s_mul_i32 s8, s62, s21
	s_ashr_i32 s9, s8, 31
	s_lshl_b64 s[8:9], s[8:9], 1
	v_cndmask_b32_e64 v15, v15, v8, s[10:11]
	v_cndmask_b32_e64 v26, v26, v4, s[10:11]
	;; [unrolled: 1-line block ×4, first 2 shown]
	s_add_u32 s10, s40, s8
	s_addc_u32 s11, s41, s9
	s_ashr_i32 s45, s44, 31
	v_cvt_f16_f32_e32 v15, v15
	v_cvt_f16_f32_sdwa v14, v14 dst_sel:WORD_1 dst_unused:UNUSED_PAD src0_sel:DWORD
	v_cvt_f16_f32_e32 v26, v26
	v_cvt_f16_f32_sdwa v25, v25 dst_sel:WORD_1 dst_unused:UNUSED_PAD src0_sel:DWORD
	s_lshl_b64 s[8:9], s[44:45], 1
	s_add_u32 s8, s10, s8
	s_addc_u32 s9, s11, s9
	v_lshl_add_u64 v[0:1], v[18:19], 1, s[8:9]
	v_or_b32_e32 v14, v14, v15
	v_or_b32_e32 v25, v25, v26
	;;#ASMSTART
	global_atomic_pk_add_f16 v[0:1], v14, off
	
	;;#ASMEND
	v_lshl_add_u64 v[14:15], v[0:1], 0, 32
	;;#ASMSTART
	global_atomic_pk_add_f16 v[14:15], v25, off
	
	;;#ASMEND
	v_cvt_f16_f32_e32 v25, v29
	v_cvt_f16_f32_sdwa v26, v28 dst_sel:WORD_1 dst_unused:UNUSED_PAD src0_sel:DWORD
	v_cvt_f16_f32_e32 v28, v31
	v_cvt_f16_f32_sdwa v29, v30 dst_sel:WORD_1 dst_unused:UNUSED_PAD src0_sel:DWORD
	v_cmp_eq_u32_e64 s[6:7], 2, v43
	v_lshl_add_u64 v[14:15], v[0:1], 0, 64
	v_or_b32_e32 v25, v26, v25
	v_cmp_gt_u32_e64 s[8:9], 14, v27
	;;#ASMSTART
	global_atomic_pk_add_f16 v[14:15], v25, off
	
	;;#ASMEND
	v_lshl_add_u64 v[14:15], v[0:1], 0, s[30:31]
	v_or_b32_e32 v25, v29, v28
	;;#ASMSTART
	global_atomic_pk_add_f16 v[14:15], v25, off
	
	;;#ASMEND
	s_and_b64 exec, exec, s[8:9]
	s_cbranch_execz .LBB102_32
; %bb.31:                               ;   in Loop: Header=BB102_7 Depth=1
	v_cndmask_b32_e32 v12, v12, v8, vcc
	v_cndmask_b32_e64 v8, v13, v8, s[6:7]
	v_cndmask_b32_e32 v9, v9, v4, vcc
	v_cndmask_b32_e64 v4, v10, v4, s[6:7]
	;; [unrolled: 2-line block ×3, first 2 shown]
	v_cndmask_b32_e32 v10, v3, v11, vcc
	v_cvt_f16_f32_e32 v2, v8
	v_cvt_f16_f32_sdwa v3, v12 dst_sel:WORD_1 dst_unused:UNUSED_PAD src0_sel:DWORD
	v_cvt_f16_f32_e32 v4, v4
	v_cvt_f16_f32_sdwa v8, v9 dst_sel:WORD_1 dst_unused:UNUSED_PAD src0_sel:DWORD
	v_cndmask_b32_e64 v7, v7, v11, s[6:7]
	v_lshl_add_u64 v[0:1], s[28:29], 2, v[0:1]
	v_or_b32_e32 v2, v3, v2
	v_or_b32_e32 v4, v8, v4
	;;#ASMSTART
	global_atomic_pk_add_f16 v[0:1], v2, off
	
	;;#ASMEND
	v_lshl_add_u64 v[2:3], v[0:1], 0, 32
	;;#ASMSTART
	global_atomic_pk_add_f16 v[2:3], v4, off
	
	;;#ASMEND
	v_cvt_f16_f32_e32 v4, v6
	v_cvt_f16_f32_sdwa v5, v5 dst_sel:WORD_1 dst_unused:UNUSED_PAD src0_sel:DWORD
	v_cvt_f16_f32_e32 v6, v7
	v_cvt_f16_f32_sdwa v7, v10 dst_sel:WORD_1 dst_unused:UNUSED_PAD src0_sel:DWORD
	v_lshl_add_u64 v[2:3], v[0:1], 0, 64
	v_or_b32_e32 v4, v5, v4
	;;#ASMSTART
	global_atomic_pk_add_f16 v[2:3], v4, off
	
	;;#ASMEND
	v_lshl_add_u64 v[0:1], v[0:1], 0, s[30:31]
	v_or_b32_e32 v2, v7, v6
	;;#ASMSTART
	global_atomic_pk_add_f16 v[0:1], v2, off
	
	;;#ASMEND
.LBB102_32:                             ;   in Loop: Header=BB102_7 Depth=1
	s_or_b64 exec, exec, s[12:13]
	v_subrev_u32_e32 v52, s61, v52
.LBB102_33:                             ;   in Loop: Header=BB102_7 Depth=1
	s_or_b64 exec, exec, s[48:49]
.LBB102_34:                             ;   in Loop: Header=BB102_7 Depth=1
	s_andn2_saveexec_b64 s[6:7], s[46:47]
	s_cbranch_execz .LBB102_43
; %bb.35:                               ;   in Loop: Header=BB102_7 Depth=1
	s_lshl_b32 s16, s61, 2
	v_cmp_gt_i32_e32 vcc, s16, v52
	s_and_saveexec_b64 s[8:9], vcc
	s_cbranch_execz .LBB102_42
; %bb.36:                               ;   in Loop: Header=BB102_7 Depth=1
	s_mul_i32 s10, s44, s23
	s_ashr_i32 s11, s10, 31
	s_waitcnt lgkmcnt(0)
	s_add_u32 s10, s38, s10
	s_addc_u32 s11, s39, s11
	s_ashr_i32 s12, s63, 31
	s_add_u32 s10, s10, s63
	s_addc_u32 s11, s11, s12
	v_lshl_add_u64 v[0:1], s[10:11], 0, v[22:23]
	v_lshl_add_u64 v[8:9], v[0:1], 0, v[20:21]
	s_mov_b64 s[10:11], 0
	s_branch .LBB102_38
.LBB102_37:                             ;   in Loop: Header=BB102_38 Depth=2
	s_or_b64 exec, exec, s[12:13]
	v_lshl_or_b32 v12, v10, 11, v47
	;;#ASMSTART
	s_waitcnt vmcnt(1)
	;;#ASMEND
	ds_write2_b32 v12, v4, v5 offset1:32
	ds_write2_b32 v12, v6, v7 offset0:64 offset1:96
	v_add_u32_e32 v4, 0x400, v12
	v_add_u32_e32 v52, s26, v52
	;;#ASMSTART
	s_waitcnt vmcnt(0)
	;;#ASMEND
	ds_write2_b32 v4, v0, v1 offset1:32
	ds_write2_b32 v4, v2, v3 offset0:64 offset1:96
	v_add_u32_e32 v0, 1, v38
	v_add_u32_e32 v24, s26, v10
	v_cmp_le_i32_e32 vcc, s16, v52
	ds_write_b32 v11, v0 offset:12
	v_add_u32_e32 v0, 2, v38
	s_or_b64 s[10:11], vcc, s[10:11]
	v_cmp_lt_i32_e32 vcc, 11, v24
	s_nop 1
	v_cndmask_b32_e32 v38, v38, v0, vcc
	s_andn2_b64 exec, exec, s[10:11]
	s_cbranch_execz .LBB102_41
.LBB102_38:                             ;   Parent Loop BB102_7 Depth=1
                                        ; =>  This Loop Header: Depth=2
                                        ;       Child Loop BB102_40 Depth 3
	v_cmp_gt_i32_e32 vcc, 12, v24
	s_nop 1
	v_cndmask_b32_e64 v0, -12, 0, vcc
	v_add_u32_e32 v10, v0, v24
	v_ashrrev_i32_e32 v0, 31, v52
	v_lshrrev_b32_e32 v0, 30, v0
	v_add_u32_e32 v0, v52, v0
	v_and_b32_e32 v1, -4, v0
	v_lshlrev_b32_e32 v0, 5, v0
	v_sub_u32_e32 v2, v52, v1
	v_and_b32_e32 v0, 0xffffff80, v0
	v_ashrrev_i32_e32 v1, 31, v0
	v_mul_lo_u32 v2, s55, v2
	v_lshl_add_u64 v[0:1], v[8:9], 0, v[0:1]
	v_ashrrev_i32_e32 v3, 31, v2
	v_lshl_add_u64 v[0:1], v[0:1], 0, v[2:3]
	v_lshlrev_b32_e32 v11, 2, v10
	;;#ASMSTART
	global_load_dwordx4 v[4:7], v[0:1], off offset:0   sc0 sc1 nt  
	global_load_dwordx4 v[0:3], v[0:1], off offset:64  sc0 sc1 nt  
	
	;;#ASMEND
	ds_read_b32 v12, v11 offset:30732
	v_add_u32_e32 v11, 0x7800, v11
	s_waitcnt lgkmcnt(0)
	v_cmp_ne_u32_e32 vcc, v12, v38
	s_and_saveexec_b64 s[12:13], vcc
	s_cbranch_execz .LBB102_37
; %bb.39:                               ;   in Loop: Header=BB102_38 Depth=2
	s_mov_b64 s[14:15], 0
.LBB102_40:                             ;   Parent Loop BB102_7 Depth=1
                                        ;     Parent Loop BB102_38 Depth=2
                                        ; =>    This Inner Loop Header: Depth=3
	;;#ASMSTART
	s_sleep 0
	;;#ASMEND
	ds_read_b32 v12, v11 offset:12
	s_waitcnt lgkmcnt(0)
	v_cmp_eq_u32_e32 vcc, v12, v38
	s_or_b64 s[14:15], vcc, s[14:15]
	s_andn2_b64 exec, exec, s[14:15]
	s_cbranch_execnz .LBB102_40
	s_branch .LBB102_37
.LBB102_41:                             ;   in Loop: Header=BB102_7 Depth=1
	s_or_b64 exec, exec, s[10:11]
.LBB102_42:                             ;   in Loop: Header=BB102_7 Depth=1
	s_or_b64 exec, exec, s[8:9]
	v_subrev_u32_e32 v52, s16, v52
.LBB102_43:                             ;   in Loop: Header=BB102_7 Depth=1
	s_or_b64 exec, exec, s[6:7]
.LBB102_44:                             ;   in Loop: Header=BB102_7 Depth=1
	s_andn2_saveexec_b64 s[6:7], s[34:35]
	s_cbranch_execz .LBB102_6
; %bb.45:                               ;   in Loop: Header=BB102_7 Depth=1
	v_cmp_gt_i32_e32 vcc, s61, v52
	s_and_saveexec_b64 s[8:9], vcc
	s_cbranch_execz .LBB102_5
; %bb.46:                               ;   in Loop: Header=BB102_7 Depth=1
	s_mul_i32 s62, s62, s22
	s_ashr_i32 s10, s62, 31
	s_waitcnt lgkmcnt(0)
	s_add_u32 s11, s36, s62
	s_addc_u32 s12, s37, s10
	s_ashr_i32 s13, s63, 31
	v_cmp_le_i32_e32 vcc, s64, v48
	s_add_u32 s10, s11, s63
	s_addc_u32 s11, s12, s13
	v_cndmask_b32_e32 v0, 0, v49, vcc
	v_ashrrev_i32_e32 v1, 31, v0
	v_lshl_add_u64 v[0:1], s[10:11], 0, v[0:1]
	v_lshl_add_u64 v[8:9], v[0:1], 0, v[20:21]
	s_mov_b64 s[10:11], 0
	s_branch .LBB102_48
.LBB102_47:                             ;   in Loop: Header=BB102_48 Depth=2
	s_or_b64 exec, exec, s[12:13]
	v_lshl_add_u32 v12, v10, 11, v50
	;;#ASMSTART
	s_waitcnt vmcnt(1)
	;;#ASMEND
	ds_write2_b32 v12, v4, v5 offset1:32
	ds_write2_b32 v12, v6, v7 offset0:64 offset1:96
	v_add_u32_e32 v4, 0x400, v12
	v_add_u32_e32 v52, s25, v52
	;;#ASMSTART
	s_waitcnt vmcnt(0)
	;;#ASMEND
	ds_write2_b32 v4, v0, v1 offset1:32
	ds_write2_b32 v4, v2, v3 offset0:64 offset1:96
	v_add_u32_e32 v0, 1, v38
	v_add_u32_e32 v24, s25, v10
	v_cmp_le_i32_e32 vcc, s61, v52
	ds_write_b32 v11, v0
	v_add_u32_e32 v0, 2, v38
	s_or_b64 s[10:11], vcc, s[10:11]
	v_cmp_lt_i32_e32 vcc, 2, v24
	s_nop 1
	v_cndmask_b32_e32 v38, v38, v0, vcc
	s_andn2_b64 exec, exec, s[10:11]
	s_cbranch_execz .LBB102_4
.LBB102_48:                             ;   Parent Loop BB102_7 Depth=1
                                        ; =>  This Loop Header: Depth=2
                                        ;       Child Loop BB102_50 Depth 3
	v_cmp_gt_i32_e32 vcc, 3, v24
	s_nop 1
	v_cndmask_b32_e64 v0, -3, 0, vcc
	v_add_u32_e32 v10, v0, v24
	v_lshlrev_b32_e32 v0, 7, v52
	v_ashrrev_i32_e32 v1, 31, v0
	v_lshl_add_u64 v[0:1], v[8:9], 0, v[0:1]
	v_lshlrev_b32_e32 v11, 2, v10
	;;#ASMSTART
	global_load_dwordx4 v[4:7], v[0:1], off offset:0   
	global_load_dwordx4 v[0:3], v[0:1], off offset:64  
	
	;;#ASMEND
	ds_read_b32 v12, v11 offset:30720
	v_add_u32_e32 v11, 0x7800, v11
	s_waitcnt lgkmcnt(0)
	v_cmp_ne_u32_e32 vcc, v12, v38
	s_and_saveexec_b64 s[12:13], vcc
	s_cbranch_execz .LBB102_47
; %bb.49:                               ;   in Loop: Header=BB102_48 Depth=2
	s_mov_b64 s[14:15], 0
.LBB102_50:                             ;   Parent Loop BB102_7 Depth=1
                                        ;     Parent Loop BB102_48 Depth=2
                                        ; =>    This Inner Loop Header: Depth=3
	;;#ASMSTART
	s_sleep 0
	;;#ASMEND
	ds_read_b32 v12, v11
	s_waitcnt lgkmcnt(0)
	v_cmp_eq_u32_e32 vcc, v12, v38
	s_or_b64 s[14:15], vcc, s[14:15]
	s_andn2_b64 exec, exec, s[14:15]
	s_cbranch_execnz .LBB102_50
	s_branch .LBB102_47
.LBB102_51:
	s_endpgm
	.section	.rodata,"a",@progbits
	.p2align	6, 0x0
	.amdhsa_kernel _Z19_skinny_gemm_kernelILi1ELi4ELi3ELi16ELi4EEvPKhS1_P6__halfPKfiiiiiiii
		.amdhsa_group_segment_fixed_size 30780
		.amdhsa_private_segment_fixed_size 0
		.amdhsa_kernarg_size 64
		.amdhsa_user_sgpr_count 2
		.amdhsa_user_sgpr_dispatch_ptr 0
		.amdhsa_user_sgpr_queue_ptr 0
		.amdhsa_user_sgpr_kernarg_segment_ptr 1
		.amdhsa_user_sgpr_dispatch_id 0
		.amdhsa_user_sgpr_kernarg_preload_length 0
		.amdhsa_user_sgpr_kernarg_preload_offset 0
		.amdhsa_user_sgpr_private_segment_size 0
		.amdhsa_uses_dynamic_stack 0
		.amdhsa_enable_private_segment 0
		.amdhsa_system_sgpr_workgroup_id_x 1
		.amdhsa_system_sgpr_workgroup_id_y 0
		.amdhsa_system_sgpr_workgroup_id_z 0
		.amdhsa_system_sgpr_workgroup_info 0
		.amdhsa_system_vgpr_workitem_id 0
		.amdhsa_next_free_vgpr 60
		.amdhsa_next_free_sgpr 65
		.amdhsa_accum_offset 60
		.amdhsa_reserve_vcc 1
		.amdhsa_float_round_mode_32 0
		.amdhsa_float_round_mode_16_64 0
		.amdhsa_float_denorm_mode_32 3
		.amdhsa_float_denorm_mode_16_64 3
		.amdhsa_dx10_clamp 1
		.amdhsa_ieee_mode 1
		.amdhsa_fp16_overflow 0
		.amdhsa_tg_split 0
		.amdhsa_exception_fp_ieee_invalid_op 0
		.amdhsa_exception_fp_denorm_src 0
		.amdhsa_exception_fp_ieee_div_zero 0
		.amdhsa_exception_fp_ieee_overflow 0
		.amdhsa_exception_fp_ieee_underflow 0
		.amdhsa_exception_fp_ieee_inexact 0
		.amdhsa_exception_int_div_zero 0
	.end_amdhsa_kernel
	.section	.text._Z19_skinny_gemm_kernelILi1ELi4ELi3ELi16ELi4EEvPKhS1_P6__halfPKfiiiiiiii,"axG",@progbits,_Z19_skinny_gemm_kernelILi1ELi4ELi3ELi16ELi4EEvPKhS1_P6__halfPKfiiiiiiii,comdat
.Lfunc_end102:
	.size	_Z19_skinny_gemm_kernelILi1ELi4ELi3ELi16ELi4EEvPKhS1_P6__halfPKfiiiiiiii, .Lfunc_end102-_Z19_skinny_gemm_kernelILi1ELi4ELi3ELi16ELi4EEvPKhS1_P6__halfPKfiiiiiiii
                                        ; -- End function
	.set _Z19_skinny_gemm_kernelILi1ELi4ELi3ELi16ELi4EEvPKhS1_P6__halfPKfiiiiiiii.num_vgpr, 60
	.set _Z19_skinny_gemm_kernelILi1ELi4ELi3ELi16ELi4EEvPKhS1_P6__halfPKfiiiiiiii.num_agpr, 0
	.set _Z19_skinny_gemm_kernelILi1ELi4ELi3ELi16ELi4EEvPKhS1_P6__halfPKfiiiiiiii.numbered_sgpr, 65
	.set _Z19_skinny_gemm_kernelILi1ELi4ELi3ELi16ELi4EEvPKhS1_P6__halfPKfiiiiiiii.num_named_barrier, 0
	.set _Z19_skinny_gemm_kernelILi1ELi4ELi3ELi16ELi4EEvPKhS1_P6__halfPKfiiiiiiii.private_seg_size, 0
	.set _Z19_skinny_gemm_kernelILi1ELi4ELi3ELi16ELi4EEvPKhS1_P6__halfPKfiiiiiiii.uses_vcc, 1
	.set _Z19_skinny_gemm_kernelILi1ELi4ELi3ELi16ELi4EEvPKhS1_P6__halfPKfiiiiiiii.uses_flat_scratch, 0
	.set _Z19_skinny_gemm_kernelILi1ELi4ELi3ELi16ELi4EEvPKhS1_P6__halfPKfiiiiiiii.has_dyn_sized_stack, 0
	.set _Z19_skinny_gemm_kernelILi1ELi4ELi3ELi16ELi4EEvPKhS1_P6__halfPKfiiiiiiii.has_recursion, 0
	.set _Z19_skinny_gemm_kernelILi1ELi4ELi3ELi16ELi4EEvPKhS1_P6__halfPKfiiiiiiii.has_indirect_call, 0
	.section	.AMDGPU.csdata,"",@progbits
; Kernel info:
; codeLenInByte = 4060
; TotalNumSgprs: 71
; NumVgprs: 60
; NumAgprs: 0
; TotalNumVgprs: 60
; ScratchSize: 0
; MemoryBound: 0
; FloatMode: 240
; IeeeMode: 1
; LDSByteSize: 30780 bytes/workgroup (compile time only)
; SGPRBlocks: 8
; VGPRBlocks: 7
; NumSGPRsForWavesPerEU: 71
; NumVGPRsForWavesPerEU: 60
; AccumOffset: 60
; Occupancy: 8
; WaveLimiterHint : 0
; COMPUTE_PGM_RSRC2:SCRATCH_EN: 0
; COMPUTE_PGM_RSRC2:USER_SGPR: 2
; COMPUTE_PGM_RSRC2:TRAP_HANDLER: 0
; COMPUTE_PGM_RSRC2:TGID_X_EN: 1
; COMPUTE_PGM_RSRC2:TGID_Y_EN: 0
; COMPUTE_PGM_RSRC2:TGID_Z_EN: 0
; COMPUTE_PGM_RSRC2:TIDIG_COMP_CNT: 0
; COMPUTE_PGM_RSRC3_GFX90A:ACCUM_OFFSET: 14
; COMPUTE_PGM_RSRC3_GFX90A:TG_SPLIT: 0
	.section	.text._Z19_skinny_gemm_kernelILi1ELi4ELi3ELi16ELi8EEvPKhS1_P6__halfPKfiiiiiiii,"axG",@progbits,_Z19_skinny_gemm_kernelILi1ELi4ELi3ELi16ELi8EEvPKhS1_P6__halfPKfiiiiiiii,comdat
	.protected	_Z19_skinny_gemm_kernelILi1ELi4ELi3ELi16ELi8EEvPKhS1_P6__halfPKfiiiiiiii ; -- Begin function _Z19_skinny_gemm_kernelILi1ELi4ELi3ELi16ELi8EEvPKhS1_P6__halfPKfiiiiiiii
	.globl	_Z19_skinny_gemm_kernelILi1ELi4ELi3ELi16ELi8EEvPKhS1_P6__halfPKfiiiiiiii
	.p2align	8
	.type	_Z19_skinny_gemm_kernelILi1ELi4ELi3ELi16ELi8EEvPKhS1_P6__halfPKfiiiiiiii,@function
_Z19_skinny_gemm_kernelILi1ELi4ELi3ELi16ELi8EEvPKhS1_P6__halfPKfiiiiiiii: ; @_Z19_skinny_gemm_kernelILi1ELi4ELi3ELi16ELi8EEvPKhS1_P6__halfPKfiiiiiiii
; %bb.0:
	v_cmp_gt_u32_e32 vcc, 15, v0
	v_lshlrev_b32_e32 v1, 2, v0
	s_and_saveexec_b64 s[4:5], vcc
; %bb.1:
	v_mov_b32_e32 v2, 0
	ds_write_b32 v1, v2 offset:61440
; %bb.2:
	s_or_b64 exec, exec, s[4:5]
	s_load_dwordx8 s[20:27], s[0:1], 0x20
	s_waitcnt lgkmcnt(0)
	s_barrier
	s_add_i32 s3, s20, 15
	s_ashr_i32 s5, s3, 31
	s_add_i32 s4, s21, 63
	s_lshr_b32 s5, s5, 28
	s_ashr_i32 s6, s4, 31
	s_add_i32 s3, s3, s5
	s_ashr_i32 s33, s3, 4
	s_lshr_b32 s3, s6, 26
	s_add_i32 s4, s4, s3
	s_ashr_i32 s50, s4, 6
	s_mul_i32 s3, s50, s33
	s_mul_i32 s3, s3, s24
	s_add_i32 s4, s3, 0x12f
	s_mul_hi_i32 s4, s4, 0x6bca1af3
	s_lshr_b32 s5, s4, 31
	s_ashr_i32 s4, s4, 7
	s_add_i32 s4, s4, s5
	s_add_i32 s5, s2, 1
	s_mul_i32 s5, s4, s5
	v_cvt_f64_i32_e32 v[2:3], s3
	v_cvt_f64_u32_e32 v[4:5], s5
	v_min_f64 v[2:3], v[2:3], v[4:5]
	v_cvt_i32_f64_e32 v17, v[2:3]
	s_mul_i32 s51, s4, s2
	v_cmp_ge_i32_e32 vcc, s51, v17
	s_cbranch_vccnz .LBB103_51
; %bb.3:
	v_lshrrev_b32_e32 v2, 6, v0
	s_add_i32 s4, s26, s25
	s_load_dwordx8 s[36:43], s[0:1], 0x0
	v_cmp_le_i32_e64 s[0:1], s4, v2
	v_mov_b32_e32 v3, s25
	v_cmp_le_i32_e64 s[2:3], s25, v2
	v_mov_b32_e32 v4, s26
	v_cndmask_b32_e64 v4, 0, v4, s[0:1]
	v_cndmask_b32_e64 v3, 0, v3, s[2:3]
	s_abs_i32 s5, s24
	v_add_u32_e32 v3, v3, v4
	v_cvt_f32_u32_e32 v4, s5
	v_sub_u32_e32 v26, v2, v3
	s_ashr_i32 s6, s22, 31
	s_lshr_b32 s6, s6, 24
	v_rcp_iflag_f32_e32 v3, v4
	s_sub_i32 s9, 0, s5
	s_add_i32 s6, s22, s6
	s_ashr_i32 s6, s6, 8
	v_mul_f32_e32 v3, 0x4f7ffffe, v3
	v_cvt_u32_f32_e32 v3, v3
	s_abs_i32 s8, s6
	s_xor_b32 s7, s6, s24
	s_ashr_i32 s7, s7, 31
	v_readfirstlane_b32 s10, v3
	s_mul_i32 s9, s9, s10
	s_mul_hi_u32 s9, s10, s9
	s_add_i32 s10, s10, s9
	s_mul_hi_u32 s9, s8, s10
	s_mul_i32 s10, s9, s5
	s_sub_i32 s8, s8, s10
	s_add_i32 s10, s9, 1
	s_sub_i32 s11, s8, s5
	s_cmp_ge_u32 s8, s5
	s_cselect_b32 s9, s10, s9
	s_cselect_b32 s8, s11, s8
	s_add_i32 s10, s9, 1
	s_cmp_ge_u32 s8, s5
	s_cselect_b32 s5, s10, s9
	s_xor_b32 s5, s5, s7
	s_sub_i32 s52, s5, s7
	s_add_i32 s24, s24, -1
	s_mul_i32 s5, s52, s24
	s_add_i32 s4, s4, s27
	s_sub_i32 s53, s6, s5
	v_cmp_gt_i32_e64 s[4:5], s4, v2
	v_lshlrev_b32_e32 v2, 1, v0
	v_lshlrev_b32_e32 v3, 4, v0
	v_and_b32_e32 v1, 60, v1
	v_and_b32_e32 v2, 64, v2
	v_and_b32_e32 v4, 0x100, v3
	s_abs_i32 s54, s33
	v_or3_b32 v51, v1, v2, v4
	v_and_b32_e32 v1, 1, v0
	v_cvt_f32_u32_e32 v6, s54
	v_lshlrev_b32_e32 v2, 1, v1
	v_lshrrev_b32_e32 v4, 2, v0
	v_and_b32_e32 v16, 14, v0
	v_sub_u32_e32 v2, v0, v2
	v_and_or_b32 v53, v4, 12, v1
	v_bitop3_b32 v54, v0, 1, v0 bitop3:0xc
	v_bitop3_b32 v55, v0, 3, 1 bitop3:0x6c
	v_and_b32_e32 v20, 48, v3
	v_bfe_u32 v1, v0, 2, 4
	v_and_b32_e32 v3, 60, v0
	v_lshlrev_b32_e32 v5, 8, v0
	v_lshlrev_b32_e32 v0, 6, v0
	v_and_b32_e32 v5, 0x200, v5
	v_and_b32_e32 v0, 64, v0
	v_or3_b32 v59, v3, v5, v0
	v_rcp_iflag_f32_e32 v0, v6
	s_abs_i32 s56, s50
	v_mul_lo_u32 v22, s23, v1
	v_mul_lo_u32 v61, s22, v1
	v_cvt_f32_u32_e32 v1, s56
	v_mul_f32_e32 v0, 0x4f7ffffe, v0
	v_cvt_u32_f32_e32 v0, v0
	v_mad_u64_u32 v[18:19], s[6:7], s21, v53, v[16:17]
	v_rcp_iflag_f32_e32 v1, v1
	v_readfirstlane_b32 s7, v0
	s_sub_i32 s6, 0, s54
	s_mul_i32 s6, s6, s7
	v_mul_f32_e32 v0, 0x4f7ffffe, v1
	v_cvt_u32_f32_e32 v0, v0
	s_mul_hi_u32 s6, s7, s6
	v_add_u32_e32 v2, 1, v2
	s_add_i32 s58, s7, s6
	s_sub_i32 s6, 0, s56
	v_readfirstlane_b32 s7, v0
	v_mbcnt_lo_u32_b32 v0, -1, 0
	v_and_b32_e32 v2, 63, v2
	s_mul_i32 s6, s6, s7
	v_mbcnt_hi_u32_b32 v0, -1, v0
	s_mul_hi_u32 s6, s7, s6
	v_and_or_b32 v0, v0, 64, v2
	v_cndmask_b32_e64 v50, 0, 1, s[0:1]
	v_or_b32_e32 v52, 0xc000, v51
	v_or_b32_e32 v56, 16, v16
	;; [unrolled: 1-line block ×4, first 2 shown]
	v_ashrrev_i32_e32 v19, 31, v18
	s_ashr_i32 s29, s21, 31
	s_mov_b32 s28, s21
	v_ashrrev_i32_e32 v23, 31, v22
	v_mov_b32_e32 v21, 0
	s_lshl_b32 s55, s23, 4
	v_bitop3_b32 v60, v4, 15, v4 bitop3:0xc
	v_or_b32_e32 v62, 0xc000, v59
	s_ashr_i32 s57, s33, 31
	s_ashr_i32 s59, s50, 31
	s_add_i32 s60, s7, s6
	s_mov_b64 s[30:31], 0x60
	v_lshlrev_b32_e32 v63, 2, v0
	v_mov_b32_e32 v64, v26
	s_branch .LBB103_7
.LBB103_4:                              ;   in Loop: Header=BB103_7 Depth=1
	s_or_b64 exec, exec, s[10:11]
.LBB103_5:                              ;   in Loop: Header=BB103_7 Depth=1
	s_or_b64 exec, exec, s[8:9]
	v_subrev_u32_e32 v64, s61, v64
.LBB103_6:                              ;   in Loop: Header=BB103_7 Depth=1
	s_or_b64 exec, exec, s[6:7]
	s_add_i32 s51, s51, 1
	v_cmp_ge_i32_e32 vcc, s51, v17
	s_cbranch_vccnz .LBB103_51
.LBB103_7:                              ; =>This Loop Header: Depth=1
                                        ;     Child Loop BB103_13 Depth 2
                                        ;       Child Loop BB103_15 Depth 3
                                        ;       Child Loop BB103_18 Depth 3
	;; [unrolled: 1-line block ×5, first 2 shown]
                                        ;     Child Loop BB103_38 Depth 2
                                        ;       Child Loop BB103_40 Depth 3
                                        ;     Child Loop BB103_48 Depth 2
                                        ;       Child Loop BB103_50 Depth 3
	s_abs_i32 s7, s51
	s_mul_hi_u32 s8, s7, s58
	s_mul_i32 s9, s8, s54
	s_ashr_i32 s6, s51, 31
	s_sub_i32 s7, s7, s9
	s_xor_b32 s6, s6, s57
	s_add_i32 s9, s8, 1
	s_sub_i32 s10, s7, s54
	s_cmp_ge_u32 s7, s54
	s_cselect_b32 s8, s9, s8
	s_cselect_b32 s7, s10, s7
	s_add_i32 s9, s8, 1
	s_cmp_ge_u32 s7, s54
	s_cselect_b32 s7, s9, s8
	s_xor_b32 s7, s7, s6
	s_sub_i32 s6, s7, s6
	s_abs_i32 s8, s6
	s_mul_i32 s7, s6, s33
	s_mul_hi_u32 s9, s8, s60
	s_sub_i32 s7, s51, s7
	s_mul_i32 s10, s9, s56
	s_lshl_b32 s62, s7, 4
	s_ashr_i32 s7, s6, 31
	s_sub_i32 s8, s8, s10
	s_xor_b32 s7, s7, s59
	s_add_i32 s10, s9, 1
	s_sub_i32 s11, s8, s56
	s_cmp_ge_u32 s8, s56
	s_cselect_b32 s9, s10, s9
	s_cselect_b32 s8, s11, s8
	s_add_i32 s10, s9, 1
	s_cmp_ge_u32 s8, s56
	s_cselect_b32 s8, s10, s9
	s_xor_b32 s8, s8, s7
	s_sub_i32 s7, s8, s7
	s_mul_i32 s8, s7, s52
	s_lshl_b32 s63, s8, 8
	s_cmp_eq_u32 s7, s24
	s_cselect_b32 s61, s53, s52
	s_sub_i32 s64, s62, s20
	s_add_i32 s64, s64, 16
	s_and_saveexec_b64 s[8:9], s[2:3]
	s_xor_b64 s[34:35], exec, s[8:9]
	s_cbranch_execz .LBB103_44
; %bb.8:                                ;   in Loop: Header=BB103_7 Depth=1
	s_mul_i32 s7, s7, s50
	s_sub_i32 s6, s6, s7
	s_lshl_b32 s6, s6, 6
	s_sub_i32 s45, s6, s21
	s_add_i32 s45, s45, 64
	s_max_i32 s7, s45, 0
	s_sub_i32 s44, s6, s7
	s_and_saveexec_b64 s[6:7], s[0:1]
	s_xor_b64 s[46:47], exec, s[6:7]
	s_cbranch_execz .LBB103_34
; %bb.9:                                ;   in Loop: Header=BB103_7 Depth=1
	s_and_saveexec_b64 s[48:49], s[4:5]
	s_cbranch_execz .LBB103_33
; %bb.10:                               ;   in Loop: Header=BB103_7 Depth=1
	s_waitcnt lgkmcnt(0)
	global_load_dword v65, v21, s[42:43]
	v_mov_b32_e32 v15, 0
	v_cmp_gt_i32_e32 vcc, s61, v64
	v_mov_b32_e32 v14, v15
	v_mov_b32_e32 v13, v15
	;; [unrolled: 1-line block ×15, first 2 shown]
	s_and_saveexec_b64 s[6:7], vcc
	s_cbranch_execz .LBB103_29
; %bb.11:                               ;   in Loop: Header=BB103_7 Depth=1
	v_mov_b32_e32 v0, 0
	s_mov_b64 s[8:9], 0
	v_mov_b32_e32 v1, v0
	v_mov_b32_e32 v2, v0
	;; [unrolled: 1-line block ×15, first 2 shown]
	s_branch .LBB103_13
.LBB103_12:                             ;   in Loop: Header=BB103_13 Depth=2
	s_or_b64 exec, exec, s[10:11]
	v_add_u32_e32 v42, 0x3000, v68
	ds_read2_b32 v[40:41], v42 offset1:32
	v_add_u32_e32 v64, s27, v64
	v_cmp_le_i32_e32 vcc, s61, v64
	s_or_b64 s[8:9], vcc, s[8:9]
	s_waitcnt lgkmcnt(0)
	v_mfma_f32_16x16x32_fp8_fp8 v[0:3], v[24:25], v[40:41], v[0:3]
	ds_read2_b32 v[24:25], v42 offset0:128 offset1:160
	v_add_u32_e32 v40, 0x3400, v68
	s_waitcnt lgkmcnt(0)
	v_mfma_f32_16x16x32_fp8_fp8 v[0:3], v[26:27], v[24:25], v[0:3]
	ds_read2_b32 v[24:25], v40 offset1:32
	v_add_u32_e32 v26, 0x3800, v68
	v_add_u32_e32 v27, 0x3c00, v68
	s_waitcnt lgkmcnt(0)
	v_mfma_f32_16x16x32_fp8_fp8 v[0:3], v[36:37], v[24:25], v[0:3]
	ds_read2_b32 v[24:25], v40 offset0:128 offset1:160
	s_waitcnt lgkmcnt(0)
	v_mfma_f32_16x16x32_fp8_fp8 v[0:3], v[34:35], v[24:25], v[0:3]
	ds_read2_b32 v[24:25], v26 offset1:32
	ds_read2_b32 v[34:35], v27 offset1:32
	s_waitcnt lgkmcnt(1)
	v_mfma_f32_16x16x32_fp8_fp8 v[0:3], v[38:39], v[24:25], v[0:3]
	ds_read2_b32 v[24:25], v26 offset0:128 offset1:160
	v_add_u32_e32 v26, s27, v67
	v_cmp_lt_i32_e32 vcc, 2, v26
	s_waitcnt lgkmcnt(0)
	v_mfma_f32_16x16x32_fp8_fp8 v[0:3], v[32:33], v[24:25], v[0:3]
	ds_read2_b32 v[24:25], v27 offset0:128 offset1:160
	v_add_u32_e32 v32, 2, v50
	v_cndmask_b32_e32 v50, v50, v32, vcc
	v_mfma_f32_16x16x32_fp8_fp8 v[0:3], v[30:31], v[34:35], v[0:3]
	;;#ASMSTART
	s_waitcnt lgkmcnt(0)
	;;#ASMEND
	ds_write_b32 v66, v69 offset:61464
	s_waitcnt lgkmcnt(1)
	v_mfma_f32_16x16x32_fp8_fp8 v[0:3], v[28:29], v[24:25], v[0:3]
	s_andn2_b64 exec, exec, s[8:9]
	s_cbranch_execz .LBB103_28
.LBB103_13:                             ;   Parent Loop BB103_7 Depth=1
                                        ; =>  This Loop Header: Depth=2
                                        ;       Child Loop BB103_15 Depth 3
                                        ;       Child Loop BB103_18 Depth 3
	;; [unrolled: 1-line block ×5, first 2 shown]
	v_cmp_gt_i32_e32 vcc, 3, v26
	s_nop 1
	v_cndmask_b32_e64 v24, -3, 0, vcc
	v_add_u32_e32 v67, v24, v26
	v_lshlrev_b32_e32 v66, 4, v67
	ds_read_b32 v24, v66 offset:61452
	s_waitcnt lgkmcnt(0)
	v_cmp_ne_u32_e32 vcc, v24, v50
	s_and_saveexec_b64 s[10:11], vcc
	s_cbranch_execz .LBB103_16
; %bb.14:                               ;   in Loop: Header=BB103_13 Depth=2
	s_mov_b64 s[12:13], 0
.LBB103_15:                             ;   Parent Loop BB103_7 Depth=1
                                        ;     Parent Loop BB103_13 Depth=2
                                        ; =>    This Inner Loop Header: Depth=3
	;;#ASMSTART
	s_sleep 0
	;;#ASMEND
	ds_read_b32 v24, v66 offset:61452
	s_waitcnt lgkmcnt(0)
	v_cmp_eq_u32_e32 vcc, v24, v50
	s_or_b64 s[12:13], vcc, s[12:13]
	s_andn2_b64 exec, exec, s[12:13]
	s_cbranch_execnz .LBB103_15
.LBB103_16:                             ;   in Loop: Header=BB103_13 Depth=2
	s_or_b64 exec, exec, s[10:11]
	v_lshl_or_b32 v68, v67, 14, v51
	v_add_u32_e32 v24, 0x400, v68
	ds_read2_b32 v[28:29], v68 offset1:32
	ds_read2_b32 v[30:31], v68 offset0:128 offset1:160
	ds_read2_b32 v[32:33], v24 offset1:32
	ds_read2_b32 v[40:41], v24 offset0:128 offset1:160
	v_add_u32_e32 v24, 0x800, v68
	ds_read2_b32 v[42:43], v24 offset1:32
	ds_read2_b32 v[44:45], v24 offset0:128 offset1:160
	v_add_u32_e32 v24, 0xc00, v68
	v_add_u32_e32 v69, 1, v50
	ds_read2_b32 v[48:49], v24 offset1:32
	ds_read2_b32 v[46:47], v24 offset0:128 offset1:160
	;;#ASMSTART
	s_waitcnt lgkmcnt(0)
	;;#ASMEND
	ds_write_b32 v66, v69 offset:61452
	v_lshlrev_b32_e32 v24, 2, v67
	ds_read_b32 v25, v24 offset:61440
	v_add_u32_e32 v70, 0xf000, v24
	s_waitcnt lgkmcnt(0)
	v_cmp_ne_u32_e32 vcc, v25, v50
	s_and_saveexec_b64 s[10:11], vcc
	s_cbranch_execz .LBB103_19
; %bb.17:                               ;   in Loop: Header=BB103_13 Depth=2
	s_mov_b64 s[12:13], 0
.LBB103_18:                             ;   Parent Loop BB103_7 Depth=1
                                        ;     Parent Loop BB103_13 Depth=2
                                        ; =>    This Inner Loop Header: Depth=3
	;;#ASMSTART
	s_sleep 0
	;;#ASMEND
	ds_read_b32 v24, v70
	s_waitcnt lgkmcnt(0)
	v_cmp_eq_u32_e32 vcc, v24, v50
	s_or_b64 s[12:13], vcc, s[12:13]
	s_andn2_b64 exec, exec, s[12:13]
	s_cbranch_execnz .LBB103_18
.LBB103_19:                             ;   in Loop: Header=BB103_13 Depth=2
	s_or_b64 exec, exec, s[10:11]
	v_lshl_add_u32 v71, v67, 12, v52
	ds_read2_b32 v[24:25], v71 offset1:32
	ds_read2_b32 v[26:27], v71 offset0:128 offset1:160
	v_add_u32_e32 v34, 0x400, v71
	ds_read2_b32 v[36:37], v34 offset1:32
	ds_read2_b32 v[34:35], v34 offset0:128 offset1:160
	s_waitcnt lgkmcnt(3)
	v_mfma_f32_16x16x32_fp8_fp8 v[12:15], v[24:25], v[28:29], v[12:15]
	v_add_u32_e32 v28, 0x800, v71
	ds_read2_b32 v[38:39], v28 offset1:32
	ds_write_b32 v70, v69
	s_waitcnt lgkmcnt(4)
	v_mfma_f32_16x16x32_fp8_fp8 v[12:15], v[26:27], v[30:31], v[12:15]
	s_waitcnt lgkmcnt(3)
	v_mfma_f32_16x16x32_fp8_fp8 v[12:15], v[36:37], v[32:33], v[12:15]
	ds_read2_b32 v[32:33], v28 offset0:128 offset1:160
	v_add_u32_e32 v28, 0xc00, v71
	ds_read2_b32 v[30:31], v28 offset1:32
	s_waitcnt lgkmcnt(4)
	v_mfma_f32_16x16x32_fp8_fp8 v[12:15], v[34:35], v[40:41], v[12:15]
	ds_read2_b32 v[28:29], v28 offset0:128 offset1:160
	ds_read_b32 v40, v66 offset:61456
	s_waitcnt lgkmcnt(0)
	v_cmp_ne_u32_e32 vcc, v40, v50
	v_mfma_f32_16x16x32_fp8_fp8 v[12:15], v[38:39], v[42:43], v[12:15]
	v_mfma_f32_16x16x32_fp8_fp8 v[12:15], v[32:33], v[44:45], v[12:15]
	;; [unrolled: 1-line block ×4, first 2 shown]
	s_and_saveexec_b64 s[10:11], vcc
	s_cbranch_execz .LBB103_22
; %bb.20:                               ;   in Loop: Header=BB103_13 Depth=2
	s_mov_b64 s[12:13], 0
.LBB103_21:                             ;   Parent Loop BB103_7 Depth=1
                                        ;     Parent Loop BB103_13 Depth=2
                                        ; =>    This Inner Loop Header: Depth=3
	;;#ASMSTART
	s_sleep 0
	;;#ASMEND
	ds_read_b32 v40, v66 offset:61456
	s_waitcnt lgkmcnt(0)
	v_cmp_eq_u32_e32 vcc, v40, v50
	s_or_b64 s[12:13], vcc, s[12:13]
	s_andn2_b64 exec, exec, s[12:13]
	s_cbranch_execnz .LBB103_21
.LBB103_22:                             ;   in Loop: Header=BB103_13 Depth=2
	s_or_b64 exec, exec, s[10:11]
	v_add_u32_e32 v42, 0x1000, v68
	ds_read2_b32 v[40:41], v42 offset1:32
	s_waitcnt lgkmcnt(0)
	v_mfma_f32_16x16x32_fp8_fp8 v[8:11], v[24:25], v[40:41], v[8:11]
	ds_read2_b32 v[40:41], v42 offset0:128 offset1:160
	v_add_u32_e32 v42, 0x1400, v68
	s_waitcnt lgkmcnt(0)
	v_mfma_f32_16x16x32_fp8_fp8 v[8:11], v[26:27], v[40:41], v[8:11]
	ds_read2_b32 v[40:41], v42 offset1:32
	s_waitcnt lgkmcnt(0)
	v_mfma_f32_16x16x32_fp8_fp8 v[8:11], v[36:37], v[40:41], v[8:11]
	ds_read2_b32 v[40:41], v42 offset0:128 offset1:160
	v_add_u32_e32 v42, 0x1800, v68
	s_waitcnt lgkmcnt(0)
	v_mfma_f32_16x16x32_fp8_fp8 v[8:11], v[34:35], v[40:41], v[8:11]
	;; [unrolled: 7-line block ×3, first 2 shown]
	ds_read2_b32 v[40:41], v42 offset1:32
	ds_read2_b32 v[42:43], v42 offset0:128 offset1:160
	;;#ASMSTART
	s_waitcnt lgkmcnt(0)
	;;#ASMEND
	ds_write_b32 v66, v69 offset:61456
	s_waitcnt lgkmcnt(2)
	v_mfma_f32_16x16x32_fp8_fp8 v[8:11], v[30:31], v[40:41], v[8:11]
	ds_read_b32 v40, v66 offset:61460
	s_waitcnt lgkmcnt(0)
	v_cmp_ne_u32_e32 vcc, v40, v50
	v_mfma_f32_16x16x32_fp8_fp8 v[8:11], v[28:29], v[42:43], v[8:11]
	s_and_saveexec_b64 s[10:11], vcc
	s_cbranch_execz .LBB103_25
; %bb.23:                               ;   in Loop: Header=BB103_13 Depth=2
	s_mov_b64 s[12:13], 0
.LBB103_24:                             ;   Parent Loop BB103_7 Depth=1
                                        ;     Parent Loop BB103_13 Depth=2
                                        ; =>    This Inner Loop Header: Depth=3
	;;#ASMSTART
	s_sleep 0
	;;#ASMEND
	ds_read_b32 v40, v66 offset:61460
	s_waitcnt lgkmcnt(0)
	v_cmp_eq_u32_e32 vcc, v40, v50
	s_or_b64 s[12:13], vcc, s[12:13]
	s_andn2_b64 exec, exec, s[12:13]
	s_cbranch_execnz .LBB103_24
.LBB103_25:                             ;   in Loop: Header=BB103_13 Depth=2
	s_or_b64 exec, exec, s[10:11]
	v_add_u32_e32 v42, 0x2000, v68
	ds_read2_b32 v[40:41], v42 offset1:32
	s_waitcnt lgkmcnt(0)
	v_mfma_f32_16x16x32_fp8_fp8 v[4:7], v[24:25], v[40:41], v[4:7]
	ds_read2_b32 v[40:41], v42 offset0:128 offset1:160
	v_add_u32_e32 v42, 0x2400, v68
	s_waitcnt lgkmcnt(0)
	v_mfma_f32_16x16x32_fp8_fp8 v[4:7], v[26:27], v[40:41], v[4:7]
	ds_read2_b32 v[40:41], v42 offset1:32
	s_waitcnt lgkmcnt(0)
	v_mfma_f32_16x16x32_fp8_fp8 v[4:7], v[36:37], v[40:41], v[4:7]
	ds_read2_b32 v[40:41], v42 offset0:128 offset1:160
	v_add_u32_e32 v42, 0x2800, v68
	s_waitcnt lgkmcnt(0)
	v_mfma_f32_16x16x32_fp8_fp8 v[4:7], v[34:35], v[40:41], v[4:7]
	ds_read2_b32 v[40:41], v42 offset1:32
	s_waitcnt lgkmcnt(0)
	v_mfma_f32_16x16x32_fp8_fp8 v[4:7], v[38:39], v[40:41], v[4:7]
	ds_read2_b32 v[40:41], v42 offset0:128 offset1:160
	v_add_u32_e32 v42, 0x2c00, v68
	s_waitcnt lgkmcnt(0)
	v_mfma_f32_16x16x32_fp8_fp8 v[4:7], v[32:33], v[40:41], v[4:7]
	ds_read2_b32 v[40:41], v42 offset1:32
	ds_read2_b32 v[42:43], v42 offset0:128 offset1:160
	;;#ASMSTART
	s_waitcnt lgkmcnt(0)
	;;#ASMEND
	ds_write_b32 v66, v69 offset:61460
	s_waitcnt lgkmcnt(2)
	v_mfma_f32_16x16x32_fp8_fp8 v[4:7], v[30:31], v[40:41], v[4:7]
	ds_read_b32 v40, v66 offset:61464
	s_waitcnt lgkmcnt(0)
	v_cmp_ne_u32_e32 vcc, v40, v50
	v_mfma_f32_16x16x32_fp8_fp8 v[4:7], v[28:29], v[42:43], v[4:7]
	s_and_saveexec_b64 s[10:11], vcc
	s_cbranch_execz .LBB103_12
; %bb.26:                               ;   in Loop: Header=BB103_13 Depth=2
	s_mov_b64 s[12:13], 0
.LBB103_27:                             ;   Parent Loop BB103_7 Depth=1
                                        ;     Parent Loop BB103_13 Depth=2
                                        ; =>    This Inner Loop Header: Depth=3
	;;#ASMSTART
	s_sleep 0
	;;#ASMEND
	ds_read_b32 v40, v66 offset:61464
	s_waitcnt lgkmcnt(0)
	v_cmp_eq_u32_e32 vcc, v40, v50
	s_or_b64 s[12:13], vcc, s[12:13]
	s_andn2_b64 exec, exec, s[12:13]
	s_cbranch_execnz .LBB103_27
	s_branch .LBB103_12
.LBB103_28:                             ;   in Loop: Header=BB103_7 Depth=1
	s_or_b64 exec, exec, s[8:9]
.LBB103_29:                             ;   in Loop: Header=BB103_7 Depth=1
	s_or_b64 exec, exec, s[6:7]
	v_cmp_le_i32_e32 vcc, s45, v16
	v_cmp_eq_u32_e64 s[6:7], 2, v54
	v_cmp_eq_u32_e64 s[8:9], 3, v54
	s_waitcnt vmcnt(0)
	v_cndmask_b32_e32 v24, 0, v65, vcc
	v_pk_mul_f32 v[14:15], v[24:25], v[14:15] op_sel_hi:[0,1]
	v_pk_mul_f32 v[24:25], v[24:25], v[12:13] op_sel_hi:[0,1]
	v_cmp_eq_u32_e32 vcc, 1, v54
	v_cmp_eq_u32_e64 s[10:11], 0, v54
	v_cmp_eq_u32_e64 s[12:13], 1, v55
	v_cndmask_b32_e32 v12, v24, v25, vcc
	v_cndmask_b32_e64 v12, v12, v14, s[6:7]
	v_cndmask_b32_e64 v12, v12, v15, s[8:9]
	ds_bpermute_b32 v27, v63, v12
	v_cmp_le_i32_e64 s[14:15], s45, v56
	v_cmp_le_i32_e64 s[18:19], s45, v57
	v_cmp_eq_u32_e64 s[16:17], 3, v55
	s_waitcnt lgkmcnt(0)
	v_cndmask_b32_e64 v12, v15, v27, s[8:9]
	v_cndmask_b32_e64 v13, v14, v27, s[6:7]
	v_cndmask_b32_e32 v14, v25, v27, vcc
	v_cndmask_b32_e64 v15, v24, v27, s[10:11]
	v_cndmask_b32_e64 v25, v15, v14, s[12:13]
	;; [unrolled: 1-line block ×3, first 2 shown]
	v_pk_mul_f32 v[28:29], v[24:25], v[8:9] op_sel_hi:[0,1]
	v_pk_mul_f32 v[10:11], v[24:25], v[10:11] op_sel_hi:[0,1]
	v_cndmask_b32_e32 v8, v28, v29, vcc
	v_cndmask_b32_e64 v8, v8, v10, s[6:7]
	v_cndmask_b32_e64 v8, v8, v11, s[8:9]
	ds_bpermute_b32 v27, v63, v8
	v_cmp_eq_u32_e64 s[14:15], 2, v55
	s_waitcnt lgkmcnt(0)
	v_cndmask_b32_e64 v9, v11, v27, s[8:9]
	v_cndmask_b32_e64 v8, v25, v13, s[14:15]
	;; [unrolled: 1-line block ×4, first 2 shown]
	v_pk_mul_f32 v[30:31], v[28:29], v[4:5] op_sel_hi:[0,1]
	v_pk_mul_f32 v[6:7], v[28:29], v[6:7] op_sel_hi:[0,1]
	v_cndmask_b32_e32 v4, v30, v31, vcc
	v_cndmask_b32_e64 v4, v4, v6, s[6:7]
	v_cndmask_b32_e64 v4, v4, v7, s[8:9]
	ds_bpermute_b32 v11, v63, v4
	v_cmp_le_i32_e64 s[18:19], s45, v58
	v_cndmask_b32_e32 v24, v29, v27, vcc
	v_cndmask_b32_e64 v10, v10, v27, s[6:7]
	v_cndmask_b32_e64 v4, v25, v24, s[12:13]
	s_waitcnt lgkmcnt(0)
	v_cndmask_b32_e64 v29, v30, v11, s[10:11]
	v_cndmask_b32_e64 v30, 0, v65, s[18:19]
	v_cndmask_b32_e32 v28, v31, v11, vcc
	v_pk_mul_f32 v[32:33], v[30:31], v[2:3] op_sel_hi:[0,1]
	v_pk_mul_f32 v[30:31], v[30:31], v[0:1] op_sel_hi:[0,1]
	v_cndmask_b32_e32 v0, v30, v31, vcc
	v_cndmask_b32_e64 v0, v0, v32, s[6:7]
	v_cndmask_b32_e64 v0, v0, v33, s[8:9]
	ds_bpermute_b32 v1, v63, v0
	v_cndmask_b32_e64 v6, v6, v11, s[6:7]
	v_cndmask_b32_e64 v0, v29, v28, s[12:13]
	;; [unrolled: 1-line block ×5, first 2 shown]
	v_cmp_ne_u32_e32 vcc, 0, v54
	ds_bpermute_b32 v2, v63, v0
	s_waitcnt lgkmcnt(1)
	v_cndmask_b32_e64 v3, v33, v1, s[8:9]
	v_cndmask_b32_e64 v7, v32, v1, s[6:7]
	v_cndmask_b32_e32 v0, v31, v1, vcc
	v_cndmask_b32_e64 v1, v30, v1, s[10:11]
	v_cndmask_b32_e64 v11, v1, v0, s[12:13]
	;; [unrolled: 1-line block ×7, first 2 shown]
	ds_bpermute_b32 v8, v63, v8
	ds_bpermute_b32 v4, v63, v4
	;; [unrolled: 1-line block ×3, first 2 shown]
	s_max_i32 s6, s64, 0
	v_add_u32_e32 v27, s6, v53
	v_cmp_gt_u32_e32 vcc, 16, v27
	s_and_saveexec_b64 s[12:13], vcc
	s_cbranch_execz .LBB103_32
; %bb.30:                               ;   in Loop: Header=BB103_7 Depth=1
	v_cmp_eq_u32_e64 s[8:9], 1, v55
	v_cmp_eq_u32_e64 s[10:11], 0, v55
	v_cmp_eq_u32_e32 vcc, 3, v55
	s_waitcnt lgkmcnt(2)
	v_cndmask_b32_e64 v14, v14, v8, s[8:9]
	s_waitcnt lgkmcnt(1)
	v_cndmask_b32_e64 v24, v24, v4, s[8:9]
	v_cndmask_b32_e64 v28, v28, v2, s[8:9]
	s_waitcnt lgkmcnt(0)
	v_cndmask_b32_e64 v30, v0, v11, s[8:9]
	s_mul_i32 s8, s62, s21
	s_ashr_i32 s9, s8, 31
	s_lshl_b64 s[8:9], s[8:9], 1
	v_cndmask_b32_e64 v15, v15, v8, s[10:11]
	v_cndmask_b32_e64 v25, v25, v4, s[10:11]
	;; [unrolled: 1-line block ×4, first 2 shown]
	s_add_u32 s10, s40, s8
	s_addc_u32 s11, s41, s9
	s_ashr_i32 s45, s44, 31
	v_cvt_f16_f32_e32 v15, v15
	v_cvt_f16_f32_sdwa v14, v14 dst_sel:WORD_1 dst_unused:UNUSED_PAD src0_sel:DWORD
	v_cvt_f16_f32_e32 v25, v25
	v_cvt_f16_f32_sdwa v24, v24 dst_sel:WORD_1 dst_unused:UNUSED_PAD src0_sel:DWORD
	s_lshl_b64 s[8:9], s[44:45], 1
	s_add_u32 s8, s10, s8
	s_addc_u32 s9, s11, s9
	v_lshl_add_u64 v[0:1], v[18:19], 1, s[8:9]
	v_or_b32_e32 v14, v14, v15
	v_or_b32_e32 v24, v24, v25
	;;#ASMSTART
	global_atomic_pk_add_f16 v[0:1], v14, off
	
	;;#ASMEND
	v_lshl_add_u64 v[14:15], v[0:1], 0, 32
	;;#ASMSTART
	global_atomic_pk_add_f16 v[14:15], v24, off
	
	;;#ASMEND
	v_cvt_f16_f32_e32 v24, v29
	v_cvt_f16_f32_sdwa v25, v28 dst_sel:WORD_1 dst_unused:UNUSED_PAD src0_sel:DWORD
	v_cvt_f16_f32_e32 v28, v31
	v_cvt_f16_f32_sdwa v29, v30 dst_sel:WORD_1 dst_unused:UNUSED_PAD src0_sel:DWORD
	v_cmp_eq_u32_e64 s[6:7], 2, v55
	v_lshl_add_u64 v[14:15], v[0:1], 0, 64
	v_or_b32_e32 v24, v25, v24
	v_cmp_gt_u32_e64 s[8:9], 14, v27
	;;#ASMSTART
	global_atomic_pk_add_f16 v[14:15], v24, off
	
	;;#ASMEND
	v_lshl_add_u64 v[14:15], v[0:1], 0, s[30:31]
	v_or_b32_e32 v24, v29, v28
	;;#ASMSTART
	global_atomic_pk_add_f16 v[14:15], v24, off
	
	;;#ASMEND
	s_and_b64 exec, exec, s[8:9]
	s_cbranch_execz .LBB103_32
; %bb.31:                               ;   in Loop: Header=BB103_7 Depth=1
	v_cndmask_b32_e32 v12, v12, v8, vcc
	v_cndmask_b32_e64 v8, v13, v8, s[6:7]
	v_cndmask_b32_e32 v9, v9, v4, vcc
	v_cndmask_b32_e64 v4, v10, v4, s[6:7]
	;; [unrolled: 2-line block ×3, first 2 shown]
	v_cndmask_b32_e32 v10, v3, v11, vcc
	v_cvt_f16_f32_e32 v2, v8
	v_cvt_f16_f32_sdwa v3, v12 dst_sel:WORD_1 dst_unused:UNUSED_PAD src0_sel:DWORD
	v_cvt_f16_f32_e32 v4, v4
	v_cvt_f16_f32_sdwa v8, v9 dst_sel:WORD_1 dst_unused:UNUSED_PAD src0_sel:DWORD
	v_cndmask_b32_e64 v7, v7, v11, s[6:7]
	v_lshl_add_u64 v[0:1], s[28:29], 2, v[0:1]
	v_or_b32_e32 v2, v3, v2
	v_or_b32_e32 v4, v8, v4
	;;#ASMSTART
	global_atomic_pk_add_f16 v[0:1], v2, off
	
	;;#ASMEND
	v_lshl_add_u64 v[2:3], v[0:1], 0, 32
	;;#ASMSTART
	global_atomic_pk_add_f16 v[2:3], v4, off
	
	;;#ASMEND
	v_cvt_f16_f32_e32 v4, v6
	v_cvt_f16_f32_sdwa v5, v5 dst_sel:WORD_1 dst_unused:UNUSED_PAD src0_sel:DWORD
	v_cvt_f16_f32_e32 v6, v7
	v_cvt_f16_f32_sdwa v7, v10 dst_sel:WORD_1 dst_unused:UNUSED_PAD src0_sel:DWORD
	v_lshl_add_u64 v[2:3], v[0:1], 0, 64
	v_or_b32_e32 v4, v5, v4
	;;#ASMSTART
	global_atomic_pk_add_f16 v[2:3], v4, off
	
	;;#ASMEND
	v_lshl_add_u64 v[0:1], v[0:1], 0, s[30:31]
	v_or_b32_e32 v2, v7, v6
	;;#ASMSTART
	global_atomic_pk_add_f16 v[0:1], v2, off
	
	;;#ASMEND
.LBB103_32:                             ;   in Loop: Header=BB103_7 Depth=1
	s_or_b64 exec, exec, s[12:13]
	v_subrev_u32_e32 v64, s61, v64
.LBB103_33:                             ;   in Loop: Header=BB103_7 Depth=1
	s_or_b64 exec, exec, s[48:49]
.LBB103_34:                             ;   in Loop: Header=BB103_7 Depth=1
	s_andn2_saveexec_b64 s[6:7], s[46:47]
	s_cbranch_execz .LBB103_43
; %bb.35:                               ;   in Loop: Header=BB103_7 Depth=1
	s_lshl_b32 s16, s61, 2
	v_cmp_gt_i32_e32 vcc, s16, v64
	s_and_saveexec_b64 s[8:9], vcc
	s_cbranch_execz .LBB103_42
; %bb.36:                               ;   in Loop: Header=BB103_7 Depth=1
	s_mul_i32 s10, s44, s23
	s_ashr_i32 s11, s10, 31
	s_waitcnt lgkmcnt(0)
	s_add_u32 s10, s38, s10
	s_addc_u32 s11, s39, s11
	s_ashr_i32 s12, s63, 31
	s_add_u32 s10, s10, s63
	s_addc_u32 s11, s11, s12
	v_lshl_add_u64 v[0:1], s[10:11], 0, v[22:23]
	v_lshl_add_u64 v[24:25], v[0:1], 0, v[20:21]
	s_mov_b64 s[10:11], 0
	s_branch .LBB103_38
.LBB103_37:                             ;   in Loop: Header=BB103_38 Depth=2
	s_or_b64 exec, exec, s[12:13]
	v_lshl_or_b32 v28, v26, 12, v59
	;;#ASMSTART
	s_waitcnt vmcnt(3)
	;;#ASMEND
	ds_write2_b32 v28, v12, v13 offset1:32
	ds_write2_b32 v28, v14, v15 offset0:64 offset1:96
	v_add_u32_e32 v12, 0x400, v28
	;;#ASMSTART
	s_waitcnt vmcnt(2)
	;;#ASMEND
	ds_write2_b32 v12, v8, v9 offset1:32
	ds_write2_b32 v12, v10, v11 offset0:64 offset1:96
	v_add_u32_e32 v8, 0x800, v28
	;;#ASMSTART
	s_waitcnt vmcnt(1)
	;;#ASMEND
	ds_write2_b32 v8, v4, v5 offset1:32
	ds_write2_b32 v8, v6, v7 offset0:64 offset1:96
	v_add_u32_e32 v4, 0xc00, v28
	v_add_u32_e32 v64, s26, v64
	;;#ASMSTART
	s_waitcnt vmcnt(0)
	;;#ASMEND
	ds_write2_b32 v4, v0, v1 offset1:32
	ds_write2_b32 v4, v2, v3 offset0:64 offset1:96
	v_add_u32_e32 v0, 1, v50
	v_add_u32_e32 v26, s26, v26
	v_cmp_le_i32_e32 vcc, s16, v64
	ds_write_b32 v27, v0 offset:12
	v_add_u32_e32 v0, 2, v50
	s_or_b64 s[10:11], vcc, s[10:11]
	v_cmp_lt_i32_e32 vcc, 11, v26
	s_nop 1
	v_cndmask_b32_e32 v50, v50, v0, vcc
	s_andn2_b64 exec, exec, s[10:11]
	s_cbranch_execz .LBB103_41
.LBB103_38:                             ;   Parent Loop BB103_7 Depth=1
                                        ; =>  This Loop Header: Depth=2
                                        ;       Child Loop BB103_40 Depth 3
	v_cmp_gt_i32_e32 vcc, 12, v26
	s_nop 1
	v_cndmask_b32_e64 v0, -12, 0, vcc
	v_add_u32_e32 v26, v0, v26
	v_ashrrev_i32_e32 v0, 31, v64
	v_lshrrev_b32_e32 v0, 30, v0
	v_add_u32_e32 v0, v64, v0
	v_and_b32_e32 v1, -4, v0
	v_lshlrev_b32_e32 v0, 6, v0
	v_sub_u32_e32 v2, v64, v1
	v_and_b32_e32 v0, 0xffffff00, v0
	v_ashrrev_i32_e32 v1, 31, v0
	v_mul_lo_u32 v2, s55, v2
	v_lshl_add_u64 v[0:1], v[24:25], 0, v[0:1]
	v_ashrrev_i32_e32 v3, 31, v2
	v_lshl_add_u64 v[0:1], v[0:1], 0, v[2:3]
	v_lshlrev_b32_e32 v27, 2, v26
	;;#ASMSTART
	global_load_dwordx4 v[12:15], v[0:1], off offset:0    sc0 sc1 nt  
	global_load_dwordx4 v[8:11], v[0:1], off offset:64   sc0 sc1 nt  
	global_load_dwordx4 v[4:7], v[0:1], off offset:128  sc0 sc1 nt  
	global_load_dwordx4 v[0:3], v[0:1], off offset:192  sc0 sc1 nt  
	
	;;#ASMEND
	ds_read_b32 v28, v27 offset:61452
	v_add_u32_e32 v27, 0xf000, v27
	s_waitcnt lgkmcnt(0)
	v_cmp_ne_u32_e32 vcc, v28, v50
	s_and_saveexec_b64 s[12:13], vcc
	s_cbranch_execz .LBB103_37
; %bb.39:                               ;   in Loop: Header=BB103_38 Depth=2
	s_mov_b64 s[14:15], 0
.LBB103_40:                             ;   Parent Loop BB103_7 Depth=1
                                        ;     Parent Loop BB103_38 Depth=2
                                        ; =>    This Inner Loop Header: Depth=3
	;;#ASMSTART
	s_sleep 0
	;;#ASMEND
	ds_read_b32 v28, v27 offset:12
	s_waitcnt lgkmcnt(0)
	v_cmp_eq_u32_e32 vcc, v28, v50
	s_or_b64 s[14:15], vcc, s[14:15]
	s_andn2_b64 exec, exec, s[14:15]
	s_cbranch_execnz .LBB103_40
	s_branch .LBB103_37
.LBB103_41:                             ;   in Loop: Header=BB103_7 Depth=1
	s_or_b64 exec, exec, s[10:11]
.LBB103_42:                             ;   in Loop: Header=BB103_7 Depth=1
	s_or_b64 exec, exec, s[8:9]
	v_subrev_u32_e32 v64, s16, v64
.LBB103_43:                             ;   in Loop: Header=BB103_7 Depth=1
	s_or_b64 exec, exec, s[6:7]
.LBB103_44:                             ;   in Loop: Header=BB103_7 Depth=1
	s_andn2_saveexec_b64 s[6:7], s[34:35]
	s_cbranch_execz .LBB103_6
; %bb.45:                               ;   in Loop: Header=BB103_7 Depth=1
	v_cmp_gt_i32_e32 vcc, s61, v64
	s_and_saveexec_b64 s[8:9], vcc
	s_cbranch_execz .LBB103_5
; %bb.46:                               ;   in Loop: Header=BB103_7 Depth=1
	s_mul_i32 s62, s62, s22
	s_ashr_i32 s10, s62, 31
	s_waitcnt lgkmcnt(0)
	s_add_u32 s11, s36, s62
	s_addc_u32 s12, s37, s10
	s_ashr_i32 s13, s63, 31
	v_cmp_le_i32_e32 vcc, s64, v60
	s_add_u32 s10, s11, s63
	s_addc_u32 s11, s12, s13
	v_cndmask_b32_e32 v0, 0, v61, vcc
	v_ashrrev_i32_e32 v1, 31, v0
	v_lshl_add_u64 v[0:1], s[10:11], 0, v[0:1]
	v_lshl_add_u64 v[24:25], v[0:1], 0, v[20:21]
	s_mov_b64 s[10:11], 0
	s_branch .LBB103_48
.LBB103_47:                             ;   in Loop: Header=BB103_48 Depth=2
	s_or_b64 exec, exec, s[12:13]
	v_lshl_add_u32 v28, v26, 12, v62
	;;#ASMSTART
	s_waitcnt vmcnt(3)
	;;#ASMEND
	ds_write2_b32 v28, v12, v13 offset1:32
	ds_write2_b32 v28, v14, v15 offset0:64 offset1:96
	v_add_u32_e32 v12, 0x400, v28
	;;#ASMSTART
	s_waitcnt vmcnt(2)
	;;#ASMEND
	ds_write2_b32 v12, v8, v9 offset1:32
	ds_write2_b32 v12, v10, v11 offset0:64 offset1:96
	v_add_u32_e32 v8, 0x800, v28
	;; [unrolled: 6-line block ×3, first 2 shown]
	v_add_u32_e32 v64, s25, v64
	;;#ASMSTART
	s_waitcnt vmcnt(0)
	;;#ASMEND
	ds_write2_b32 v4, v0, v1 offset1:32
	ds_write2_b32 v4, v2, v3 offset0:64 offset1:96
	v_add_u32_e32 v0, 1, v50
	v_add_u32_e32 v26, s25, v26
	v_cmp_le_i32_e32 vcc, s61, v64
	ds_write_b32 v27, v0
	v_add_u32_e32 v0, 2, v50
	s_or_b64 s[10:11], vcc, s[10:11]
	v_cmp_lt_i32_e32 vcc, 2, v26
	s_nop 1
	v_cndmask_b32_e32 v50, v50, v0, vcc
	s_andn2_b64 exec, exec, s[10:11]
	s_cbranch_execz .LBB103_4
.LBB103_48:                             ;   Parent Loop BB103_7 Depth=1
                                        ; =>  This Loop Header: Depth=2
                                        ;       Child Loop BB103_50 Depth 3
	v_cmp_gt_i32_e32 vcc, 3, v26
	s_nop 1
	v_cndmask_b32_e64 v0, -3, 0, vcc
	v_add_u32_e32 v26, v0, v26
	v_lshlrev_b32_e32 v0, 8, v64
	v_ashrrev_i32_e32 v1, 31, v0
	v_lshl_add_u64 v[0:1], v[24:25], 0, v[0:1]
	v_lshlrev_b32_e32 v27, 2, v26
	;;#ASMSTART
	global_load_dwordx4 v[12:15], v[0:1], off offset:0    
	global_load_dwordx4 v[8:11], v[0:1], off offset:64   
	;; [unrolled: 1-line block ×4, first 2 shown]
	
	;;#ASMEND
	ds_read_b32 v28, v27 offset:61440
	v_add_u32_e32 v27, 0xf000, v27
	s_waitcnt lgkmcnt(0)
	v_cmp_ne_u32_e32 vcc, v28, v50
	s_and_saveexec_b64 s[12:13], vcc
	s_cbranch_execz .LBB103_47
; %bb.49:                               ;   in Loop: Header=BB103_48 Depth=2
	s_mov_b64 s[14:15], 0
.LBB103_50:                             ;   Parent Loop BB103_7 Depth=1
                                        ;     Parent Loop BB103_48 Depth=2
                                        ; =>    This Inner Loop Header: Depth=3
	;;#ASMSTART
	s_sleep 0
	;;#ASMEND
	ds_read_b32 v28, v27
	s_waitcnt lgkmcnt(0)
	v_cmp_eq_u32_e32 vcc, v28, v50
	s_or_b64 s[14:15], vcc, s[14:15]
	s_andn2_b64 exec, exec, s[14:15]
	s_cbranch_execnz .LBB103_50
	s_branch .LBB103_47
.LBB103_51:
	s_endpgm
	.section	.rodata,"a",@progbits
	.p2align	6, 0x0
	.amdhsa_kernel _Z19_skinny_gemm_kernelILi1ELi4ELi3ELi16ELi8EEvPKhS1_P6__halfPKfiiiiiiii
		.amdhsa_group_segment_fixed_size 61500
		.amdhsa_private_segment_fixed_size 0
		.amdhsa_kernarg_size 64
		.amdhsa_user_sgpr_count 2
		.amdhsa_user_sgpr_dispatch_ptr 0
		.amdhsa_user_sgpr_queue_ptr 0
		.amdhsa_user_sgpr_kernarg_segment_ptr 1
		.amdhsa_user_sgpr_dispatch_id 0
		.amdhsa_user_sgpr_kernarg_preload_length 0
		.amdhsa_user_sgpr_kernarg_preload_offset 0
		.amdhsa_user_sgpr_private_segment_size 0
		.amdhsa_uses_dynamic_stack 0
		.amdhsa_enable_private_segment 0
		.amdhsa_system_sgpr_workgroup_id_x 1
		.amdhsa_system_sgpr_workgroup_id_y 0
		.amdhsa_system_sgpr_workgroup_id_z 0
		.amdhsa_system_sgpr_workgroup_info 0
		.amdhsa_system_vgpr_workitem_id 0
		.amdhsa_next_free_vgpr 72
		.amdhsa_next_free_sgpr 65
		.amdhsa_accum_offset 72
		.amdhsa_reserve_vcc 1
		.amdhsa_float_round_mode_32 0
		.amdhsa_float_round_mode_16_64 0
		.amdhsa_float_denorm_mode_32 3
		.amdhsa_float_denorm_mode_16_64 3
		.amdhsa_dx10_clamp 1
		.amdhsa_ieee_mode 1
		.amdhsa_fp16_overflow 0
		.amdhsa_tg_split 0
		.amdhsa_exception_fp_ieee_invalid_op 0
		.amdhsa_exception_fp_denorm_src 0
		.amdhsa_exception_fp_ieee_div_zero 0
		.amdhsa_exception_fp_ieee_overflow 0
		.amdhsa_exception_fp_ieee_underflow 0
		.amdhsa_exception_fp_ieee_inexact 0
		.amdhsa_exception_int_div_zero 0
	.end_amdhsa_kernel
	.section	.text._Z19_skinny_gemm_kernelILi1ELi4ELi3ELi16ELi8EEvPKhS1_P6__halfPKfiiiiiiii,"axG",@progbits,_Z19_skinny_gemm_kernelILi1ELi4ELi3ELi16ELi8EEvPKhS1_P6__halfPKfiiiiiiii,comdat
.Lfunc_end103:
	.size	_Z19_skinny_gemm_kernelILi1ELi4ELi3ELi16ELi8EEvPKhS1_P6__halfPKfiiiiiiii, .Lfunc_end103-_Z19_skinny_gemm_kernelILi1ELi4ELi3ELi16ELi8EEvPKhS1_P6__halfPKfiiiiiiii
                                        ; -- End function
	.set _Z19_skinny_gemm_kernelILi1ELi4ELi3ELi16ELi8EEvPKhS1_P6__halfPKfiiiiiiii.num_vgpr, 72
	.set _Z19_skinny_gemm_kernelILi1ELi4ELi3ELi16ELi8EEvPKhS1_P6__halfPKfiiiiiiii.num_agpr, 0
	.set _Z19_skinny_gemm_kernelILi1ELi4ELi3ELi16ELi8EEvPKhS1_P6__halfPKfiiiiiiii.numbered_sgpr, 65
	.set _Z19_skinny_gemm_kernelILi1ELi4ELi3ELi16ELi8EEvPKhS1_P6__halfPKfiiiiiiii.num_named_barrier, 0
	.set _Z19_skinny_gemm_kernelILi1ELi4ELi3ELi16ELi8EEvPKhS1_P6__halfPKfiiiiiiii.private_seg_size, 0
	.set _Z19_skinny_gemm_kernelILi1ELi4ELi3ELi16ELi8EEvPKhS1_P6__halfPKfiiiiiiii.uses_vcc, 1
	.set _Z19_skinny_gemm_kernelILi1ELi4ELi3ELi16ELi8EEvPKhS1_P6__halfPKfiiiiiiii.uses_flat_scratch, 0
	.set _Z19_skinny_gemm_kernelILi1ELi4ELi3ELi16ELi8EEvPKhS1_P6__halfPKfiiiiiiii.has_dyn_sized_stack, 0
	.set _Z19_skinny_gemm_kernelILi1ELi4ELi3ELi16ELi8EEvPKhS1_P6__halfPKfiiiiiiii.has_recursion, 0
	.set _Z19_skinny_gemm_kernelILi1ELi4ELi3ELi16ELi8EEvPKhS1_P6__halfPKfiiiiiiii.has_indirect_call, 0
	.section	.AMDGPU.csdata,"",@progbits
; Kernel info:
; codeLenInByte = 4700
; TotalNumSgprs: 71
; NumVgprs: 72
; NumAgprs: 0
; TotalNumVgprs: 72
; ScratchSize: 0
; MemoryBound: 0
; FloatMode: 240
; IeeeMode: 1
; LDSByteSize: 61500 bytes/workgroup (compile time only)
; SGPRBlocks: 8
; VGPRBlocks: 8
; NumSGPRsForWavesPerEU: 71
; NumVGPRsForWavesPerEU: 72
; AccumOffset: 72
; Occupancy: 7
; WaveLimiterHint : 0
; COMPUTE_PGM_RSRC2:SCRATCH_EN: 0
; COMPUTE_PGM_RSRC2:USER_SGPR: 2
; COMPUTE_PGM_RSRC2:TRAP_HANDLER: 0
; COMPUTE_PGM_RSRC2:TGID_X_EN: 1
; COMPUTE_PGM_RSRC2:TGID_Y_EN: 0
; COMPUTE_PGM_RSRC2:TGID_Z_EN: 0
; COMPUTE_PGM_RSRC2:TIDIG_COMP_CNT: 0
; COMPUTE_PGM_RSRC3_GFX90A:ACCUM_OFFSET: 17
; COMPUTE_PGM_RSRC3_GFX90A:TG_SPLIT: 0
	.section	.text._Z19_skinny_gemm_kernelILi1ELi4ELi3ELi32ELi4EEvPKhS1_P6__halfPKfiiiiiiii,"axG",@progbits,_Z19_skinny_gemm_kernelILi1ELi4ELi3ELi32ELi4EEvPKhS1_P6__halfPKfiiiiiiii,comdat
	.protected	_Z19_skinny_gemm_kernelILi1ELi4ELi3ELi32ELi4EEvPKhS1_P6__halfPKfiiiiiiii ; -- Begin function _Z19_skinny_gemm_kernelILi1ELi4ELi3ELi32ELi4EEvPKhS1_P6__halfPKfiiiiiiii
	.globl	_Z19_skinny_gemm_kernelILi1ELi4ELi3ELi32ELi4EEvPKhS1_P6__halfPKfiiiiiiii
	.p2align	8
	.type	_Z19_skinny_gemm_kernelILi1ELi4ELi3ELi32ELi4EEvPKhS1_P6__halfPKfiiiiiiii,@function
_Z19_skinny_gemm_kernelILi1ELi4ELi3ELi32ELi4EEvPKhS1_P6__halfPKfiiiiiiii: ; @_Z19_skinny_gemm_kernelILi1ELi4ELi3ELi32ELi4EEvPKhS1_P6__halfPKfiiiiiiii
; %bb.0:
	v_cmp_gt_u32_e32 vcc, 15, v0
	s_and_saveexec_b64 s[4:5], vcc
; %bb.1:
	v_lshlrev_b32_e32 v1, 2, v0
	v_mov_b32_e32 v2, 0
	ds_write_b32 v1, v2 offset:30720
; %bb.2:
	s_or_b64 exec, exec, s[4:5]
	s_load_dwordx8 s[20:27], s[0:1], 0x20
	s_waitcnt lgkmcnt(0)
	s_barrier
	s_add_i32 s3, s20, 31
	s_ashr_i32 s5, s3, 31
	s_add_i32 s4, s21, 0x7f
	s_lshr_b32 s5, s5, 27
	s_ashr_i32 s6, s4, 31
	s_add_i32 s3, s3, s5
	s_ashr_i32 s14, s3, 5
	s_lshr_b32 s3, s6, 25
	s_add_i32 s4, s4, s3
	s_ashr_i32 s15, s4, 7
	s_mul_i32 s3, s15, s14
	s_mul_i32 s3, s3, s24
	s_add_i32 s4, s3, 0x12f
	s_mul_hi_i32 s4, s4, 0x6bca1af3
	s_lshr_b32 s5, s4, 31
	s_ashr_i32 s4, s4, 7
	s_add_i32 s4, s4, s5
	s_add_i32 s5, s2, 1
	s_mul_i32 s5, s4, s5
	v_cvt_f64_i32_e32 v[2:3], s3
	v_cvt_f64_u32_e32 v[4:5], s5
	v_min_f64 v[2:3], v[2:3], v[4:5]
	v_cvt_i32_f64_e32 v78, v[2:3]
	s_mul_i32 s33, s4, s2
	v_cmp_ge_i32_e32 vcc, s33, v78
	s_cbranch_vccnz .LBB104_54
; %bb.3:
	s_load_dwordx8 s[72:79], s[0:1], 0x0
	v_lshrrev_b32_e32 v1, 6, v0
	s_add_i32 s0, s26, s25
	v_cmp_le_i32_e64 s[28:29], s0, v1
	v_mov_b32_e32 v2, s25
	v_cmp_le_i32_e64 s[30:31], s25, v1
	v_mov_b32_e32 v3, s26
	v_cndmask_b32_e64 v3, 0, v3, s[28:29]
	v_cndmask_b32_e64 v2, 0, v2, s[30:31]
	s_abs_i32 s1, s24
	v_add_u32_e32 v2, v2, v3
	v_cvt_f32_u32_e32 v3, s1
	v_sub_u32_e32 v72, v1, v2
	s_ashr_i32 s2, s22, 31
	s_lshr_b32 s2, s2, 26
	v_rcp_iflag_f32_e32 v2, v3
	s_sub_i32 s5, 0, s1
	s_add_i32 s2, s22, s2
	s_ashr_i32 s2, s2, 6
	v_mul_f32_e32 v2, 0x4f7ffffe, v2
	v_cvt_u32_f32_e32 v2, v2
	s_abs_i32 s4, s2
	s_xor_b32 s3, s2, s24
	s_ashr_i32 s3, s3, 31
	v_readfirstlane_b32 s6, v2
	s_mul_i32 s5, s5, s6
	s_mul_hi_u32 s5, s6, s5
	s_add_i32 s6, s6, s5
	s_mul_hi_u32 s5, s4, s6
	s_mul_i32 s6, s5, s1
	s_sub_i32 s4, s4, s6
	s_add_i32 s6, s5, 1
	s_sub_i32 s7, s4, s1
	s_cmp_ge_u32 s4, s1
	s_cselect_b32 s5, s6, s5
	s_cselect_b32 s4, s7, s4
	s_add_i32 s6, s5, 1
	s_cmp_ge_u32 s4, s1
	v_lshrrev_b32_e32 v2, 3, v0
	v_lshrrev_b32_e32 v7, 1, v0
	s_cselect_b32 s1, s6, s5
	s_add_i32 s0, s0, s27
	v_and_b32_e32 v80, 31, v0
	v_and_b32_e32 v3, 4, v2
	;; [unrolled: 1-line block ×3, first 2 shown]
	v_lshlrev_b32_e32 v7, 4, v0
	v_cmp_gt_i32_e64 s[36:37], s0, v1
	v_lshlrev_b32_e32 v1, 2, v80
	v_lshlrev_b32_e32 v2, 6, v3
	v_and_b32_e32 v7, 0x200, v7
	s_abs_i32 s97, s14
                                        ; implicit-def: $vgpr127 : SGPR spill to VGPR lane
	v_or_b32_e32 v4, 0x6000, v1
	v_or_b32_e32 v82, v1, v2
	v_and_b32_e32 v5, 1, v0
	v_or_b32_e32 v94, v1, v7
	v_cvt_f32_u32_e32 v1, s97
	v_writelane_b32 v127, s14, 0
	v_or_b32_e32 v81, v4, v2
	v_lshlrev_b32_e32 v2, 1, v5
	v_writelane_b32 v127, s15, 1
	v_sub_u32_e32 v2, v0, v2
	s_waitcnt lgkmcnt(0)
	v_writelane_b32 v127, s72, 2
	v_add_u32_e32 v2, 1, v2
	v_and_b32_e32 v6, 63, v2
	v_writelane_b32 v127, s73, 3
	v_bitop3_b32 v83, v0, 1, v0 bitop3:0xc
	v_bitop3_b32 v84, v0, 3, 1 bitop3:0x6c
	;; [unrolled: 1-line block ×8, first 2 shown]
	v_and_b32_e32 v2, 30, v0
	v_bitop3_b32 v95, v0, 31, v0 bitop3:0xc
	v_rcp_iflag_f32_e32 v0, v1
	s_abs_i32 s98, s15
	v_writelane_b32 v127, s74, 4
	v_cvt_f32_u32_e32 v1, s98
	v_writelane_b32 v127, s75, 5
	v_writelane_b32 v127, s76, 6
	;; [unrolled: 1-line block ×3, first 2 shown]
	v_mul_f32_e32 v0, 0x4f7ffffe, v0
	v_writelane_b32 v127, s78, 8
	v_cvt_u32_f32_e32 v0, v0
	v_rcp_iflag_f32_e32 v1, v1
	v_writelane_b32 v127, s79, 9
	v_cndmask_b32_e64 v79, 0, 1, s[28:29]
	s_xor_b32 s1, s1, s3
	v_writelane_b32 v127, s28, 10
	s_sub_i32 s17, s1, s3
	s_add_i32 s34, s24, -1
	v_writelane_b32 v127, s29, 11
	s_mul_i32 s1, s17, s34
	v_writelane_b32 v127, s30, 12
	s_sub_i32 s35, s2, s1
	v_readfirstlane_b32 s1, v0
	v_mul_f32_e32 v0, 0x4f7ffffe, v1
	v_writelane_b32 v127, s31, 13
	v_cvt_u32_f32_e32 v0, v0
	v_writelane_b32 v127, s17, 14
	s_sub_i32 s0, 0, s97
	v_writelane_b32 v127, s34, 15
	s_mul_i32 s0, s0, s1
	v_writelane_b32 v127, s35, 16
	s_mul_hi_u32 s0, s1, s0
	v_writelane_b32 v127, s36, 17
	s_ashr_i32 s38, s14, 31
	s_add_i32 s39, s1, s0
	s_sub_i32 s0, 0, s98
	v_readfirstlane_b32 s1, v0
	v_writelane_b32 v127, s37, 18
	s_mul_i32 s0, s0, s1
	v_mbcnt_lo_u32_b32 v0, -1, 0
	v_writelane_b32 v127, s38, 19
	s_ashr_i32 s40, s15, 31
	s_mul_hi_u32 s0, s1, s0
	v_mbcnt_hi_u32_b32 v0, -1, v0
	v_writelane_b32 v127, s39, 20
	v_mov_b32_e32 v65, 0
	v_mul_lo_u32 v8, s23, v80
	v_or_b32_e32 v98, v5, v3
	s_add_i32 s41, s1, s0
	v_and_or_b32 v0, v0, 64, v6
	v_writelane_b32 v127, s40, 21
	v_ashrrev_i32_e32 v9, 31, v8
	v_mov_b32_e32 v67, v65
	s_lshl_b32 s24, s23, 5
	v_mul_lo_u32 v96, s22, v80
	v_or_b32_e32 v97, v4, v7
	v_or_b32_e32 v99, 2, v98
	v_lshlrev_b32_e32 v64, 1, v2
	v_lshlrev_b32_e32 v100, 2, v0
	v_mov_b32_e32 v101, v72
	v_writelane_b32 v127, s41, 22
	scratch_store_dwordx2 off, v[8:9], off  ; 8-byte Folded Spill
	s_branch .LBB104_7
.LBB104_4:                              ;   in Loop: Header=BB104_7 Depth=1
	s_or_b64 exec, exec, s[4:5]
.LBB104_5:                              ;   in Loop: Header=BB104_7 Depth=1
	s_or_b64 exec, exec, s[2:3]
	v_subrev_u32_e32 v101, s99, v101
.LBB104_6:                              ;   in Loop: Header=BB104_7 Depth=1
	s_or_b64 exec, exec, s[0:1]
	s_add_i32 s33, s33, 1
	v_cmp_ge_i32_e32 vcc, s33, v78
	s_cbranch_vccnz .LBB104_54
.LBB104_7:                              ; =>This Loop Header: Depth=1
                                        ;     Child Loop BB104_13 Depth 2
                                        ;       Child Loop BB104_15 Depth 3
                                        ;       Child Loop BB104_18 Depth 3
	;; [unrolled: 1-line block ×5, first 2 shown]
                                        ;     Child Loop BB104_32 Depth 2
                                        ;     Child Loop BB104_41 Depth 2
                                        ;       Child Loop BB104_43 Depth 3
                                        ;     Child Loop BB104_51 Depth 2
                                        ;       Child Loop BB104_53 Depth 3
	s_abs_i32 s1, s33
	s_mul_hi_u32 s2, s1, s39
	s_mul_i32 s3, s2, s97
	s_ashr_i32 s0, s33, 31
	s_sub_i32 s1, s1, s3
	s_xor_b32 s0, s0, s38
	s_add_i32 s3, s2, 1
	s_sub_i32 s4, s1, s97
	s_cmp_ge_u32 s1, s97
	s_cselect_b32 s2, s3, s2
	s_cselect_b32 s1, s4, s1
	s_add_i32 s3, s2, 1
	s_cmp_ge_u32 s1, s97
	s_cselect_b32 s1, s3, s2
	s_xor_b32 s1, s1, s0
	s_sub_i32 s0, s1, s0
	s_abs_i32 s2, s0
	s_mul_i32 s1, s0, s14
	s_mul_hi_u32 s3, s2, s41
	s_sub_i32 s1, s33, s1
	s_mul_i32 s4, s3, s98
	s_lshl_b32 s96, s1, 5
	s_ashr_i32 s1, s0, 31
	s_sub_i32 s2, s2, s4
	s_xor_b32 s1, s1, s40
	s_add_i32 s4, s3, 1
	s_sub_i32 s5, s2, s98
	s_cmp_ge_u32 s2, s98
	s_cselect_b32 s3, s4, s3
	s_cselect_b32 s2, s5, s2
	s_add_i32 s4, s3, 1
	s_cmp_ge_u32 s2, s98
	s_cselect_b32 s2, s4, s3
	s_xor_b32 s2, s2, s1
	s_sub_i32 s1, s2, s1
	s_mul_i32 s2, s1, s17
	s_lshl_b32 s46, s2, 6
	s_cmp_eq_u32 s1, s34
	s_cselect_b32 s99, s35, s17
	s_sub_i32 s2, s96, s20
	s_add_i32 s71, s2, 32
	s_and_saveexec_b64 s[2:3], s[30:31]
	s_xor_b64 s[4:5], exec, s[2:3]
	s_cbranch_execz .LBB104_47
; %bb.8:                                ;   in Loop: Header=BB104_7 Depth=1
	s_mul_i32 s1, s1, s15
	s_sub_i32 s0, s0, s1
	s_lshl_b32 s0, s0, 7
	s_sub_i32 s70, s0, s21
	s_addk_i32 s70, 0x80
	s_max_i32 s1, s70, 0
	s_sub_i32 s0, s0, s1
	s_and_saveexec_b64 s[2:3], s[28:29]
	s_xor_b64 s[2:3], exec, s[2:3]
	s_cbranch_execz .LBB104_37
; %bb.9:                                ;   in Loop: Header=BB104_7 Depth=1
	s_and_saveexec_b64 s[8:9], s[36:37]
	s_cbranch_execz .LBB104_36
; %bb.10:                               ;   in Loop: Header=BB104_7 Depth=1
	global_load_dword v102, v65, s[78:79]
	v_writelane_b32 v127, s8, 23
	v_mov_b32_e32 v63, 0
	v_cmp_gt_i32_e32 vcc, s99, v101
	v_writelane_b32 v127, s9, 24
	v_mov_b32_e32 v62, v63
	v_mov_b32_e32 v61, v63
	;; [unrolled: 1-line block ×63, first 2 shown]
	s_and_saveexec_b64 s[6:7], vcc
	s_cbranch_execz .LBB104_29
; %bb.11:                               ;   in Loop: Header=BB104_7 Depth=1
	v_mov_b32_e32 v0, 0
	s_mov_b64 s[8:9], 0
	v_mov_b32_e32 v1, v0
	v_mov_b32_e32 v2, v0
	;; [unrolled: 1-line block ×63, first 2 shown]
	s_branch .LBB104_13
.LBB104_12:                             ;   in Loop: Header=BB104_13 Depth=2
	s_or_b64 exec, exec, s[10:11]
	v_add_u32_e32 v107, 0x1800, v106
	ds_read2_b32 v[108:109], v107 offset1:32
	v_add_u32_e32 v101, s27, v101
	s_waitcnt lgkmcnt(0)
	v_mfma_f32_32x32x16_fp8_fp8 v[0:15], v[76:77], v[108:109], v[0:15]
	ds_read2_b32 v[76:77], v107 offset0:128 offset1:160
	s_waitcnt lgkmcnt(0)
	v_mfma_f32_32x32x16_fp8_fp8 v[0:15], v[74:75], v[76:77], v[0:15]
	v_add_u32_e32 v76, 0x1c00, v106
	ds_read2_b32 v[74:75], v76 offset1:32
	ds_read2_b32 v[76:77], v76 offset0:128 offset1:160
	ds_write_b32 v104, v105 offset:30748
	s_waitcnt lgkmcnt(2)
	v_mfma_f32_32x32x16_fp8_fp8 v[0:15], v[72:73], v[74:75], v[0:15]
	v_add_u32_e32 v72, s27, v103
	v_add_u32_e32 v73, 2, v79
	v_cmp_lt_i32_e32 vcc, 2, v72
	s_nop 1
	v_cndmask_b32_e32 v79, v79, v73, vcc
	v_cmp_le_i32_e32 vcc, s99, v101
	s_waitcnt lgkmcnt(1)
	v_mfma_f32_32x32x16_fp8_fp8 v[0:15], v[70:71], v[76:77], v[0:15]
	s_or_b64 s[8:9], vcc, s[8:9]
	s_andn2_b64 exec, exec, s[8:9]
	s_cbranch_execz .LBB104_28
.LBB104_13:                             ;   Parent Loop BB104_7 Depth=1
                                        ; =>  This Loop Header: Depth=2
                                        ;       Child Loop BB104_15 Depth 3
                                        ;       Child Loop BB104_18 Depth 3
	;; [unrolled: 1-line block ×5, first 2 shown]
	v_cmp_gt_i32_e32 vcc, 3, v72
	s_nop 1
	v_cndmask_b32_e64 v70, -3, 0, vcc
	v_add_u32_e32 v103, v70, v72
	v_lshlrev_b32_e32 v104, 5, v103
	ds_read_b32 v70, v104 offset:30720
	s_waitcnt lgkmcnt(0)
	v_cmp_ne_u32_e32 vcc, v70, v79
	s_and_saveexec_b64 s[10:11], vcc
	s_cbranch_execz .LBB104_16
; %bb.14:                               ;   in Loop: Header=BB104_13 Depth=2
	s_mov_b64 s[12:13], 0
.LBB104_15:                             ;   Parent Loop BB104_7 Depth=1
                                        ;     Parent Loop BB104_13 Depth=2
                                        ; =>    This Inner Loop Header: Depth=3
	;;#ASMSTART
	s_sleep 0
	;;#ASMEND
	ds_read_b32 v70, v104 offset:30720
	s_waitcnt lgkmcnt(0)
	v_cmp_eq_u32_e32 vcc, v70, v79
	s_or_b64 s[12:13], vcc, s[12:13]
	s_andn2_b64 exec, exec, s[12:13]
	s_cbranch_execnz .LBB104_15
.LBB104_16:                             ;   in Loop: Header=BB104_13 Depth=2
	s_or_b64 exec, exec, s[10:11]
	v_lshl_add_u32 v70, v103, 11, v81
	ds_read2_b32 v[76:77], v70 offset1:32
	ds_read2_b32 v[74:75], v70 offset0:128 offset1:160
	v_add_u32_e32 v70, 0x400, v70
	ds_read2_b32 v[72:73], v70 offset1:32
	ds_read_b32 v106, v104 offset:30724
	ds_read2_b32 v[70:71], v70 offset0:128 offset1:160
	v_add_u32_e32 v105, 1, v79
	ds_write_b32 v104, v105 offset:30720
	s_waitcnt lgkmcnt(2)
	v_cmp_ne_u32_e32 vcc, v106, v79
	s_and_saveexec_b64 s[10:11], vcc
	s_cbranch_execz .LBB104_19
; %bb.17:                               ;   in Loop: Header=BB104_13 Depth=2
	s_mov_b64 s[12:13], 0
.LBB104_18:                             ;   Parent Loop BB104_7 Depth=1
                                        ;     Parent Loop BB104_13 Depth=2
                                        ; =>    This Inner Loop Header: Depth=3
	;;#ASMSTART
	s_sleep 0
	;;#ASMEND
	ds_read_b32 v106, v104 offset:30724
	s_waitcnt lgkmcnt(0)
	v_cmp_eq_u32_e32 vcc, v106, v79
	s_or_b64 s[12:13], vcc, s[12:13]
	s_andn2_b64 exec, exec, s[12:13]
	s_cbranch_execnz .LBB104_18
.LBB104_19:                             ;   in Loop: Header=BB104_13 Depth=2
	s_or_b64 exec, exec, s[10:11]
	v_lshlrev_b32_e32 v106, 13, v103
	v_or_b32_e32 v107, v82, v106
	ds_read2_b32 v[108:109], v107 offset1:32
	ds_write_b32 v104, v105 offset:30724
	s_waitcnt lgkmcnt(1)
	v_mfma_f32_32x32x16_fp8_fp8 v[48:63], v[76:77], v[108:109], v[48:63]
	ds_read2_b32 v[108:109], v107 offset0:128 offset1:160
	v_add_u32_e32 v107, 0x400, v107
	s_waitcnt lgkmcnt(0)
	v_mfma_f32_32x32x16_fp8_fp8 v[48:63], v[74:75], v[108:109], v[48:63]
	ds_read2_b32 v[108:109], v107 offset1:32
	s_waitcnt lgkmcnt(0)
	v_mfma_f32_32x32x16_fp8_fp8 v[48:63], v[72:73], v[108:109], v[48:63]
	ds_read2_b32 v[108:109], v107 offset0:128 offset1:160
	ds_read_b32 v107, v104 offset:30732
	s_waitcnt lgkmcnt(0)
	v_cmp_ne_u32_e32 vcc, v107, v79
	v_mfma_f32_32x32x16_fp8_fp8 v[48:63], v[70:71], v[108:109], v[48:63]
	s_and_saveexec_b64 s[10:11], vcc
	s_cbranch_execz .LBB104_22
; %bb.20:                               ;   in Loop: Header=BB104_13 Depth=2
	s_mov_b64 s[12:13], 0
.LBB104_21:                             ;   Parent Loop BB104_7 Depth=1
                                        ;     Parent Loop BB104_13 Depth=2
                                        ; =>    This Inner Loop Header: Depth=3
	;;#ASMSTART
	s_sleep 0
	;;#ASMEND
	ds_read_b32 v107, v104 offset:30732
	s_waitcnt lgkmcnt(0)
	v_cmp_eq_u32_e32 vcc, v107, v79
	s_or_b64 s[12:13], vcc, s[12:13]
	s_andn2_b64 exec, exec, s[12:13]
	s_cbranch_execnz .LBB104_21
.LBB104_22:                             ;   in Loop: Header=BB104_13 Depth=2
	s_or_b64 exec, exec, s[10:11]
	v_add_u32_e32 v106, v82, v106
	v_add_u32_e32 v107, 0x800, v106
	ds_read2_b32 v[108:109], v107 offset1:32
	ds_write_b32 v104, v105 offset:30732
	s_waitcnt lgkmcnt(1)
	v_mfma_f32_32x32x16_fp8_fp8 v[32:47], v[76:77], v[108:109], v[32:47]
	ds_read2_b32 v[108:109], v107 offset0:128 offset1:160
	v_add_u32_e32 v107, 0xc00, v106
	s_waitcnt lgkmcnt(0)
	v_mfma_f32_32x32x16_fp8_fp8 v[32:47], v[74:75], v[108:109], v[32:47]
	ds_read2_b32 v[108:109], v107 offset1:32
	s_waitcnt lgkmcnt(0)
	v_mfma_f32_32x32x16_fp8_fp8 v[32:47], v[72:73], v[108:109], v[32:47]
	ds_read2_b32 v[108:109], v107 offset0:128 offset1:160
	ds_read_b32 v107, v104 offset:30740
	s_waitcnt lgkmcnt(0)
	v_cmp_ne_u32_e32 vcc, v107, v79
	v_mfma_f32_32x32x16_fp8_fp8 v[32:47], v[70:71], v[108:109], v[32:47]
	s_and_saveexec_b64 s[10:11], vcc
	s_cbranch_execz .LBB104_25
; %bb.23:                               ;   in Loop: Header=BB104_13 Depth=2
	s_mov_b64 s[12:13], 0
.LBB104_24:                             ;   Parent Loop BB104_7 Depth=1
                                        ;     Parent Loop BB104_13 Depth=2
                                        ; =>    This Inner Loop Header: Depth=3
	;;#ASMSTART
	s_sleep 0
	;;#ASMEND
	ds_read_b32 v107, v104 offset:30740
	s_waitcnt lgkmcnt(0)
	v_cmp_eq_u32_e32 vcc, v107, v79
	s_or_b64 s[12:13], vcc, s[12:13]
	s_andn2_b64 exec, exec, s[12:13]
	s_cbranch_execnz .LBB104_24
.LBB104_25:                             ;   in Loop: Header=BB104_13 Depth=2
	s_or_b64 exec, exec, s[10:11]
	v_add_u32_e32 v107, 0x1000, v106
	ds_read2_b32 v[108:109], v107 offset1:32
	s_waitcnt lgkmcnt(0)
	v_mfma_f32_32x32x16_fp8_fp8 v[16:31], v[76:77], v[108:109], v[16:31]
	ds_read2_b32 v[108:109], v107 offset0:128 offset1:160
	v_add_u32_e32 v107, 0x1400, v106
	s_waitcnt lgkmcnt(0)
	v_mfma_f32_32x32x16_fp8_fp8 v[16:31], v[74:75], v[108:109], v[16:31]
	ds_read2_b32 v[108:109], v107 offset1:32
	s_waitcnt lgkmcnt(0)
	v_mfma_f32_32x32x16_fp8_fp8 v[16:31], v[72:73], v[108:109], v[16:31]
	ds_read_b32 v110, v104 offset:30748
	ds_read2_b32 v[108:109], v107 offset0:128 offset1:160
	ds_write_b32 v104, v105 offset:30740
	s_waitcnt lgkmcnt(2)
	v_cmp_ne_u32_e32 vcc, v110, v79
	s_waitcnt lgkmcnt(1)
	v_mfma_f32_32x32x16_fp8_fp8 v[16:31], v[70:71], v[108:109], v[16:31]
	s_and_saveexec_b64 s[10:11], vcc
	s_cbranch_execz .LBB104_12
; %bb.26:                               ;   in Loop: Header=BB104_13 Depth=2
	s_mov_b64 s[12:13], 0
.LBB104_27:                             ;   Parent Loop BB104_7 Depth=1
                                        ;     Parent Loop BB104_13 Depth=2
                                        ; =>    This Inner Loop Header: Depth=3
	;;#ASMSTART
	s_sleep 0
	;;#ASMEND
	ds_read_b32 v107, v104 offset:30748
	s_waitcnt lgkmcnt(0)
	v_cmp_eq_u32_e32 vcc, v107, v79
	s_or_b64 s[12:13], vcc, s[12:13]
	s_andn2_b64 exec, exec, s[12:13]
	s_cbranch_execnz .LBB104_27
	s_branch .LBB104_12
.LBB104_28:                             ;   in Loop: Header=BB104_7 Depth=1
	s_or_b64 exec, exec, s[8:9]
.LBB104_29:                             ;   in Loop: Header=BB104_7 Depth=1
	v_writelane_b32 v127, s71, 25
	v_writelane_b32 v127, s46, 26
	s_or_b64 exec, exec, s[6:7]
	v_cmp_le_i32_e32 vcc, s70, v80
	v_cmp_eq_u32_e64 s[64:65], 1, v83
	v_cmp_eq_u32_e64 s[36:37], 2, v83
	s_waitcnt vmcnt(0)
	v_cndmask_b32_e32 v70, 0, v102, vcc
	v_pk_mul_f32 v[48:49], v[70:71], v[48:49] op_sel_hi:[0,1]
	v_pk_mul_f32 v[62:63], v[70:71], v[62:63] op_sel_hi:[0,1]
	;; [unrolled: 1-line block ×8, first 2 shown]
	v_cndmask_b32_e64 v70, v48, v49, s[64:65]
	v_cndmask_b32_e64 v70, v70, v50, s[36:37]
	v_cmp_eq_u32_e64 s[40:41], 3, v83
	v_cmp_eq_u32_e64 s[42:43], 4, v83
	v_cmp_eq_u32_e64 s[44:45], 5, v83
	v_cndmask_b32_e64 v70, v70, v51, s[40:41]
	v_cndmask_b32_e64 v70, v70, v52, s[42:43]
	v_cndmask_b32_e64 v70, v70, v53, s[44:45]
	v_cmp_eq_u32_e64 s[46:47], 6, v83
	v_cmp_eq_u32_e64 s[48:49], 7, v83
	v_cmp_eq_u32_e64 s[50:51], 8, v83
	v_cndmask_b32_e64 v70, v70, v54, s[46:47]
	;; [unrolled: 6-line block ×4, first 2 shown]
	v_cndmask_b32_e64 v70, v70, v61, s[60:61]
	v_cndmask_b32_e64 v70, v70, v62, s[62:63]
	v_cmp_eq_u32_e64 s[66:67], 15, v83
	s_mul_i32 s6, s96, s21
	s_ashr_i32 s7, s6, 31
	v_cndmask_b32_e64 v70, v70, v63, s[66:67]
	ds_bpermute_b32 v70, v100, v70
	s_lshl_b64 s[6:7], s[6:7], 1
	v_cmp_eq_u32_e64 s[34:35], 0, v83
	s_add_u32 s68, s76, s6
	v_cmp_eq_u32_e32 vcc, 1, v84
	s_waitcnt lgkmcnt(0)
	v_cndmask_b32_e64 v63, v63, v70, s[66:67]
	v_cndmask_b32_e64 v62, v62, v70, s[62:63]
	v_cndmask_b32_e64 v61, v61, v70, s[60:61]
	v_cndmask_b32_e64 v60, v60, v70, s[58:59]
	v_cndmask_b32_e64 v59, v59, v70, s[56:57]
	v_cndmask_b32_e64 v58, v58, v70, s[54:55]
	v_cndmask_b32_e64 v57, v57, v70, s[52:53]
	v_cndmask_b32_e64 v56, v56, v70, s[50:51]
	v_cndmask_b32_e64 v73, v55, v70, s[48:49]
	v_cndmask_b32_e64 v74, v54, v70, s[46:47]
	v_cndmask_b32_e64 v75, v53, v70, s[44:45]
	v_cndmask_b32_e64 v76, v52, v70, s[42:43]
	v_cndmask_b32_e64 v77, v51, v70, s[40:41]
	v_cndmask_b32_e64 v103, v50, v70, s[36:37]
	v_cndmask_b32_e64 v104, v49, v70, s[64:65]
	v_cndmask_b32_e64 v70, v48, v70, s[34:35]
	s_addc_u32 s69, s77, s7
	v_cndmask_b32_e32 v48, v70, v104, vcc
	v_cmp_eq_u32_e64 s[6:7], 2, v84
	v_cmp_eq_u32_e64 s[8:9], 3, v84
	;; [unrolled: 1-line block ×3, first 2 shown]
	v_cndmask_b32_e64 v48, v48, v103, s[6:7]
	v_cndmask_b32_e64 v48, v48, v77, s[8:9]
	;; [unrolled: 1-line block ×3, first 2 shown]
	v_cmp_eq_u32_e64 s[12:13], 5, v84
	v_cmp_eq_u32_e64 s[14:15], 6, v84
	;; [unrolled: 1-line block ×3, first 2 shown]
	v_cndmask_b32_e64 v48, v48, v75, s[12:13]
	v_cndmask_b32_e64 v48, v48, v74, s[14:15]
	;; [unrolled: 1-line block ×3, first 2 shown]
	v_cmp_eq_u32_e64 s[18:19], 8, v84
	v_cmp_eq_u32_e64 s[74:75], 9, v84
	;; [unrolled: 1-line block ×3, first 2 shown]
	v_cndmask_b32_e64 v48, v48, v56, s[18:19]
	v_cndmask_b32_e64 v48, v48, v57, s[74:75]
	s_ashr_i32 s1, s0, 31
	v_cndmask_b32_e64 v48, v48, v58, s[76:77]
	v_cmp_eq_u32_e64 s[78:79], 11, v84
	s_lshl_b64 s[38:39], s[0:1], 1
	v_cmp_eq_u32_e64 s[80:81], 12, v84
	v_cndmask_b32_e64 v48, v48, v59, s[78:79]
	s_add_u32 s38, s68, s38
	v_cndmask_b32_e64 v48, v48, v60, s[80:81]
	v_cmp_eq_u32_e64 s[28:29], 13, v84
	s_addc_u32 s39, s69, s39
	v_cmp_eq_u32_e64 s[30:31], 14, v84
	v_cndmask_b32_e64 v48, v48, v61, s[28:29]
	v_writelane_b32 v127, s38, 27
	v_cndmask_b32_e64 v48, v48, v62, s[30:31]
	v_or_b32_e32 v68, 64, v80
	v_writelane_b32 v127, s39, 28
	v_cmp_eq_u32_e64 s[38:39], 15, v84
	v_cmp_eq_u32_e64 s[72:73], 9, v85
	;; [unrolled: 1-line block ×3, first 2 shown]
	v_cndmask_b32_e64 v48, v48, v63, s[38:39]
	ds_bpermute_b32 v71, v100, v48
	v_or_b32_e32 v48, 32, v80
	v_cmp_le_i32_e64 s[68:69], s70, v48
	v_cmp_eq_u32_e64 s[86:87], 6, v86
	v_cmp_eq_u32_e64 s[90:91], 7, v86
	v_cndmask_b32_e64 v48, 0, v102, s[68:69]
	v_cmp_le_i32_e64 s[68:69], s70, v68
	v_or_b32_e32 v68, 0x60, v80
	s_waitcnt lgkmcnt(0)
	v_cndmask_b32_e64 v54, v58, v71, s[76:77]
	v_cndmask_b32_e64 v58, v74, v71, s[14:15]
	;; [unrolled: 1-line block ×3, first 2 shown]
	v_cmp_le_i32_e64 s[68:69], s70, v68
	v_cndmask_b32_e64 v49, v63, v71, s[38:39]
	v_pk_mul_f32 v[30:31], v[74:75], v[30:31] op_sel_hi:[0,1]
	v_pk_mul_f32 v[28:29], v[74:75], v[28:29] op_sel_hi:[0,1]
	;; [unrolled: 1-line block ×8, first 2 shown]
	v_cndmask_b32_e64 v74, 0, v102, s[68:69]
	v_pk_mul_f32 v[32:33], v[48:49], v[32:33] op_sel_hi:[0,1]
	v_cmp_eq_u32_e64 s[68:69], 0, v84
	v_pk_mul_f32 v[0:1], v[74:75], v[0:1] op_sel_hi:[0,1]
	v_cndmask_b32_e64 v50, v62, v71, s[30:31]
	v_cndmask_b32_e64 v51, v61, v71, s[28:29]
	v_cndmask_b32_e64 v52, v60, v71, s[80:81]
	v_cndmask_b32_e64 v53, v59, v71, s[78:79]
	v_cndmask_b32_e64 v55, v57, v71, s[74:75]
	v_cndmask_b32_e64 v56, v56, v71, s[18:19]
	v_cndmask_b32_e64 v57, v73, v71, s[16:17]
	v_cndmask_b32_e64 v59, v75, v71, s[12:13]
	v_cndmask_b32_e64 v60, v76, v71, s[10:11]
	v_cndmask_b32_e64 v61, v77, v71, s[8:9]
	v_cndmask_b32_e64 v62, v103, v71, s[6:7]
	v_cndmask_b32_e32 v63, v104, v71, vcc
	v_pk_mul_f32 v[46:47], v[48:49], v[46:47] op_sel_hi:[0,1]
	v_pk_mul_f32 v[44:45], v[48:49], v[44:45] op_sel_hi:[0,1]
	v_pk_mul_f32 v[42:43], v[48:49], v[42:43] op_sel_hi:[0,1]
	v_pk_mul_f32 v[40:41], v[48:49], v[40:41] op_sel_hi:[0,1]
	v_pk_mul_f32 v[38:39], v[48:49], v[38:39] op_sel_hi:[0,1]
	v_pk_mul_f32 v[36:37], v[48:49], v[36:37] op_sel_hi:[0,1]
	v_pk_mul_f32 v[34:35], v[48:49], v[34:35] op_sel_hi:[0,1]
	v_cndmask_b32_e64 v48, v32, v33, s[64:65]
	v_cndmask_b32_e64 v73, v16, v17, s[64:65]
	v_cndmask_b32_e64 v70, v70, v71, s[68:69]
	v_pk_mul_f32 v[2:3], v[74:75], v[2:3] op_sel_hi:[0,1]
	v_cndmask_b32_e64 v71, v0, v1, s[64:65]
	v_cndmask_b32_e64 v48, v48, v34, s[36:37]
	v_cndmask_b32_e64 v73, v73, v18, s[36:37]
	v_cndmask_b32_e64 v71, v71, v2, s[36:37]
	v_cndmask_b32_e64 v48, v48, v35, s[40:41]
	v_cndmask_b32_e64 v73, v73, v19, s[40:41]
	v_pk_mul_f32 v[4:5], v[74:75], v[4:5] op_sel_hi:[0,1]
	v_cndmask_b32_e64 v71, v71, v3, s[40:41]
	v_cndmask_b32_e64 v48, v48, v36, s[42:43]
	v_cndmask_b32_e64 v73, v73, v20, s[42:43]
	;; [unrolled: 7-line block ×7, first 2 shown]
	v_cndmask_b32_e64 v71, v71, v14, s[62:63]
	v_cndmask_b32_e64 v48, v48, v47, s[66:67]
	;; [unrolled: 1-line block ×4, first 2 shown]
	ds_bpermute_b32 v48, v100, v48
	ds_bpermute_b32 v73, v100, v73
	;; [unrolled: 1-line block ×3, first 2 shown]
	v_cmp_eq_u32_e64 s[70:71], 7, v85
	v_cmp_eq_u32_e64 s[84:85], 13, v87
	s_waitcnt lgkmcnt(2)
	v_cndmask_b32_e64 v34, v34, v48, s[36:37]
	s_waitcnt lgkmcnt(1)
	v_cndmask_b32_e64 v18, v18, v73, s[36:37]
	;; [unrolled: 2-line block ×3, first 2 shown]
	v_cmp_ne_u32_e64 s[36:37], 0, v83
	v_cndmask_b32_e64 v33, v33, v48, s[64:65]
	v_cndmask_b32_e64 v17, v17, v73, s[64:65]
	v_cmp_eq_u32_e64 s[64:65], 1, v85
	v_cndmask_b32_e64 v1, v1, v71, s[36:37]
	v_cndmask_b32_e64 v32, v32, v48, s[34:35]
	;; [unrolled: 1-line block ×8, first 2 shown]
	v_cmp_eq_u32_e64 s[66:67], 2, v85
	v_cndmask_b32_e64 v46, v46, v48, s[62:63]
	v_cndmask_b32_e64 v30, v30, v73, s[62:63]
	v_cndmask_b32_e64 v14, v14, v71, s[62:63]
	v_cndmask_b32_e64 v45, v45, v48, s[60:61]
	v_cndmask_b32_e64 v29, v29, v73, s[60:61]
	v_cndmask_b32_e64 v13, v13, v71, s[60:61]
	v_cndmask_b32_e64 v44, v44, v48, s[58:59]
	v_cndmask_b32_e64 v28, v28, v73, s[58:59]
	v_cndmask_b32_e64 v12, v12, v71, s[58:59]
	v_cndmask_b32_e64 v43, v43, v48, s[56:57]
	v_cndmask_b32_e64 v27, v27, v73, s[56:57]
	v_cndmask_b32_e64 v11, v11, v71, s[56:57]
	v_cndmask_b32_e64 v42, v42, v48, s[54:55]
	v_cndmask_b32_e64 v26, v26, v73, s[54:55]
	v_cndmask_b32_e64 v10, v10, v71, s[54:55]
	v_cndmask_b32_e64 v41, v41, v48, s[52:53]
	v_cndmask_b32_e64 v25, v25, v73, s[52:53]
	v_cndmask_b32_e64 v9, v9, v71, s[52:53]
	v_cndmask_b32_e64 v40, v40, v48, s[50:51]
	v_cndmask_b32_e64 v24, v24, v73, s[50:51]
	v_cndmask_b32_e64 v8, v8, v71, s[50:51]
	v_cndmask_b32_e64 v39, v39, v48, s[48:49]
	v_cndmask_b32_e64 v23, v23, v73, s[48:49]
	v_cndmask_b32_e64 v7, v7, v71, s[48:49]
	v_cndmask_b32_e64 v38, v38, v48, s[46:47]
	v_cndmask_b32_e64 v22, v22, v73, s[46:47]
	v_cndmask_b32_e64 v6, v6, v71, s[46:47]
	v_cndmask_b32_e64 v37, v37, v48, s[44:45]
	v_cndmask_b32_e64 v21, v21, v73, s[44:45]
	v_cndmask_b32_e64 v5, v5, v71, s[44:45]
	v_cndmask_b32_e64 v36, v36, v48, s[42:43]
	v_cndmask_b32_e64 v20, v20, v73, s[42:43]
	v_cndmask_b32_e64 v4, v4, v71, s[42:43]
	v_cndmask_b32_e64 v35, v35, v48, s[40:41]
	v_cndmask_b32_e64 v19, v19, v73, s[40:41]
	v_cndmask_b32_e64 v3, v3, v71, s[40:41]
	v_cndmask_b32_e32 v48, v32, v33, vcc
	v_cndmask_b32_e32 v73, v16, v17, vcc
	;; [unrolled: 1-line block ×3, first 2 shown]
	v_cndmask_b32_e64 v74, v74, v62, s[66:67]
	v_cmp_eq_u32_e64 s[62:63], 3, v85
	v_cndmask_b32_e64 v48, v48, v34, s[6:7]
	v_cndmask_b32_e64 v73, v73, v18, s[6:7]
	v_cndmask_b32_e64 v71, v71, v2, s[6:7]
	v_cndmask_b32_e64 v74, v74, v61, s[62:63]
	v_cmp_eq_u32_e64 s[60:61], 4, v85
	v_cndmask_b32_e64 v48, v48, v35, s[8:9]
	v_cndmask_b32_e64 v73, v73, v19, s[8:9]
	v_cndmask_b32_e64 v71, v71, v3, s[8:9]
	v_cndmask_b32_e64 v74, v74, v60, s[60:61]
	v_cmp_eq_u32_e64 s[58:59], 5, v85
	v_cndmask_b32_e64 v48, v48, v36, s[10:11]
	v_cndmask_b32_e64 v73, v73, v20, s[10:11]
	v_cndmask_b32_e64 v71, v71, v4, s[10:11]
	v_cndmask_b32_e64 v74, v74, v59, s[58:59]
	v_cmp_eq_u32_e64 s[56:57], 6, v85
	v_cndmask_b32_e64 v48, v48, v37, s[12:13]
	v_cndmask_b32_e64 v73, v73, v21, s[12:13]
	v_cndmask_b32_e64 v71, v71, v5, s[12:13]
	v_cndmask_b32_e64 v74, v74, v58, s[56:57]
	v_cndmask_b32_e64 v48, v48, v38, s[14:15]
	;; [unrolled: 1-line block ×5, first 2 shown]
	v_cmp_eq_u32_e64 s[52:53], 8, v85
	v_cndmask_b32_e64 v48, v48, v39, s[16:17]
	v_cndmask_b32_e64 v73, v73, v23, s[16:17]
	;; [unrolled: 1-line block ×8, first 2 shown]
	v_cmp_eq_u32_e64 s[48:49], 10, v85
	v_cndmask_b32_e64 v48, v48, v41, s[74:75]
	v_cndmask_b32_e64 v73, v73, v25, s[74:75]
	v_cndmask_b32_e64 v71, v71, v9, s[74:75]
	v_cndmask_b32_e64 v74, v74, v54, s[48:49]
	v_cmp_eq_u32_e64 s[50:51], 11, v85
	v_cndmask_b32_e64 v48, v48, v42, s[76:77]
	v_cndmask_b32_e64 v73, v73, v26, s[76:77]
	v_cndmask_b32_e64 v71, v71, v10, s[76:77]
	v_cndmask_b32_e64 v74, v74, v53, s[50:51]
	;; [unrolled: 5-line block ×6, first 2 shown]
	v_cndmask_b32_e64 v48, v48, v47, s[38:39]
	v_cndmask_b32_e64 v73, v73, v31, s[38:39]
	;; [unrolled: 1-line block ×3, first 2 shown]
	ds_bpermute_b32 v74, v100, v74
	ds_bpermute_b32 v48, v100, v48
	;; [unrolled: 1-line block ×4, first 2 shown]
	v_cmp_eq_u32_e64 s[46:47], 0, v85
	s_waitcnt lgkmcnt(3)
	v_cndmask_b32_e64 v63, v63, v74, s[64:65]
	v_cmp_eq_u32_e64 s[34:35], 1, v86
	v_cndmask_b32_e64 v70, v70, v74, s[46:47]
	s_waitcnt lgkmcnt(2)
	v_cndmask_b32_e32 v33, v33, v48, vcc
	s_waitcnt lgkmcnt(1)
	v_cndmask_b32_e32 v17, v17, v73, vcc
	;; [unrolled: 2-line block ×3, first 2 shown]
	v_cndmask_b32_e64 v32, v32, v48, s[68:69]
	v_cndmask_b32_e64 v16, v16, v73, s[68:69]
	;; [unrolled: 1-line block ×24, first 2 shown]
	v_cmp_eq_u32_e64 s[38:39], 2, v86
	v_cndmask_b32_e64 v45, v45, v48, s[28:29]
	v_cndmask_b32_e64 v29, v29, v73, s[28:29]
	;; [unrolled: 1-line block ×40, first 2 shown]
	v_cmp_eq_u32_e64 s[28:29], 3, v86
	v_cndmask_b32_e64 v48, v48, v34, s[66:67]
	v_cndmask_b32_e64 v73, v73, v18, s[66:67]
	;; [unrolled: 1-line block ×8, first 2 shown]
	v_cmp_eq_u32_e64 s[78:79], 5, v86
	v_cndmask_b32_e64 v48, v48, v36, s[60:61]
	v_cndmask_b32_e64 v73, v73, v20, s[60:61]
	;; [unrolled: 1-line block ×12, first 2 shown]
	v_cmp_eq_u32_e64 s[18:19], 8, v86
	v_cndmask_b32_e64 v48, v48, v39, s[70:71]
	v_cndmask_b32_e64 v73, v73, v23, s[70:71]
	v_cndmask_b32_e64 v71, v71, v7, s[70:71]
	v_cndmask_b32_e64 v74, v74, v56, s[18:19]
	v_cmp_eq_u32_e64 s[16:17], 9, v86
	v_cndmask_b32_e64 v48, v48, v40, s[52:53]
	v_cndmask_b32_e64 v73, v73, v24, s[52:53]
	v_cndmask_b32_e64 v71, v71, v8, s[52:53]
	v_cndmask_b32_e64 v74, v74, v55, s[16:17]
	;; [unrolled: 5-line block ×7, first 2 shown]
	v_cmp_eq_u32_e32 vcc, 15, v86
	v_cndmask_b32_e64 v48, v48, v46, s[40:41]
	v_cndmask_b32_e64 v73, v73, v30, s[40:41]
	v_cndmask_b32_e64 v71, v71, v14, s[40:41]
	v_cndmask_b32_e32 v74, v74, v49, vcc
	v_cndmask_b32_e64 v48, v48, v47, s[36:37]
	v_cndmask_b32_e64 v73, v73, v31, s[36:37]
	;; [unrolled: 1-line block ×3, first 2 shown]
	ds_bpermute_b32 v74, v100, v74
	ds_bpermute_b32 v48, v100, v48
	;; [unrolled: 1-line block ×4, first 2 shown]
	v_cmp_eq_u32_e64 s[8:9], 0, v86
	s_waitcnt lgkmcnt(3)
	v_cndmask_b32_e64 v63, v63, v74, s[34:35]
	s_waitcnt lgkmcnt(2)
	v_cndmask_b32_e64 v47, v47, v48, s[36:37]
	v_cndmask_b32_e64 v70, v70, v74, s[8:9]
	s_waitcnt lgkmcnt(1)
	v_cndmask_b32_e64 v31, v31, v73, s[36:37]
	s_waitcnt lgkmcnt(0)
	v_cndmask_b32_e64 v15, v15, v71, s[36:37]
	v_cmp_eq_u32_e64 s[36:37], 1, v87
	v_cndmask_b32_e64 v33, v33, v48, s[64:65]
	v_cndmask_b32_e64 v17, v17, v73, s[64:65]
	;; [unrolled: 1-line block ×6, first 2 shown]
	v_cndmask_b32_e32 v49, v49, v74, vcc
	v_cndmask_b32_e64 v50, v50, v74, s[6:7]
	v_cndmask_b32_e64 v51, v51, v74, s[30:31]
	;; [unrolled: 1-line block ×17, first 2 shown]
	v_cmp_eq_u32_e64 s[40:41], 2, v87
	v_cndmask_b32_e64 v45, v45, v48, s[42:43]
	v_cndmask_b32_e64 v29, v29, v73, s[42:43]
	;; [unrolled: 1-line block ×40, first 2 shown]
	v_cmp_eq_u32_e64 s[42:43], 3, v87
	v_cndmask_b32_e64 v48, v48, v34, s[38:39]
	v_cndmask_b32_e64 v73, v73, v18, s[38:39]
	v_cndmask_b32_e64 v71, v71, v2, s[38:39]
	v_cndmask_b32_e64 v74, v74, v61, s[42:43]
	v_cmp_eq_u32_e64 s[44:45], 4, v87
	v_cndmask_b32_e64 v48, v48, v35, s[28:29]
	v_cndmask_b32_e64 v73, v73, v19, s[28:29]
	v_cndmask_b32_e64 v71, v71, v3, s[28:29]
	v_cndmask_b32_e64 v74, v74, v60, s[44:45]
	;; [unrolled: 5-line block ×10, first 2 shown]
	v_cndmask_b32_e64 v48, v48, v44, s[10:11]
	v_cndmask_b32_e64 v73, v73, v28, s[10:11]
	;; [unrolled: 1-line block ×4, first 2 shown]
	v_cmp_eq_u32_e64 s[88:89], 14, v87
	v_cndmask_b32_e64 v48, v48, v45, s[30:31]
	v_cndmask_b32_e64 v73, v73, v29, s[30:31]
	;; [unrolled: 1-line block ×4, first 2 shown]
	v_cmp_eq_u32_e64 s[92:93], 15, v87
	v_cndmask_b32_e64 v48, v48, v46, s[6:7]
	v_cndmask_b32_e64 v73, v73, v30, s[6:7]
	;; [unrolled: 1-line block ×4, first 2 shown]
	v_cndmask_b32_e32 v48, v48, v47, vcc
	v_cndmask_b32_e32 v73, v73, v31, vcc
	;; [unrolled: 1-line block ×3, first 2 shown]
	ds_bpermute_b32 v74, v100, v74
	ds_bpermute_b32 v48, v100, v48
	;; [unrolled: 1-line block ×4, first 2 shown]
	v_cmp_eq_u32_e64 s[60:61], 0, v87
	s_waitcnt lgkmcnt(3)
	v_cndmask_b32_e64 v63, v63, v74, s[36:37]
	s_waitcnt lgkmcnt(2)
	v_cndmask_b32_e32 v47, v47, v48, vcc
	v_cndmask_b32_e64 v70, v70, v74, s[60:61]
	s_waitcnt lgkmcnt(1)
	v_cndmask_b32_e32 v31, v31, v73, vcc
	s_waitcnt lgkmcnt(0)
	v_cndmask_b32_e32 v15, v15, v71, vcc
	v_cmp_eq_u32_e32 vcc, 1, v88
	v_cndmask_b32_e64 v49, v49, v74, s[92:93]
	v_cndmask_b32_e64 v50, v50, v74, s[88:89]
	;; [unrolled: 1-line block ×14, first 2 shown]
	v_cndmask_b32_e32 v74, v70, v63, vcc
	v_cndmask_b32_e64 v46, v46, v48, s[6:7]
	v_cndmask_b32_e64 v30, v30, v73, s[6:7]
	v_cndmask_b32_e64 v14, v14, v71, s[6:7]
	v_cmp_eq_u32_e64 s[6:7], 2, v88
	v_cndmask_b32_e64 v1, v1, v71, s[34:35]
	v_cndmask_b32_e64 v0, v0, v71, s[8:9]
	;; [unrolled: 1-line block ×6, first 2 shown]
	v_cmp_eq_u32_e64 s[30:31], 3, v88
	v_cndmask_b32_e64 v12, v12, v71, s[10:11]
	v_cndmask_b32_e64 v11, v11, v71, s[12:13]
	;; [unrolled: 1-line block ×13, first 2 shown]
	v_cmp_eq_u32_e64 s[46:47], 4, v88
	v_cndmask_b32_e64 v71, v71, v2, s[40:41]
	v_cmp_eq_u32_e64 s[52:53], 5, v88
	v_cndmask_b32_e64 v74, v74, v60, s[46:47]
	v_cndmask_b32_e64 v71, v71, v3, s[42:43]
	;; [unrolled: 1-line block ×3, first 2 shown]
	v_cmp_eq_u32_e64 s[58:59], 6, v88
	v_cndmask_b32_e64 v71, v71, v4, s[44:45]
	v_cmp_eq_u32_e64 s[64:65], 7, v88
	v_cndmask_b32_e64 v74, v74, v58, s[58:59]
	v_cndmask_b32_e64 v33, v33, v48, s[34:35]
	;; [unrolled: 1-line block ×17, first 2 shown]
	v_cmp_eq_u32_e64 s[70:71], 8, v88
	v_cndmask_b32_e64 v39, v39, v48, s[90:91]
	v_cndmask_b32_e64 v23, v23, v73, s[90:91]
	v_cndmask_b32_e64 v38, v38, v48, s[86:87]
	v_cndmask_b32_e64 v22, v22, v73, s[86:87]
	v_cndmask_b32_e64 v37, v37, v48, s[78:79]
	v_cndmask_b32_e64 v21, v21, v73, s[78:79]
	v_cndmask_b32_e64 v36, v36, v48, s[82:83]
	v_cndmask_b32_e64 v20, v20, v73, s[82:83]
	v_cndmask_b32_e64 v35, v35, v48, s[28:29]
	v_cndmask_b32_e64 v19, v19, v73, s[28:29]
	v_cndmask_b32_e64 v34, v34, v48, s[38:39]
	v_cndmask_b32_e64 v18, v18, v73, s[38:39]
	v_cndmask_b32_e64 v48, v32, v33, s[36:37]
	v_cndmask_b32_e64 v73, v16, v17, s[36:37]
	v_cndmask_b32_e64 v71, v71, v6, s[54:55]
	v_cndmask_b32_e64 v74, v74, v56, s[70:71]
	v_cmp_eq_u32_e64 s[66:67], 9, v88
	v_cndmask_b32_e64 v48, v48, v34, s[40:41]
	v_cndmask_b32_e64 v73, v73, v18, s[40:41]
	v_cndmask_b32_e64 v71, v71, v7, s[68:69]
	v_cndmask_b32_e64 v74, v74, v55, s[66:67]
	v_cmp_eq_u32_e64 s[62:63], 10, v88
	v_cndmask_b32_e64 v48, v48, v35, s[42:43]
	v_cndmask_b32_e64 v73, v73, v19, s[42:43]
	v_cndmask_b32_e64 v71, v71, v8, s[72:73]
	v_cndmask_b32_e64 v74, v74, v54, s[62:63]
	;; [unrolled: 5-line block ×7, first 2 shown]
	v_cndmask_b32_e64 v48, v48, v41, s[74:75]
	v_cndmask_b32_e64 v73, v73, v25, s[74:75]
	;; [unrolled: 1-line block ×3, first 2 shown]
	ds_bpermute_b32 v74, v100, v74
	v_cndmask_b32_e64 v48, v48, v42, s[56:57]
	v_cndmask_b32_e64 v73, v73, v26, s[56:57]
	;; [unrolled: 1-line block ×5, first 2 shown]
	ds_bpermute_b32 v71, v100, v71
	v_cndmask_b32_e64 v48, v48, v44, s[80:81]
	v_cndmask_b32_e64 v73, v73, v28, s[80:81]
	;; [unrolled: 1-line block ×6, first 2 shown]
	v_cmp_eq_u32_e64 s[48:49], 0, v88
	s_waitcnt lgkmcnt(1)
	v_cndmask_b32_e32 v63, v63, v74, vcc
	v_cndmask_b32_e64 v48, v48, v47, s[92:93]
	v_cndmask_b32_e64 v73, v73, v31, s[92:93]
	;; [unrolled: 1-line block ×3, first 2 shown]
	v_cmp_eq_u32_e64 s[8:9], 1, v89
	v_cndmask_b32_e64 v49, v49, v74, s[94:95]
	v_cndmask_b32_e64 v50, v50, v74, s[90:91]
	;; [unrolled: 1-line block ×14, first 2 shown]
	ds_bpermute_b32 v48, v100, v48
	ds_bpermute_b32 v73, v100, v73
	s_waitcnt lgkmcnt(2)
	v_cndmask_b32_e64 v74, v15, v71, s[92:93]
	v_cndmask_b32_e64 v15, v70, v63, s[8:9]
	v_cmp_eq_u32_e64 s[10:11], 2, v89
	v_cndmask_b32_e64 v77, v14, v71, s[88:89]
	v_cmp_eq_u32_e64 s[12:13], 3, v89
	v_cndmask_b32_e64 v14, v15, v62, s[10:11]
	v_cndmask_b32_e64 v103, v13, v71, s[84:85]
	;; [unrolled: 1-line block ×3, first 2 shown]
	v_cmp_eq_u32_e64 s[14:15], 4, v89
	v_cndmask_b32_e64 v106, v12, v71, s[80:81]
	v_cmp_eq_u32_e64 s[16:17], 5, v89
	v_cndmask_b32_e64 v12, v13, v60, s[14:15]
	v_cndmask_b32_e64 v108, v11, v71, s[76:77]
	;; [unrolled: 1-line block ×3, first 2 shown]
	v_cmp_eq_u32_e64 s[18:19], 6, v89
	v_cndmask_b32_e64 v110, v10, v71, s[56:57]
	s_waitcnt lgkmcnt(1)
	v_cndmask_b32_e64 v41, v41, v48, s[74:75]
	v_cndmask_b32_e64 v10, v11, v58, s[18:19]
	s_waitcnt lgkmcnt(0)
	v_cndmask_b32_e64 v111, v25, v73, s[74:75]
	v_cndmask_b32_e64 v112, v9, v71, s[74:75]
	v_cmp_eq_u32_e64 s[74:75], 7, v89
	v_cndmask_b32_e64 v40, v40, v48, s[72:73]
	v_cndmask_b32_e64 v113, v24, v73, s[72:73]
	;; [unrolled: 1-line block ×4, first 2 shown]
	v_cmp_eq_u32_e64 s[72:73], 8, v89
	v_cndmask_b32_e64 v43, v43, v48, s[76:77]
	v_cndmask_b32_e64 v107, v27, v73, s[76:77]
	;; [unrolled: 1-line block ×3, first 2 shown]
	v_cmp_eq_u32_e64 s[76:77], 9, v89
	v_cndmask_b32_e64 v104, v44, v48, s[80:81]
	v_cndmask_b32_e64 v105, v28, v73, s[80:81]
	v_cndmask_b32_e64 v117, v7, v71, s[68:69]
	v_cndmask_b32_e64 v7, v8, v55, s[76:77]
	v_cmp_eq_u32_e64 s[80:81], 10, v89
	v_cndmask_b32_e64 v120, v6, v71, s[54:55]
	v_cmp_eq_u32_e64 s[28:29], 11, v89
	v_cndmask_b32_e64 v6, v7, v54, s[80:81]
	v_cndmask_b32_e64 v123, v5, v71, s[50:51]
	;; [unrolled: 1-line block ×3, first 2 shown]
	v_cmp_eq_u32_e64 s[34:35], 12, v89
	v_cndmask_b32_e64 v126, v4, v71, s[44:45]
	v_cmp_eq_u32_e64 s[38:39], 13, v89
	v_cndmask_b32_e64 v4, v5, v52, s[34:35]
	v_cndmask_b32_e64 v75, v46, v48, s[88:89]
	;; [unrolled: 1-line block ×7, first 2 shown]
	v_cmp_eq_u32_e64 s[40:41], 14, v89
	v_cndmask_b32_e64 v5, v17, v73, s[36:37]
	v_cndmask_b32_e64 v6, v1, v71, s[36:37]
	;; [unrolled: 1-line block ×7, first 2 shown]
	v_cndmask_b32_e32 v13, v12, v4, vcc
	v_cndmask_b32_e32 v15, v14, v5, vcc
	v_cndmask_b32_e32 v0, v44, v6, vcc
	v_cndmask_b32_e64 v91, v35, v48, s[42:43]
	v_cndmask_b32_e64 v92, v19, v73, s[42:43]
	;; [unrolled: 1-line block ×33, first 2 shown]
	v_cmp_eq_u32_e64 s[56:57], 15, v89
	v_cndmask_b32_e64 v13, v13, v41, s[66:67]
	v_cndmask_b32_e64 v15, v15, v111, s[66:67]
	;; [unrolled: 1-line block ×7, first 2 shown]
	ds_bpermute_b32 v17, v100, v1
	v_cndmask_b32_e64 v13, v13, v43, s[78:79]
	v_cndmask_b32_e64 v15, v15, v107, s[78:79]
	;; [unrolled: 1-line block ×20, first 2 shown]
	v_cmp_eq_u32_e64 s[54:55], 0, v89
	s_waitcnt lgkmcnt(0)
	v_cndmask_b32_e64 v25, v56, v17, s[72:73]
	v_cndmask_b32_e64 v22, v63, v17, s[8:9]
	ds_bpermute_b32 v13, v100, v13
	ds_bpermute_b32 v15, v100, v15
	;; [unrolled: 1-line block ×3, first 2 shown]
	v_cndmask_b32_e64 v0, v70, v17, s[54:55]
	v_cmp_eq_u32_e64 s[36:37], 1, v90
	v_cndmask_b32_e64 v7, v49, v17, s[56:57]
	v_cndmask_b32_e64 v8, v50, v17, s[40:41]
	;; [unrolled: 1-line block ×14, first 2 shown]
	v_cmp_eq_u32_e64 s[42:43], 2, v90
	v_cmp_eq_u32_e64 s[44:45], 3, v90
	;; [unrolled: 1-line block ×3, first 2 shown]
	v_cndmask_b32_e64 v19, v17, v21, s[42:43]
	v_cndmask_b32_e64 v35, v19, v2, s[44:45]
	;; [unrolled: 1-line block ×3, first 2 shown]
	v_cmp_eq_u32_e64 s[60:61], 5, v90
	s_waitcnt lgkmcnt(2)
	v_cndmask_b32_e64 v57, v42, v13, s[62:63]
	s_waitcnt lgkmcnt(0)
	v_cndmask_b32_e64 v48, v110, v56, s[62:63]
	v_cndmask_b32_e64 v38, v37, v28, s[60:61]
	;; [unrolled: 1-line block ×3, first 2 shown]
	v_cmp_eq_u32_e64 s[62:63], 6, v90
	v_cndmask_b32_e64 v58, v41, v13, s[66:67]
	v_cndmask_b32_e64 v49, v112, v56, s[66:67]
	;; [unrolled: 1-line block ×4, first 2 shown]
	v_cmp_eq_u32_e64 s[66:67], 7, v90
	v_cmp_eq_u32_e64 s[68:69], 8, v90
	v_cndmask_b32_e64 v59, v40, v13, s[70:71]
	v_cndmask_b32_e64 v41, v39, v26, s[66:67]
	v_cndmask_b32_e64 v41, v41, v25, s[68:69]
	v_cndmask_b32_e64 v60, v115, v13, s[64:65]
	v_cndmask_b32_e64 v40, v116, v15, s[64:65]
	v_cndmask_b32_e64 v51, v117, v56, s[64:65]
	v_cmp_eq_u32_e64 s[64:65], 9, v90
	v_cndmask_b32_e64 v61, v118, v13, s[58:59]
	v_cndmask_b32_e64 v52, v120, v56, s[58:59]
	;; [unrolled: 1-line block ×4, first 2 shown]
	v_cmp_eq_u32_e64 s[58:59], 10, v90
	v_cndmask_b32_e64 v29, v47, v13, s[94:95]
	v_cndmask_b32_e64 v47, v43, v13, s[78:79]
	;; [unrolled: 1-line block ×6, first 2 shown]
	v_cmp_eq_u32_e64 s[52:53], 11, v90
	v_cndmask_b32_e64 v63, v124, v13, s[46:47]
	v_cndmask_b32_e64 v54, v126, v56, s[46:47]
	v_cndmask_b32_e64 v55, v43, v11, s[52:53]
	v_cndmask_b32_e64 v43, v125, v15, s[46:47]
	v_cmp_eq_u32_e64 s[46:47], 12, v90
	v_cndmask_b32_e64 v70, v91, v13, s[30:31]
	v_cndmask_b32_e64 v71, v92, v15, s[30:31]
	v_cndmask_b32_e64 v69, v55, v10, s[46:47]
	v_cndmask_b32_e64 v55, v93, v56, s[30:31]
	;; [unrolled: 5-line block ×3, first 2 shown]
	v_cmp_eq_u32_e64 s[6:7], 14, v90
	v_cndmask_b32_e64 v18, v74, v56, s[94:95]
	v_cndmask_b32_e64 v30, v75, v13, s[90:91]
	;; [unrolled: 1-line block ×3, first 2 shown]
	v_cndmask_b32_e32 v69, v4, v13, vcc
	v_cndmask_b32_e32 v74, v5, v15, vcc
	;; [unrolled: 1-line block ×3, first 2 shown]
	v_cmp_eq_u32_e32 vcc, 15, v90
	v_cndmask_b32_e64 v32, v77, v56, s[90:91]
	v_cndmask_b32_e64 v77, v12, v13, s[48:49]
	v_cndmask_b32_e32 v3, v3, v7, vcc
	v_cndmask_b32_e64 v16, v76, v15, s[90:91]
	ds_bpermute_b32 v76, v100, v3
	v_cndmask_b32_e64 v3, v77, v69, s[8:9]
	v_cndmask_b32_e64 v3, v3, v68, s[10:11]
	;; [unrolled: 1-line block ×15, first 2 shown]
	s_waitcnt lgkmcnt(0)
	v_cndmask_b32_e64 v6, v27, v76, s[62:63]
	v_cndmask_b32_e64 v3, v3, v45, s[34:35]
	;; [unrolled: 1-line block ×11, first 2 shown]
	ds_bpermute_b32 v23, v100, v3
	v_cndmask_b32_e64 v27, v27, v42, s[16:17]
	v_cndmask_b32_e64 v27, v27, v41, s[18:19]
	;; [unrolled: 1-line block ×14, first 2 shown]
	v_cndmask_b32_e32 v15, v7, v76, vcc
	v_cndmask_b32_e64 v7, v26, v76, s[66:67]
	s_waitcnt lgkmcnt(0)
	v_cndmask_b32_e64 v26, v47, v23, s[28:29]
	v_cndmask_b32_e64 v44, v57, v23, s[80:81]
	;; [unrolled: 1-line block ×36, first 2 shown]
	ds_bpermute_b32 v69, v100, v27
	v_cndmask_b32_e64 v27, v56, v75, s[8:9]
	v_cndmask_b32_e64 v23, v23, v57, s[66:67]
	;; [unrolled: 1-line block ×18, first 2 shown]
	v_cndmask_b32_e32 v23, v23, v21, vcc
	v_cndmask_b32_e64 v27, v27, v35, s[28:29]
	ds_bpermute_b32 v77, v100, v23
	v_cndmask_b32_e64 v27, v27, v34, s[34:35]
	v_cndmask_b32_e64 v27, v27, v33, s[38:39]
	;; [unrolled: 1-line block ×4, first 2 shown]
	v_cmp_eq_u32_e64 s[48:49], 0, v90
	v_cndmask_b32_e64 v11, v11, v76, s[52:53]
	v_cndmask_b32_e64 v5, v28, v76, s[60:61]
	ds_bpermute_b32 v70, v100, v27
	s_waitcnt lgkmcnt(2)
	v_cndmask_b32_e64 v92, v20, v69, s[56:57]
	v_cndmask_b32_e64 v0, v0, v76, s[48:49]
	s_waitcnt lgkmcnt(1)
	v_cndmask_b32_e32 v31, v21, v77, vcc
	v_cndmask_b32_e64 v30, v22, v77, s[6:7]
	v_cndmask_b32_e64 v28, v25, v77, s[46:47]
	v_cndmask_b32_e64 v27, v26, v77, s[52:53]
	v_cndmask_b32_e64 v26, v44, v77, s[58:59]
	v_cndmask_b32_e64 v25, v45, v77, s[64:65]
	v_cndmask_b32_e64 v23, v57, v77, s[66:67]
	v_cndmask_b32_e64 v22, v58, v77, s[62:63]
	v_cndmask_b32_e64 v21, v59, v77, s[60:61]
	v_cndmask_b32_e64 v20, v60, v77, s[50:51]
	v_cndmask_b32_e64 v44, v16, v69, s[40:41]
	v_cndmask_b32_e64 v45, v17, v69, s[38:39]
	v_cndmask_b32_e64 v57, v19, v69, s[34:35]
	v_cndmask_b32_e64 v36, v36, v69, s[28:29]
	v_cndmask_b32_e64 v37, v37, v69, s[80:81]
	v_cndmask_b32_e64 v38, v38, v69, s[76:77]
	v_cndmask_b32_e64 v39, v39, v69, s[72:73]
	v_cndmask_b32_e64 v58, v40, v69, s[74:75]
	v_cndmask_b32_e64 v59, v41, v69, s[18:19]
	v_cndmask_b32_e64 v60, v42, v69, s[16:17]
	v_cndmask_b32_e64 v76, v43, v69, s[14:15]
	v_cndmask_b32_e64 v71, v71, v69, s[12:13]
	v_cndmask_b32_e64 v102, v46, v69, s[10:11]
	v_cndmask_b32_e64 v74, v74, v69, s[8:9]
	v_cndmask_b32_e64 v69, v91, v69, s[54:55]
	v_cndmask_b32_e64 v16, v69, v74, s[36:37]
	v_cndmask_b32_e64 v16, v16, v102, s[42:43]
	v_cndmask_b32_e64 v16, v16, v71, s[44:45]
	v_cndmask_b32_e64 v16, v16, v76, s[50:51]
	v_cndmask_b32_e64 v16, v16, v60, s[60:61]
	v_cndmask_b32_e64 v16, v16, v59, s[62:63]
	v_cndmask_b32_e64 v16, v16, v58, s[66:67]
	v_cndmask_b32_e64 v16, v16, v39, s[68:69]
	v_cndmask_b32_e64 v16, v16, v38, s[64:65]
	v_cndmask_b32_e64 v16, v16, v37, s[58:59]
	v_cndmask_b32_e64 v16, v16, v36, s[52:53]
	v_cndmask_b32_e64 v16, v16, v57, s[46:47]
	v_cndmask_b32_e64 v16, v16, v45, s[30:31]
	v_cndmask_b32_e64 v16, v16, v44, s[6:7]
	v_cndmask_b32_e32 v16, v16, v92, vcc
	ds_bpermute_b32 v91, v100, v16
	s_waitcnt lgkmcnt(1)
	v_cndmask_b32_e64 v93, v18, v70, s[56:57]
	v_cndmask_b32_e64 v29, v24, v77, s[30:31]
	;; [unrolled: 1-line block ×7, first 2 shown]
	s_waitcnt lgkmcnt(0)
	v_cndmask_b32_e64 v46, v44, v91, s[6:7]
	v_cndmask_b32_e64 v44, v57, v91, s[46:47]
	;; [unrolled: 1-line block ×37, first 2 shown]
	v_cndmask_b32_e32 v32, v32, v93, vcc
	v_cndmask_b32_e32 v47, v92, v91, vcc
	ds_bpermute_b32 v92, v100, v32
	v_readlane_b32 s71, v127, 25
	v_cndmask_b32_e64 v45, v45, v91, s[30:31]
	v_cndmask_b32_e64 v33, v74, v91, s[36:37]
	v_readlane_b32 s28, v127, 10
	s_waitcnt lgkmcnt(0)
	v_cndmask_b32_e64 v62, v57, v92, s[6:7]
	v_readlane_b32 s6, v127, 27
	v_cndmask_b32_e64 v61, v58, v92, s[30:31]
	v_cndmask_b32_e64 v57, v49, v92, s[64:65]
	;; [unrolled: 1-line block ×3, first 2 shown]
	v_readlane_b32 s7, v127, 28
	v_readlane_b32 s30, v127, 12
	;; [unrolled: 1-line block ×3, first 2 shown]
	s_mov_b32 s1, 0
	s_max_i32 s70, s71, 0
	v_subrev_u32_e32 v101, s99, v101
	v_cndmask_b32_e64 v42, v37, v91, s[58:59]
	v_cndmask_b32_e64 v37, v60, v91, s[60:61]
	;; [unrolled: 1-line block ×5, first 2 shown]
	v_cndmask_b32_e32 v63, v93, v92, vcc
	v_cndmask_b32_e64 v60, v59, v92, s[46:47]
	v_cndmask_b32_e64 v59, v68, v92, s[52:53]
	;; [unrolled: 1-line block ×11, first 2 shown]
	v_lshl_add_u64 v[70:71], s[6:7], 0, v[64:65]
	s_mov_b64 s[6:7], 0
	s_mov_b32 s16, 0
	v_readlane_b32 s29, v127, 11
	v_readlane_b32 s31, v127, 13
	;; [unrolled: 1-line block ×10, first 2 shown]
	s_mov_b64 s[42:43], 0x80
	s_mov_b64 s[44:45], 0xc0
	v_readlane_b32 s46, v127, 26
                                        ; implicit-def: $sgpr8_sgpr9
	s_branch .LBB104_32
.LBB104_30:                             ;   in Loop: Header=BB104_32 Depth=2
	s_or_b64 exec, exec, s[12:13]
	s_andn2_b64 s[8:9], s[8:9], exec
	s_and_b64 s[12:13], s[14:15], exec
	s_or_b64 s[8:9], s[8:9], s[12:13]
.LBB104_31:                             ;   in Loop: Header=BB104_32 Depth=2
	s_or_b64 exec, exec, s[10:11]
	s_and_b64 s[10:11], exec, s[8:9]
	s_or_b64 s[6:7], s[10:11], s[6:7]
	s_andn2_b64 exec, exec, s[6:7]
	s_cbranch_execz .LBB104_35
.LBB104_32:                             ;   Parent Loop BB104_7 Depth=1
                                        ; =>  This Inner Loop Header: Depth=2
	s_and_b32 s12, s1, 24
	v_or_b32_e32 v73, s12, v98
	v_add_u32_e32 v68, s70, v73
	v_cmp_gt_u32_e32 vcc, 32, v68
	s_or_b64 s[8:9], s[8:9], exec
	s_and_saveexec_b64 s[10:11], vcc
	s_cbranch_execz .LBB104_31
; %bb.33:                               ;   in Loop: Header=BB104_32 Depth=2
	s_add_i32 s13, s16, 1
	s_set_gpr_idx_on s16, gpr_idx(SRC0)
	v_mov_b32_e32 v68, v0
	s_set_gpr_idx_off
	v_cvt_f16_f32_e32 v68, v68
	s_set_gpr_idx_on s13, gpr_idx(SRC0)
	v_mov_b32_e32 v69, v0
	s_set_gpr_idx_off
	v_cvt_f16_f32_sdwa v69, v69 dst_sel:WORD_1 dst_unused:UNUSED_PAD src0_sel:DWORD
	v_mul_lo_u32 v74, v73, s21
	v_ashrrev_i32_e32 v75, 31, v74
	v_lshl_add_u64 v[74:75], v[74:75], 1, v[70:71]
	v_or_b32_e32 v68, v69, v68
	;;#ASMSTART
	global_atomic_pk_add_f16 v[74:75], v68, off
	
	;;#ASMEND
	s_set_gpr_idx_on s16, gpr_idx(SRC0)
	v_mov_b32_e32 v68, v16
	s_set_gpr_idx_off
	v_cvt_f16_f32_e32 v68, v68
	s_set_gpr_idx_on s13, gpr_idx(SRC0)
	v_mov_b32_e32 v69, v16
	s_set_gpr_idx_off
	v_cvt_f16_f32_sdwa v69, v69 dst_sel:WORD_1 dst_unused:UNUSED_PAD src0_sel:DWORD
	v_lshl_add_u64 v[76:77], v[74:75], 0, 64
	v_or_b32_e32 v73, s12, v99
	s_mov_b64 s[14:15], -1
	v_or_b32_e32 v68, v69, v68
	;;#ASMSTART
	global_atomic_pk_add_f16 v[76:77], v68, off
	
	;;#ASMEND
	s_set_gpr_idx_on s16, gpr_idx(SRC0)
	v_mov_b32_e32 v68, v32
	s_set_gpr_idx_off
	v_cvt_f16_f32_e32 v68, v68
	s_set_gpr_idx_on s13, gpr_idx(SRC0)
	v_mov_b32_e32 v69, v32
	s_set_gpr_idx_off
	v_cvt_f16_f32_sdwa v69, v69 dst_sel:WORD_1 dst_unused:UNUSED_PAD src0_sel:DWORD
	v_lshl_add_u64 v[76:77], v[74:75], 0, s[42:43]
	v_lshl_add_u64 v[74:75], v[74:75], 0, s[44:45]
	v_or_b32_e32 v68, v69, v68
	;;#ASMSTART
	global_atomic_pk_add_f16 v[76:77], v68, off
	
	;;#ASMEND
	s_set_gpr_idx_on s16, gpr_idx(SRC0)
	v_mov_b32_e32 v68, v48
	s_set_gpr_idx_off
	v_cvt_f16_f32_e32 v68, v68
	s_set_gpr_idx_on s13, gpr_idx(SRC0)
	v_mov_b32_e32 v69, v48
	s_set_gpr_idx_off
	v_cvt_f16_f32_sdwa v69, v69 dst_sel:WORD_1 dst_unused:UNUSED_PAD src0_sel:DWORD
	s_nop 0
	v_or_b32_e32 v68, v69, v68
	;;#ASMSTART
	global_atomic_pk_add_f16 v[74:75], v68, off
	
	;;#ASMEND
	v_add_u32_e32 v68, s70, v73
	v_cmp_gt_u32_e32 vcc, 32, v68
	s_and_saveexec_b64 s[12:13], vcc
	s_cbranch_execz .LBB104_30
; %bb.34:                               ;   in Loop: Header=BB104_32 Depth=2
	s_add_i32 s14, s16, 2
	s_add_i32 s15, s16, 3
	s_set_gpr_idx_on s14, gpr_idx(SRC0)
	v_mov_b32_e32 v68, v0
	s_set_gpr_idx_off
	v_cvt_f16_f32_e32 v68, v68
	s_set_gpr_idx_on s15, gpr_idx(SRC0)
	v_mov_b32_e32 v69, v0
	s_set_gpr_idx_off
	v_cvt_f16_f32_sdwa v69, v69 dst_sel:WORD_1 dst_unused:UNUSED_PAD src0_sel:DWORD
	v_mul_lo_u32 v74, v73, s21
	v_ashrrev_i32_e32 v75, 31, v74
	v_lshl_add_u64 v[74:75], v[74:75], 1, v[70:71]
	v_or_b32_e32 v68, v69, v68
	;;#ASMSTART
	global_atomic_pk_add_f16 v[74:75], v68, off
	
	;;#ASMEND
	s_set_gpr_idx_on s14, gpr_idx(SRC0)
	v_mov_b32_e32 v68, v16
	s_set_gpr_idx_off
	v_cvt_f16_f32_e32 v68, v68
	s_set_gpr_idx_on s15, gpr_idx(SRC0)
	v_mov_b32_e32 v69, v16
	s_set_gpr_idx_off
	v_cvt_f16_f32_sdwa v69, v69 dst_sel:WORD_1 dst_unused:UNUSED_PAD src0_sel:DWORD
	v_lshl_add_u64 v[76:77], v[74:75], 0, 64
	s_add_i32 s16, s16, 4
	s_add_i32 s1, s1, 8
	v_or_b32_e32 v68, v69, v68
	;;#ASMSTART
	global_atomic_pk_add_f16 v[76:77], v68, off
	
	;;#ASMEND
	s_set_gpr_idx_on s14, gpr_idx(SRC0)
	v_mov_b32_e32 v68, v32
	s_set_gpr_idx_off
	v_cvt_f16_f32_e32 v68, v68
	s_set_gpr_idx_on s15, gpr_idx(SRC0)
	v_mov_b32_e32 v69, v32
	s_set_gpr_idx_off
	v_cvt_f16_f32_sdwa v69, v69 dst_sel:WORD_1 dst_unused:UNUSED_PAD src0_sel:DWORD
	v_lshl_add_u64 v[76:77], v[74:75], 0, s[42:43]
	s_cmp_eq_u32 s16, 16
	v_lshl_add_u64 v[74:75], v[74:75], 0, s[44:45]
	v_or_b32_e32 v68, v69, v68
	;;#ASMSTART
	global_atomic_pk_add_f16 v[76:77], v68, off
	
	;;#ASMEND
	s_set_gpr_idx_on s14, gpr_idx(SRC0)
	v_mov_b32_e32 v68, v48
	s_set_gpr_idx_off
	v_cvt_f16_f32_e32 v68, v68
	s_set_gpr_idx_on s15, gpr_idx(SRC0)
	v_mov_b32_e32 v69, v48
	s_set_gpr_idx_off
	v_cvt_f16_f32_sdwa v69, v69 dst_sel:WORD_1 dst_unused:UNUSED_PAD src0_sel:DWORD
	s_cselect_b64 s[14:15], -1, 0
	s_orn2_b64 s[14:15], s[14:15], exec
	v_or_b32_e32 v68, v69, v68
	;;#ASMSTART
	global_atomic_pk_add_f16 v[74:75], v68, off
	
	;;#ASMEND
	s_branch .LBB104_30
.LBB104_35:                             ;   in Loop: Header=BB104_7 Depth=1
	s_or_b64 exec, exec, s[6:7]
	v_readlane_b32 s72, v127, 2
	v_readlane_b32 s8, v127, 23
	;; [unrolled: 1-line block ×12, first 2 shown]
.LBB104_36:                             ;   in Loop: Header=BB104_7 Depth=1
	s_or_b64 exec, exec, s[8:9]
.LBB104_37:                             ;   in Loop: Header=BB104_7 Depth=1
	s_andn2_saveexec_b64 s[2:3], s[2:3]
	s_cbranch_execz .LBB104_46
; %bb.38:                               ;   in Loop: Header=BB104_7 Depth=1
	s_lshl_b32 s12, s99, 2
	v_cmp_gt_i32_e32 vcc, s12, v101
	s_and_saveexec_b64 s[6:7], vcc
	s_cbranch_execz .LBB104_45
; %bb.39:                               ;   in Loop: Header=BB104_7 Depth=1
	scratch_load_dwordx2 v[0:1], off, off   ; 8-byte Folded Reload
	s_mul_i32 s0, s0, s23
	s_ashr_i32 s1, s0, 31
	s_add_u32 s0, s74, s0
	s_addc_u32 s1, s75, s1
	s_ashr_i32 s8, s46, 31
	s_add_u32 s0, s0, s46
	s_addc_u32 s1, s1, s8
	s_waitcnt vmcnt(0)
	v_lshl_add_u64 v[0:1], s[0:1], 0, v[0:1]
	v_lshl_add_u64 v[8:9], v[0:1], 0, v[66:67]
	s_mov_b64 s[0:1], 0
	s_branch .LBB104_41
.LBB104_40:                             ;   in Loop: Header=BB104_41 Depth=2
	s_or_b64 exec, exec, s[8:9]
	v_lshl_or_b32 v12, v10, 11, v94
	;;#ASMSTART
	s_waitcnt vmcnt(1)
	;;#ASMEND
	ds_write2_b32 v12, v4, v5 offset1:32
	ds_write2_b32 v12, v6, v7 offset0:64 offset1:96
	v_add_u32_e32 v4, 0x400, v12
	v_add_u32_e32 v101, s26, v101
	;;#ASMSTART
	s_waitcnt vmcnt(0)
	;;#ASMEND
	ds_write2_b32 v4, v0, v1 offset1:32
	ds_write2_b32 v4, v2, v3 offset0:64 offset1:96
	v_add_u32_e32 v0, 1, v79
	v_add_u32_e32 v72, s26, v10
	v_cmp_le_i32_e32 vcc, s12, v101
	ds_write_b32 v11, v0 offset:12
	v_add_u32_e32 v0, 2, v79
	s_or_b64 s[0:1], vcc, s[0:1]
	v_cmp_lt_i32_e32 vcc, 11, v72
	s_nop 1
	v_cndmask_b32_e32 v79, v79, v0, vcc
	s_andn2_b64 exec, exec, s[0:1]
	s_cbranch_execz .LBB104_44
.LBB104_41:                             ;   Parent Loop BB104_7 Depth=1
                                        ; =>  This Loop Header: Depth=2
                                        ;       Child Loop BB104_43 Depth 3
	v_cmp_gt_i32_e32 vcc, 12, v72
	s_nop 1
	v_cndmask_b32_e64 v0, -12, 0, vcc
	v_add_u32_e32 v10, v0, v72
	v_ashrrev_i32_e32 v0, 31, v101
	v_lshrrev_b32_e32 v0, 30, v0
	v_add_u32_e32 v0, v101, v0
	v_and_b32_e32 v1, -4, v0
	v_lshlrev_b32_e32 v0, 4, v0
	v_sub_u32_e32 v2, v101, v1
	v_and_b32_e32 v0, 0xffffffc0, v0
	v_ashrrev_i32_e32 v1, 31, v0
	v_mul_lo_u32 v2, s24, v2
	v_lshl_add_u64 v[0:1], v[8:9], 0, v[0:1]
	v_ashrrev_i32_e32 v3, 31, v2
	v_lshl_add_u64 v[0:1], v[0:1], 0, v[2:3]
	v_lshlrev_b32_e32 v11, 2, v10
	;;#ASMSTART
	global_load_dwordx4 v[4:7], v[0:1], off offset:0   sc0 sc1 nt  
	global_load_dwordx4 v[0:3], v[0:1], off offset:32  sc0 sc1 nt  
	
	;;#ASMEND
	ds_read_b32 v12, v11 offset:30732
	v_add_u32_e32 v11, 0x7800, v11
	s_waitcnt lgkmcnt(0)
	v_cmp_ne_u32_e32 vcc, v12, v79
	s_and_saveexec_b64 s[8:9], vcc
	s_cbranch_execz .LBB104_40
; %bb.42:                               ;   in Loop: Header=BB104_41 Depth=2
	s_mov_b64 s[10:11], 0
.LBB104_43:                             ;   Parent Loop BB104_7 Depth=1
                                        ;     Parent Loop BB104_41 Depth=2
                                        ; =>    This Inner Loop Header: Depth=3
	;;#ASMSTART
	s_sleep 0
	;;#ASMEND
	ds_read_b32 v12, v11 offset:12
	s_waitcnt lgkmcnt(0)
	v_cmp_eq_u32_e32 vcc, v12, v79
	s_or_b64 s[10:11], vcc, s[10:11]
	s_andn2_b64 exec, exec, s[10:11]
	s_cbranch_execnz .LBB104_43
	s_branch .LBB104_40
.LBB104_44:                             ;   in Loop: Header=BB104_7 Depth=1
	s_or_b64 exec, exec, s[0:1]
.LBB104_45:                             ;   in Loop: Header=BB104_7 Depth=1
	s_or_b64 exec, exec, s[6:7]
	v_subrev_u32_e32 v101, s12, v101
.LBB104_46:                             ;   in Loop: Header=BB104_7 Depth=1
	s_or_b64 exec, exec, s[2:3]
.LBB104_47:                             ;   in Loop: Header=BB104_7 Depth=1
	s_andn2_saveexec_b64 s[0:1], s[4:5]
	s_cbranch_execz .LBB104_6
; %bb.48:                               ;   in Loop: Header=BB104_7 Depth=1
	v_cmp_gt_i32_e32 vcc, s99, v101
	s_and_saveexec_b64 s[2:3], vcc
	s_cbranch_execz .LBB104_5
; %bb.49:                               ;   in Loop: Header=BB104_7 Depth=1
	s_mul_i32 s96, s96, s22
	s_ashr_i32 s4, s96, 31
	s_add_u32 s5, s72, s96
	s_addc_u32 s6, s73, s4
	s_ashr_i32 s7, s46, 31
	v_cmp_le_i32_e32 vcc, s71, v95
	s_add_u32 s4, s5, s46
	s_addc_u32 s5, s6, s7
	v_cndmask_b32_e32 v0, 0, v96, vcc
	v_ashrrev_i32_e32 v1, 31, v0
	v_lshl_add_u64 v[0:1], s[4:5], 0, v[0:1]
	v_lshl_add_u64 v[8:9], v[0:1], 0, v[66:67]
	s_mov_b64 s[4:5], 0
	s_branch .LBB104_51
.LBB104_50:                             ;   in Loop: Header=BB104_51 Depth=2
	s_or_b64 exec, exec, s[6:7]
	v_lshl_add_u32 v12, v10, 11, v97
	;;#ASMSTART
	s_waitcnt vmcnt(1)
	;;#ASMEND
	ds_write2_b32 v12, v4, v5 offset1:32
	ds_write2_b32 v12, v6, v7 offset0:64 offset1:96
	v_add_u32_e32 v4, 0x400, v12
	v_add_u32_e32 v101, s25, v101
	;;#ASMSTART
	s_waitcnt vmcnt(0)
	;;#ASMEND
	ds_write2_b32 v4, v0, v1 offset1:32
	ds_write2_b32 v4, v2, v3 offset0:64 offset1:96
	v_add_u32_e32 v0, 1, v79
	v_add_u32_e32 v72, s25, v10
	v_cmp_le_i32_e32 vcc, s99, v101
	ds_write_b32 v11, v0
	v_add_u32_e32 v0, 2, v79
	s_or_b64 s[4:5], vcc, s[4:5]
	v_cmp_lt_i32_e32 vcc, 2, v72
	s_nop 1
	v_cndmask_b32_e32 v79, v79, v0, vcc
	s_andn2_b64 exec, exec, s[4:5]
	s_cbranch_execz .LBB104_4
.LBB104_51:                             ;   Parent Loop BB104_7 Depth=1
                                        ; =>  This Loop Header: Depth=2
                                        ;       Child Loop BB104_53 Depth 3
	v_cmp_gt_i32_e32 vcc, 3, v72
	s_nop 1
	v_cndmask_b32_e64 v0, -3, 0, vcc
	v_add_u32_e32 v10, v0, v72
	v_lshlrev_b32_e32 v0, 6, v101
	v_ashrrev_i32_e32 v1, 31, v0
	v_lshl_add_u64 v[0:1], v[8:9], 0, v[0:1]
	v_lshlrev_b32_e32 v11, 2, v10
	;;#ASMSTART
	global_load_dwordx4 v[4:7], v[0:1], off offset:0   
	global_load_dwordx4 v[0:3], v[0:1], off offset:32  
	
	;;#ASMEND
	ds_read_b32 v12, v11 offset:30720
	v_add_u32_e32 v11, 0x7800, v11
	s_waitcnt lgkmcnt(0)
	v_cmp_ne_u32_e32 vcc, v12, v79
	s_and_saveexec_b64 s[6:7], vcc
	s_cbranch_execz .LBB104_50
; %bb.52:                               ;   in Loop: Header=BB104_51 Depth=2
	s_mov_b64 s[8:9], 0
.LBB104_53:                             ;   Parent Loop BB104_7 Depth=1
                                        ;     Parent Loop BB104_51 Depth=2
                                        ; =>    This Inner Loop Header: Depth=3
	;;#ASMSTART
	s_sleep 0
	;;#ASMEND
	ds_read_b32 v12, v11
	s_waitcnt lgkmcnt(0)
	v_cmp_eq_u32_e32 vcc, v12, v79
	s_or_b64 s[8:9], vcc, s[8:9]
	s_andn2_b64 exec, exec, s[8:9]
	s_cbranch_execnz .LBB104_53
	s_branch .LBB104_50
.LBB104_54:
	s_endpgm
	.section	.rodata,"a",@progbits
	.p2align	6, 0x0
	.amdhsa_kernel _Z19_skinny_gemm_kernelILi1ELi4ELi3ELi32ELi4EEvPKhS1_P6__halfPKfiiiiiiii
		.amdhsa_group_segment_fixed_size 30780
		.amdhsa_private_segment_fixed_size 12
		.amdhsa_kernarg_size 64
		.amdhsa_user_sgpr_count 2
		.amdhsa_user_sgpr_dispatch_ptr 0
		.amdhsa_user_sgpr_queue_ptr 0
		.amdhsa_user_sgpr_kernarg_segment_ptr 1
		.amdhsa_user_sgpr_dispatch_id 0
		.amdhsa_user_sgpr_kernarg_preload_length 0
		.amdhsa_user_sgpr_kernarg_preload_offset 0
		.amdhsa_user_sgpr_private_segment_size 0
		.amdhsa_uses_dynamic_stack 0
		.amdhsa_enable_private_segment 1
		.amdhsa_system_sgpr_workgroup_id_x 1
		.amdhsa_system_sgpr_workgroup_id_y 0
		.amdhsa_system_sgpr_workgroup_id_z 0
		.amdhsa_system_sgpr_workgroup_info 0
		.amdhsa_system_vgpr_workitem_id 0
		.amdhsa_next_free_vgpr 128
		.amdhsa_next_free_sgpr 100
		.amdhsa_accum_offset 128
		.amdhsa_reserve_vcc 1
		.amdhsa_float_round_mode_32 0
		.amdhsa_float_round_mode_16_64 0
		.amdhsa_float_denorm_mode_32 3
		.amdhsa_float_denorm_mode_16_64 3
		.amdhsa_dx10_clamp 1
		.amdhsa_ieee_mode 1
		.amdhsa_fp16_overflow 0
		.amdhsa_tg_split 0
		.amdhsa_exception_fp_ieee_invalid_op 0
		.amdhsa_exception_fp_denorm_src 0
		.amdhsa_exception_fp_ieee_div_zero 0
		.amdhsa_exception_fp_ieee_overflow 0
		.amdhsa_exception_fp_ieee_underflow 0
		.amdhsa_exception_fp_ieee_inexact 0
		.amdhsa_exception_int_div_zero 0
	.end_amdhsa_kernel
	.section	.text._Z19_skinny_gemm_kernelILi1ELi4ELi3ELi32ELi4EEvPKhS1_P6__halfPKfiiiiiiii,"axG",@progbits,_Z19_skinny_gemm_kernelILi1ELi4ELi3ELi32ELi4EEvPKhS1_P6__halfPKfiiiiiiii,comdat
.Lfunc_end104:
	.size	_Z19_skinny_gemm_kernelILi1ELi4ELi3ELi32ELi4EEvPKhS1_P6__halfPKfiiiiiiii, .Lfunc_end104-_Z19_skinny_gemm_kernelILi1ELi4ELi3ELi32ELi4EEvPKhS1_P6__halfPKfiiiiiiii
                                        ; -- End function
	.set _Z19_skinny_gemm_kernelILi1ELi4ELi3ELi32ELi4EEvPKhS1_P6__halfPKfiiiiiiii.num_vgpr, 128
	.set _Z19_skinny_gemm_kernelILi1ELi4ELi3ELi32ELi4EEvPKhS1_P6__halfPKfiiiiiiii.num_agpr, 0
	.set _Z19_skinny_gemm_kernelILi1ELi4ELi3ELi32ELi4EEvPKhS1_P6__halfPKfiiiiiiii.numbered_sgpr, 100
	.set _Z19_skinny_gemm_kernelILi1ELi4ELi3ELi32ELi4EEvPKhS1_P6__halfPKfiiiiiiii.num_named_barrier, 0
	.set _Z19_skinny_gemm_kernelILi1ELi4ELi3ELi32ELi4EEvPKhS1_P6__halfPKfiiiiiiii.private_seg_size, 12
	.set _Z19_skinny_gemm_kernelILi1ELi4ELi3ELi32ELi4EEvPKhS1_P6__halfPKfiiiiiiii.uses_vcc, 1
	.set _Z19_skinny_gemm_kernelILi1ELi4ELi3ELi32ELi4EEvPKhS1_P6__halfPKfiiiiiiii.uses_flat_scratch, 0
	.set _Z19_skinny_gemm_kernelILi1ELi4ELi3ELi32ELi4EEvPKhS1_P6__halfPKfiiiiiiii.has_dyn_sized_stack, 0
	.set _Z19_skinny_gemm_kernelILi1ELi4ELi3ELi32ELi4EEvPKhS1_P6__halfPKfiiiiiiii.has_recursion, 0
	.set _Z19_skinny_gemm_kernelILi1ELi4ELi3ELi32ELi4EEvPKhS1_P6__halfPKfiiiiiiii.has_indirect_call, 0
	.section	.AMDGPU.csdata,"",@progbits
; Kernel info:
; codeLenInByte = 14032
; TotalNumSgprs: 106
; NumVgprs: 128
; NumAgprs: 0
; TotalNumVgprs: 128
; ScratchSize: 12
; MemoryBound: 0
; FloatMode: 240
; IeeeMode: 1
; LDSByteSize: 30780 bytes/workgroup (compile time only)
; SGPRBlocks: 13
; VGPRBlocks: 15
; NumSGPRsForWavesPerEU: 106
; NumVGPRsForWavesPerEU: 128
; AccumOffset: 128
; Occupancy: 4
; WaveLimiterHint : 0
; COMPUTE_PGM_RSRC2:SCRATCH_EN: 1
; COMPUTE_PGM_RSRC2:USER_SGPR: 2
; COMPUTE_PGM_RSRC2:TRAP_HANDLER: 0
; COMPUTE_PGM_RSRC2:TGID_X_EN: 1
; COMPUTE_PGM_RSRC2:TGID_Y_EN: 0
; COMPUTE_PGM_RSRC2:TGID_Z_EN: 0
; COMPUTE_PGM_RSRC2:TIDIG_COMP_CNT: 0
; COMPUTE_PGM_RSRC3_GFX90A:ACCUM_OFFSET: 31
; COMPUTE_PGM_RSRC3_GFX90A:TG_SPLIT: 0
	.section	.text._Z19_skinny_gemm_kernelILi1ELi4ELi3ELi32ELi8EEvPKhS1_P6__halfPKfiiiiiiii,"axG",@progbits,_Z19_skinny_gemm_kernelILi1ELi4ELi3ELi32ELi8EEvPKhS1_P6__halfPKfiiiiiiii,comdat
	.protected	_Z19_skinny_gemm_kernelILi1ELi4ELi3ELi32ELi8EEvPKhS1_P6__halfPKfiiiiiiii ; -- Begin function _Z19_skinny_gemm_kernelILi1ELi4ELi3ELi32ELi8EEvPKhS1_P6__halfPKfiiiiiiii
	.globl	_Z19_skinny_gemm_kernelILi1ELi4ELi3ELi32ELi8EEvPKhS1_P6__halfPKfiiiiiiii
	.p2align	8
	.type	_Z19_skinny_gemm_kernelILi1ELi4ELi3ELi32ELi8EEvPKhS1_P6__halfPKfiiiiiiii,@function
_Z19_skinny_gemm_kernelILi1ELi4ELi3ELi32ELi8EEvPKhS1_P6__halfPKfiiiiiiii: ; @_Z19_skinny_gemm_kernelILi1ELi4ELi3ELi32ELi8EEvPKhS1_P6__halfPKfiiiiiiii
; %bb.0:
	v_cmp_gt_u32_e32 vcc, 15, v0
	s_and_saveexec_b64 s[4:5], vcc
; %bb.1:
	v_lshlrev_b32_e32 v1, 2, v0
	v_mov_b32_e32 v2, 0
	ds_write_b32 v1, v2 offset:61440
; %bb.2:
	s_or_b64 exec, exec, s[4:5]
	s_load_dwordx8 s[20:27], s[0:1], 0x20
	s_waitcnt lgkmcnt(0)
	s_barrier
	s_add_i32 s3, s20, 31
	s_ashr_i32 s5, s3, 31
	s_add_i32 s4, s21, 0x7f
	s_lshr_b32 s5, s5, 27
	s_ashr_i32 s6, s4, 31
	s_add_i32 s3, s3, s5
	s_ashr_i32 s14, s3, 5
	s_lshr_b32 s3, s6, 25
	s_add_i32 s4, s4, s3
	s_ashr_i32 s15, s4, 7
	s_mul_i32 s3, s15, s14
	s_mul_i32 s3, s3, s24
	s_add_i32 s4, s3, 0x12f
	s_mul_hi_i32 s4, s4, 0x6bca1af3
	s_lshr_b32 s5, s4, 31
	s_ashr_i32 s4, s4, 7
	s_add_i32 s4, s4, s5
	s_add_i32 s5, s2, 1
	s_mul_i32 s5, s4, s5
	v_cvt_f64_i32_e32 v[2:3], s3
	v_cvt_f64_u32_e32 v[4:5], s5
	v_min_f64 v[2:3], v[2:3], v[4:5]
	v_cvt_i32_f64_e32 v86, v[2:3]
	s_mul_i32 s33, s4, s2
	v_cmp_ge_i32_e32 vcc, s33, v86
	s_cbranch_vccnz .LBB105_54
; %bb.3:
	s_load_dwordx8 s[72:79], s[0:1], 0x0
	v_lshrrev_b32_e32 v1, 6, v0
	s_add_i32 s0, s26, s25
	v_cmp_le_i32_e64 s[28:29], s0, v1
	v_mov_b32_e32 v2, s25
	v_cmp_le_i32_e64 s[30:31], s25, v1
	v_mov_b32_e32 v3, s26
	v_cndmask_b32_e64 v3, 0, v3, s[28:29]
	v_cndmask_b32_e64 v2, 0, v2, s[30:31]
	s_abs_i32 s1, s24
	v_add_u32_e32 v2, v2, v3
	v_cvt_f32_u32_e32 v3, s1
	v_sub_u32_e32 v72, v1, v2
	s_ashr_i32 s2, s22, 31
	s_lshr_b32 s2, s2, 25
	v_rcp_iflag_f32_e32 v2, v3
	s_sub_i32 s5, 0, s1
	s_add_i32 s2, s22, s2
	s_ashr_i32 s2, s2, 7
	v_mul_f32_e32 v2, 0x4f7ffffe, v2
	v_cvt_u32_f32_e32 v2, v2
	s_abs_i32 s4, s2
	s_xor_b32 s3, s2, s24
	s_ashr_i32 s3, s3, 31
	v_readfirstlane_b32 s6, v2
	s_mul_i32 s5, s5, s6
	s_mul_hi_u32 s5, s6, s5
	s_add_i32 s6, s6, s5
	s_mul_hi_u32 s5, s4, s6
	s_mul_i32 s6, s5, s1
	s_sub_i32 s4, s4, s6
	s_add_i32 s6, s5, 1
	s_sub_i32 s7, s4, s1
	s_cmp_ge_u32 s4, s1
	s_cselect_b32 s5, s6, s5
	s_cselect_b32 s4, s7, s4
	s_add_i32 s6, s5, 1
	s_cmp_ge_u32 s4, s1
	v_lshrrev_b32_e32 v2, 3, v0
	v_lshrrev_b32_e32 v7, 1, v0
	s_cselect_b32 s1, s6, s5
	s_add_i32 s0, s0, s27
	v_and_b32_e32 v88, 31, v0
	v_and_b32_e32 v3, 4, v2
	;; [unrolled: 1-line block ×3, first 2 shown]
	v_lshlrev_b32_e32 v7, 4, v0
	v_cmp_gt_i32_e64 s[36:37], s0, v1
	v_lshlrev_b32_e32 v1, 2, v88
	v_lshlrev_b32_e32 v2, 6, v3
	v_and_b32_e32 v7, 0x200, v7
	s_abs_i32 s97, s14
                                        ; implicit-def: $vgpr127 : SGPR spill to VGPR lane
	v_or_b32_e32 v4, 0xc000, v1
	v_or_b32_e32 v90, v1, v2
	v_and_b32_e32 v5, 1, v0
	v_or_b32_e32 v102, v1, v7
	v_cvt_f32_u32_e32 v1, s97
	v_writelane_b32 v127, s14, 0
	v_or_b32_e32 v89, v4, v2
	v_lshlrev_b32_e32 v2, 1, v5
	v_writelane_b32 v127, s15, 1
	v_sub_u32_e32 v2, v0, v2
	s_waitcnt lgkmcnt(0)
	v_writelane_b32 v127, s72, 2
	v_add_u32_e32 v2, 1, v2
	v_and_b32_e32 v6, 63, v2
	v_writelane_b32 v127, s73, 3
	v_bitop3_b32 v91, v0, 1, v0 bitop3:0xc
	v_bitop3_b32 v92, v0, 3, 1 bitop3:0x6c
	;; [unrolled: 1-line block ×8, first 2 shown]
	v_and_b32_e32 v2, 30, v0
	v_bitop3_b32 v103, v0, 31, v0 bitop3:0xc
	v_rcp_iflag_f32_e32 v0, v1
	s_abs_i32 s98, s15
	v_writelane_b32 v127, s74, 4
	v_cvt_f32_u32_e32 v1, s98
	v_writelane_b32 v127, s75, 5
	v_writelane_b32 v127, s76, 6
	;; [unrolled: 1-line block ×3, first 2 shown]
	v_mul_f32_e32 v0, 0x4f7ffffe, v0
	v_writelane_b32 v127, s78, 8
	v_cvt_u32_f32_e32 v0, v0
	v_rcp_iflag_f32_e32 v1, v1
	v_writelane_b32 v127, s79, 9
	v_cndmask_b32_e64 v87, 0, 1, s[28:29]
	s_xor_b32 s1, s1, s3
	v_writelane_b32 v127, s28, 10
	s_sub_i32 s17, s1, s3
	s_add_i32 s34, s24, -1
	v_writelane_b32 v127, s29, 11
	s_mul_i32 s1, s17, s34
	v_writelane_b32 v127, s30, 12
	s_sub_i32 s35, s2, s1
	v_readfirstlane_b32 s1, v0
	v_mul_f32_e32 v0, 0x4f7ffffe, v1
	v_writelane_b32 v127, s31, 13
	v_cvt_u32_f32_e32 v0, v0
	v_writelane_b32 v127, s17, 14
	s_sub_i32 s0, 0, s97
	v_writelane_b32 v127, s34, 15
	s_mul_i32 s0, s0, s1
	v_writelane_b32 v127, s35, 16
	s_mul_hi_u32 s0, s1, s0
	v_writelane_b32 v127, s36, 17
	s_ashr_i32 s38, s14, 31
	s_add_i32 s39, s1, s0
	s_sub_i32 s0, 0, s98
	v_readfirstlane_b32 s1, v0
	v_writelane_b32 v127, s37, 18
	s_mul_i32 s0, s0, s1
	v_mbcnt_lo_u32_b32 v0, -1, 0
	v_writelane_b32 v127, s38, 19
	s_ashr_i32 s40, s15, 31
	s_mul_hi_u32 s0, s1, s0
	v_mbcnt_hi_u32_b32 v0, -1, v0
	v_writelane_b32 v127, s39, 20
	v_mov_b32_e32 v65, 0
	v_mul_lo_u32 v8, s23, v88
	v_or_b32_e32 v106, v5, v3
	s_add_i32 s41, s1, s0
	v_and_or_b32 v0, v0, 64, v6
	v_writelane_b32 v127, s40, 21
	v_ashrrev_i32_e32 v9, 31, v8
	v_mov_b32_e32 v67, v65
	s_lshl_b32 s24, s23, 5
	v_mul_lo_u32 v104, s22, v88
	v_or_b32_e32 v105, v4, v7
	v_or_b32_e32 v107, 2, v106
	v_lshlrev_b32_e32 v64, 1, v2
	v_lshlrev_b32_e32 v108, 2, v0
	v_mov_b32_e32 v109, v72
	v_writelane_b32 v127, s41, 22
	scratch_store_dwordx2 off, v[8:9], off  ; 8-byte Folded Spill
	s_branch .LBB105_7
.LBB105_4:                              ;   in Loop: Header=BB105_7 Depth=1
	s_or_b64 exec, exec, s[4:5]
.LBB105_5:                              ;   in Loop: Header=BB105_7 Depth=1
	s_or_b64 exec, exec, s[2:3]
	v_subrev_u32_e32 v109, s99, v109
.LBB105_6:                              ;   in Loop: Header=BB105_7 Depth=1
	s_or_b64 exec, exec, s[0:1]
	s_add_i32 s33, s33, 1
	v_cmp_ge_i32_e32 vcc, s33, v86
	s_cbranch_vccnz .LBB105_54
.LBB105_7:                              ; =>This Loop Header: Depth=1
                                        ;     Child Loop BB105_13 Depth 2
                                        ;       Child Loop BB105_15 Depth 3
                                        ;       Child Loop BB105_18 Depth 3
	;; [unrolled: 1-line block ×5, first 2 shown]
                                        ;     Child Loop BB105_32 Depth 2
                                        ;     Child Loop BB105_41 Depth 2
                                        ;       Child Loop BB105_43 Depth 3
                                        ;     Child Loop BB105_51 Depth 2
                                        ;       Child Loop BB105_53 Depth 3
	s_abs_i32 s1, s33
	s_mul_hi_u32 s2, s1, s39
	s_mul_i32 s3, s2, s97
	s_ashr_i32 s0, s33, 31
	s_sub_i32 s1, s1, s3
	s_xor_b32 s0, s0, s38
	s_add_i32 s3, s2, 1
	s_sub_i32 s4, s1, s97
	s_cmp_ge_u32 s1, s97
	s_cselect_b32 s2, s3, s2
	s_cselect_b32 s1, s4, s1
	s_add_i32 s3, s2, 1
	s_cmp_ge_u32 s1, s97
	s_cselect_b32 s1, s3, s2
	s_xor_b32 s1, s1, s0
	s_sub_i32 s0, s1, s0
	s_abs_i32 s2, s0
	s_mul_i32 s1, s0, s14
	s_mul_hi_u32 s3, s2, s41
	s_sub_i32 s1, s33, s1
	s_mul_i32 s4, s3, s98
	s_lshl_b32 s96, s1, 5
	s_ashr_i32 s1, s0, 31
	s_sub_i32 s2, s2, s4
	s_xor_b32 s1, s1, s40
	s_add_i32 s4, s3, 1
	s_sub_i32 s5, s2, s98
	s_cmp_ge_u32 s2, s98
	s_cselect_b32 s3, s4, s3
	s_cselect_b32 s2, s5, s2
	s_add_i32 s4, s3, 1
	s_cmp_ge_u32 s2, s98
	s_cselect_b32 s2, s4, s3
	s_xor_b32 s2, s2, s1
	s_sub_i32 s1, s2, s1
	s_mul_i32 s2, s1, s17
	s_lshl_b32 s46, s2, 7
	s_cmp_eq_u32 s1, s34
	s_cselect_b32 s99, s35, s17
	s_sub_i32 s2, s96, s20
	s_add_i32 s71, s2, 32
	s_and_saveexec_b64 s[2:3], s[30:31]
	s_xor_b64 s[4:5], exec, s[2:3]
	s_cbranch_execz .LBB105_47
; %bb.8:                                ;   in Loop: Header=BB105_7 Depth=1
	s_mul_i32 s1, s1, s15
	s_sub_i32 s0, s0, s1
	s_lshl_b32 s0, s0, 7
	s_sub_i32 s70, s0, s21
	s_addk_i32 s70, 0x80
	s_max_i32 s1, s70, 0
	s_sub_i32 s0, s0, s1
	s_and_saveexec_b64 s[2:3], s[28:29]
	s_xor_b64 s[2:3], exec, s[2:3]
	s_cbranch_execz .LBB105_37
; %bb.9:                                ;   in Loop: Header=BB105_7 Depth=1
	s_and_saveexec_b64 s[8:9], s[36:37]
	s_cbranch_execz .LBB105_36
; %bb.10:                               ;   in Loop: Header=BB105_7 Depth=1
	global_load_dword v110, v65, s[78:79]
	v_writelane_b32 v127, s8, 23
	v_mov_b32_e32 v63, 0
	v_cmp_gt_i32_e32 vcc, s99, v109
	v_writelane_b32 v127, s9, 24
	v_mov_b32_e32 v62, v63
	v_mov_b32_e32 v61, v63
	;; [unrolled: 1-line block ×63, first 2 shown]
	s_and_saveexec_b64 s[6:7], vcc
	s_cbranch_execz .LBB105_29
; %bb.11:                               ;   in Loop: Header=BB105_7 Depth=1
	v_mov_b32_e32 v0, 0
	s_mov_b64 s[8:9], 0
	v_mov_b32_e32 v1, v0
	v_mov_b32_e32 v2, v0
	;; [unrolled: 1-line block ×63, first 2 shown]
	s_branch .LBB105_13
.LBB105_12:                             ;   in Loop: Header=BB105_13 Depth=2
	s_or_b64 exec, exec, s[10:11]
	v_add_u32_e32 v115, 0x3000, v114
	ds_read2_b32 v[116:117], v115 offset1:32
	v_add_u32_e32 v109, s27, v109
	s_waitcnt lgkmcnt(0)
	v_mfma_f32_32x32x16_fp8_fp8 v[0:15], v[84:85], v[116:117], v[0:15]
	ds_read2_b32 v[84:85], v115 offset0:128 offset1:160
	s_waitcnt lgkmcnt(0)
	v_mfma_f32_32x32x16_fp8_fp8 v[0:15], v[82:83], v[84:85], v[0:15]
	v_add_u32_e32 v84, 0x3400, v114
	ds_read2_b32 v[82:83], v84 offset1:32
	s_waitcnt lgkmcnt(0)
	v_mfma_f32_32x32x16_fp8_fp8 v[0:15], v[80:81], v[82:83], v[0:15]
	ds_read2_b32 v[80:81], v84 offset0:128 offset1:160
	s_waitcnt lgkmcnt(0)
	v_mfma_f32_32x32x16_fp8_fp8 v[0:15], v[78:79], v[80:81], v[0:15]
	v_add_u32_e32 v80, 0x3800, v114
	ds_read2_b32 v[78:79], v80 offset1:32
	;; [unrolled: 7-line block ×3, first 2 shown]
	ds_read2_b32 v[76:77], v76 offset0:128 offset1:160
	ds_write_b32 v112, v113 offset:61468
	s_waitcnt lgkmcnt(2)
	v_mfma_f32_32x32x16_fp8_fp8 v[0:15], v[72:73], v[74:75], v[0:15]
	v_add_u32_e32 v72, s27, v111
	v_add_u32_e32 v73, 2, v87
	v_cmp_lt_i32_e32 vcc, 2, v72
	s_nop 1
	v_cndmask_b32_e32 v87, v87, v73, vcc
	v_cmp_le_i32_e32 vcc, s99, v109
	s_waitcnt lgkmcnt(1)
	v_mfma_f32_32x32x16_fp8_fp8 v[0:15], v[70:71], v[76:77], v[0:15]
	s_or_b64 s[8:9], vcc, s[8:9]
	s_andn2_b64 exec, exec, s[8:9]
	s_cbranch_execz .LBB105_28
.LBB105_13:                             ;   Parent Loop BB105_7 Depth=1
                                        ; =>  This Loop Header: Depth=2
                                        ;       Child Loop BB105_15 Depth 3
                                        ;       Child Loop BB105_18 Depth 3
	;; [unrolled: 1-line block ×5, first 2 shown]
	v_cmp_gt_i32_e32 vcc, 3, v72
	s_nop 1
	v_cndmask_b32_e64 v70, -3, 0, vcc
	v_add_u32_e32 v111, v70, v72
	v_lshlrev_b32_e32 v112, 5, v111
	ds_read_b32 v70, v112 offset:61440
	s_waitcnt lgkmcnt(0)
	v_cmp_ne_u32_e32 vcc, v70, v87
	s_and_saveexec_b64 s[10:11], vcc
	s_cbranch_execz .LBB105_16
; %bb.14:                               ;   in Loop: Header=BB105_13 Depth=2
	s_mov_b64 s[12:13], 0
.LBB105_15:                             ;   Parent Loop BB105_7 Depth=1
                                        ;     Parent Loop BB105_13 Depth=2
                                        ; =>    This Inner Loop Header: Depth=3
	;;#ASMSTART
	s_sleep 0
	;;#ASMEND
	ds_read_b32 v70, v112 offset:61440
	s_waitcnt lgkmcnt(0)
	v_cmp_eq_u32_e32 vcc, v70, v87
	s_or_b64 s[12:13], vcc, s[12:13]
	s_andn2_b64 exec, exec, s[12:13]
	s_cbranch_execnz .LBB105_15
.LBB105_16:                             ;   in Loop: Header=BB105_13 Depth=2
	s_or_b64 exec, exec, s[10:11]
	v_lshl_add_u32 v70, v111, 12, v89
	v_add_u32_e32 v71, 0x400, v70
	ds_read2_b32 v[84:85], v70 offset1:32
	ds_read2_b32 v[82:83], v70 offset0:128 offset1:160
	ds_read2_b32 v[80:81], v71 offset1:32
	ds_read2_b32 v[78:79], v71 offset0:128 offset1:160
	v_add_u32_e32 v71, 0x800, v70
	v_add_u32_e32 v70, 0xc00, v70
	ds_read2_b32 v[76:77], v71 offset1:32
	ds_read2_b32 v[74:75], v71 offset0:128 offset1:160
	ds_read2_b32 v[72:73], v70 offset1:32
	ds_read_b32 v114, v112 offset:61444
	ds_read2_b32 v[70:71], v70 offset0:128 offset1:160
	v_add_u32_e32 v113, 1, v87
	ds_write_b32 v112, v113 offset:61440
	s_waitcnt lgkmcnt(2)
	v_cmp_ne_u32_e32 vcc, v114, v87
	s_and_saveexec_b64 s[10:11], vcc
	s_cbranch_execz .LBB105_19
; %bb.17:                               ;   in Loop: Header=BB105_13 Depth=2
	s_mov_b64 s[12:13], 0
.LBB105_18:                             ;   Parent Loop BB105_7 Depth=1
                                        ;     Parent Loop BB105_13 Depth=2
                                        ; =>    This Inner Loop Header: Depth=3
	;;#ASMSTART
	s_sleep 0
	;;#ASMEND
	ds_read_b32 v114, v112 offset:61444
	s_waitcnt lgkmcnt(0)
	v_cmp_eq_u32_e32 vcc, v114, v87
	s_or_b64 s[12:13], vcc, s[12:13]
	s_andn2_b64 exec, exec, s[12:13]
	s_cbranch_execnz .LBB105_18
.LBB105_19:                             ;   in Loop: Header=BB105_13 Depth=2
	s_or_b64 exec, exec, s[10:11]
	v_lshl_or_b32 v114, v111, 14, v90
	ds_read2_b32 v[116:117], v114 offset1:32
	v_add_u32_e32 v115, 0x400, v114
	s_waitcnt lgkmcnt(0)
	v_mfma_f32_32x32x16_fp8_fp8 v[48:63], v[84:85], v[116:117], v[48:63]
	ds_read2_b32 v[116:117], v114 offset0:128 offset1:160
	s_waitcnt lgkmcnt(0)
	v_mfma_f32_32x32x16_fp8_fp8 v[48:63], v[82:83], v[116:117], v[48:63]
	ds_read2_b32 v[116:117], v115 offset1:32
	s_waitcnt lgkmcnt(0)
	v_mfma_f32_32x32x16_fp8_fp8 v[48:63], v[80:81], v[116:117], v[48:63]
	ds_read2_b32 v[116:117], v115 offset0:128 offset1:160
	v_add_u32_e32 v115, 0x800, v114
	s_waitcnt lgkmcnt(0)
	v_mfma_f32_32x32x16_fp8_fp8 v[48:63], v[78:79], v[116:117], v[48:63]
	ds_read2_b32 v[116:117], v115 offset1:32
	s_waitcnt lgkmcnt(0)
	v_mfma_f32_32x32x16_fp8_fp8 v[48:63], v[76:77], v[116:117], v[48:63]
	ds_read2_b32 v[116:117], v115 offset0:128 offset1:160
	v_add_u32_e32 v115, 0xc00, v114
	s_waitcnt lgkmcnt(0)
	v_mfma_f32_32x32x16_fp8_fp8 v[48:63], v[74:75], v[116:117], v[48:63]
	ds_read2_b32 v[116:117], v115 offset1:32
	s_waitcnt lgkmcnt(0)
	v_mfma_f32_32x32x16_fp8_fp8 v[48:63], v[72:73], v[116:117], v[48:63]
	ds_read_b32 v118, v112 offset:61452
	ds_read2_b32 v[116:117], v115 offset0:128 offset1:160
	ds_write_b32 v112, v113 offset:61444
	s_waitcnt lgkmcnt(2)
	v_cmp_ne_u32_e32 vcc, v118, v87
	s_waitcnt lgkmcnt(1)
	v_mfma_f32_32x32x16_fp8_fp8 v[48:63], v[70:71], v[116:117], v[48:63]
	s_and_saveexec_b64 s[10:11], vcc
	s_cbranch_execz .LBB105_22
; %bb.20:                               ;   in Loop: Header=BB105_13 Depth=2
	s_mov_b64 s[12:13], 0
.LBB105_21:                             ;   Parent Loop BB105_7 Depth=1
                                        ;     Parent Loop BB105_13 Depth=2
                                        ; =>    This Inner Loop Header: Depth=3
	;;#ASMSTART
	s_sleep 0
	;;#ASMEND
	ds_read_b32 v115, v112 offset:61452
	s_waitcnt lgkmcnt(0)
	v_cmp_eq_u32_e32 vcc, v115, v87
	s_or_b64 s[12:13], vcc, s[12:13]
	s_andn2_b64 exec, exec, s[12:13]
	s_cbranch_execnz .LBB105_21
.LBB105_22:                             ;   in Loop: Header=BB105_13 Depth=2
	s_or_b64 exec, exec, s[10:11]
	v_add_u32_e32 v115, 0x1000, v114
	ds_read2_b32 v[116:117], v115 offset1:32
	s_waitcnt lgkmcnt(0)
	v_mfma_f32_32x32x16_fp8_fp8 v[32:47], v[84:85], v[116:117], v[32:47]
	ds_read2_b32 v[116:117], v115 offset0:128 offset1:160
	v_add_u32_e32 v115, 0x1400, v114
	s_waitcnt lgkmcnt(0)
	v_mfma_f32_32x32x16_fp8_fp8 v[32:47], v[82:83], v[116:117], v[32:47]
	ds_read2_b32 v[116:117], v115 offset1:32
	s_waitcnt lgkmcnt(0)
	v_mfma_f32_32x32x16_fp8_fp8 v[32:47], v[80:81], v[116:117], v[32:47]
	ds_read2_b32 v[116:117], v115 offset0:128 offset1:160
	v_add_u32_e32 v115, 0x1800, v114
	s_waitcnt lgkmcnt(0)
	v_mfma_f32_32x32x16_fp8_fp8 v[32:47], v[78:79], v[116:117], v[32:47]
	;; [unrolled: 7-line block ×3, first 2 shown]
	ds_read2_b32 v[116:117], v115 offset1:32
	s_waitcnt lgkmcnt(0)
	v_mfma_f32_32x32x16_fp8_fp8 v[32:47], v[72:73], v[116:117], v[32:47]
	ds_read_b32 v118, v112 offset:61460
	ds_read2_b32 v[116:117], v115 offset0:128 offset1:160
	ds_write_b32 v112, v113 offset:61452
	s_waitcnt lgkmcnt(2)
	v_cmp_ne_u32_e32 vcc, v118, v87
	s_waitcnt lgkmcnt(1)
	v_mfma_f32_32x32x16_fp8_fp8 v[32:47], v[70:71], v[116:117], v[32:47]
	s_and_saveexec_b64 s[10:11], vcc
	s_cbranch_execz .LBB105_25
; %bb.23:                               ;   in Loop: Header=BB105_13 Depth=2
	s_mov_b64 s[12:13], 0
.LBB105_24:                             ;   Parent Loop BB105_7 Depth=1
                                        ;     Parent Loop BB105_13 Depth=2
                                        ; =>    This Inner Loop Header: Depth=3
	;;#ASMSTART
	s_sleep 0
	;;#ASMEND
	ds_read_b32 v115, v112 offset:61460
	s_waitcnt lgkmcnt(0)
	v_cmp_eq_u32_e32 vcc, v115, v87
	s_or_b64 s[12:13], vcc, s[12:13]
	s_andn2_b64 exec, exec, s[12:13]
	s_cbranch_execnz .LBB105_24
.LBB105_25:                             ;   in Loop: Header=BB105_13 Depth=2
	s_or_b64 exec, exec, s[10:11]
	v_add_u32_e32 v115, 0x2000, v114
	ds_read2_b32 v[116:117], v115 offset1:32
	s_waitcnt lgkmcnt(0)
	v_mfma_f32_32x32x16_fp8_fp8 v[16:31], v[84:85], v[116:117], v[16:31]
	ds_read2_b32 v[116:117], v115 offset0:128 offset1:160
	v_add_u32_e32 v115, 0x2400, v114
	s_waitcnt lgkmcnt(0)
	v_mfma_f32_32x32x16_fp8_fp8 v[16:31], v[82:83], v[116:117], v[16:31]
	ds_read2_b32 v[116:117], v115 offset1:32
	s_waitcnt lgkmcnt(0)
	v_mfma_f32_32x32x16_fp8_fp8 v[16:31], v[80:81], v[116:117], v[16:31]
	ds_read2_b32 v[116:117], v115 offset0:128 offset1:160
	v_add_u32_e32 v115, 0x2800, v114
	s_waitcnt lgkmcnt(0)
	v_mfma_f32_32x32x16_fp8_fp8 v[16:31], v[78:79], v[116:117], v[16:31]
	;; [unrolled: 7-line block ×3, first 2 shown]
	ds_read2_b32 v[116:117], v115 offset1:32
	s_waitcnt lgkmcnt(0)
	v_mfma_f32_32x32x16_fp8_fp8 v[16:31], v[72:73], v[116:117], v[16:31]
	ds_read_b32 v118, v112 offset:61468
	ds_read2_b32 v[116:117], v115 offset0:128 offset1:160
	ds_write_b32 v112, v113 offset:61460
	s_waitcnt lgkmcnt(2)
	v_cmp_ne_u32_e32 vcc, v118, v87
	s_waitcnt lgkmcnt(1)
	v_mfma_f32_32x32x16_fp8_fp8 v[16:31], v[70:71], v[116:117], v[16:31]
	s_and_saveexec_b64 s[10:11], vcc
	s_cbranch_execz .LBB105_12
; %bb.26:                               ;   in Loop: Header=BB105_13 Depth=2
	s_mov_b64 s[12:13], 0
.LBB105_27:                             ;   Parent Loop BB105_7 Depth=1
                                        ;     Parent Loop BB105_13 Depth=2
                                        ; =>    This Inner Loop Header: Depth=3
	;;#ASMSTART
	s_sleep 0
	;;#ASMEND
	ds_read_b32 v115, v112 offset:61468
	s_waitcnt lgkmcnt(0)
	v_cmp_eq_u32_e32 vcc, v115, v87
	s_or_b64 s[12:13], vcc, s[12:13]
	s_andn2_b64 exec, exec, s[12:13]
	s_cbranch_execnz .LBB105_27
	s_branch .LBB105_12
.LBB105_28:                             ;   in Loop: Header=BB105_7 Depth=1
	s_or_b64 exec, exec, s[8:9]
.LBB105_29:                             ;   in Loop: Header=BB105_7 Depth=1
	v_writelane_b32 v127, s71, 25
	v_writelane_b32 v127, s46, 26
	s_or_b64 exec, exec, s[6:7]
	v_cmp_le_i32_e32 vcc, s70, v88
	v_cmp_eq_u32_e64 s[64:65], 1, v91
	v_cmp_eq_u32_e64 s[36:37], 2, v91
	s_waitcnt vmcnt(0)
	v_cndmask_b32_e32 v70, 0, v110, vcc
	v_pk_mul_f32 v[48:49], v[70:71], v[48:49] op_sel_hi:[0,1]
	v_pk_mul_f32 v[62:63], v[70:71], v[62:63] op_sel_hi:[0,1]
	;; [unrolled: 1-line block ×8, first 2 shown]
	v_cndmask_b32_e64 v70, v48, v49, s[64:65]
	v_cndmask_b32_e64 v70, v70, v50, s[36:37]
	v_cmp_eq_u32_e64 s[40:41], 3, v91
	v_cmp_eq_u32_e64 s[42:43], 4, v91
	v_cmp_eq_u32_e64 s[44:45], 5, v91
	v_cndmask_b32_e64 v70, v70, v51, s[40:41]
	v_cndmask_b32_e64 v70, v70, v52, s[42:43]
	v_cndmask_b32_e64 v70, v70, v53, s[44:45]
	v_cmp_eq_u32_e64 s[46:47], 6, v91
	v_cmp_eq_u32_e64 s[48:49], 7, v91
	v_cmp_eq_u32_e64 s[50:51], 8, v91
	v_cndmask_b32_e64 v70, v70, v54, s[46:47]
	;; [unrolled: 6-line block ×4, first 2 shown]
	v_cndmask_b32_e64 v70, v70, v61, s[60:61]
	v_cndmask_b32_e64 v70, v70, v62, s[62:63]
	v_cmp_eq_u32_e64 s[66:67], 15, v91
	s_mul_i32 s6, s96, s21
	s_ashr_i32 s7, s6, 31
	v_cndmask_b32_e64 v70, v70, v63, s[66:67]
	ds_bpermute_b32 v70, v108, v70
	s_lshl_b64 s[6:7], s[6:7], 1
	v_cmp_eq_u32_e64 s[34:35], 0, v91
	s_add_u32 s68, s76, s6
	v_cmp_eq_u32_e32 vcc, 1, v92
	s_waitcnt lgkmcnt(0)
	v_cndmask_b32_e64 v63, v63, v70, s[66:67]
	v_cndmask_b32_e64 v62, v62, v70, s[62:63]
	;; [unrolled: 1-line block ×16, first 2 shown]
	s_addc_u32 s69, s77, s7
	v_cndmask_b32_e32 v48, v70, v79, vcc
	v_cmp_eq_u32_e64 s[6:7], 2, v92
	v_cmp_eq_u32_e64 s[8:9], 3, v92
	;; [unrolled: 1-line block ×3, first 2 shown]
	v_cndmask_b32_e64 v48, v48, v78, s[6:7]
	v_cndmask_b32_e64 v48, v48, v77, s[8:9]
	;; [unrolled: 1-line block ×3, first 2 shown]
	v_cmp_eq_u32_e64 s[12:13], 5, v92
	v_cmp_eq_u32_e64 s[14:15], 6, v92
	v_cmp_eq_u32_e64 s[16:17], 7, v92
	v_cndmask_b32_e64 v48, v48, v75, s[12:13]
	v_cndmask_b32_e64 v48, v48, v74, s[14:15]
	;; [unrolled: 1-line block ×3, first 2 shown]
	v_cmp_eq_u32_e64 s[18:19], 8, v92
	v_cmp_eq_u32_e64 s[74:75], 9, v92
	;; [unrolled: 1-line block ×3, first 2 shown]
	v_cndmask_b32_e64 v48, v48, v56, s[18:19]
	v_cndmask_b32_e64 v48, v48, v57, s[74:75]
	s_ashr_i32 s1, s0, 31
	v_cndmask_b32_e64 v48, v48, v58, s[76:77]
	v_cmp_eq_u32_e64 s[78:79], 11, v92
	s_lshl_b64 s[38:39], s[0:1], 1
	v_cmp_eq_u32_e64 s[80:81], 12, v92
	v_cndmask_b32_e64 v48, v48, v59, s[78:79]
	s_add_u32 s38, s68, s38
	v_cndmask_b32_e64 v48, v48, v60, s[80:81]
	v_cmp_eq_u32_e64 s[28:29], 13, v92
	s_addc_u32 s39, s69, s39
	v_cmp_eq_u32_e64 s[30:31], 14, v92
	v_cndmask_b32_e64 v48, v48, v61, s[28:29]
	v_writelane_b32 v127, s38, 27
	v_cndmask_b32_e64 v48, v48, v62, s[30:31]
	v_or_b32_e32 v68, 64, v88
	v_writelane_b32 v127, s39, 28
	v_cmp_eq_u32_e64 s[38:39], 15, v92
	v_cmp_eq_u32_e64 s[72:73], 9, v93
	;; [unrolled: 1-line block ×3, first 2 shown]
	v_cndmask_b32_e64 v48, v48, v63, s[38:39]
	ds_bpermute_b32 v71, v108, v48
	v_or_b32_e32 v48, 32, v88
	v_cmp_le_i32_e64 s[68:69], s70, v48
	v_cmp_eq_u32_e64 s[86:87], 6, v94
	v_cmp_eq_u32_e64 s[90:91], 7, v94
	v_cndmask_b32_e64 v48, 0, v110, s[68:69]
	v_cmp_le_i32_e64 s[68:69], s70, v68
	v_or_b32_e32 v68, 0x60, v88
	s_waitcnt lgkmcnt(0)
	v_cndmask_b32_e64 v54, v58, v71, s[76:77]
	v_cndmask_b32_e64 v58, v74, v71, s[14:15]
	;; [unrolled: 1-line block ×3, first 2 shown]
	v_cmp_le_i32_e64 s[68:69], s70, v68
	v_cndmask_b32_e64 v49, v63, v71, s[38:39]
	v_pk_mul_f32 v[30:31], v[74:75], v[30:31] op_sel_hi:[0,1]
	v_pk_mul_f32 v[28:29], v[74:75], v[28:29] op_sel_hi:[0,1]
	;; [unrolled: 1-line block ×8, first 2 shown]
	v_cndmask_b32_e64 v74, 0, v110, s[68:69]
	v_pk_mul_f32 v[32:33], v[48:49], v[32:33] op_sel_hi:[0,1]
	v_cmp_eq_u32_e64 s[68:69], 0, v92
	v_pk_mul_f32 v[0:1], v[74:75], v[0:1] op_sel_hi:[0,1]
	v_cndmask_b32_e64 v50, v62, v71, s[30:31]
	v_cndmask_b32_e64 v51, v61, v71, s[28:29]
	;; [unrolled: 1-line block ×11, first 2 shown]
	v_cndmask_b32_e32 v63, v79, v71, vcc
	v_pk_mul_f32 v[46:47], v[48:49], v[46:47] op_sel_hi:[0,1]
	v_pk_mul_f32 v[44:45], v[48:49], v[44:45] op_sel_hi:[0,1]
	;; [unrolled: 1-line block ×7, first 2 shown]
	v_cndmask_b32_e64 v48, v32, v33, s[64:65]
	v_cndmask_b32_e64 v73, v16, v17, s[64:65]
	v_cndmask_b32_e64 v70, v70, v71, s[68:69]
	v_pk_mul_f32 v[2:3], v[74:75], v[2:3] op_sel_hi:[0,1]
	v_cndmask_b32_e64 v71, v0, v1, s[64:65]
	v_cndmask_b32_e64 v48, v48, v34, s[36:37]
	v_cndmask_b32_e64 v73, v73, v18, s[36:37]
	v_cndmask_b32_e64 v71, v71, v2, s[36:37]
	v_cndmask_b32_e64 v48, v48, v35, s[40:41]
	v_cndmask_b32_e64 v73, v73, v19, s[40:41]
	v_pk_mul_f32 v[4:5], v[74:75], v[4:5] op_sel_hi:[0,1]
	v_cndmask_b32_e64 v71, v71, v3, s[40:41]
	v_cndmask_b32_e64 v48, v48, v36, s[42:43]
	v_cndmask_b32_e64 v73, v73, v20, s[42:43]
	;; [unrolled: 7-line block ×7, first 2 shown]
	v_cndmask_b32_e64 v71, v71, v14, s[62:63]
	v_cndmask_b32_e64 v48, v48, v47, s[66:67]
	;; [unrolled: 1-line block ×4, first 2 shown]
	ds_bpermute_b32 v48, v108, v48
	ds_bpermute_b32 v73, v108, v73
	ds_bpermute_b32 v71, v108, v71
	v_cmp_eq_u32_e64 s[70:71], 7, v93
	v_cmp_eq_u32_e64 s[84:85], 13, v95
	s_waitcnt lgkmcnt(2)
	v_cndmask_b32_e64 v34, v34, v48, s[36:37]
	s_waitcnt lgkmcnt(1)
	v_cndmask_b32_e64 v18, v18, v73, s[36:37]
	;; [unrolled: 2-line block ×3, first 2 shown]
	v_cmp_ne_u32_e64 s[36:37], 0, v91
	v_cndmask_b32_e64 v33, v33, v48, s[64:65]
	v_cndmask_b32_e64 v17, v17, v73, s[64:65]
	v_cmp_eq_u32_e64 s[64:65], 1, v93
	v_cndmask_b32_e64 v1, v1, v71, s[36:37]
	v_cndmask_b32_e64 v32, v32, v48, s[34:35]
	;; [unrolled: 1-line block ×8, first 2 shown]
	v_cmp_eq_u32_e64 s[66:67], 2, v93
	v_cndmask_b32_e64 v46, v46, v48, s[62:63]
	v_cndmask_b32_e64 v30, v30, v73, s[62:63]
	;; [unrolled: 1-line block ×36, first 2 shown]
	v_cndmask_b32_e32 v48, v32, v33, vcc
	v_cndmask_b32_e32 v73, v16, v17, vcc
	;; [unrolled: 1-line block ×3, first 2 shown]
	v_cndmask_b32_e64 v74, v74, v62, s[66:67]
	v_cmp_eq_u32_e64 s[62:63], 3, v93
	v_cndmask_b32_e64 v48, v48, v34, s[6:7]
	v_cndmask_b32_e64 v73, v73, v18, s[6:7]
	v_cndmask_b32_e64 v71, v71, v2, s[6:7]
	v_cndmask_b32_e64 v74, v74, v61, s[62:63]
	v_cmp_eq_u32_e64 s[60:61], 4, v93
	v_cndmask_b32_e64 v48, v48, v35, s[8:9]
	v_cndmask_b32_e64 v73, v73, v19, s[8:9]
	v_cndmask_b32_e64 v71, v71, v3, s[8:9]
	;; [unrolled: 5-line block ×4, first 2 shown]
	v_cndmask_b32_e64 v74, v74, v58, s[56:57]
	v_cndmask_b32_e64 v48, v48, v38, s[14:15]
	;; [unrolled: 1-line block ×5, first 2 shown]
	v_cmp_eq_u32_e64 s[52:53], 8, v93
	v_cndmask_b32_e64 v48, v48, v39, s[16:17]
	v_cndmask_b32_e64 v73, v73, v23, s[16:17]
	;; [unrolled: 1-line block ×8, first 2 shown]
	v_cmp_eq_u32_e64 s[48:49], 10, v93
	v_cndmask_b32_e64 v48, v48, v41, s[74:75]
	v_cndmask_b32_e64 v73, v73, v25, s[74:75]
	v_cndmask_b32_e64 v71, v71, v9, s[74:75]
	v_cndmask_b32_e64 v74, v74, v54, s[48:49]
	v_cmp_eq_u32_e64 s[50:51], 11, v93
	v_cndmask_b32_e64 v48, v48, v42, s[76:77]
	v_cndmask_b32_e64 v73, v73, v26, s[76:77]
	v_cndmask_b32_e64 v71, v71, v10, s[76:77]
	v_cndmask_b32_e64 v74, v74, v53, s[50:51]
	;; [unrolled: 5-line block ×6, first 2 shown]
	v_cndmask_b32_e64 v48, v48, v47, s[38:39]
	v_cndmask_b32_e64 v73, v73, v31, s[38:39]
	;; [unrolled: 1-line block ×3, first 2 shown]
	ds_bpermute_b32 v74, v108, v74
	ds_bpermute_b32 v48, v108, v48
	;; [unrolled: 1-line block ×4, first 2 shown]
	v_cmp_eq_u32_e64 s[46:47], 0, v93
	s_waitcnt lgkmcnt(3)
	v_cndmask_b32_e64 v63, v63, v74, s[64:65]
	v_cmp_eq_u32_e64 s[34:35], 1, v94
	v_cndmask_b32_e64 v70, v70, v74, s[46:47]
	s_waitcnt lgkmcnt(2)
	v_cndmask_b32_e32 v33, v33, v48, vcc
	s_waitcnt lgkmcnt(1)
	v_cndmask_b32_e32 v17, v17, v73, vcc
	;; [unrolled: 2-line block ×3, first 2 shown]
	v_cndmask_b32_e64 v32, v32, v48, s[68:69]
	v_cndmask_b32_e64 v16, v16, v73, s[68:69]
	;; [unrolled: 1-line block ×24, first 2 shown]
	v_cmp_eq_u32_e64 s[38:39], 2, v94
	v_cndmask_b32_e64 v45, v45, v48, s[28:29]
	v_cndmask_b32_e64 v29, v29, v73, s[28:29]
	;; [unrolled: 1-line block ×40, first 2 shown]
	v_cmp_eq_u32_e64 s[28:29], 3, v94
	v_cndmask_b32_e64 v48, v48, v34, s[66:67]
	v_cndmask_b32_e64 v73, v73, v18, s[66:67]
	;; [unrolled: 1-line block ×8, first 2 shown]
	v_cmp_eq_u32_e64 s[78:79], 5, v94
	v_cndmask_b32_e64 v48, v48, v36, s[60:61]
	v_cndmask_b32_e64 v73, v73, v20, s[60:61]
	;; [unrolled: 1-line block ×12, first 2 shown]
	v_cmp_eq_u32_e64 s[18:19], 8, v94
	v_cndmask_b32_e64 v48, v48, v39, s[70:71]
	v_cndmask_b32_e64 v73, v73, v23, s[70:71]
	v_cndmask_b32_e64 v71, v71, v7, s[70:71]
	v_cndmask_b32_e64 v74, v74, v56, s[18:19]
	v_cmp_eq_u32_e64 s[16:17], 9, v94
	v_cndmask_b32_e64 v48, v48, v40, s[52:53]
	v_cndmask_b32_e64 v73, v73, v24, s[52:53]
	v_cndmask_b32_e64 v71, v71, v8, s[52:53]
	v_cndmask_b32_e64 v74, v74, v55, s[16:17]
	;; [unrolled: 5-line block ×7, first 2 shown]
	v_cmp_eq_u32_e32 vcc, 15, v94
	v_cndmask_b32_e64 v48, v48, v46, s[40:41]
	v_cndmask_b32_e64 v73, v73, v30, s[40:41]
	;; [unrolled: 1-line block ×3, first 2 shown]
	v_cndmask_b32_e32 v74, v74, v49, vcc
	v_cndmask_b32_e64 v48, v48, v47, s[36:37]
	v_cndmask_b32_e64 v73, v73, v31, s[36:37]
	;; [unrolled: 1-line block ×3, first 2 shown]
	ds_bpermute_b32 v74, v108, v74
	ds_bpermute_b32 v48, v108, v48
	;; [unrolled: 1-line block ×4, first 2 shown]
	v_cmp_eq_u32_e64 s[8:9], 0, v94
	s_waitcnt lgkmcnt(3)
	v_cndmask_b32_e64 v63, v63, v74, s[34:35]
	s_waitcnt lgkmcnt(2)
	v_cndmask_b32_e64 v47, v47, v48, s[36:37]
	v_cndmask_b32_e64 v70, v70, v74, s[8:9]
	s_waitcnt lgkmcnt(1)
	v_cndmask_b32_e64 v31, v31, v73, s[36:37]
	s_waitcnt lgkmcnt(0)
	v_cndmask_b32_e64 v15, v15, v71, s[36:37]
	v_cmp_eq_u32_e64 s[36:37], 1, v95
	v_cndmask_b32_e64 v33, v33, v48, s[64:65]
	v_cndmask_b32_e64 v17, v17, v73, s[64:65]
	;; [unrolled: 1-line block ×6, first 2 shown]
	v_cndmask_b32_e32 v49, v49, v74, vcc
	v_cndmask_b32_e64 v50, v50, v74, s[6:7]
	v_cndmask_b32_e64 v51, v51, v74, s[30:31]
	;; [unrolled: 1-line block ×17, first 2 shown]
	v_cmp_eq_u32_e64 s[40:41], 2, v95
	v_cndmask_b32_e64 v45, v45, v48, s[42:43]
	v_cndmask_b32_e64 v29, v29, v73, s[42:43]
	;; [unrolled: 1-line block ×40, first 2 shown]
	v_cmp_eq_u32_e64 s[42:43], 3, v95
	v_cndmask_b32_e64 v48, v48, v34, s[38:39]
	v_cndmask_b32_e64 v73, v73, v18, s[38:39]
	v_cndmask_b32_e64 v71, v71, v2, s[38:39]
	v_cndmask_b32_e64 v74, v74, v61, s[42:43]
	v_cmp_eq_u32_e64 s[44:45], 4, v95
	v_cndmask_b32_e64 v48, v48, v35, s[28:29]
	v_cndmask_b32_e64 v73, v73, v19, s[28:29]
	v_cndmask_b32_e64 v71, v71, v3, s[28:29]
	v_cndmask_b32_e64 v74, v74, v60, s[44:45]
	;; [unrolled: 5-line block ×10, first 2 shown]
	v_cndmask_b32_e64 v48, v48, v44, s[10:11]
	v_cndmask_b32_e64 v73, v73, v28, s[10:11]
	;; [unrolled: 1-line block ×4, first 2 shown]
	v_cmp_eq_u32_e64 s[88:89], 14, v95
	v_cndmask_b32_e64 v48, v48, v45, s[30:31]
	v_cndmask_b32_e64 v73, v73, v29, s[30:31]
	;; [unrolled: 1-line block ×4, first 2 shown]
	v_cmp_eq_u32_e64 s[92:93], 15, v95
	v_cndmask_b32_e64 v48, v48, v46, s[6:7]
	v_cndmask_b32_e64 v73, v73, v30, s[6:7]
	;; [unrolled: 1-line block ×4, first 2 shown]
	v_cndmask_b32_e32 v48, v48, v47, vcc
	v_cndmask_b32_e32 v73, v73, v31, vcc
	;; [unrolled: 1-line block ×3, first 2 shown]
	ds_bpermute_b32 v74, v108, v74
	ds_bpermute_b32 v48, v108, v48
	;; [unrolled: 1-line block ×4, first 2 shown]
	v_cmp_eq_u32_e64 s[60:61], 0, v95
	s_waitcnt lgkmcnt(3)
	v_cndmask_b32_e64 v63, v63, v74, s[36:37]
	s_waitcnt lgkmcnt(2)
	v_cndmask_b32_e32 v47, v47, v48, vcc
	v_cndmask_b32_e64 v70, v70, v74, s[60:61]
	s_waitcnt lgkmcnt(1)
	v_cndmask_b32_e32 v31, v31, v73, vcc
	s_waitcnt lgkmcnt(0)
	v_cndmask_b32_e32 v15, v15, v71, vcc
	v_cmp_eq_u32_e32 vcc, 1, v96
	v_cndmask_b32_e64 v49, v49, v74, s[92:93]
	v_cndmask_b32_e64 v50, v50, v74, s[88:89]
	v_cndmask_b32_e64 v51, v51, v74, s[84:85]
	v_cndmask_b32_e64 v52, v52, v74, s[80:81]
	v_cndmask_b32_e64 v53, v53, v74, s[76:77]
	v_cndmask_b32_e64 v54, v54, v74, s[56:57]
	v_cndmask_b32_e64 v55, v55, v74, s[74:75]
	v_cndmask_b32_e64 v56, v56, v74, s[72:73]
	v_cndmask_b32_e64 v57, v57, v74, s[68:69]
	v_cndmask_b32_e64 v58, v58, v74, s[54:55]
	v_cndmask_b32_e64 v59, v59, v74, s[50:51]
	v_cndmask_b32_e64 v60, v60, v74, s[44:45]
	v_cndmask_b32_e64 v61, v61, v74, s[42:43]
	v_cndmask_b32_e64 v62, v62, v74, s[40:41]
	v_cndmask_b32_e32 v74, v70, v63, vcc
	v_cndmask_b32_e64 v46, v46, v48, s[6:7]
	v_cndmask_b32_e64 v30, v30, v73, s[6:7]
	;; [unrolled: 1-line block ×3, first 2 shown]
	v_cmp_eq_u32_e64 s[6:7], 2, v96
	v_cndmask_b32_e64 v1, v1, v71, s[34:35]
	v_cndmask_b32_e64 v0, v0, v71, s[8:9]
	;; [unrolled: 1-line block ×6, first 2 shown]
	v_cmp_eq_u32_e64 s[30:31], 3, v96
	v_cndmask_b32_e64 v12, v12, v71, s[10:11]
	v_cndmask_b32_e64 v11, v11, v71, s[12:13]
	;; [unrolled: 1-line block ×13, first 2 shown]
	v_cmp_eq_u32_e64 s[46:47], 4, v96
	v_cndmask_b32_e64 v71, v71, v2, s[40:41]
	v_cmp_eq_u32_e64 s[52:53], 5, v96
	v_cndmask_b32_e64 v74, v74, v60, s[46:47]
	v_cndmask_b32_e64 v71, v71, v3, s[42:43]
	;; [unrolled: 1-line block ×3, first 2 shown]
	v_cmp_eq_u32_e64 s[58:59], 6, v96
	v_cndmask_b32_e64 v71, v71, v4, s[44:45]
	v_cmp_eq_u32_e64 s[64:65], 7, v96
	v_cndmask_b32_e64 v74, v74, v58, s[58:59]
	v_cndmask_b32_e64 v33, v33, v48, s[34:35]
	;; [unrolled: 1-line block ×17, first 2 shown]
	v_cmp_eq_u32_e64 s[70:71], 8, v96
	v_cndmask_b32_e64 v39, v39, v48, s[90:91]
	v_cndmask_b32_e64 v23, v23, v73, s[90:91]
	;; [unrolled: 1-line block ×16, first 2 shown]
	v_cmp_eq_u32_e64 s[66:67], 9, v96
	v_cndmask_b32_e64 v48, v48, v34, s[40:41]
	v_cndmask_b32_e64 v73, v73, v18, s[40:41]
	v_cndmask_b32_e64 v71, v71, v7, s[68:69]
	v_cndmask_b32_e64 v74, v74, v55, s[66:67]
	v_cmp_eq_u32_e64 s[62:63], 10, v96
	v_cndmask_b32_e64 v48, v48, v35, s[42:43]
	v_cndmask_b32_e64 v73, v73, v19, s[42:43]
	v_cndmask_b32_e64 v71, v71, v8, s[72:73]
	v_cndmask_b32_e64 v74, v74, v54, s[62:63]
	;; [unrolled: 5-line block ×7, first 2 shown]
	v_cndmask_b32_e64 v48, v48, v41, s[74:75]
	v_cndmask_b32_e64 v73, v73, v25, s[74:75]
	;; [unrolled: 1-line block ×3, first 2 shown]
	ds_bpermute_b32 v74, v108, v74
	v_cndmask_b32_e64 v48, v48, v42, s[56:57]
	v_cndmask_b32_e64 v73, v73, v26, s[56:57]
	;; [unrolled: 1-line block ×5, first 2 shown]
	ds_bpermute_b32 v71, v108, v71
	v_cndmask_b32_e64 v48, v48, v44, s[80:81]
	v_cndmask_b32_e64 v73, v73, v28, s[80:81]
	;; [unrolled: 1-line block ×6, first 2 shown]
	v_cmp_eq_u32_e64 s[48:49], 0, v96
	s_waitcnt lgkmcnt(1)
	v_cndmask_b32_e32 v63, v63, v74, vcc
	v_cndmask_b32_e64 v48, v48, v47, s[92:93]
	v_cndmask_b32_e64 v73, v73, v31, s[92:93]
	;; [unrolled: 1-line block ×3, first 2 shown]
	v_cmp_eq_u32_e64 s[8:9], 1, v97
	v_cndmask_b32_e64 v49, v49, v74, s[94:95]
	v_cndmask_b32_e64 v50, v50, v74, s[90:91]
	v_cndmask_b32_e64 v51, v51, v74, s[86:87]
	v_cndmask_b32_e64 v52, v52, v74, s[82:83]
	v_cndmask_b32_e64 v53, v53, v74, s[78:79]
	v_cndmask_b32_e64 v54, v54, v74, s[62:63]
	v_cndmask_b32_e64 v55, v55, v74, s[66:67]
	v_cndmask_b32_e64 v56, v56, v74, s[70:71]
	v_cndmask_b32_e64 v57, v57, v74, s[64:65]
	v_cndmask_b32_e64 v58, v58, v74, s[58:59]
	v_cndmask_b32_e64 v59, v59, v74, s[52:53]
	v_cndmask_b32_e64 v60, v60, v74, s[46:47]
	v_cndmask_b32_e64 v61, v61, v74, s[30:31]
	v_cndmask_b32_e64 v62, v62, v74, s[6:7]
	ds_bpermute_b32 v48, v108, v48
	ds_bpermute_b32 v73, v108, v73
	s_waitcnt lgkmcnt(2)
	v_cndmask_b32_e64 v74, v15, v71, s[92:93]
	v_cndmask_b32_e64 v15, v70, v63, s[8:9]
	v_cmp_eq_u32_e64 s[10:11], 2, v97
	v_cndmask_b32_e64 v77, v14, v71, s[88:89]
	v_cmp_eq_u32_e64 s[12:13], 3, v97
	v_cndmask_b32_e64 v14, v15, v62, s[10:11]
	v_cndmask_b32_e64 v79, v13, v71, s[84:85]
	v_cndmask_b32_e64 v13, v14, v61, s[12:13]
	v_cmp_eq_u32_e64 s[14:15], 4, v97
	v_cndmask_b32_e64 v82, v12, v71, s[80:81]
	v_cmp_eq_u32_e64 s[16:17], 5, v97
	v_cndmask_b32_e64 v12, v13, v60, s[14:15]
	v_cndmask_b32_e64 v84, v11, v71, s[76:77]
	;; [unrolled: 1-line block ×3, first 2 shown]
	v_cmp_eq_u32_e64 s[18:19], 6, v97
	v_cndmask_b32_e64 v110, v10, v71, s[56:57]
	s_waitcnt lgkmcnt(1)
	v_cndmask_b32_e64 v41, v41, v48, s[74:75]
	v_cndmask_b32_e64 v10, v11, v58, s[18:19]
	s_waitcnt lgkmcnt(0)
	v_cndmask_b32_e64 v111, v25, v73, s[74:75]
	v_cndmask_b32_e64 v112, v9, v71, s[74:75]
	v_cmp_eq_u32_e64 s[74:75], 7, v97
	v_cndmask_b32_e64 v40, v40, v48, s[72:73]
	v_cndmask_b32_e64 v113, v24, v73, s[72:73]
	;; [unrolled: 1-line block ×4, first 2 shown]
	v_cmp_eq_u32_e64 s[72:73], 8, v97
	v_cndmask_b32_e64 v43, v43, v48, s[76:77]
	v_cndmask_b32_e64 v83, v27, v73, s[76:77]
	;; [unrolled: 1-line block ×3, first 2 shown]
	v_cmp_eq_u32_e64 s[76:77], 9, v97
	v_cndmask_b32_e64 v80, v44, v48, s[80:81]
	v_cndmask_b32_e64 v81, v28, v73, s[80:81]
	;; [unrolled: 1-line block ×4, first 2 shown]
	v_cmp_eq_u32_e64 s[80:81], 10, v97
	v_cndmask_b32_e64 v120, v6, v71, s[54:55]
	v_cmp_eq_u32_e64 s[28:29], 11, v97
	v_cndmask_b32_e64 v6, v7, v54, s[80:81]
	v_cndmask_b32_e64 v123, v5, v71, s[50:51]
	;; [unrolled: 1-line block ×3, first 2 shown]
	v_cmp_eq_u32_e64 s[34:35], 12, v97
	v_cndmask_b32_e64 v126, v4, v71, s[44:45]
	v_cmp_eq_u32_e64 s[38:39], 13, v97
	v_cndmask_b32_e64 v4, v5, v52, s[34:35]
	v_cndmask_b32_e64 v75, v46, v48, s[88:89]
	;; [unrolled: 1-line block ×7, first 2 shown]
	v_cmp_eq_u32_e64 s[40:41], 14, v97
	v_cndmask_b32_e64 v5, v17, v73, s[36:37]
	v_cndmask_b32_e64 v6, v1, v71, s[36:37]
	;; [unrolled: 1-line block ×7, first 2 shown]
	v_cndmask_b32_e32 v13, v12, v4, vcc
	v_cndmask_b32_e32 v15, v14, v5, vcc
	;; [unrolled: 1-line block ×3, first 2 shown]
	v_cndmask_b32_e64 v99, v35, v48, s[42:43]
	v_cndmask_b32_e64 v100, v19, v73, s[42:43]
	;; [unrolled: 1-line block ×33, first 2 shown]
	v_cmp_eq_u32_e64 s[56:57], 15, v97
	v_cndmask_b32_e64 v13, v13, v41, s[66:67]
	v_cndmask_b32_e64 v15, v15, v111, s[66:67]
	;; [unrolled: 1-line block ×7, first 2 shown]
	ds_bpermute_b32 v17, v108, v1
	v_cndmask_b32_e64 v13, v13, v43, s[78:79]
	v_cndmask_b32_e64 v15, v15, v83, s[78:79]
	;; [unrolled: 1-line block ×20, first 2 shown]
	v_cmp_eq_u32_e64 s[54:55], 0, v97
	s_waitcnt lgkmcnt(0)
	v_cndmask_b32_e64 v25, v56, v17, s[72:73]
	v_cndmask_b32_e64 v22, v63, v17, s[8:9]
	ds_bpermute_b32 v13, v108, v13
	ds_bpermute_b32 v15, v108, v15
	;; [unrolled: 1-line block ×3, first 2 shown]
	v_cndmask_b32_e64 v0, v70, v17, s[54:55]
	v_cmp_eq_u32_e64 s[36:37], 1, v98
	v_cndmask_b32_e64 v7, v49, v17, s[56:57]
	v_cndmask_b32_e64 v8, v50, v17, s[40:41]
	;; [unrolled: 1-line block ×14, first 2 shown]
	v_cmp_eq_u32_e64 s[42:43], 2, v98
	v_cmp_eq_u32_e64 s[44:45], 3, v98
	;; [unrolled: 1-line block ×3, first 2 shown]
	v_cndmask_b32_e64 v19, v17, v21, s[42:43]
	v_cndmask_b32_e64 v35, v19, v2, s[44:45]
	;; [unrolled: 1-line block ×3, first 2 shown]
	v_cmp_eq_u32_e64 s[60:61], 5, v98
	s_waitcnt lgkmcnt(2)
	v_cndmask_b32_e64 v57, v42, v13, s[62:63]
	s_waitcnt lgkmcnt(0)
	v_cndmask_b32_e64 v48, v110, v56, s[62:63]
	v_cndmask_b32_e64 v38, v37, v28, s[60:61]
	;; [unrolled: 1-line block ×3, first 2 shown]
	v_cmp_eq_u32_e64 s[62:63], 6, v98
	v_cndmask_b32_e64 v58, v41, v13, s[66:67]
	v_cndmask_b32_e64 v49, v112, v56, s[66:67]
	;; [unrolled: 1-line block ×4, first 2 shown]
	v_cmp_eq_u32_e64 s[66:67], 7, v98
	v_cmp_eq_u32_e64 s[68:69], 8, v98
	v_cndmask_b32_e64 v59, v40, v13, s[70:71]
	v_cndmask_b32_e64 v41, v39, v26, s[66:67]
	;; [unrolled: 1-line block ×6, first 2 shown]
	v_cmp_eq_u32_e64 s[64:65], 9, v98
	v_cndmask_b32_e64 v61, v118, v13, s[58:59]
	v_cndmask_b32_e64 v52, v120, v56, s[58:59]
	;; [unrolled: 1-line block ×4, first 2 shown]
	v_cmp_eq_u32_e64 s[58:59], 10, v98
	v_cndmask_b32_e64 v29, v47, v13, s[94:95]
	v_cndmask_b32_e64 v47, v43, v13, s[78:79]
	;; [unrolled: 1-line block ×6, first 2 shown]
	v_cmp_eq_u32_e64 s[52:53], 11, v98
	v_cndmask_b32_e64 v63, v124, v13, s[46:47]
	v_cndmask_b32_e64 v54, v126, v56, s[46:47]
	v_cndmask_b32_e64 v55, v43, v11, s[52:53]
	v_cndmask_b32_e64 v43, v125, v15, s[46:47]
	v_cmp_eq_u32_e64 s[46:47], 12, v98
	v_cndmask_b32_e64 v70, v99, v13, s[30:31]
	v_cndmask_b32_e64 v71, v100, v15, s[30:31]
	v_cndmask_b32_e64 v69, v55, v10, s[46:47]
	v_cndmask_b32_e64 v55, v101, v56, s[30:31]
	;; [unrolled: 5-line block ×3, first 2 shown]
	v_cmp_eq_u32_e64 s[6:7], 14, v98
	v_cndmask_b32_e64 v18, v74, v56, s[94:95]
	v_cndmask_b32_e64 v30, v75, v13, s[90:91]
	v_cndmask_b32_e64 v3, v69, v8, s[6:7]
	v_cndmask_b32_e32 v69, v4, v13, vcc
	v_cndmask_b32_e32 v74, v5, v15, vcc
	v_cndmask_b32_e32 v75, v6, v56, vcc
	v_cmp_eq_u32_e32 vcc, 15, v98
	v_cndmask_b32_e64 v32, v77, v56, s[90:91]
	v_cndmask_b32_e64 v77, v12, v13, s[48:49]
	v_cndmask_b32_e32 v3, v3, v7, vcc
	v_cndmask_b32_e64 v16, v76, v15, s[90:91]
	ds_bpermute_b32 v76, v108, v3
	v_cndmask_b32_e64 v3, v77, v69, s[8:9]
	v_cndmask_b32_e64 v3, v3, v68, s[10:11]
	v_cndmask_b32_e64 v3, v3, v70, s[12:13]
	v_cndmask_b32_e64 v3, v3, v63, s[14:15]
	v_cndmask_b32_e64 v3, v3, v62, s[16:17]
	v_cndmask_b32_e64 v3, v3, v61, s[18:19]
	v_cndmask_b32_e64 v3, v3, v60, s[74:75]
	v_cndmask_b32_e64 v3, v3, v59, s[72:73]
	v_cndmask_b32_e64 v3, v3, v58, s[76:77]
	v_cndmask_b32_e64 v3, v3, v57, s[80:81]
	v_cndmask_b32_e64 v20, v31, v15, s[94:95]
	v_cndmask_b32_e64 v31, v45, v13, s[86:87]
	v_cndmask_b32_e64 v17, v78, v15, s[86:87]
	v_cndmask_b32_e64 v45, v80, v13, s[82:83]
	v_cndmask_b32_e64 v78, v14, v15, s[48:49]
	v_cndmask_b32_e64 v3, v3, v47, s[28:29]
	s_waitcnt lgkmcnt(0)
	v_cndmask_b32_e64 v6, v27, v76, s[62:63]
	v_cndmask_b32_e64 v3, v3, v45, s[34:35]
	;; [unrolled: 1-line block ×11, first 2 shown]
	ds_bpermute_b32 v23, v108, v3
	v_cndmask_b32_e64 v27, v27, v42, s[16:17]
	v_cndmask_b32_e64 v27, v27, v41, s[18:19]
	;; [unrolled: 1-line block ×13, first 2 shown]
	v_cndmask_b32_e32 v15, v7, v76, vcc
	v_cndmask_b32_e64 v7, v26, v76, s[66:67]
	s_waitcnt lgkmcnt(0)
	v_cndmask_b32_e64 v26, v47, v23, s[28:29]
	v_cndmask_b32_e64 v44, v57, v23, s[80:81]
	;; [unrolled: 1-line block ×36, first 2 shown]
	ds_bpermute_b32 v69, v108, v27
	v_cndmask_b32_e64 v27, v56, v75, s[8:9]
	v_cndmask_b32_e64 v23, v23, v57, s[66:67]
	;; [unrolled: 1-line block ×18, first 2 shown]
	v_cndmask_b32_e32 v23, v23, v21, vcc
	v_cndmask_b32_e64 v27, v27, v35, s[28:29]
	ds_bpermute_b32 v77, v108, v23
	v_cndmask_b32_e64 v27, v27, v34, s[34:35]
	v_cndmask_b32_e64 v27, v27, v33, s[38:39]
	;; [unrolled: 1-line block ×4, first 2 shown]
	v_cmp_eq_u32_e64 s[48:49], 0, v98
	v_cndmask_b32_e64 v11, v11, v76, s[52:53]
	v_cndmask_b32_e64 v5, v28, v76, s[60:61]
	ds_bpermute_b32 v70, v108, v27
	s_waitcnt lgkmcnt(2)
	v_cndmask_b32_e64 v79, v20, v69, s[56:57]
	v_cndmask_b32_e64 v0, v0, v76, s[48:49]
	s_waitcnt lgkmcnt(1)
	v_cndmask_b32_e32 v31, v21, v77, vcc
	v_cndmask_b32_e64 v30, v22, v77, s[6:7]
	v_cndmask_b32_e64 v28, v25, v77, s[46:47]
	;; [unrolled: 1-line block ×38, first 2 shown]
	v_cndmask_b32_e32 v16, v16, v79, vcc
	ds_bpermute_b32 v78, v108, v16
	s_waitcnt lgkmcnt(1)
	v_cndmask_b32_e64 v80, v18, v70, s[56:57]
	v_cndmask_b32_e64 v29, v24, v77, s[30:31]
	;; [unrolled: 1-line block ×7, first 2 shown]
	s_waitcnt lgkmcnt(0)
	v_cndmask_b32_e64 v46, v44, v78, s[6:7]
	v_cndmask_b32_e64 v44, v57, v78, s[46:47]
	;; [unrolled: 1-line block ×37, first 2 shown]
	v_cndmask_b32_e32 v32, v32, v80, vcc
	v_cndmask_b32_e32 v47, v79, v78, vcc
	ds_bpermute_b32 v79, v108, v32
	v_readlane_b32 s71, v127, 25
	v_cndmask_b32_e64 v45, v45, v78, s[30:31]
	v_cndmask_b32_e64 v33, v74, v78, s[36:37]
	v_readlane_b32 s28, v127, 10
	s_waitcnt lgkmcnt(0)
	v_cndmask_b32_e64 v62, v57, v79, s[6:7]
	v_readlane_b32 s6, v127, 27
	v_cndmask_b32_e64 v61, v58, v79, s[30:31]
	v_cndmask_b32_e64 v57, v49, v79, s[64:65]
	;; [unrolled: 1-line block ×3, first 2 shown]
	v_readlane_b32 s7, v127, 28
	v_readlane_b32 s30, v127, 12
	v_readlane_b32 s36, v127, 17
	s_mov_b32 s1, 0
	s_max_i32 s70, s71, 0
	v_subrev_u32_e32 v109, s99, v109
	v_cndmask_b32_e64 v42, v37, v78, s[58:59]
	v_cndmask_b32_e64 v37, v60, v78, s[60:61]
	;; [unrolled: 1-line block ×5, first 2 shown]
	v_cndmask_b32_e32 v63, v80, v79, vcc
	v_cndmask_b32_e64 v60, v59, v79, s[46:47]
	v_cndmask_b32_e64 v59, v68, v79, s[52:53]
	;; [unrolled: 1-line block ×11, first 2 shown]
	v_lshl_add_u64 v[70:71], s[6:7], 0, v[64:65]
	s_mov_b64 s[6:7], 0
	s_mov_b32 s16, 0
	v_readlane_b32 s29, v127, 11
	v_readlane_b32 s31, v127, 13
	;; [unrolled: 1-line block ×10, first 2 shown]
	s_mov_b64 s[42:43], 0x80
	s_mov_b64 s[44:45], 0xc0
	v_readlane_b32 s46, v127, 26
                                        ; implicit-def: $sgpr8_sgpr9
	s_branch .LBB105_32
.LBB105_30:                             ;   in Loop: Header=BB105_32 Depth=2
	s_or_b64 exec, exec, s[12:13]
	s_andn2_b64 s[8:9], s[8:9], exec
	s_and_b64 s[12:13], s[14:15], exec
	s_or_b64 s[8:9], s[8:9], s[12:13]
.LBB105_31:                             ;   in Loop: Header=BB105_32 Depth=2
	s_or_b64 exec, exec, s[10:11]
	s_and_b64 s[10:11], exec, s[8:9]
	s_or_b64 s[6:7], s[10:11], s[6:7]
	s_andn2_b64 exec, exec, s[6:7]
	s_cbranch_execz .LBB105_35
.LBB105_32:                             ;   Parent Loop BB105_7 Depth=1
                                        ; =>  This Inner Loop Header: Depth=2
	s_and_b32 s12, s1, 24
	v_or_b32_e32 v73, s12, v106
	v_add_u32_e32 v68, s70, v73
	v_cmp_gt_u32_e32 vcc, 32, v68
	s_or_b64 s[8:9], s[8:9], exec
	s_and_saveexec_b64 s[10:11], vcc
	s_cbranch_execz .LBB105_31
; %bb.33:                               ;   in Loop: Header=BB105_32 Depth=2
	s_add_i32 s13, s16, 1
	s_set_gpr_idx_on s16, gpr_idx(SRC0)
	v_mov_b32_e32 v68, v0
	s_set_gpr_idx_off
	v_cvt_f16_f32_e32 v68, v68
	s_set_gpr_idx_on s13, gpr_idx(SRC0)
	v_mov_b32_e32 v69, v0
	s_set_gpr_idx_off
	v_cvt_f16_f32_sdwa v69, v69 dst_sel:WORD_1 dst_unused:UNUSED_PAD src0_sel:DWORD
	v_mul_lo_u32 v74, v73, s21
	v_ashrrev_i32_e32 v75, 31, v74
	v_lshl_add_u64 v[74:75], v[74:75], 1, v[70:71]
	v_or_b32_e32 v68, v69, v68
	;;#ASMSTART
	global_atomic_pk_add_f16 v[74:75], v68, off
	
	;;#ASMEND
	s_set_gpr_idx_on s16, gpr_idx(SRC0)
	v_mov_b32_e32 v68, v16
	s_set_gpr_idx_off
	v_cvt_f16_f32_e32 v68, v68
	s_set_gpr_idx_on s13, gpr_idx(SRC0)
	v_mov_b32_e32 v69, v16
	s_set_gpr_idx_off
	v_cvt_f16_f32_sdwa v69, v69 dst_sel:WORD_1 dst_unused:UNUSED_PAD src0_sel:DWORD
	v_lshl_add_u64 v[76:77], v[74:75], 0, 64
	v_or_b32_e32 v73, s12, v107
	s_mov_b64 s[14:15], -1
	v_or_b32_e32 v68, v69, v68
	;;#ASMSTART
	global_atomic_pk_add_f16 v[76:77], v68, off
	
	;;#ASMEND
	s_set_gpr_idx_on s16, gpr_idx(SRC0)
	v_mov_b32_e32 v68, v32
	s_set_gpr_idx_off
	v_cvt_f16_f32_e32 v68, v68
	s_set_gpr_idx_on s13, gpr_idx(SRC0)
	v_mov_b32_e32 v69, v32
	s_set_gpr_idx_off
	v_cvt_f16_f32_sdwa v69, v69 dst_sel:WORD_1 dst_unused:UNUSED_PAD src0_sel:DWORD
	v_lshl_add_u64 v[76:77], v[74:75], 0, s[42:43]
	v_lshl_add_u64 v[74:75], v[74:75], 0, s[44:45]
	v_or_b32_e32 v68, v69, v68
	;;#ASMSTART
	global_atomic_pk_add_f16 v[76:77], v68, off
	
	;;#ASMEND
	s_set_gpr_idx_on s16, gpr_idx(SRC0)
	v_mov_b32_e32 v68, v48
	s_set_gpr_idx_off
	v_cvt_f16_f32_e32 v68, v68
	s_set_gpr_idx_on s13, gpr_idx(SRC0)
	v_mov_b32_e32 v69, v48
	s_set_gpr_idx_off
	v_cvt_f16_f32_sdwa v69, v69 dst_sel:WORD_1 dst_unused:UNUSED_PAD src0_sel:DWORD
	s_nop 0
	v_or_b32_e32 v68, v69, v68
	;;#ASMSTART
	global_atomic_pk_add_f16 v[74:75], v68, off
	
	;;#ASMEND
	v_add_u32_e32 v68, s70, v73
	v_cmp_gt_u32_e32 vcc, 32, v68
	s_and_saveexec_b64 s[12:13], vcc
	s_cbranch_execz .LBB105_30
; %bb.34:                               ;   in Loop: Header=BB105_32 Depth=2
	s_add_i32 s14, s16, 2
	s_add_i32 s15, s16, 3
	s_set_gpr_idx_on s14, gpr_idx(SRC0)
	v_mov_b32_e32 v68, v0
	s_set_gpr_idx_off
	v_cvt_f16_f32_e32 v68, v68
	s_set_gpr_idx_on s15, gpr_idx(SRC0)
	v_mov_b32_e32 v69, v0
	s_set_gpr_idx_off
	v_cvt_f16_f32_sdwa v69, v69 dst_sel:WORD_1 dst_unused:UNUSED_PAD src0_sel:DWORD
	v_mul_lo_u32 v74, v73, s21
	v_ashrrev_i32_e32 v75, 31, v74
	v_lshl_add_u64 v[74:75], v[74:75], 1, v[70:71]
	v_or_b32_e32 v68, v69, v68
	;;#ASMSTART
	global_atomic_pk_add_f16 v[74:75], v68, off
	
	;;#ASMEND
	s_set_gpr_idx_on s14, gpr_idx(SRC0)
	v_mov_b32_e32 v68, v16
	s_set_gpr_idx_off
	v_cvt_f16_f32_e32 v68, v68
	s_set_gpr_idx_on s15, gpr_idx(SRC0)
	v_mov_b32_e32 v69, v16
	s_set_gpr_idx_off
	v_cvt_f16_f32_sdwa v69, v69 dst_sel:WORD_1 dst_unused:UNUSED_PAD src0_sel:DWORD
	v_lshl_add_u64 v[76:77], v[74:75], 0, 64
	s_add_i32 s16, s16, 4
	s_add_i32 s1, s1, 8
	v_or_b32_e32 v68, v69, v68
	;;#ASMSTART
	global_atomic_pk_add_f16 v[76:77], v68, off
	
	;;#ASMEND
	s_set_gpr_idx_on s14, gpr_idx(SRC0)
	v_mov_b32_e32 v68, v32
	s_set_gpr_idx_off
	v_cvt_f16_f32_e32 v68, v68
	s_set_gpr_idx_on s15, gpr_idx(SRC0)
	v_mov_b32_e32 v69, v32
	s_set_gpr_idx_off
	v_cvt_f16_f32_sdwa v69, v69 dst_sel:WORD_1 dst_unused:UNUSED_PAD src0_sel:DWORD
	v_lshl_add_u64 v[76:77], v[74:75], 0, s[42:43]
	s_cmp_eq_u32 s16, 16
	v_lshl_add_u64 v[74:75], v[74:75], 0, s[44:45]
	v_or_b32_e32 v68, v69, v68
	;;#ASMSTART
	global_atomic_pk_add_f16 v[76:77], v68, off
	
	;;#ASMEND
	s_set_gpr_idx_on s14, gpr_idx(SRC0)
	v_mov_b32_e32 v68, v48
	s_set_gpr_idx_off
	v_cvt_f16_f32_e32 v68, v68
	s_set_gpr_idx_on s15, gpr_idx(SRC0)
	v_mov_b32_e32 v69, v48
	s_set_gpr_idx_off
	v_cvt_f16_f32_sdwa v69, v69 dst_sel:WORD_1 dst_unused:UNUSED_PAD src0_sel:DWORD
	s_cselect_b64 s[14:15], -1, 0
	s_orn2_b64 s[14:15], s[14:15], exec
	v_or_b32_e32 v68, v69, v68
	;;#ASMSTART
	global_atomic_pk_add_f16 v[74:75], v68, off
	
	;;#ASMEND
	s_branch .LBB105_30
.LBB105_35:                             ;   in Loop: Header=BB105_7 Depth=1
	s_or_b64 exec, exec, s[6:7]
	v_readlane_b32 s72, v127, 2
	v_readlane_b32 s8, v127, 23
	;; [unrolled: 1-line block ×12, first 2 shown]
.LBB105_36:                             ;   in Loop: Header=BB105_7 Depth=1
	s_or_b64 exec, exec, s[8:9]
.LBB105_37:                             ;   in Loop: Header=BB105_7 Depth=1
	s_andn2_saveexec_b64 s[2:3], s[2:3]
	s_cbranch_execz .LBB105_46
; %bb.38:                               ;   in Loop: Header=BB105_7 Depth=1
	s_lshl_b32 s12, s99, 2
	v_cmp_gt_i32_e32 vcc, s12, v109
	s_and_saveexec_b64 s[6:7], vcc
	s_cbranch_execz .LBB105_45
; %bb.39:                               ;   in Loop: Header=BB105_7 Depth=1
	scratch_load_dwordx2 v[0:1], off, off   ; 8-byte Folded Reload
	s_mul_i32 s0, s0, s23
	s_ashr_i32 s1, s0, 31
	s_add_u32 s0, s74, s0
	s_addc_u32 s1, s75, s1
	s_ashr_i32 s8, s46, 31
	s_add_u32 s0, s0, s46
	s_addc_u32 s1, s1, s8
	s_waitcnt vmcnt(0)
	v_lshl_add_u64 v[0:1], s[0:1], 0, v[0:1]
	v_lshl_add_u64 v[16:17], v[0:1], 0, v[66:67]
	s_mov_b64 s[0:1], 0
	s_branch .LBB105_41
.LBB105_40:                             ;   in Loop: Header=BB105_41 Depth=2
	s_or_b64 exec, exec, s[8:9]
	v_lshl_or_b32 v20, v18, 12, v102
	;;#ASMSTART
	s_waitcnt vmcnt(3)
	;;#ASMEND
	ds_write2_b32 v20, v12, v13 offset1:32
	ds_write2_b32 v20, v14, v15 offset0:64 offset1:96
	v_add_u32_e32 v12, 0x400, v20
	;;#ASMSTART
	s_waitcnt vmcnt(2)
	;;#ASMEND
	ds_write2_b32 v12, v8, v9 offset1:32
	ds_write2_b32 v12, v10, v11 offset0:64 offset1:96
	v_add_u32_e32 v8, 0x800, v20
	;; [unrolled: 6-line block ×3, first 2 shown]
	v_add_u32_e32 v109, s26, v109
	;;#ASMSTART
	s_waitcnt vmcnt(0)
	;;#ASMEND
	ds_write2_b32 v4, v0, v1 offset1:32
	ds_write2_b32 v4, v2, v3 offset0:64 offset1:96
	v_add_u32_e32 v0, 1, v87
	v_add_u32_e32 v72, s26, v18
	v_cmp_le_i32_e32 vcc, s12, v109
	ds_write_b32 v19, v0 offset:12
	v_add_u32_e32 v0, 2, v87
	s_or_b64 s[0:1], vcc, s[0:1]
	v_cmp_lt_i32_e32 vcc, 11, v72
	s_nop 1
	v_cndmask_b32_e32 v87, v87, v0, vcc
	s_andn2_b64 exec, exec, s[0:1]
	s_cbranch_execz .LBB105_44
.LBB105_41:                             ;   Parent Loop BB105_7 Depth=1
                                        ; =>  This Loop Header: Depth=2
                                        ;       Child Loop BB105_43 Depth 3
	v_cmp_gt_i32_e32 vcc, 12, v72
	s_nop 1
	v_cndmask_b32_e64 v0, -12, 0, vcc
	v_add_u32_e32 v18, v0, v72
	v_ashrrev_i32_e32 v0, 31, v109
	v_lshrrev_b32_e32 v0, 30, v0
	v_add_u32_e32 v0, v109, v0
	v_and_b32_e32 v1, -4, v0
	v_lshlrev_b32_e32 v0, 5, v0
	v_sub_u32_e32 v2, v109, v1
	v_and_b32_e32 v0, 0xffffff80, v0
	v_ashrrev_i32_e32 v1, 31, v0
	v_mul_lo_u32 v2, s24, v2
	v_lshl_add_u64 v[0:1], v[16:17], 0, v[0:1]
	v_ashrrev_i32_e32 v3, 31, v2
	v_lshl_add_u64 v[0:1], v[0:1], 0, v[2:3]
	v_lshlrev_b32_e32 v19, 2, v18
	;;#ASMSTART
	global_load_dwordx4 v[12:15], v[0:1], off offset:0   sc0 sc1 nt  
	global_load_dwordx4 v[8:11], v[0:1], off offset:32  sc0 sc1 nt  
	global_load_dwordx4 v[4:7], v[0:1], off offset:64  sc0 sc1 nt  
	;; [unrolled: 1-line block ×3, first 2 shown]
	
	;;#ASMEND
	ds_read_b32 v20, v19 offset:61452
	v_add_u32_e32 v19, 0xf000, v19
	s_waitcnt lgkmcnt(0)
	v_cmp_ne_u32_e32 vcc, v20, v87
	s_and_saveexec_b64 s[8:9], vcc
	s_cbranch_execz .LBB105_40
; %bb.42:                               ;   in Loop: Header=BB105_41 Depth=2
	s_mov_b64 s[10:11], 0
.LBB105_43:                             ;   Parent Loop BB105_7 Depth=1
                                        ;     Parent Loop BB105_41 Depth=2
                                        ; =>    This Inner Loop Header: Depth=3
	;;#ASMSTART
	s_sleep 0
	;;#ASMEND
	ds_read_b32 v20, v19 offset:12
	s_waitcnt lgkmcnt(0)
	v_cmp_eq_u32_e32 vcc, v20, v87
	s_or_b64 s[10:11], vcc, s[10:11]
	s_andn2_b64 exec, exec, s[10:11]
	s_cbranch_execnz .LBB105_43
	s_branch .LBB105_40
.LBB105_44:                             ;   in Loop: Header=BB105_7 Depth=1
	s_or_b64 exec, exec, s[0:1]
.LBB105_45:                             ;   in Loop: Header=BB105_7 Depth=1
	s_or_b64 exec, exec, s[6:7]
	v_subrev_u32_e32 v109, s12, v109
.LBB105_46:                             ;   in Loop: Header=BB105_7 Depth=1
	s_or_b64 exec, exec, s[2:3]
.LBB105_47:                             ;   in Loop: Header=BB105_7 Depth=1
	s_andn2_saveexec_b64 s[0:1], s[4:5]
	s_cbranch_execz .LBB105_6
; %bb.48:                               ;   in Loop: Header=BB105_7 Depth=1
	v_cmp_gt_i32_e32 vcc, s99, v109
	s_and_saveexec_b64 s[2:3], vcc
	s_cbranch_execz .LBB105_5
; %bb.49:                               ;   in Loop: Header=BB105_7 Depth=1
	s_mul_i32 s96, s96, s22
	s_ashr_i32 s4, s96, 31
	s_add_u32 s5, s72, s96
	s_addc_u32 s6, s73, s4
	s_ashr_i32 s7, s46, 31
	v_cmp_le_i32_e32 vcc, s71, v103
	s_add_u32 s4, s5, s46
	s_addc_u32 s5, s6, s7
	v_cndmask_b32_e32 v0, 0, v104, vcc
	v_ashrrev_i32_e32 v1, 31, v0
	v_lshl_add_u64 v[0:1], s[4:5], 0, v[0:1]
	v_lshl_add_u64 v[16:17], v[0:1], 0, v[66:67]
	s_mov_b64 s[4:5], 0
	s_branch .LBB105_51
.LBB105_50:                             ;   in Loop: Header=BB105_51 Depth=2
	s_or_b64 exec, exec, s[6:7]
	v_lshl_add_u32 v20, v18, 12, v105
	;;#ASMSTART
	s_waitcnt vmcnt(3)
	;;#ASMEND
	ds_write2_b32 v20, v12, v13 offset1:32
	ds_write2_b32 v20, v14, v15 offset0:64 offset1:96
	v_add_u32_e32 v12, 0x400, v20
	;;#ASMSTART
	s_waitcnt vmcnt(2)
	;;#ASMEND
	ds_write2_b32 v12, v8, v9 offset1:32
	ds_write2_b32 v12, v10, v11 offset0:64 offset1:96
	v_add_u32_e32 v8, 0x800, v20
	;; [unrolled: 6-line block ×3, first 2 shown]
	v_add_u32_e32 v109, s25, v109
	;;#ASMSTART
	s_waitcnt vmcnt(0)
	;;#ASMEND
	ds_write2_b32 v4, v0, v1 offset1:32
	ds_write2_b32 v4, v2, v3 offset0:64 offset1:96
	v_add_u32_e32 v0, 1, v87
	v_add_u32_e32 v72, s25, v18
	v_cmp_le_i32_e32 vcc, s99, v109
	ds_write_b32 v19, v0
	v_add_u32_e32 v0, 2, v87
	s_or_b64 s[4:5], vcc, s[4:5]
	v_cmp_lt_i32_e32 vcc, 2, v72
	s_nop 1
	v_cndmask_b32_e32 v87, v87, v0, vcc
	s_andn2_b64 exec, exec, s[4:5]
	s_cbranch_execz .LBB105_4
.LBB105_51:                             ;   Parent Loop BB105_7 Depth=1
                                        ; =>  This Loop Header: Depth=2
                                        ;       Child Loop BB105_53 Depth 3
	v_cmp_gt_i32_e32 vcc, 3, v72
	s_nop 1
	v_cndmask_b32_e64 v0, -3, 0, vcc
	v_add_u32_e32 v18, v0, v72
	v_lshlrev_b32_e32 v0, 7, v109
	v_ashrrev_i32_e32 v1, 31, v0
	v_lshl_add_u64 v[0:1], v[16:17], 0, v[0:1]
	v_lshlrev_b32_e32 v19, 2, v18
	;;#ASMSTART
	global_load_dwordx4 v[12:15], v[0:1], off offset:0   
	global_load_dwordx4 v[8:11], v[0:1], off offset:32  
	;; [unrolled: 1-line block ×4, first 2 shown]
	
	;;#ASMEND
	ds_read_b32 v20, v19 offset:61440
	v_add_u32_e32 v19, 0xf000, v19
	s_waitcnt lgkmcnt(0)
	v_cmp_ne_u32_e32 vcc, v20, v87
	s_and_saveexec_b64 s[6:7], vcc
	s_cbranch_execz .LBB105_50
; %bb.52:                               ;   in Loop: Header=BB105_51 Depth=2
	s_mov_b64 s[8:9], 0
.LBB105_53:                             ;   Parent Loop BB105_7 Depth=1
                                        ;     Parent Loop BB105_51 Depth=2
                                        ; =>    This Inner Loop Header: Depth=3
	;;#ASMSTART
	s_sleep 0
	;;#ASMEND
	ds_read_b32 v20, v19
	s_waitcnt lgkmcnt(0)
	v_cmp_eq_u32_e32 vcc, v20, v87
	s_or_b64 s[8:9], vcc, s[8:9]
	s_andn2_b64 exec, exec, s[8:9]
	s_cbranch_execnz .LBB105_53
	s_branch .LBB105_50
.LBB105_54:
	s_endpgm
	.section	.rodata,"a",@progbits
	.p2align	6, 0x0
	.amdhsa_kernel _Z19_skinny_gemm_kernelILi1ELi4ELi3ELi32ELi8EEvPKhS1_P6__halfPKfiiiiiiii
		.amdhsa_group_segment_fixed_size 61500
		.amdhsa_private_segment_fixed_size 12
		.amdhsa_kernarg_size 64
		.amdhsa_user_sgpr_count 2
		.amdhsa_user_sgpr_dispatch_ptr 0
		.amdhsa_user_sgpr_queue_ptr 0
		.amdhsa_user_sgpr_kernarg_segment_ptr 1
		.amdhsa_user_sgpr_dispatch_id 0
		.amdhsa_user_sgpr_kernarg_preload_length 0
		.amdhsa_user_sgpr_kernarg_preload_offset 0
		.amdhsa_user_sgpr_private_segment_size 0
		.amdhsa_uses_dynamic_stack 0
		.amdhsa_enable_private_segment 1
		.amdhsa_system_sgpr_workgroup_id_x 1
		.amdhsa_system_sgpr_workgroup_id_y 0
		.amdhsa_system_sgpr_workgroup_id_z 0
		.amdhsa_system_sgpr_workgroup_info 0
		.amdhsa_system_vgpr_workitem_id 0
		.amdhsa_next_free_vgpr 128
		.amdhsa_next_free_sgpr 100
		.amdhsa_accum_offset 128
		.amdhsa_reserve_vcc 1
		.amdhsa_float_round_mode_32 0
		.amdhsa_float_round_mode_16_64 0
		.amdhsa_float_denorm_mode_32 3
		.amdhsa_float_denorm_mode_16_64 3
		.amdhsa_dx10_clamp 1
		.amdhsa_ieee_mode 1
		.amdhsa_fp16_overflow 0
		.amdhsa_tg_split 0
		.amdhsa_exception_fp_ieee_invalid_op 0
		.amdhsa_exception_fp_denorm_src 0
		.amdhsa_exception_fp_ieee_div_zero 0
		.amdhsa_exception_fp_ieee_overflow 0
		.amdhsa_exception_fp_ieee_underflow 0
		.amdhsa_exception_fp_ieee_inexact 0
		.amdhsa_exception_int_div_zero 0
	.end_amdhsa_kernel
	.section	.text._Z19_skinny_gemm_kernelILi1ELi4ELi3ELi32ELi8EEvPKhS1_P6__halfPKfiiiiiiii,"axG",@progbits,_Z19_skinny_gemm_kernelILi1ELi4ELi3ELi32ELi8EEvPKhS1_P6__halfPKfiiiiiiii,comdat
.Lfunc_end105:
	.size	_Z19_skinny_gemm_kernelILi1ELi4ELi3ELi32ELi8EEvPKhS1_P6__halfPKfiiiiiiii, .Lfunc_end105-_Z19_skinny_gemm_kernelILi1ELi4ELi3ELi32ELi8EEvPKhS1_P6__halfPKfiiiiiiii
                                        ; -- End function
	.set _Z19_skinny_gemm_kernelILi1ELi4ELi3ELi32ELi8EEvPKhS1_P6__halfPKfiiiiiiii.num_vgpr, 128
	.set _Z19_skinny_gemm_kernelILi1ELi4ELi3ELi32ELi8EEvPKhS1_P6__halfPKfiiiiiiii.num_agpr, 0
	.set _Z19_skinny_gemm_kernelILi1ELi4ELi3ELi32ELi8EEvPKhS1_P6__halfPKfiiiiiiii.numbered_sgpr, 100
	.set _Z19_skinny_gemm_kernelILi1ELi4ELi3ELi32ELi8EEvPKhS1_P6__halfPKfiiiiiiii.num_named_barrier, 0
	.set _Z19_skinny_gemm_kernelILi1ELi4ELi3ELi32ELi8EEvPKhS1_P6__halfPKfiiiiiiii.private_seg_size, 12
	.set _Z19_skinny_gemm_kernelILi1ELi4ELi3ELi32ELi8EEvPKhS1_P6__halfPKfiiiiiiii.uses_vcc, 1
	.set _Z19_skinny_gemm_kernelILi1ELi4ELi3ELi32ELi8EEvPKhS1_P6__halfPKfiiiiiiii.uses_flat_scratch, 0
	.set _Z19_skinny_gemm_kernelILi1ELi4ELi3ELi32ELi8EEvPKhS1_P6__halfPKfiiiiiiii.has_dyn_sized_stack, 0
	.set _Z19_skinny_gemm_kernelILi1ELi4ELi3ELi32ELi8EEvPKhS1_P6__halfPKfiiiiiiii.has_recursion, 0
	.set _Z19_skinny_gemm_kernelILi1ELi4ELi3ELi32ELi8EEvPKhS1_P6__halfPKfiiiiiiii.has_indirect_call, 0
	.section	.AMDGPU.csdata,"",@progbits
; Kernel info:
; codeLenInByte = 14692
; TotalNumSgprs: 106
; NumVgprs: 128
; NumAgprs: 0
; TotalNumVgprs: 128
; ScratchSize: 12
; MemoryBound: 0
; FloatMode: 240
; IeeeMode: 1
; LDSByteSize: 61500 bytes/workgroup (compile time only)
; SGPRBlocks: 13
; VGPRBlocks: 15
; NumSGPRsForWavesPerEU: 106
; NumVGPRsForWavesPerEU: 128
; AccumOffset: 128
; Occupancy: 4
; WaveLimiterHint : 0
; COMPUTE_PGM_RSRC2:SCRATCH_EN: 1
; COMPUTE_PGM_RSRC2:USER_SGPR: 2
; COMPUTE_PGM_RSRC2:TRAP_HANDLER: 0
; COMPUTE_PGM_RSRC2:TGID_X_EN: 1
; COMPUTE_PGM_RSRC2:TGID_Y_EN: 0
; COMPUTE_PGM_RSRC2:TGID_Z_EN: 0
; COMPUTE_PGM_RSRC2:TIDIG_COMP_CNT: 0
; COMPUTE_PGM_RSRC3_GFX90A:ACCUM_OFFSET: 31
; COMPUTE_PGM_RSRC3_GFX90A:TG_SPLIT: 0
	.section	.text._Z19_skinny_gemm_kernelILi1ELi4ELi4ELi16ELi4EEvPKhS1_P6__halfPKfiiiiiiii,"axG",@progbits,_Z19_skinny_gemm_kernelILi1ELi4ELi4ELi16ELi4EEvPKhS1_P6__halfPKfiiiiiiii,comdat
	.protected	_Z19_skinny_gemm_kernelILi1ELi4ELi4ELi16ELi4EEvPKhS1_P6__halfPKfiiiiiiii ; -- Begin function _Z19_skinny_gemm_kernelILi1ELi4ELi4ELi16ELi4EEvPKhS1_P6__halfPKfiiiiiiii
	.globl	_Z19_skinny_gemm_kernelILi1ELi4ELi4ELi16ELi4EEvPKhS1_P6__halfPKfiiiiiiii
	.p2align	8
	.type	_Z19_skinny_gemm_kernelILi1ELi4ELi4ELi16ELi4EEvPKhS1_P6__halfPKfiiiiiiii,@function
_Z19_skinny_gemm_kernelILi1ELi4ELi4ELi16ELi4EEvPKhS1_P6__halfPKfiiiiiiii: ; @_Z19_skinny_gemm_kernelILi1ELi4ELi4ELi16ELi4EEvPKhS1_P6__halfPKfiiiiiiii
; %bb.0:
	v_cmp_gt_u32_e32 vcc, 20, v0
	v_lshlrev_b32_e32 v1, 2, v0
	s_and_saveexec_b64 s[4:5], vcc
; %bb.1:
	v_mov_b32_e32 v2, 0
	ds_write_b32 v1, v2 offset:40960
; %bb.2:
	s_or_b64 exec, exec, s[4:5]
	s_load_dwordx8 s[20:27], s[0:1], 0x20
	s_waitcnt lgkmcnt(0)
	s_barrier
	s_add_i32 s3, s20, 15
	s_ashr_i32 s5, s3, 31
	s_add_i32 s4, s21, 63
	s_lshr_b32 s5, s5, 28
	s_ashr_i32 s6, s4, 31
	s_add_i32 s3, s3, s5
	s_ashr_i32 s33, s3, 4
	s_lshr_b32 s3, s6, 26
	s_add_i32 s4, s4, s3
	s_ashr_i32 s50, s4, 6
	s_mul_i32 s3, s50, s33
	s_mul_i32 s3, s3, s24
	s_add_i32 s4, s3, 0x12f
	s_mul_hi_i32 s4, s4, 0x6bca1af3
	s_lshr_b32 s5, s4, 31
	s_ashr_i32 s4, s4, 7
	s_add_i32 s4, s4, s5
	s_add_i32 s5, s2, 1
	s_mul_i32 s5, s4, s5
	v_cvt_f64_i32_e32 v[2:3], s3
	v_cvt_f64_u32_e32 v[4:5], s5
	v_min_f64 v[2:3], v[2:3], v[4:5]
	v_cvt_i32_f64_e32 v17, v[2:3]
	s_mul_i32 s51, s4, s2
	v_cmp_ge_i32_e32 vcc, s51, v17
	s_cbranch_vccnz .LBB106_51
; %bb.3:
	v_lshrrev_b32_e32 v2, 6, v0
	s_add_i32 s4, s26, s25
	s_load_dwordx8 s[36:43], s[0:1], 0x0
	v_cmp_le_i32_e64 s[0:1], s4, v2
	v_mov_b32_e32 v3, s25
	v_cmp_le_i32_e64 s[2:3], s25, v2
	v_mov_b32_e32 v4, s26
	v_cndmask_b32_e64 v4, 0, v4, s[0:1]
	v_cndmask_b32_e64 v3, 0, v3, s[2:3]
	s_abs_i32 s5, s24
	v_add_u32_e32 v3, v3, v4
	v_cvt_f32_u32_e32 v4, s5
	v_sub_u32_e32 v24, v2, v3
	s_ashr_i32 s6, s22, 31
	s_lshr_b32 s6, s6, 25
	v_rcp_iflag_f32_e32 v3, v4
	s_sub_i32 s9, 0, s5
	s_add_i32 s6, s22, s6
	s_ashr_i32 s6, s6, 7
	v_mul_f32_e32 v3, 0x4f7ffffe, v3
	v_cvt_u32_f32_e32 v3, v3
	s_abs_i32 s8, s6
	s_xor_b32 s7, s6, s24
	s_ashr_i32 s7, s7, 31
	v_readfirstlane_b32 s10, v3
	s_mul_i32 s9, s9, s10
	s_mul_hi_u32 s9, s10, s9
	s_add_i32 s10, s10, s9
	s_mul_hi_u32 s9, s8, s10
	s_mul_i32 s10, s9, s5
	s_sub_i32 s8, s8, s10
	s_add_i32 s10, s9, 1
	s_sub_i32 s11, s8, s5
	s_cmp_ge_u32 s8, s5
	s_cselect_b32 s9, s10, s9
	s_cselect_b32 s8, s11, s8
	s_add_i32 s10, s9, 1
	s_cmp_ge_u32 s8, s5
	s_cselect_b32 s5, s10, s9
	s_xor_b32 s5, s5, s7
	s_sub_i32 s52, s5, s7
	s_add_i32 s24, s24, -1
	s_mul_i32 s5, s52, s24
	s_add_i32 s4, s4, s27
	s_sub_i32 s53, s6, s5
	v_cmp_gt_i32_e64 s[4:5], s4, v2
	v_lshlrev_b32_e32 v2, 1, v0
	v_lshlrev_b32_e32 v3, 4, v0
	v_and_b32_e32 v1, 60, v1
	v_and_b32_e32 v2, 64, v2
	;; [unrolled: 1-line block ×3, first 2 shown]
	s_abs_i32 s54, s33
	v_or3_b32 v39, v1, v2, v4
	v_and_b32_e32 v1, 1, v0
	v_cvt_f32_u32_e32 v6, s54
	v_lshlrev_b32_e32 v2, 1, v1
	v_lshrrev_b32_e32 v4, 2, v0
	v_and_b32_e32 v16, 14, v0
	v_sub_u32_e32 v2, v0, v2
	v_and_or_b32 v41, v4, 12, v1
	v_bitop3_b32 v42, v0, 1, v0 bitop3:0xc
	v_bitop3_b32 v43, v0, 3, 1 bitop3:0x6c
	v_and_b32_e32 v20, 48, v3
	v_bfe_u32 v1, v0, 2, 4
	v_and_b32_e32 v3, 60, v0
	v_lshlrev_b32_e32 v5, 8, v0
	v_lshlrev_b32_e32 v0, 6, v0
	v_and_b32_e32 v5, 0x200, v5
	v_and_b32_e32 v0, 64, v0
	v_or3_b32 v47, v3, v5, v0
	v_rcp_iflag_f32_e32 v0, v6
	s_abs_i32 s56, s50
	v_mul_lo_u32 v22, s23, v1
	v_mul_lo_u32 v49, s22, v1
	v_cvt_f32_u32_e32 v1, s56
	v_mul_f32_e32 v0, 0x4f7ffffe, v0
	v_cvt_u32_f32_e32 v0, v0
	v_mad_u64_u32 v[18:19], s[6:7], s21, v41, v[16:17]
	v_rcp_iflag_f32_e32 v1, v1
	v_readfirstlane_b32 s7, v0
	s_sub_i32 s6, 0, s54
	s_mul_i32 s6, s6, s7
	v_mul_f32_e32 v0, 0x4f7ffffe, v1
	v_cvt_u32_f32_e32 v0, v0
	s_mul_hi_u32 s6, s7, s6
	v_add_u32_e32 v2, 1, v2
	s_add_i32 s58, s7, s6
	s_sub_i32 s6, 0, s56
	v_readfirstlane_b32 s7, v0
	v_mbcnt_lo_u32_b32 v0, -1, 0
	v_and_b32_e32 v2, 63, v2
	s_mul_i32 s6, s6, s7
	v_mbcnt_hi_u32_b32 v0, -1, v0
	s_mul_hi_u32 s6, s7, s6
	v_and_or_b32 v0, v0, 64, v2
	v_cndmask_b32_e64 v38, 0, 1, s[0:1]
	v_or_b32_e32 v40, 0x8000, v39
	v_or_b32_e32 v44, 16, v16
	;; [unrolled: 1-line block ×4, first 2 shown]
	v_ashrrev_i32_e32 v19, 31, v18
	s_ashr_i32 s29, s21, 31
	s_mov_b32 s28, s21
	v_ashrrev_i32_e32 v23, 31, v22
	v_mov_b32_e32 v21, 0
	s_lshl_b32 s55, s23, 4
	v_bitop3_b32 v48, v4, 15, v4 bitop3:0xc
	v_or_b32_e32 v50, 0x8000, v47
	s_ashr_i32 s57, s33, 31
	s_ashr_i32 s59, s50, 31
	s_add_i32 s60, s7, s6
	s_mov_b64 s[30:31], 0x60
	v_lshlrev_b32_e32 v51, 2, v0
	v_mov_b32_e32 v52, v24
	s_branch .LBB106_7
.LBB106_4:                              ;   in Loop: Header=BB106_7 Depth=1
	s_or_b64 exec, exec, s[10:11]
.LBB106_5:                              ;   in Loop: Header=BB106_7 Depth=1
	s_or_b64 exec, exec, s[8:9]
	v_subrev_u32_e32 v52, s61, v52
.LBB106_6:                              ;   in Loop: Header=BB106_7 Depth=1
	s_or_b64 exec, exec, s[6:7]
	s_add_i32 s51, s51, 1
	v_cmp_ge_i32_e32 vcc, s51, v17
	s_cbranch_vccnz .LBB106_51
.LBB106_7:                              ; =>This Loop Header: Depth=1
                                        ;     Child Loop BB106_13 Depth 2
                                        ;       Child Loop BB106_15 Depth 3
                                        ;       Child Loop BB106_18 Depth 3
	;; [unrolled: 1-line block ×5, first 2 shown]
                                        ;     Child Loop BB106_38 Depth 2
                                        ;       Child Loop BB106_40 Depth 3
                                        ;     Child Loop BB106_48 Depth 2
                                        ;       Child Loop BB106_50 Depth 3
	s_abs_i32 s7, s51
	s_mul_hi_u32 s8, s7, s58
	s_mul_i32 s9, s8, s54
	s_ashr_i32 s6, s51, 31
	s_sub_i32 s7, s7, s9
	s_xor_b32 s6, s6, s57
	s_add_i32 s9, s8, 1
	s_sub_i32 s10, s7, s54
	s_cmp_ge_u32 s7, s54
	s_cselect_b32 s8, s9, s8
	s_cselect_b32 s7, s10, s7
	s_add_i32 s9, s8, 1
	s_cmp_ge_u32 s7, s54
	s_cselect_b32 s7, s9, s8
	s_xor_b32 s7, s7, s6
	s_sub_i32 s6, s7, s6
	s_abs_i32 s8, s6
	s_mul_i32 s7, s6, s33
	s_mul_hi_u32 s9, s8, s60
	s_sub_i32 s7, s51, s7
	s_mul_i32 s10, s9, s56
	s_lshl_b32 s62, s7, 4
	s_ashr_i32 s7, s6, 31
	s_sub_i32 s8, s8, s10
	s_xor_b32 s7, s7, s59
	s_add_i32 s10, s9, 1
	s_sub_i32 s11, s8, s56
	s_cmp_ge_u32 s8, s56
	s_cselect_b32 s9, s10, s9
	s_cselect_b32 s8, s11, s8
	s_add_i32 s10, s9, 1
	s_cmp_ge_u32 s8, s56
	s_cselect_b32 s8, s10, s9
	s_xor_b32 s8, s8, s7
	s_sub_i32 s7, s8, s7
	s_mul_i32 s8, s7, s52
	s_lshl_b32 s63, s8, 7
	s_cmp_eq_u32 s7, s24
	s_cselect_b32 s61, s53, s52
	s_sub_i32 s64, s62, s20
	s_add_i32 s64, s64, 16
	s_and_saveexec_b64 s[8:9], s[2:3]
	s_xor_b64 s[34:35], exec, s[8:9]
	s_cbranch_execz .LBB106_44
; %bb.8:                                ;   in Loop: Header=BB106_7 Depth=1
	s_mul_i32 s7, s7, s50
	s_sub_i32 s6, s6, s7
	s_lshl_b32 s6, s6, 6
	s_sub_i32 s45, s6, s21
	s_add_i32 s45, s45, 64
	s_max_i32 s7, s45, 0
	s_sub_i32 s44, s6, s7
	s_and_saveexec_b64 s[6:7], s[0:1]
	s_xor_b64 s[46:47], exec, s[6:7]
	s_cbranch_execz .LBB106_34
; %bb.9:                                ;   in Loop: Header=BB106_7 Depth=1
	s_and_saveexec_b64 s[48:49], s[4:5]
	s_cbranch_execz .LBB106_33
; %bb.10:                               ;   in Loop: Header=BB106_7 Depth=1
	s_waitcnt lgkmcnt(0)
	global_load_dword v53, v21, s[42:43]
	v_mov_b32_e32 v15, 0
	v_cmp_gt_i32_e32 vcc, s61, v52
	v_mov_b32_e32 v14, v15
	v_mov_b32_e32 v13, v15
	;; [unrolled: 1-line block ×15, first 2 shown]
	s_and_saveexec_b64 s[6:7], vcc
	s_cbranch_execz .LBB106_29
; %bb.11:                               ;   in Loop: Header=BB106_7 Depth=1
	v_mov_b32_e32 v0, 0
	s_mov_b64 s[8:9], 0
	v_mov_b32_e32 v1, v0
	v_mov_b32_e32 v2, v0
	;; [unrolled: 1-line block ×15, first 2 shown]
	s_branch .LBB106_13
.LBB106_12:                             ;   in Loop: Header=BB106_13 Depth=2
	s_or_b64 exec, exec, s[10:11]
	v_add_u32_e32 v33, 0x1800, v32
	ds_read2_b32 v[34:35], v33 offset1:32
	v_add_u32_e32 v52, s27, v52
	v_cmp_le_i32_e32 vcc, s61, v52
	s_or_b64 s[8:9], vcc, s[8:9]
	s_waitcnt lgkmcnt(0)
	v_mfma_f32_16x16x32_fp8_fp8 v[0:3], v[26:27], v[34:35], v[0:3]
	ds_read2_b32 v[26:27], v33 offset0:128 offset1:160
	v_add_u32_e32 v34, 0x1c00, v32
	ds_read2_b32 v[32:33], v34 offset1:32
	s_waitcnt lgkmcnt(1)
	v_mfma_f32_16x16x32_fp8_fp8 v[0:3], v[24:25], v[26:27], v[0:3]
	ds_read2_b32 v[26:27], v34 offset0:128 offset1:160
	v_add_u32_e32 v24, s27, v55
	v_add_u32_e32 v25, 2, v38
	s_waitcnt lgkmcnt(1)
	v_mfma_f32_16x16x32_fp8_fp8 v[0:3], v[30:31], v[32:33], v[0:3]
	v_cmp_lt_i32_e32 vcc, 3, v24
	;;#ASMSTART
	s_waitcnt lgkmcnt(0)
	;;#ASMEND
	ds_write_b32 v54, v56 offset:40988
	s_waitcnt lgkmcnt(1)
	v_mfma_f32_16x16x32_fp8_fp8 v[0:3], v[28:29], v[26:27], v[0:3]
	v_cndmask_b32_e32 v38, v38, v25, vcc
	s_andn2_b64 exec, exec, s[8:9]
	s_cbranch_execz .LBB106_28
.LBB106_13:                             ;   Parent Loop BB106_7 Depth=1
                                        ; =>  This Loop Header: Depth=2
                                        ;       Child Loop BB106_15 Depth 3
                                        ;       Child Loop BB106_18 Depth 3
	;; [unrolled: 1-line block ×5, first 2 shown]
	v_cmp_gt_i32_e32 vcc, 4, v24
	s_nop 1
	v_cndmask_b32_e64 v25, -4, 0, vcc
	v_add_u32_e32 v55, v25, v24
	v_lshlrev_b32_e32 v54, 4, v55
	ds_read_b32 v24, v54 offset:40976
	s_waitcnt lgkmcnt(0)
	v_cmp_ne_u32_e32 vcc, v24, v38
	s_and_saveexec_b64 s[10:11], vcc
	s_cbranch_execz .LBB106_16
; %bb.14:                               ;   in Loop: Header=BB106_13 Depth=2
	s_mov_b64 s[12:13], 0
.LBB106_15:                             ;   Parent Loop BB106_7 Depth=1
                                        ;     Parent Loop BB106_13 Depth=2
                                        ; =>    This Inner Loop Header: Depth=3
	;;#ASMSTART
	s_sleep 0
	;;#ASMEND
	ds_read_b32 v24, v54 offset:40976
	s_waitcnt lgkmcnt(0)
	v_cmp_eq_u32_e32 vcc, v24, v38
	s_or_b64 s[12:13], vcc, s[12:13]
	s_andn2_b64 exec, exec, s[12:13]
	s_cbranch_execnz .LBB106_15
.LBB106_16:                             ;   in Loop: Header=BB106_13 Depth=2
	s_or_b64 exec, exec, s[10:11]
	v_lshlrev_b32_e32 v57, 13, v55
	v_or_b32_e32 v24, v39, v57
	ds_read2_b32 v[28:29], v24 offset1:32
	ds_read2_b32 v[32:33], v24 offset0:128 offset1:160
	v_add_u32_e32 v24, 0x400, v24
	v_add_u32_e32 v56, 1, v38
	ds_read2_b32 v[36:37], v24 offset1:32
	ds_read2_b32 v[34:35], v24 offset0:128 offset1:160
	;;#ASMSTART
	s_waitcnt lgkmcnt(0)
	;;#ASMEND
	ds_write_b32 v54, v56 offset:40976
	v_lshlrev_b32_e32 v24, 2, v55
	ds_read_b32 v25, v24 offset:40960
	v_add_u32_e32 v58, 0xa000, v24
	s_waitcnt lgkmcnt(0)
	v_cmp_ne_u32_e32 vcc, v25, v38
	s_and_saveexec_b64 s[10:11], vcc
	s_cbranch_execz .LBB106_19
; %bb.17:                               ;   in Loop: Header=BB106_13 Depth=2
	s_mov_b64 s[12:13], 0
.LBB106_18:                             ;   Parent Loop BB106_7 Depth=1
                                        ;     Parent Loop BB106_13 Depth=2
                                        ; =>    This Inner Loop Header: Depth=3
	;;#ASMSTART
	s_sleep 0
	;;#ASMEND
	ds_read_b32 v24, v58
	s_waitcnt lgkmcnt(0)
	v_cmp_eq_u32_e32 vcc, v24, v38
	s_or_b64 s[12:13], vcc, s[12:13]
	s_andn2_b64 exec, exec, s[12:13]
	s_cbranch_execnz .LBB106_18
.LBB106_19:                             ;   in Loop: Header=BB106_13 Depth=2
	s_or_b64 exec, exec, s[10:11]
	v_lshl_add_u32 v30, v55, 11, v40
	ds_read2_b32 v[26:27], v30 offset1:32
	ds_read2_b32 v[24:25], v30 offset0:128 offset1:160
	v_add_u32_e32 v59, 0x400, v30
	ds_read2_b32 v[30:31], v59 offset1:32
	ds_write_b32 v58, v56
	s_waitcnt lgkmcnt(3)
	v_mfma_f32_16x16x32_fp8_fp8 v[12:15], v[26:27], v[28:29], v[12:15]
	ds_read2_b32 v[28:29], v59 offset0:128 offset1:160
	s_waitcnt lgkmcnt(3)
	v_mfma_f32_16x16x32_fp8_fp8 v[12:15], v[24:25], v[32:33], v[12:15]
	ds_read_b32 v32, v54 offset:40980
	s_waitcnt lgkmcnt(0)
	v_cmp_ne_u32_e32 vcc, v32, v38
	v_mfma_f32_16x16x32_fp8_fp8 v[12:15], v[30:31], v[36:37], v[12:15]
	v_mfma_f32_16x16x32_fp8_fp8 v[12:15], v[28:29], v[34:35], v[12:15]
	s_and_saveexec_b64 s[10:11], vcc
	s_cbranch_execz .LBB106_22
; %bb.20:                               ;   in Loop: Header=BB106_13 Depth=2
	s_mov_b64 s[12:13], 0
.LBB106_21:                             ;   Parent Loop BB106_7 Depth=1
                                        ;     Parent Loop BB106_13 Depth=2
                                        ; =>    This Inner Loop Header: Depth=3
	;;#ASMSTART
	s_sleep 0
	;;#ASMEND
	ds_read_b32 v32, v54 offset:40980
	s_waitcnt lgkmcnt(0)
	v_cmp_eq_u32_e32 vcc, v32, v38
	s_or_b64 s[12:13], vcc, s[12:13]
	s_andn2_b64 exec, exec, s[12:13]
	s_cbranch_execnz .LBB106_21
.LBB106_22:                             ;   in Loop: Header=BB106_13 Depth=2
	s_or_b64 exec, exec, s[10:11]
	v_add_u32_e32 v32, v39, v57
	v_add_u32_e32 v33, 0x800, v32
	ds_read2_b32 v[34:35], v33 offset1:32
	s_waitcnt lgkmcnt(0)
	v_mfma_f32_16x16x32_fp8_fp8 v[8:11], v[26:27], v[34:35], v[8:11]
	ds_read2_b32 v[34:35], v33 offset0:128 offset1:160
	v_add_u32_e32 v33, 0xc00, v32
	s_waitcnt lgkmcnt(0)
	v_mfma_f32_16x16x32_fp8_fp8 v[8:11], v[24:25], v[34:35], v[8:11]
	ds_read2_b32 v[34:35], v33 offset1:32
	ds_read2_b32 v[36:37], v33 offset0:128 offset1:160
	;;#ASMSTART
	s_waitcnt lgkmcnt(0)
	;;#ASMEND
	ds_read_b32 v33, v54 offset:40984
	s_waitcnt lgkmcnt(2)
	v_mfma_f32_16x16x32_fp8_fp8 v[8:11], v[30:31], v[34:35], v[8:11]
	ds_write_b32 v54, v56 offset:40980
	s_waitcnt lgkmcnt(1)
	v_cmp_ne_u32_e32 vcc, v33, v38
	v_mfma_f32_16x16x32_fp8_fp8 v[8:11], v[28:29], v[36:37], v[8:11]
	s_and_saveexec_b64 s[10:11], vcc
	s_cbranch_execz .LBB106_25
; %bb.23:                               ;   in Loop: Header=BB106_13 Depth=2
	s_mov_b64 s[12:13], 0
.LBB106_24:                             ;   Parent Loop BB106_7 Depth=1
                                        ;     Parent Loop BB106_13 Depth=2
                                        ; =>    This Inner Loop Header: Depth=3
	;;#ASMSTART
	s_sleep 0
	;;#ASMEND
	ds_read_b32 v33, v54 offset:40984
	s_waitcnt lgkmcnt(0)
	v_cmp_eq_u32_e32 vcc, v33, v38
	s_or_b64 s[12:13], vcc, s[12:13]
	s_andn2_b64 exec, exec, s[12:13]
	s_cbranch_execnz .LBB106_24
.LBB106_25:                             ;   in Loop: Header=BB106_13 Depth=2
	s_or_b64 exec, exec, s[10:11]
	v_add_u32_e32 v33, 0x1000, v32
	ds_read2_b32 v[34:35], v33 offset1:32
	s_waitcnt lgkmcnt(0)
	v_mfma_f32_16x16x32_fp8_fp8 v[4:7], v[26:27], v[34:35], v[4:7]
	ds_read2_b32 v[34:35], v33 offset0:128 offset1:160
	v_add_u32_e32 v33, 0x1400, v32
	s_waitcnt lgkmcnt(0)
	v_mfma_f32_16x16x32_fp8_fp8 v[4:7], v[24:25], v[34:35], v[4:7]
	ds_read2_b32 v[34:35], v33 offset1:32
	ds_read2_b32 v[36:37], v33 offset0:128 offset1:160
	;;#ASMSTART
	s_waitcnt lgkmcnt(0)
	;;#ASMEND
	ds_read_b32 v33, v54 offset:40988
	s_waitcnt lgkmcnt(2)
	v_mfma_f32_16x16x32_fp8_fp8 v[4:7], v[30:31], v[34:35], v[4:7]
	ds_write_b32 v54, v56 offset:40984
	s_waitcnt lgkmcnt(1)
	v_cmp_ne_u32_e32 vcc, v33, v38
	v_mfma_f32_16x16x32_fp8_fp8 v[4:7], v[28:29], v[36:37], v[4:7]
	s_and_saveexec_b64 s[10:11], vcc
	s_cbranch_execz .LBB106_12
; %bb.26:                               ;   in Loop: Header=BB106_13 Depth=2
	s_mov_b64 s[12:13], 0
.LBB106_27:                             ;   Parent Loop BB106_7 Depth=1
                                        ;     Parent Loop BB106_13 Depth=2
                                        ; =>    This Inner Loop Header: Depth=3
	;;#ASMSTART
	s_sleep 0
	;;#ASMEND
	ds_read_b32 v33, v54 offset:40988
	s_waitcnt lgkmcnt(0)
	v_cmp_eq_u32_e32 vcc, v33, v38
	s_or_b64 s[12:13], vcc, s[12:13]
	s_andn2_b64 exec, exec, s[12:13]
	s_cbranch_execnz .LBB106_27
	s_branch .LBB106_12
.LBB106_28:                             ;   in Loop: Header=BB106_7 Depth=1
	s_or_b64 exec, exec, s[8:9]
.LBB106_29:                             ;   in Loop: Header=BB106_7 Depth=1
	s_or_b64 exec, exec, s[6:7]
	v_cmp_le_i32_e32 vcc, s45, v16
	v_cmp_eq_u32_e64 s[6:7], 2, v42
	v_cmp_eq_u32_e64 s[8:9], 3, v42
	s_waitcnt vmcnt(0)
	v_cndmask_b32_e32 v26, 0, v53, vcc
	v_pk_mul_f32 v[14:15], v[26:27], v[14:15] op_sel_hi:[0,1]
	v_pk_mul_f32 v[26:27], v[26:27], v[12:13] op_sel_hi:[0,1]
	v_cmp_eq_u32_e32 vcc, 1, v42
	v_cmp_eq_u32_e64 s[10:11], 0, v42
	v_cmp_le_i32_e64 s[14:15], s45, v44
	v_cndmask_b32_e32 v12, v26, v27, vcc
	v_cndmask_b32_e64 v12, v12, v14, s[6:7]
	v_cndmask_b32_e64 v12, v12, v15, s[8:9]
	ds_bpermute_b32 v25, v51, v12
	v_cmp_eq_u32_e64 s[12:13], 1, v43
	v_cmp_le_i32_e64 s[18:19], s45, v45
	v_cmp_eq_u32_e64 s[16:17], 3, v43
	s_waitcnt lgkmcnt(0)
	v_cndmask_b32_e64 v12, v15, v25, s[8:9]
	v_cndmask_b32_e64 v15, v26, v25, s[10:11]
	;; [unrolled: 1-line block ×4, first 2 shown]
	v_cndmask_b32_e32 v14, v27, v25, vcc
	v_pk_mul_f32 v[10:11], v[26:27], v[10:11] op_sel_hi:[0,1]
	v_pk_mul_f32 v[26:27], v[26:27], v[8:9] op_sel_hi:[0,1]
	v_cndmask_b32_e32 v8, v26, v27, vcc
	v_cndmask_b32_e64 v8, v8, v10, s[6:7]
	v_cndmask_b32_e64 v8, v8, v11, s[8:9]
	ds_bpermute_b32 v28, v51, v8
	v_cndmask_b32_e64 v25, v15, v14, s[12:13]
	v_cmp_eq_u32_e64 s[14:15], 2, v43
	s_waitcnt lgkmcnt(0)
	v_cndmask_b32_e64 v9, v11, v28, s[8:9]
	v_cndmask_b32_e64 v8, v25, v13, s[14:15]
	;; [unrolled: 1-line block ×3, first 2 shown]
	v_cndmask_b32_e32 v25, v27, v28, vcc
	v_cndmask_b32_e64 v26, v26, v28, s[10:11]
	v_cndmask_b32_e64 v28, 0, v53, s[18:19]
	v_pk_mul_f32 v[30:31], v[28:29], v[4:5] op_sel_hi:[0,1]
	v_pk_mul_f32 v[6:7], v[28:29], v[6:7] op_sel_hi:[0,1]
	v_cndmask_b32_e32 v4, v30, v31, vcc
	v_cndmask_b32_e64 v4, v4, v6, s[6:7]
	v_cndmask_b32_e64 v4, v4, v7, s[8:9]
	ds_bpermute_b32 v11, v51, v4
	v_cmp_le_i32_e64 s[18:19], s45, v46
	v_cndmask_b32_e64 v4, v26, v25, s[12:13]
	v_cndmask_b32_e64 v4, v4, v10, s[14:15]
	v_cndmask_b32_e64 v8, v8, v12, s[16:17]
	s_waitcnt lgkmcnt(0)
	v_cndmask_b32_e64 v29, v30, v11, s[10:11]
	v_cndmask_b32_e64 v30, 0, v53, s[18:19]
	v_cndmask_b32_e32 v28, v31, v11, vcc
	v_pk_mul_f32 v[32:33], v[30:31], v[2:3] op_sel_hi:[0,1]
	v_pk_mul_f32 v[30:31], v[30:31], v[0:1] op_sel_hi:[0,1]
	v_cndmask_b32_e32 v0, v30, v31, vcc
	v_cndmask_b32_e64 v0, v0, v32, s[6:7]
	v_cndmask_b32_e64 v0, v0, v33, s[8:9]
	ds_bpermute_b32 v1, v51, v0
	v_cndmask_b32_e64 v6, v6, v11, s[6:7]
	v_cndmask_b32_e64 v0, v29, v28, s[12:13]
	;; [unrolled: 1-line block ×5, first 2 shown]
	v_cmp_ne_u32_e32 vcc, 0, v42
	ds_bpermute_b32 v2, v51, v0
	s_waitcnt lgkmcnt(1)
	v_cndmask_b32_e64 v3, v33, v1, s[8:9]
	v_cndmask_b32_e64 v7, v32, v1, s[6:7]
	v_cndmask_b32_e32 v0, v31, v1, vcc
	v_cndmask_b32_e64 v1, v30, v1, s[10:11]
	v_cndmask_b32_e64 v11, v1, v0, s[12:13]
	;; [unrolled: 1-line block ×5, first 2 shown]
	ds_bpermute_b32 v8, v51, v8
	ds_bpermute_b32 v4, v51, v4
	ds_bpermute_b32 v11, v51, v11
	s_max_i32 s6, s64, 0
	v_add_u32_e32 v27, s6, v41
	v_cmp_gt_u32_e32 vcc, 16, v27
	s_and_saveexec_b64 s[12:13], vcc
	s_cbranch_execz .LBB106_32
; %bb.30:                               ;   in Loop: Header=BB106_7 Depth=1
	v_cmp_eq_u32_e64 s[8:9], 1, v43
	v_cmp_eq_u32_e64 s[10:11], 0, v43
	v_cmp_eq_u32_e32 vcc, 3, v43
	s_waitcnt lgkmcnt(2)
	v_cndmask_b32_e64 v14, v14, v8, s[8:9]
	s_waitcnt lgkmcnt(1)
	v_cndmask_b32_e64 v25, v25, v4, s[8:9]
	v_cndmask_b32_e64 v28, v28, v2, s[8:9]
	s_waitcnt lgkmcnt(0)
	v_cndmask_b32_e64 v30, v0, v11, s[8:9]
	s_mul_i32 s8, s62, s21
	s_ashr_i32 s9, s8, 31
	s_lshl_b64 s[8:9], s[8:9], 1
	v_cndmask_b32_e64 v15, v15, v8, s[10:11]
	v_cndmask_b32_e64 v26, v26, v4, s[10:11]
	;; [unrolled: 1-line block ×4, first 2 shown]
	s_add_u32 s10, s40, s8
	s_addc_u32 s11, s41, s9
	s_ashr_i32 s45, s44, 31
	v_cvt_f16_f32_e32 v15, v15
	v_cvt_f16_f32_sdwa v14, v14 dst_sel:WORD_1 dst_unused:UNUSED_PAD src0_sel:DWORD
	v_cvt_f16_f32_e32 v26, v26
	v_cvt_f16_f32_sdwa v25, v25 dst_sel:WORD_1 dst_unused:UNUSED_PAD src0_sel:DWORD
	s_lshl_b64 s[8:9], s[44:45], 1
	s_add_u32 s8, s10, s8
	s_addc_u32 s9, s11, s9
	v_lshl_add_u64 v[0:1], v[18:19], 1, s[8:9]
	v_or_b32_e32 v14, v14, v15
	v_or_b32_e32 v25, v25, v26
	;;#ASMSTART
	global_atomic_pk_add_f16 v[0:1], v14, off
	
	;;#ASMEND
	v_lshl_add_u64 v[14:15], v[0:1], 0, 32
	;;#ASMSTART
	global_atomic_pk_add_f16 v[14:15], v25, off
	
	;;#ASMEND
	v_cvt_f16_f32_e32 v25, v29
	v_cvt_f16_f32_sdwa v26, v28 dst_sel:WORD_1 dst_unused:UNUSED_PAD src0_sel:DWORD
	v_cvt_f16_f32_e32 v28, v31
	v_cvt_f16_f32_sdwa v29, v30 dst_sel:WORD_1 dst_unused:UNUSED_PAD src0_sel:DWORD
	v_cmp_eq_u32_e64 s[6:7], 2, v43
	v_lshl_add_u64 v[14:15], v[0:1], 0, 64
	v_or_b32_e32 v25, v26, v25
	v_cmp_gt_u32_e64 s[8:9], 14, v27
	;;#ASMSTART
	global_atomic_pk_add_f16 v[14:15], v25, off
	
	;;#ASMEND
	v_lshl_add_u64 v[14:15], v[0:1], 0, s[30:31]
	v_or_b32_e32 v25, v29, v28
	;;#ASMSTART
	global_atomic_pk_add_f16 v[14:15], v25, off
	
	;;#ASMEND
	s_and_b64 exec, exec, s[8:9]
	s_cbranch_execz .LBB106_32
; %bb.31:                               ;   in Loop: Header=BB106_7 Depth=1
	v_cndmask_b32_e32 v12, v12, v8, vcc
	v_cndmask_b32_e64 v8, v13, v8, s[6:7]
	v_cndmask_b32_e32 v9, v9, v4, vcc
	v_cndmask_b32_e64 v4, v10, v4, s[6:7]
	;; [unrolled: 2-line block ×3, first 2 shown]
	v_cndmask_b32_e32 v10, v3, v11, vcc
	v_cvt_f16_f32_e32 v2, v8
	v_cvt_f16_f32_sdwa v3, v12 dst_sel:WORD_1 dst_unused:UNUSED_PAD src0_sel:DWORD
	v_cvt_f16_f32_e32 v4, v4
	v_cvt_f16_f32_sdwa v8, v9 dst_sel:WORD_1 dst_unused:UNUSED_PAD src0_sel:DWORD
	v_cndmask_b32_e64 v7, v7, v11, s[6:7]
	v_lshl_add_u64 v[0:1], s[28:29], 2, v[0:1]
	v_or_b32_e32 v2, v3, v2
	v_or_b32_e32 v4, v8, v4
	;;#ASMSTART
	global_atomic_pk_add_f16 v[0:1], v2, off
	
	;;#ASMEND
	v_lshl_add_u64 v[2:3], v[0:1], 0, 32
	;;#ASMSTART
	global_atomic_pk_add_f16 v[2:3], v4, off
	
	;;#ASMEND
	v_cvt_f16_f32_e32 v4, v6
	v_cvt_f16_f32_sdwa v5, v5 dst_sel:WORD_1 dst_unused:UNUSED_PAD src0_sel:DWORD
	v_cvt_f16_f32_e32 v6, v7
	v_cvt_f16_f32_sdwa v7, v10 dst_sel:WORD_1 dst_unused:UNUSED_PAD src0_sel:DWORD
	v_lshl_add_u64 v[2:3], v[0:1], 0, 64
	v_or_b32_e32 v4, v5, v4
	;;#ASMSTART
	global_atomic_pk_add_f16 v[2:3], v4, off
	
	;;#ASMEND
	v_lshl_add_u64 v[0:1], v[0:1], 0, s[30:31]
	v_or_b32_e32 v2, v7, v6
	;;#ASMSTART
	global_atomic_pk_add_f16 v[0:1], v2, off
	
	;;#ASMEND
.LBB106_32:                             ;   in Loop: Header=BB106_7 Depth=1
	s_or_b64 exec, exec, s[12:13]
	v_subrev_u32_e32 v52, s61, v52
.LBB106_33:                             ;   in Loop: Header=BB106_7 Depth=1
	s_or_b64 exec, exec, s[48:49]
.LBB106_34:                             ;   in Loop: Header=BB106_7 Depth=1
	s_andn2_saveexec_b64 s[6:7], s[46:47]
	s_cbranch_execz .LBB106_43
; %bb.35:                               ;   in Loop: Header=BB106_7 Depth=1
	s_lshl_b32 s16, s61, 2
	v_cmp_gt_i32_e32 vcc, s16, v52
	s_and_saveexec_b64 s[8:9], vcc
	s_cbranch_execz .LBB106_42
; %bb.36:                               ;   in Loop: Header=BB106_7 Depth=1
	s_mul_i32 s10, s44, s23
	s_ashr_i32 s11, s10, 31
	s_waitcnt lgkmcnt(0)
	s_add_u32 s10, s38, s10
	s_addc_u32 s11, s39, s11
	s_ashr_i32 s12, s63, 31
	s_add_u32 s10, s10, s63
	s_addc_u32 s11, s11, s12
	v_lshl_add_u64 v[0:1], s[10:11], 0, v[22:23]
	v_lshl_add_u64 v[8:9], v[0:1], 0, v[20:21]
	s_mov_b64 s[10:11], 0
	s_branch .LBB106_38
.LBB106_37:                             ;   in Loop: Header=BB106_38 Depth=2
	s_or_b64 exec, exec, s[12:13]
	v_lshl_or_b32 v12, v10, 11, v47
	;;#ASMSTART
	s_waitcnt vmcnt(1)
	;;#ASMEND
	ds_write2_b32 v12, v4, v5 offset1:32
	ds_write2_b32 v12, v6, v7 offset0:64 offset1:96
	v_add_u32_e32 v4, 0x400, v12
	v_add_u32_e32 v52, s26, v52
	;;#ASMSTART
	s_waitcnt vmcnt(0)
	;;#ASMEND
	ds_write2_b32 v4, v0, v1 offset1:32
	ds_write2_b32 v4, v2, v3 offset0:64 offset1:96
	v_add_u32_e32 v0, 1, v38
	v_add_u32_e32 v24, s26, v10
	v_cmp_le_i32_e32 vcc, s16, v52
	ds_write_b32 v11, v0 offset:16
	v_add_u32_e32 v0, 2, v38
	s_or_b64 s[10:11], vcc, s[10:11]
	v_cmp_lt_i32_e32 vcc, 15, v24
	s_nop 1
	v_cndmask_b32_e32 v38, v38, v0, vcc
	s_andn2_b64 exec, exec, s[10:11]
	s_cbranch_execz .LBB106_41
.LBB106_38:                             ;   Parent Loop BB106_7 Depth=1
                                        ; =>  This Loop Header: Depth=2
                                        ;       Child Loop BB106_40 Depth 3
	v_cmp_gt_i32_e32 vcc, 16, v24
	s_nop 1
	v_cndmask_b32_e64 v0, -16, 0, vcc
	v_add_u32_e32 v10, v0, v24
	v_ashrrev_i32_e32 v0, 31, v52
	v_lshrrev_b32_e32 v0, 30, v0
	v_add_u32_e32 v0, v52, v0
	v_and_b32_e32 v1, -4, v0
	v_lshlrev_b32_e32 v0, 5, v0
	v_sub_u32_e32 v2, v52, v1
	v_and_b32_e32 v0, 0xffffff80, v0
	v_ashrrev_i32_e32 v1, 31, v0
	v_mul_lo_u32 v2, s55, v2
	v_lshl_add_u64 v[0:1], v[8:9], 0, v[0:1]
	v_ashrrev_i32_e32 v3, 31, v2
	v_lshl_add_u64 v[0:1], v[0:1], 0, v[2:3]
	v_lshlrev_b32_e32 v11, 2, v10
	;;#ASMSTART
	global_load_dwordx4 v[4:7], v[0:1], off offset:0   sc0 sc1 nt  
	global_load_dwordx4 v[0:3], v[0:1], off offset:64  sc0 sc1 nt  
	
	;;#ASMEND
	ds_read_b32 v12, v11 offset:40976
	v_add_u32_e32 v11, 0xa000, v11
	s_waitcnt lgkmcnt(0)
	v_cmp_ne_u32_e32 vcc, v12, v38
	s_and_saveexec_b64 s[12:13], vcc
	s_cbranch_execz .LBB106_37
; %bb.39:                               ;   in Loop: Header=BB106_38 Depth=2
	s_mov_b64 s[14:15], 0
.LBB106_40:                             ;   Parent Loop BB106_7 Depth=1
                                        ;     Parent Loop BB106_38 Depth=2
                                        ; =>    This Inner Loop Header: Depth=3
	;;#ASMSTART
	s_sleep 0
	;;#ASMEND
	ds_read_b32 v12, v11 offset:16
	s_waitcnt lgkmcnt(0)
	v_cmp_eq_u32_e32 vcc, v12, v38
	s_or_b64 s[14:15], vcc, s[14:15]
	s_andn2_b64 exec, exec, s[14:15]
	s_cbranch_execnz .LBB106_40
	s_branch .LBB106_37
.LBB106_41:                             ;   in Loop: Header=BB106_7 Depth=1
	s_or_b64 exec, exec, s[10:11]
.LBB106_42:                             ;   in Loop: Header=BB106_7 Depth=1
	s_or_b64 exec, exec, s[8:9]
	v_subrev_u32_e32 v52, s16, v52
.LBB106_43:                             ;   in Loop: Header=BB106_7 Depth=1
	s_or_b64 exec, exec, s[6:7]
.LBB106_44:                             ;   in Loop: Header=BB106_7 Depth=1
	s_andn2_saveexec_b64 s[6:7], s[34:35]
	s_cbranch_execz .LBB106_6
; %bb.45:                               ;   in Loop: Header=BB106_7 Depth=1
	v_cmp_gt_i32_e32 vcc, s61, v52
	s_and_saveexec_b64 s[8:9], vcc
	s_cbranch_execz .LBB106_5
; %bb.46:                               ;   in Loop: Header=BB106_7 Depth=1
	s_mul_i32 s62, s62, s22
	s_ashr_i32 s10, s62, 31
	s_waitcnt lgkmcnt(0)
	s_add_u32 s11, s36, s62
	s_addc_u32 s12, s37, s10
	s_ashr_i32 s13, s63, 31
	v_cmp_le_i32_e32 vcc, s64, v48
	s_add_u32 s10, s11, s63
	s_addc_u32 s11, s12, s13
	v_cndmask_b32_e32 v0, 0, v49, vcc
	v_ashrrev_i32_e32 v1, 31, v0
	v_lshl_add_u64 v[0:1], s[10:11], 0, v[0:1]
	v_lshl_add_u64 v[8:9], v[0:1], 0, v[20:21]
	s_mov_b64 s[10:11], 0
	s_branch .LBB106_48
.LBB106_47:                             ;   in Loop: Header=BB106_48 Depth=2
	s_or_b64 exec, exec, s[12:13]
	v_lshl_add_u32 v12, v10, 11, v50
	;;#ASMSTART
	s_waitcnt vmcnt(1)
	;;#ASMEND
	ds_write2_b32 v12, v4, v5 offset1:32
	ds_write2_b32 v12, v6, v7 offset0:64 offset1:96
	v_add_u32_e32 v4, 0x400, v12
	v_add_u32_e32 v52, s25, v52
	;;#ASMSTART
	s_waitcnt vmcnt(0)
	;;#ASMEND
	ds_write2_b32 v4, v0, v1 offset1:32
	ds_write2_b32 v4, v2, v3 offset0:64 offset1:96
	v_add_u32_e32 v0, 1, v38
	v_add_u32_e32 v24, s25, v10
	v_cmp_le_i32_e32 vcc, s61, v52
	ds_write_b32 v11, v0
	v_add_u32_e32 v0, 2, v38
	s_or_b64 s[10:11], vcc, s[10:11]
	v_cmp_lt_i32_e32 vcc, 3, v24
	s_nop 1
	v_cndmask_b32_e32 v38, v38, v0, vcc
	s_andn2_b64 exec, exec, s[10:11]
	s_cbranch_execz .LBB106_4
.LBB106_48:                             ;   Parent Loop BB106_7 Depth=1
                                        ; =>  This Loop Header: Depth=2
                                        ;       Child Loop BB106_50 Depth 3
	v_cmp_gt_i32_e32 vcc, 4, v24
	s_nop 1
	v_cndmask_b32_e64 v0, -4, 0, vcc
	v_add_u32_e32 v10, v0, v24
	v_lshlrev_b32_e32 v0, 7, v52
	v_ashrrev_i32_e32 v1, 31, v0
	v_lshl_add_u64 v[0:1], v[8:9], 0, v[0:1]
	v_lshlrev_b32_e32 v11, 2, v10
	;;#ASMSTART
	global_load_dwordx4 v[4:7], v[0:1], off offset:0   
	global_load_dwordx4 v[0:3], v[0:1], off offset:64  
	
	;;#ASMEND
	ds_read_b32 v12, v11 offset:40960
	v_add_u32_e32 v11, 0xa000, v11
	s_waitcnt lgkmcnt(0)
	v_cmp_ne_u32_e32 vcc, v12, v38
	s_and_saveexec_b64 s[12:13], vcc
	s_cbranch_execz .LBB106_47
; %bb.49:                               ;   in Loop: Header=BB106_48 Depth=2
	s_mov_b64 s[14:15], 0
.LBB106_50:                             ;   Parent Loop BB106_7 Depth=1
                                        ;     Parent Loop BB106_48 Depth=2
                                        ; =>    This Inner Loop Header: Depth=3
	;;#ASMSTART
	s_sleep 0
	;;#ASMEND
	ds_read_b32 v12, v11
	s_waitcnt lgkmcnt(0)
	v_cmp_eq_u32_e32 vcc, v12, v38
	s_or_b64 s[14:15], vcc, s[14:15]
	s_andn2_b64 exec, exec, s[14:15]
	s_cbranch_execnz .LBB106_50
	s_branch .LBB106_47
.LBB106_51:
	s_endpgm
	.section	.rodata,"a",@progbits
	.p2align	6, 0x0
	.amdhsa_kernel _Z19_skinny_gemm_kernelILi1ELi4ELi4ELi16ELi4EEvPKhS1_P6__halfPKfiiiiiiii
		.amdhsa_group_segment_fixed_size 41040
		.amdhsa_private_segment_fixed_size 0
		.amdhsa_kernarg_size 64
		.amdhsa_user_sgpr_count 2
		.amdhsa_user_sgpr_dispatch_ptr 0
		.amdhsa_user_sgpr_queue_ptr 0
		.amdhsa_user_sgpr_kernarg_segment_ptr 1
		.amdhsa_user_sgpr_dispatch_id 0
		.amdhsa_user_sgpr_kernarg_preload_length 0
		.amdhsa_user_sgpr_kernarg_preload_offset 0
		.amdhsa_user_sgpr_private_segment_size 0
		.amdhsa_uses_dynamic_stack 0
		.amdhsa_enable_private_segment 0
		.amdhsa_system_sgpr_workgroup_id_x 1
		.amdhsa_system_sgpr_workgroup_id_y 0
		.amdhsa_system_sgpr_workgroup_id_z 0
		.amdhsa_system_sgpr_workgroup_info 0
		.amdhsa_system_vgpr_workitem_id 0
		.amdhsa_next_free_vgpr 60
		.amdhsa_next_free_sgpr 65
		.amdhsa_accum_offset 60
		.amdhsa_reserve_vcc 1
		.amdhsa_float_round_mode_32 0
		.amdhsa_float_round_mode_16_64 0
		.amdhsa_float_denorm_mode_32 3
		.amdhsa_float_denorm_mode_16_64 3
		.amdhsa_dx10_clamp 1
		.amdhsa_ieee_mode 1
		.amdhsa_fp16_overflow 0
		.amdhsa_tg_split 0
		.amdhsa_exception_fp_ieee_invalid_op 0
		.amdhsa_exception_fp_denorm_src 0
		.amdhsa_exception_fp_ieee_div_zero 0
		.amdhsa_exception_fp_ieee_overflow 0
		.amdhsa_exception_fp_ieee_underflow 0
		.amdhsa_exception_fp_ieee_inexact 0
		.amdhsa_exception_int_div_zero 0
	.end_amdhsa_kernel
	.section	.text._Z19_skinny_gemm_kernelILi1ELi4ELi4ELi16ELi4EEvPKhS1_P6__halfPKfiiiiiiii,"axG",@progbits,_Z19_skinny_gemm_kernelILi1ELi4ELi4ELi16ELi4EEvPKhS1_P6__halfPKfiiiiiiii,comdat
.Lfunc_end106:
	.size	_Z19_skinny_gemm_kernelILi1ELi4ELi4ELi16ELi4EEvPKhS1_P6__halfPKfiiiiiiii, .Lfunc_end106-_Z19_skinny_gemm_kernelILi1ELi4ELi4ELi16ELi4EEvPKhS1_P6__halfPKfiiiiiiii
                                        ; -- End function
	.set _Z19_skinny_gemm_kernelILi1ELi4ELi4ELi16ELi4EEvPKhS1_P6__halfPKfiiiiiiii.num_vgpr, 60
	.set _Z19_skinny_gemm_kernelILi1ELi4ELi4ELi16ELi4EEvPKhS1_P6__halfPKfiiiiiiii.num_agpr, 0
	.set _Z19_skinny_gemm_kernelILi1ELi4ELi4ELi16ELi4EEvPKhS1_P6__halfPKfiiiiiiii.numbered_sgpr, 65
	.set _Z19_skinny_gemm_kernelILi1ELi4ELi4ELi16ELi4EEvPKhS1_P6__halfPKfiiiiiiii.num_named_barrier, 0
	.set _Z19_skinny_gemm_kernelILi1ELi4ELi4ELi16ELi4EEvPKhS1_P6__halfPKfiiiiiiii.private_seg_size, 0
	.set _Z19_skinny_gemm_kernelILi1ELi4ELi4ELi16ELi4EEvPKhS1_P6__halfPKfiiiiiiii.uses_vcc, 1
	.set _Z19_skinny_gemm_kernelILi1ELi4ELi4ELi16ELi4EEvPKhS1_P6__halfPKfiiiiiiii.uses_flat_scratch, 0
	.set _Z19_skinny_gemm_kernelILi1ELi4ELi4ELi16ELi4EEvPKhS1_P6__halfPKfiiiiiiii.has_dyn_sized_stack, 0
	.set _Z19_skinny_gemm_kernelILi1ELi4ELi4ELi16ELi4EEvPKhS1_P6__halfPKfiiiiiiii.has_recursion, 0
	.set _Z19_skinny_gemm_kernelILi1ELi4ELi4ELi16ELi4EEvPKhS1_P6__halfPKfiiiiiiii.has_indirect_call, 0
	.section	.AMDGPU.csdata,"",@progbits
; Kernel info:
; codeLenInByte = 4060
; TotalNumSgprs: 71
; NumVgprs: 60
; NumAgprs: 0
; TotalNumVgprs: 60
; ScratchSize: 0
; MemoryBound: 0
; FloatMode: 240
; IeeeMode: 1
; LDSByteSize: 41040 bytes/workgroup (compile time only)
; SGPRBlocks: 8
; VGPRBlocks: 7
; NumSGPRsForWavesPerEU: 71
; NumVGPRsForWavesPerEU: 60
; AccumOffset: 60
; Occupancy: 8
; WaveLimiterHint : 0
; COMPUTE_PGM_RSRC2:SCRATCH_EN: 0
; COMPUTE_PGM_RSRC2:USER_SGPR: 2
; COMPUTE_PGM_RSRC2:TRAP_HANDLER: 0
; COMPUTE_PGM_RSRC2:TGID_X_EN: 1
; COMPUTE_PGM_RSRC2:TGID_Y_EN: 0
; COMPUTE_PGM_RSRC2:TGID_Z_EN: 0
; COMPUTE_PGM_RSRC2:TIDIG_COMP_CNT: 0
; COMPUTE_PGM_RSRC3_GFX90A:ACCUM_OFFSET: 14
; COMPUTE_PGM_RSRC3_GFX90A:TG_SPLIT: 0
	.section	.text._Z19_skinny_gemm_kernelILi1ELi4ELi4ELi32ELi4EEvPKhS1_P6__halfPKfiiiiiiii,"axG",@progbits,_Z19_skinny_gemm_kernelILi1ELi4ELi4ELi32ELi4EEvPKhS1_P6__halfPKfiiiiiiii,comdat
	.protected	_Z19_skinny_gemm_kernelILi1ELi4ELi4ELi32ELi4EEvPKhS1_P6__halfPKfiiiiiiii ; -- Begin function _Z19_skinny_gemm_kernelILi1ELi4ELi4ELi32ELi4EEvPKhS1_P6__halfPKfiiiiiiii
	.globl	_Z19_skinny_gemm_kernelILi1ELi4ELi4ELi32ELi4EEvPKhS1_P6__halfPKfiiiiiiii
	.p2align	8
	.type	_Z19_skinny_gemm_kernelILi1ELi4ELi4ELi32ELi4EEvPKhS1_P6__halfPKfiiiiiiii,@function
_Z19_skinny_gemm_kernelILi1ELi4ELi4ELi32ELi4EEvPKhS1_P6__halfPKfiiiiiiii: ; @_Z19_skinny_gemm_kernelILi1ELi4ELi4ELi32ELi4EEvPKhS1_P6__halfPKfiiiiiiii
; %bb.0:
	v_cmp_gt_u32_e32 vcc, 20, v0
	s_and_saveexec_b64 s[4:5], vcc
; %bb.1:
	v_lshlrev_b32_e32 v1, 2, v0
	v_mov_b32_e32 v2, 0
	ds_write_b32 v1, v2 offset:40960
; %bb.2:
	s_or_b64 exec, exec, s[4:5]
	s_load_dwordx8 s[20:27], s[0:1], 0x20
	s_waitcnt lgkmcnt(0)
	s_barrier
	s_add_i32 s3, s20, 31
	s_ashr_i32 s5, s3, 31
	s_add_i32 s4, s21, 0x7f
	s_lshr_b32 s5, s5, 27
	s_ashr_i32 s6, s4, 31
	s_add_i32 s3, s3, s5
	s_ashr_i32 s14, s3, 5
	s_lshr_b32 s3, s6, 25
	s_add_i32 s4, s4, s3
	s_ashr_i32 s15, s4, 7
	s_mul_i32 s3, s15, s14
	s_mul_i32 s3, s3, s24
	s_add_i32 s4, s3, 0x12f
	s_mul_hi_i32 s4, s4, 0x6bca1af3
	s_lshr_b32 s5, s4, 31
	s_ashr_i32 s4, s4, 7
	s_add_i32 s4, s4, s5
	s_add_i32 s5, s2, 1
	s_mul_i32 s5, s4, s5
	v_cvt_f64_i32_e32 v[2:3], s3
	v_cvt_f64_u32_e32 v[4:5], s5
	v_min_f64 v[2:3], v[2:3], v[4:5]
	v_cvt_i32_f64_e32 v78, v[2:3]
	s_mul_i32 s33, s4, s2
	v_cmp_ge_i32_e32 vcc, s33, v78
	s_cbranch_vccnz .LBB107_54
; %bb.3:
	s_load_dwordx8 s[72:79], s[0:1], 0x0
	v_lshrrev_b32_e32 v1, 6, v0
	s_add_i32 s0, s26, s25
	v_cmp_le_i32_e64 s[28:29], s0, v1
	v_mov_b32_e32 v2, s25
	v_cmp_le_i32_e64 s[30:31], s25, v1
	v_mov_b32_e32 v3, s26
	v_cndmask_b32_e64 v3, 0, v3, s[28:29]
	v_cndmask_b32_e64 v2, 0, v2, s[30:31]
	s_abs_i32 s1, s24
	v_add_u32_e32 v2, v2, v3
	v_cvt_f32_u32_e32 v3, s1
	v_sub_u32_e32 v72, v1, v2
	s_ashr_i32 s2, s22, 31
	s_lshr_b32 s2, s2, 26
	v_rcp_iflag_f32_e32 v2, v3
	s_sub_i32 s5, 0, s1
	s_add_i32 s2, s22, s2
	s_ashr_i32 s2, s2, 6
	v_mul_f32_e32 v2, 0x4f7ffffe, v2
	v_cvt_u32_f32_e32 v2, v2
	s_abs_i32 s4, s2
	s_xor_b32 s3, s2, s24
	s_ashr_i32 s3, s3, 31
	v_readfirstlane_b32 s6, v2
	s_mul_i32 s5, s5, s6
	s_mul_hi_u32 s5, s6, s5
	s_add_i32 s6, s6, s5
	s_mul_hi_u32 s5, s4, s6
	s_mul_i32 s6, s5, s1
	s_sub_i32 s4, s4, s6
	s_add_i32 s6, s5, 1
	s_sub_i32 s7, s4, s1
	s_cmp_ge_u32 s4, s1
	s_cselect_b32 s5, s6, s5
	s_cselect_b32 s4, s7, s4
	s_add_i32 s6, s5, 1
	s_cmp_ge_u32 s4, s1
	v_lshrrev_b32_e32 v2, 3, v0
	v_lshrrev_b32_e32 v7, 1, v0
	s_cselect_b32 s1, s6, s5
	s_add_i32 s0, s0, s27
	v_and_b32_e32 v80, 31, v0
	v_and_b32_e32 v3, 4, v2
	;; [unrolled: 1-line block ×3, first 2 shown]
	v_lshlrev_b32_e32 v7, 4, v0
	v_cmp_gt_i32_e64 s[36:37], s0, v1
	v_lshlrev_b32_e32 v1, 2, v80
	v_lshlrev_b32_e32 v2, 6, v3
	v_and_b32_e32 v7, 0x200, v7
	s_abs_i32 s97, s14
                                        ; implicit-def: $vgpr127 : SGPR spill to VGPR lane
	v_or_b32_e32 v4, 0x8000, v1
	v_or_b32_e32 v82, v1, v2
	v_and_b32_e32 v5, 1, v0
	v_or_b32_e32 v94, v1, v7
	v_cvt_f32_u32_e32 v1, s97
	v_writelane_b32 v127, s14, 0
	v_or_b32_e32 v81, v4, v2
	v_lshlrev_b32_e32 v2, 1, v5
	v_writelane_b32 v127, s15, 1
	v_sub_u32_e32 v2, v0, v2
	s_waitcnt lgkmcnt(0)
	v_writelane_b32 v127, s72, 2
	v_add_u32_e32 v2, 1, v2
	v_and_b32_e32 v6, 63, v2
	v_writelane_b32 v127, s73, 3
	v_bitop3_b32 v83, v0, 1, v0 bitop3:0xc
	v_bitop3_b32 v84, v0, 3, 1 bitop3:0x6c
	v_bitop3_b32 v85, v0, 5, 1 bitop3:0x6c
	v_bitop3_b32 v86, v0, 7, 1 bitop3:0x6c
	v_bitop3_b32 v87, v0, 9, 1 bitop3:0x6c
	v_bitop3_b32 v88, v0, 11, 1 bitop3:0x6c
	v_bitop3_b32 v89, v0, 13, 1 bitop3:0x6c
	v_bitop3_b32 v90, v0, 15, 1 bitop3:0x6c
	v_and_b32_e32 v2, 30, v0
	v_bitop3_b32 v95, v0, 31, v0 bitop3:0xc
	v_rcp_iflag_f32_e32 v0, v1
	s_abs_i32 s98, s15
	v_writelane_b32 v127, s74, 4
	v_cvt_f32_u32_e32 v1, s98
	v_writelane_b32 v127, s75, 5
	v_writelane_b32 v127, s76, 6
	;; [unrolled: 1-line block ×3, first 2 shown]
	v_mul_f32_e32 v0, 0x4f7ffffe, v0
	v_writelane_b32 v127, s78, 8
	v_cvt_u32_f32_e32 v0, v0
	v_rcp_iflag_f32_e32 v1, v1
	v_writelane_b32 v127, s79, 9
	v_cndmask_b32_e64 v79, 0, 1, s[28:29]
	s_xor_b32 s1, s1, s3
	v_writelane_b32 v127, s28, 10
	s_sub_i32 s17, s1, s3
	s_add_i32 s34, s24, -1
	v_writelane_b32 v127, s29, 11
	s_mul_i32 s1, s17, s34
	v_writelane_b32 v127, s30, 12
	s_sub_i32 s35, s2, s1
	v_readfirstlane_b32 s1, v0
	v_mul_f32_e32 v0, 0x4f7ffffe, v1
	v_writelane_b32 v127, s31, 13
	v_cvt_u32_f32_e32 v0, v0
	v_writelane_b32 v127, s17, 14
	s_sub_i32 s0, 0, s97
	v_writelane_b32 v127, s34, 15
	s_mul_i32 s0, s0, s1
	v_writelane_b32 v127, s35, 16
	s_mul_hi_u32 s0, s1, s0
	v_writelane_b32 v127, s36, 17
	s_ashr_i32 s38, s14, 31
	s_add_i32 s39, s1, s0
	s_sub_i32 s0, 0, s98
	v_readfirstlane_b32 s1, v0
	v_writelane_b32 v127, s37, 18
	s_mul_i32 s0, s0, s1
	v_mbcnt_lo_u32_b32 v0, -1, 0
	v_writelane_b32 v127, s38, 19
	s_ashr_i32 s40, s15, 31
	s_mul_hi_u32 s0, s1, s0
	v_mbcnt_hi_u32_b32 v0, -1, v0
	v_writelane_b32 v127, s39, 20
	v_mov_b32_e32 v65, 0
	v_mul_lo_u32 v8, s23, v80
	v_or_b32_e32 v98, v5, v3
	s_add_i32 s41, s1, s0
	v_and_or_b32 v0, v0, 64, v6
	v_writelane_b32 v127, s40, 21
	v_ashrrev_i32_e32 v9, 31, v8
	v_mov_b32_e32 v67, v65
	s_lshl_b32 s24, s23, 5
	v_mul_lo_u32 v96, s22, v80
	v_or_b32_e32 v97, v4, v7
	v_or_b32_e32 v99, 2, v98
	v_lshlrev_b32_e32 v64, 1, v2
	v_lshlrev_b32_e32 v100, 2, v0
	v_mov_b32_e32 v101, v72
	v_writelane_b32 v127, s41, 22
	scratch_store_dwordx2 off, v[8:9], off  ; 8-byte Folded Spill
	s_branch .LBB107_7
.LBB107_4:                              ;   in Loop: Header=BB107_7 Depth=1
	s_or_b64 exec, exec, s[4:5]
.LBB107_5:                              ;   in Loop: Header=BB107_7 Depth=1
	s_or_b64 exec, exec, s[2:3]
	v_subrev_u32_e32 v101, s99, v101
.LBB107_6:                              ;   in Loop: Header=BB107_7 Depth=1
	s_or_b64 exec, exec, s[0:1]
	s_add_i32 s33, s33, 1
	v_cmp_ge_i32_e32 vcc, s33, v78
	s_cbranch_vccnz .LBB107_54
.LBB107_7:                              ; =>This Loop Header: Depth=1
                                        ;     Child Loop BB107_13 Depth 2
                                        ;       Child Loop BB107_15 Depth 3
                                        ;       Child Loop BB107_18 Depth 3
	;; [unrolled: 1-line block ×5, first 2 shown]
                                        ;     Child Loop BB107_32 Depth 2
                                        ;     Child Loop BB107_41 Depth 2
                                        ;       Child Loop BB107_43 Depth 3
                                        ;     Child Loop BB107_51 Depth 2
                                        ;       Child Loop BB107_53 Depth 3
	s_abs_i32 s1, s33
	s_mul_hi_u32 s2, s1, s39
	s_mul_i32 s3, s2, s97
	s_ashr_i32 s0, s33, 31
	s_sub_i32 s1, s1, s3
	s_xor_b32 s0, s0, s38
	s_add_i32 s3, s2, 1
	s_sub_i32 s4, s1, s97
	s_cmp_ge_u32 s1, s97
	s_cselect_b32 s2, s3, s2
	s_cselect_b32 s1, s4, s1
	s_add_i32 s3, s2, 1
	s_cmp_ge_u32 s1, s97
	s_cselect_b32 s1, s3, s2
	s_xor_b32 s1, s1, s0
	s_sub_i32 s0, s1, s0
	s_abs_i32 s2, s0
	s_mul_i32 s1, s0, s14
	s_mul_hi_u32 s3, s2, s41
	s_sub_i32 s1, s33, s1
	s_mul_i32 s4, s3, s98
	s_lshl_b32 s96, s1, 5
	s_ashr_i32 s1, s0, 31
	s_sub_i32 s2, s2, s4
	s_xor_b32 s1, s1, s40
	s_add_i32 s4, s3, 1
	s_sub_i32 s5, s2, s98
	s_cmp_ge_u32 s2, s98
	s_cselect_b32 s3, s4, s3
	s_cselect_b32 s2, s5, s2
	s_add_i32 s4, s3, 1
	s_cmp_ge_u32 s2, s98
	s_cselect_b32 s2, s4, s3
	s_xor_b32 s2, s2, s1
	s_sub_i32 s1, s2, s1
	s_mul_i32 s2, s1, s17
	s_lshl_b32 s46, s2, 6
	s_cmp_eq_u32 s1, s34
	s_cselect_b32 s99, s35, s17
	s_sub_i32 s2, s96, s20
	s_add_i32 s71, s2, 32
	s_and_saveexec_b64 s[2:3], s[30:31]
	s_xor_b64 s[4:5], exec, s[2:3]
	s_cbranch_execz .LBB107_47
; %bb.8:                                ;   in Loop: Header=BB107_7 Depth=1
	s_mul_i32 s1, s1, s15
	s_sub_i32 s0, s0, s1
	s_lshl_b32 s0, s0, 7
	s_sub_i32 s70, s0, s21
	s_addk_i32 s70, 0x80
	s_max_i32 s1, s70, 0
	s_sub_i32 s0, s0, s1
	s_and_saveexec_b64 s[2:3], s[28:29]
	s_xor_b64 s[2:3], exec, s[2:3]
	s_cbranch_execz .LBB107_37
; %bb.9:                                ;   in Loop: Header=BB107_7 Depth=1
	s_and_saveexec_b64 s[8:9], s[36:37]
	s_cbranch_execz .LBB107_36
; %bb.10:                               ;   in Loop: Header=BB107_7 Depth=1
	global_load_dword v102, v65, s[78:79]
	v_writelane_b32 v127, s8, 23
	v_mov_b32_e32 v63, 0
	v_cmp_gt_i32_e32 vcc, s99, v101
	v_writelane_b32 v127, s9, 24
	v_mov_b32_e32 v62, v63
	v_mov_b32_e32 v61, v63
	;; [unrolled: 1-line block ×63, first 2 shown]
	s_and_saveexec_b64 s[6:7], vcc
	s_cbranch_execz .LBB107_29
; %bb.11:                               ;   in Loop: Header=BB107_7 Depth=1
	v_mov_b32_e32 v0, 0
	s_mov_b64 s[8:9], 0
	v_mov_b32_e32 v1, v0
	v_mov_b32_e32 v2, v0
	;; [unrolled: 1-line block ×63, first 2 shown]
	s_branch .LBB107_13
.LBB107_12:                             ;   in Loop: Header=BB107_13 Depth=2
	s_or_b64 exec, exec, s[10:11]
	v_add_u32_e32 v107, 0x1800, v106
	ds_read2_b32 v[108:109], v107 offset1:32
	v_add_u32_e32 v101, s27, v101
	s_waitcnt lgkmcnt(0)
	v_mfma_f32_32x32x16_fp8_fp8 v[0:15], v[76:77], v[108:109], v[0:15]
	ds_read2_b32 v[76:77], v107 offset0:128 offset1:160
	s_waitcnt lgkmcnt(0)
	v_mfma_f32_32x32x16_fp8_fp8 v[0:15], v[74:75], v[76:77], v[0:15]
	v_add_u32_e32 v76, 0x1c00, v106
	ds_read2_b32 v[74:75], v76 offset1:32
	ds_read2_b32 v[76:77], v76 offset0:128 offset1:160
	ds_write_b32 v104, v105 offset:40988
	s_waitcnt lgkmcnt(2)
	v_mfma_f32_32x32x16_fp8_fp8 v[0:15], v[72:73], v[74:75], v[0:15]
	v_add_u32_e32 v72, s27, v103
	v_add_u32_e32 v73, 2, v79
	v_cmp_lt_i32_e32 vcc, 3, v72
	s_nop 1
	v_cndmask_b32_e32 v79, v79, v73, vcc
	v_cmp_le_i32_e32 vcc, s99, v101
	s_waitcnt lgkmcnt(1)
	v_mfma_f32_32x32x16_fp8_fp8 v[0:15], v[70:71], v[76:77], v[0:15]
	s_or_b64 s[8:9], vcc, s[8:9]
	s_andn2_b64 exec, exec, s[8:9]
	s_cbranch_execz .LBB107_28
.LBB107_13:                             ;   Parent Loop BB107_7 Depth=1
                                        ; =>  This Loop Header: Depth=2
                                        ;       Child Loop BB107_15 Depth 3
                                        ;       Child Loop BB107_18 Depth 3
	;; [unrolled: 1-line block ×5, first 2 shown]
	v_cmp_gt_i32_e32 vcc, 4, v72
	s_nop 1
	v_cndmask_b32_e64 v70, -4, 0, vcc
	v_add_u32_e32 v103, v70, v72
	v_lshlrev_b32_e32 v104, 5, v103
	ds_read_b32 v70, v104 offset:40960
	s_waitcnt lgkmcnt(0)
	v_cmp_ne_u32_e32 vcc, v70, v79
	s_and_saveexec_b64 s[10:11], vcc
	s_cbranch_execz .LBB107_16
; %bb.14:                               ;   in Loop: Header=BB107_13 Depth=2
	s_mov_b64 s[12:13], 0
.LBB107_15:                             ;   Parent Loop BB107_7 Depth=1
                                        ;     Parent Loop BB107_13 Depth=2
                                        ; =>    This Inner Loop Header: Depth=3
	;;#ASMSTART
	s_sleep 0
	;;#ASMEND
	ds_read_b32 v70, v104 offset:40960
	s_waitcnt lgkmcnt(0)
	v_cmp_eq_u32_e32 vcc, v70, v79
	s_or_b64 s[12:13], vcc, s[12:13]
	s_andn2_b64 exec, exec, s[12:13]
	s_cbranch_execnz .LBB107_15
.LBB107_16:                             ;   in Loop: Header=BB107_13 Depth=2
	s_or_b64 exec, exec, s[10:11]
	v_lshl_add_u32 v70, v103, 11, v81
	ds_read2_b32 v[76:77], v70 offset1:32
	ds_read2_b32 v[74:75], v70 offset0:128 offset1:160
	v_add_u32_e32 v70, 0x400, v70
	ds_read2_b32 v[72:73], v70 offset1:32
	ds_read_b32 v106, v104 offset:40964
	ds_read2_b32 v[70:71], v70 offset0:128 offset1:160
	v_add_u32_e32 v105, 1, v79
	ds_write_b32 v104, v105 offset:40960
	s_waitcnt lgkmcnt(2)
	v_cmp_ne_u32_e32 vcc, v106, v79
	s_and_saveexec_b64 s[10:11], vcc
	s_cbranch_execz .LBB107_19
; %bb.17:                               ;   in Loop: Header=BB107_13 Depth=2
	s_mov_b64 s[12:13], 0
.LBB107_18:                             ;   Parent Loop BB107_7 Depth=1
                                        ;     Parent Loop BB107_13 Depth=2
                                        ; =>    This Inner Loop Header: Depth=3
	;;#ASMSTART
	s_sleep 0
	;;#ASMEND
	ds_read_b32 v106, v104 offset:40964
	s_waitcnt lgkmcnt(0)
	v_cmp_eq_u32_e32 vcc, v106, v79
	s_or_b64 s[12:13], vcc, s[12:13]
	s_andn2_b64 exec, exec, s[12:13]
	s_cbranch_execnz .LBB107_18
.LBB107_19:                             ;   in Loop: Header=BB107_13 Depth=2
	s_or_b64 exec, exec, s[10:11]
	v_lshlrev_b32_e32 v106, 13, v103
	v_or_b32_e32 v107, v82, v106
	ds_read2_b32 v[108:109], v107 offset1:32
	ds_write_b32 v104, v105 offset:40964
	s_waitcnt lgkmcnt(1)
	v_mfma_f32_32x32x16_fp8_fp8 v[48:63], v[76:77], v[108:109], v[48:63]
	ds_read2_b32 v[108:109], v107 offset0:128 offset1:160
	v_add_u32_e32 v107, 0x400, v107
	s_waitcnt lgkmcnt(0)
	v_mfma_f32_32x32x16_fp8_fp8 v[48:63], v[74:75], v[108:109], v[48:63]
	ds_read2_b32 v[108:109], v107 offset1:32
	s_waitcnt lgkmcnt(0)
	v_mfma_f32_32x32x16_fp8_fp8 v[48:63], v[72:73], v[108:109], v[48:63]
	ds_read2_b32 v[108:109], v107 offset0:128 offset1:160
	ds_read_b32 v107, v104 offset:40972
	s_waitcnt lgkmcnt(0)
	v_cmp_ne_u32_e32 vcc, v107, v79
	v_mfma_f32_32x32x16_fp8_fp8 v[48:63], v[70:71], v[108:109], v[48:63]
	s_and_saveexec_b64 s[10:11], vcc
	s_cbranch_execz .LBB107_22
; %bb.20:                               ;   in Loop: Header=BB107_13 Depth=2
	s_mov_b64 s[12:13], 0
.LBB107_21:                             ;   Parent Loop BB107_7 Depth=1
                                        ;     Parent Loop BB107_13 Depth=2
                                        ; =>    This Inner Loop Header: Depth=3
	;;#ASMSTART
	s_sleep 0
	;;#ASMEND
	ds_read_b32 v107, v104 offset:40972
	s_waitcnt lgkmcnt(0)
	v_cmp_eq_u32_e32 vcc, v107, v79
	s_or_b64 s[12:13], vcc, s[12:13]
	s_andn2_b64 exec, exec, s[12:13]
	s_cbranch_execnz .LBB107_21
.LBB107_22:                             ;   in Loop: Header=BB107_13 Depth=2
	s_or_b64 exec, exec, s[10:11]
	v_add_u32_e32 v106, v82, v106
	v_add_u32_e32 v107, 0x800, v106
	ds_read2_b32 v[108:109], v107 offset1:32
	ds_write_b32 v104, v105 offset:40972
	s_waitcnt lgkmcnt(1)
	v_mfma_f32_32x32x16_fp8_fp8 v[32:47], v[76:77], v[108:109], v[32:47]
	ds_read2_b32 v[108:109], v107 offset0:128 offset1:160
	v_add_u32_e32 v107, 0xc00, v106
	s_waitcnt lgkmcnt(0)
	v_mfma_f32_32x32x16_fp8_fp8 v[32:47], v[74:75], v[108:109], v[32:47]
	ds_read2_b32 v[108:109], v107 offset1:32
	s_waitcnt lgkmcnt(0)
	v_mfma_f32_32x32x16_fp8_fp8 v[32:47], v[72:73], v[108:109], v[32:47]
	ds_read2_b32 v[108:109], v107 offset0:128 offset1:160
	ds_read_b32 v107, v104 offset:40980
	s_waitcnt lgkmcnt(0)
	v_cmp_ne_u32_e32 vcc, v107, v79
	v_mfma_f32_32x32x16_fp8_fp8 v[32:47], v[70:71], v[108:109], v[32:47]
	s_and_saveexec_b64 s[10:11], vcc
	s_cbranch_execz .LBB107_25
; %bb.23:                               ;   in Loop: Header=BB107_13 Depth=2
	s_mov_b64 s[12:13], 0
.LBB107_24:                             ;   Parent Loop BB107_7 Depth=1
                                        ;     Parent Loop BB107_13 Depth=2
                                        ; =>    This Inner Loop Header: Depth=3
	;;#ASMSTART
	s_sleep 0
	;;#ASMEND
	ds_read_b32 v107, v104 offset:40980
	s_waitcnt lgkmcnt(0)
	v_cmp_eq_u32_e32 vcc, v107, v79
	s_or_b64 s[12:13], vcc, s[12:13]
	s_andn2_b64 exec, exec, s[12:13]
	s_cbranch_execnz .LBB107_24
.LBB107_25:                             ;   in Loop: Header=BB107_13 Depth=2
	s_or_b64 exec, exec, s[10:11]
	v_add_u32_e32 v107, 0x1000, v106
	ds_read2_b32 v[108:109], v107 offset1:32
	s_waitcnt lgkmcnt(0)
	v_mfma_f32_32x32x16_fp8_fp8 v[16:31], v[76:77], v[108:109], v[16:31]
	ds_read2_b32 v[108:109], v107 offset0:128 offset1:160
	v_add_u32_e32 v107, 0x1400, v106
	s_waitcnt lgkmcnt(0)
	v_mfma_f32_32x32x16_fp8_fp8 v[16:31], v[74:75], v[108:109], v[16:31]
	ds_read2_b32 v[108:109], v107 offset1:32
	s_waitcnt lgkmcnt(0)
	v_mfma_f32_32x32x16_fp8_fp8 v[16:31], v[72:73], v[108:109], v[16:31]
	ds_read_b32 v110, v104 offset:40988
	ds_read2_b32 v[108:109], v107 offset0:128 offset1:160
	ds_write_b32 v104, v105 offset:40980
	s_waitcnt lgkmcnt(2)
	v_cmp_ne_u32_e32 vcc, v110, v79
	s_waitcnt lgkmcnt(1)
	v_mfma_f32_32x32x16_fp8_fp8 v[16:31], v[70:71], v[108:109], v[16:31]
	s_and_saveexec_b64 s[10:11], vcc
	s_cbranch_execz .LBB107_12
; %bb.26:                               ;   in Loop: Header=BB107_13 Depth=2
	s_mov_b64 s[12:13], 0
.LBB107_27:                             ;   Parent Loop BB107_7 Depth=1
                                        ;     Parent Loop BB107_13 Depth=2
                                        ; =>    This Inner Loop Header: Depth=3
	;;#ASMSTART
	s_sleep 0
	;;#ASMEND
	ds_read_b32 v107, v104 offset:40988
	s_waitcnt lgkmcnt(0)
	v_cmp_eq_u32_e32 vcc, v107, v79
	s_or_b64 s[12:13], vcc, s[12:13]
	s_andn2_b64 exec, exec, s[12:13]
	s_cbranch_execnz .LBB107_27
	s_branch .LBB107_12
.LBB107_28:                             ;   in Loop: Header=BB107_7 Depth=1
	s_or_b64 exec, exec, s[8:9]
.LBB107_29:                             ;   in Loop: Header=BB107_7 Depth=1
	v_writelane_b32 v127, s71, 25
	v_writelane_b32 v127, s46, 26
	s_or_b64 exec, exec, s[6:7]
	v_cmp_le_i32_e32 vcc, s70, v80
	v_cmp_eq_u32_e64 s[64:65], 1, v83
	v_cmp_eq_u32_e64 s[36:37], 2, v83
	s_waitcnt vmcnt(0)
	v_cndmask_b32_e32 v70, 0, v102, vcc
	v_pk_mul_f32 v[48:49], v[70:71], v[48:49] op_sel_hi:[0,1]
	v_pk_mul_f32 v[62:63], v[70:71], v[62:63] op_sel_hi:[0,1]
	;; [unrolled: 1-line block ×8, first 2 shown]
	v_cndmask_b32_e64 v70, v48, v49, s[64:65]
	v_cndmask_b32_e64 v70, v70, v50, s[36:37]
	v_cmp_eq_u32_e64 s[40:41], 3, v83
	v_cmp_eq_u32_e64 s[42:43], 4, v83
	v_cmp_eq_u32_e64 s[44:45], 5, v83
	v_cndmask_b32_e64 v70, v70, v51, s[40:41]
	v_cndmask_b32_e64 v70, v70, v52, s[42:43]
	v_cndmask_b32_e64 v70, v70, v53, s[44:45]
	v_cmp_eq_u32_e64 s[46:47], 6, v83
	v_cmp_eq_u32_e64 s[48:49], 7, v83
	v_cmp_eq_u32_e64 s[50:51], 8, v83
	v_cndmask_b32_e64 v70, v70, v54, s[46:47]
	;; [unrolled: 6-line block ×4, first 2 shown]
	v_cndmask_b32_e64 v70, v70, v61, s[60:61]
	v_cndmask_b32_e64 v70, v70, v62, s[62:63]
	v_cmp_eq_u32_e64 s[66:67], 15, v83
	s_mul_i32 s6, s96, s21
	s_ashr_i32 s7, s6, 31
	v_cndmask_b32_e64 v70, v70, v63, s[66:67]
	ds_bpermute_b32 v70, v100, v70
	s_lshl_b64 s[6:7], s[6:7], 1
	v_cmp_eq_u32_e64 s[34:35], 0, v83
	s_add_u32 s68, s76, s6
	v_cmp_eq_u32_e32 vcc, 1, v84
	s_waitcnt lgkmcnt(0)
	v_cndmask_b32_e64 v63, v63, v70, s[66:67]
	v_cndmask_b32_e64 v62, v62, v70, s[62:63]
	v_cndmask_b32_e64 v61, v61, v70, s[60:61]
	v_cndmask_b32_e64 v60, v60, v70, s[58:59]
	v_cndmask_b32_e64 v59, v59, v70, s[56:57]
	v_cndmask_b32_e64 v58, v58, v70, s[54:55]
	v_cndmask_b32_e64 v57, v57, v70, s[52:53]
	v_cndmask_b32_e64 v56, v56, v70, s[50:51]
	v_cndmask_b32_e64 v73, v55, v70, s[48:49]
	v_cndmask_b32_e64 v74, v54, v70, s[46:47]
	v_cndmask_b32_e64 v75, v53, v70, s[44:45]
	v_cndmask_b32_e64 v76, v52, v70, s[42:43]
	v_cndmask_b32_e64 v77, v51, v70, s[40:41]
	v_cndmask_b32_e64 v103, v50, v70, s[36:37]
	v_cndmask_b32_e64 v104, v49, v70, s[64:65]
	v_cndmask_b32_e64 v70, v48, v70, s[34:35]
	s_addc_u32 s69, s77, s7
	v_cndmask_b32_e32 v48, v70, v104, vcc
	v_cmp_eq_u32_e64 s[6:7], 2, v84
	v_cmp_eq_u32_e64 s[8:9], 3, v84
	;; [unrolled: 1-line block ×3, first 2 shown]
	v_cndmask_b32_e64 v48, v48, v103, s[6:7]
	v_cndmask_b32_e64 v48, v48, v77, s[8:9]
	;; [unrolled: 1-line block ×3, first 2 shown]
	v_cmp_eq_u32_e64 s[12:13], 5, v84
	v_cmp_eq_u32_e64 s[14:15], 6, v84
	;; [unrolled: 1-line block ×3, first 2 shown]
	v_cndmask_b32_e64 v48, v48, v75, s[12:13]
	v_cndmask_b32_e64 v48, v48, v74, s[14:15]
	;; [unrolled: 1-line block ×3, first 2 shown]
	v_cmp_eq_u32_e64 s[18:19], 8, v84
	v_cmp_eq_u32_e64 s[74:75], 9, v84
	;; [unrolled: 1-line block ×3, first 2 shown]
	v_cndmask_b32_e64 v48, v48, v56, s[18:19]
	v_cndmask_b32_e64 v48, v48, v57, s[74:75]
	s_ashr_i32 s1, s0, 31
	v_cndmask_b32_e64 v48, v48, v58, s[76:77]
	v_cmp_eq_u32_e64 s[78:79], 11, v84
	s_lshl_b64 s[38:39], s[0:1], 1
	v_cmp_eq_u32_e64 s[80:81], 12, v84
	v_cndmask_b32_e64 v48, v48, v59, s[78:79]
	s_add_u32 s38, s68, s38
	v_cndmask_b32_e64 v48, v48, v60, s[80:81]
	v_cmp_eq_u32_e64 s[28:29], 13, v84
	s_addc_u32 s39, s69, s39
	v_cmp_eq_u32_e64 s[30:31], 14, v84
	v_cndmask_b32_e64 v48, v48, v61, s[28:29]
	v_writelane_b32 v127, s38, 27
	v_cndmask_b32_e64 v48, v48, v62, s[30:31]
	v_or_b32_e32 v68, 64, v80
	v_writelane_b32 v127, s39, 28
	v_cmp_eq_u32_e64 s[38:39], 15, v84
	v_cmp_eq_u32_e64 s[72:73], 9, v85
	;; [unrolled: 1-line block ×3, first 2 shown]
	v_cndmask_b32_e64 v48, v48, v63, s[38:39]
	ds_bpermute_b32 v71, v100, v48
	v_or_b32_e32 v48, 32, v80
	v_cmp_le_i32_e64 s[68:69], s70, v48
	v_cmp_eq_u32_e64 s[86:87], 6, v86
	v_cmp_eq_u32_e64 s[90:91], 7, v86
	v_cndmask_b32_e64 v48, 0, v102, s[68:69]
	v_cmp_le_i32_e64 s[68:69], s70, v68
	v_or_b32_e32 v68, 0x60, v80
	s_waitcnt lgkmcnt(0)
	v_cndmask_b32_e64 v54, v58, v71, s[76:77]
	v_cndmask_b32_e64 v58, v74, v71, s[14:15]
	;; [unrolled: 1-line block ×3, first 2 shown]
	v_cmp_le_i32_e64 s[68:69], s70, v68
	v_cndmask_b32_e64 v49, v63, v71, s[38:39]
	v_pk_mul_f32 v[30:31], v[74:75], v[30:31] op_sel_hi:[0,1]
	v_pk_mul_f32 v[28:29], v[74:75], v[28:29] op_sel_hi:[0,1]
	;; [unrolled: 1-line block ×8, first 2 shown]
	v_cndmask_b32_e64 v74, 0, v102, s[68:69]
	v_pk_mul_f32 v[32:33], v[48:49], v[32:33] op_sel_hi:[0,1]
	v_cmp_eq_u32_e64 s[68:69], 0, v84
	v_pk_mul_f32 v[0:1], v[74:75], v[0:1] op_sel_hi:[0,1]
	v_cndmask_b32_e64 v50, v62, v71, s[30:31]
	v_cndmask_b32_e64 v51, v61, v71, s[28:29]
	;; [unrolled: 1-line block ×11, first 2 shown]
	v_cndmask_b32_e32 v63, v104, v71, vcc
	v_pk_mul_f32 v[46:47], v[48:49], v[46:47] op_sel_hi:[0,1]
	v_pk_mul_f32 v[44:45], v[48:49], v[44:45] op_sel_hi:[0,1]
	;; [unrolled: 1-line block ×7, first 2 shown]
	v_cndmask_b32_e64 v48, v32, v33, s[64:65]
	v_cndmask_b32_e64 v73, v16, v17, s[64:65]
	v_cndmask_b32_e64 v70, v70, v71, s[68:69]
	v_pk_mul_f32 v[2:3], v[74:75], v[2:3] op_sel_hi:[0,1]
	v_cndmask_b32_e64 v71, v0, v1, s[64:65]
	v_cndmask_b32_e64 v48, v48, v34, s[36:37]
	v_cndmask_b32_e64 v73, v73, v18, s[36:37]
	v_cndmask_b32_e64 v71, v71, v2, s[36:37]
	v_cndmask_b32_e64 v48, v48, v35, s[40:41]
	v_cndmask_b32_e64 v73, v73, v19, s[40:41]
	v_pk_mul_f32 v[4:5], v[74:75], v[4:5] op_sel_hi:[0,1]
	v_cndmask_b32_e64 v71, v71, v3, s[40:41]
	v_cndmask_b32_e64 v48, v48, v36, s[42:43]
	v_cndmask_b32_e64 v73, v73, v20, s[42:43]
	;; [unrolled: 7-line block ×7, first 2 shown]
	v_cndmask_b32_e64 v71, v71, v14, s[62:63]
	v_cndmask_b32_e64 v48, v48, v47, s[66:67]
	;; [unrolled: 1-line block ×4, first 2 shown]
	ds_bpermute_b32 v48, v100, v48
	ds_bpermute_b32 v73, v100, v73
	;; [unrolled: 1-line block ×3, first 2 shown]
	v_cmp_eq_u32_e64 s[70:71], 7, v85
	v_cmp_eq_u32_e64 s[84:85], 13, v87
	s_waitcnt lgkmcnt(2)
	v_cndmask_b32_e64 v34, v34, v48, s[36:37]
	s_waitcnt lgkmcnt(1)
	v_cndmask_b32_e64 v18, v18, v73, s[36:37]
	;; [unrolled: 2-line block ×3, first 2 shown]
	v_cmp_ne_u32_e64 s[36:37], 0, v83
	v_cndmask_b32_e64 v33, v33, v48, s[64:65]
	v_cndmask_b32_e64 v17, v17, v73, s[64:65]
	v_cmp_eq_u32_e64 s[64:65], 1, v85
	v_cndmask_b32_e64 v1, v1, v71, s[36:37]
	v_cndmask_b32_e64 v32, v32, v48, s[34:35]
	;; [unrolled: 1-line block ×8, first 2 shown]
	v_cmp_eq_u32_e64 s[66:67], 2, v85
	v_cndmask_b32_e64 v46, v46, v48, s[62:63]
	v_cndmask_b32_e64 v30, v30, v73, s[62:63]
	;; [unrolled: 1-line block ×36, first 2 shown]
	v_cndmask_b32_e32 v48, v32, v33, vcc
	v_cndmask_b32_e32 v73, v16, v17, vcc
	v_cndmask_b32_e32 v71, v0, v1, vcc
	v_cndmask_b32_e64 v74, v74, v62, s[66:67]
	v_cmp_eq_u32_e64 s[62:63], 3, v85
	v_cndmask_b32_e64 v48, v48, v34, s[6:7]
	v_cndmask_b32_e64 v73, v73, v18, s[6:7]
	v_cndmask_b32_e64 v71, v71, v2, s[6:7]
	v_cndmask_b32_e64 v74, v74, v61, s[62:63]
	v_cmp_eq_u32_e64 s[60:61], 4, v85
	v_cndmask_b32_e64 v48, v48, v35, s[8:9]
	v_cndmask_b32_e64 v73, v73, v19, s[8:9]
	v_cndmask_b32_e64 v71, v71, v3, s[8:9]
	;; [unrolled: 5-line block ×4, first 2 shown]
	v_cndmask_b32_e64 v74, v74, v58, s[56:57]
	v_cndmask_b32_e64 v48, v48, v38, s[14:15]
	;; [unrolled: 1-line block ×5, first 2 shown]
	v_cmp_eq_u32_e64 s[52:53], 8, v85
	v_cndmask_b32_e64 v48, v48, v39, s[16:17]
	v_cndmask_b32_e64 v73, v73, v23, s[16:17]
	;; [unrolled: 1-line block ×8, first 2 shown]
	v_cmp_eq_u32_e64 s[48:49], 10, v85
	v_cndmask_b32_e64 v48, v48, v41, s[74:75]
	v_cndmask_b32_e64 v73, v73, v25, s[74:75]
	v_cndmask_b32_e64 v71, v71, v9, s[74:75]
	v_cndmask_b32_e64 v74, v74, v54, s[48:49]
	v_cmp_eq_u32_e64 s[50:51], 11, v85
	v_cndmask_b32_e64 v48, v48, v42, s[76:77]
	v_cndmask_b32_e64 v73, v73, v26, s[76:77]
	v_cndmask_b32_e64 v71, v71, v10, s[76:77]
	v_cndmask_b32_e64 v74, v74, v53, s[50:51]
	;; [unrolled: 5-line block ×6, first 2 shown]
	v_cndmask_b32_e64 v48, v48, v47, s[38:39]
	v_cndmask_b32_e64 v73, v73, v31, s[38:39]
	;; [unrolled: 1-line block ×3, first 2 shown]
	ds_bpermute_b32 v74, v100, v74
	ds_bpermute_b32 v48, v100, v48
	;; [unrolled: 1-line block ×4, first 2 shown]
	v_cmp_eq_u32_e64 s[46:47], 0, v85
	s_waitcnt lgkmcnt(3)
	v_cndmask_b32_e64 v63, v63, v74, s[64:65]
	v_cmp_eq_u32_e64 s[34:35], 1, v86
	v_cndmask_b32_e64 v70, v70, v74, s[46:47]
	s_waitcnt lgkmcnt(2)
	v_cndmask_b32_e32 v33, v33, v48, vcc
	s_waitcnt lgkmcnt(1)
	v_cndmask_b32_e32 v17, v17, v73, vcc
	;; [unrolled: 2-line block ×3, first 2 shown]
	v_cndmask_b32_e64 v32, v32, v48, s[68:69]
	v_cndmask_b32_e64 v16, v16, v73, s[68:69]
	;; [unrolled: 1-line block ×24, first 2 shown]
	v_cmp_eq_u32_e64 s[38:39], 2, v86
	v_cndmask_b32_e64 v45, v45, v48, s[28:29]
	v_cndmask_b32_e64 v29, v29, v73, s[28:29]
	;; [unrolled: 1-line block ×40, first 2 shown]
	v_cmp_eq_u32_e64 s[28:29], 3, v86
	v_cndmask_b32_e64 v48, v48, v34, s[66:67]
	v_cndmask_b32_e64 v73, v73, v18, s[66:67]
	;; [unrolled: 1-line block ×8, first 2 shown]
	v_cmp_eq_u32_e64 s[78:79], 5, v86
	v_cndmask_b32_e64 v48, v48, v36, s[60:61]
	v_cndmask_b32_e64 v73, v73, v20, s[60:61]
	;; [unrolled: 1-line block ×12, first 2 shown]
	v_cmp_eq_u32_e64 s[18:19], 8, v86
	v_cndmask_b32_e64 v48, v48, v39, s[70:71]
	v_cndmask_b32_e64 v73, v73, v23, s[70:71]
	v_cndmask_b32_e64 v71, v71, v7, s[70:71]
	v_cndmask_b32_e64 v74, v74, v56, s[18:19]
	v_cmp_eq_u32_e64 s[16:17], 9, v86
	v_cndmask_b32_e64 v48, v48, v40, s[52:53]
	v_cndmask_b32_e64 v73, v73, v24, s[52:53]
	v_cndmask_b32_e64 v71, v71, v8, s[52:53]
	v_cndmask_b32_e64 v74, v74, v55, s[16:17]
	;; [unrolled: 5-line block ×7, first 2 shown]
	v_cmp_eq_u32_e32 vcc, 15, v86
	v_cndmask_b32_e64 v48, v48, v46, s[40:41]
	v_cndmask_b32_e64 v73, v73, v30, s[40:41]
	;; [unrolled: 1-line block ×3, first 2 shown]
	v_cndmask_b32_e32 v74, v74, v49, vcc
	v_cndmask_b32_e64 v48, v48, v47, s[36:37]
	v_cndmask_b32_e64 v73, v73, v31, s[36:37]
	;; [unrolled: 1-line block ×3, first 2 shown]
	ds_bpermute_b32 v74, v100, v74
	ds_bpermute_b32 v48, v100, v48
	ds_bpermute_b32 v73, v100, v73
	ds_bpermute_b32 v71, v100, v71
	v_cmp_eq_u32_e64 s[8:9], 0, v86
	s_waitcnt lgkmcnt(3)
	v_cndmask_b32_e64 v63, v63, v74, s[34:35]
	s_waitcnt lgkmcnt(2)
	v_cndmask_b32_e64 v47, v47, v48, s[36:37]
	v_cndmask_b32_e64 v70, v70, v74, s[8:9]
	s_waitcnt lgkmcnt(1)
	v_cndmask_b32_e64 v31, v31, v73, s[36:37]
	s_waitcnt lgkmcnt(0)
	v_cndmask_b32_e64 v15, v15, v71, s[36:37]
	v_cmp_eq_u32_e64 s[36:37], 1, v87
	v_cndmask_b32_e64 v33, v33, v48, s[64:65]
	v_cndmask_b32_e64 v17, v17, v73, s[64:65]
	;; [unrolled: 1-line block ×6, first 2 shown]
	v_cndmask_b32_e32 v49, v49, v74, vcc
	v_cndmask_b32_e64 v50, v50, v74, s[6:7]
	v_cndmask_b32_e64 v51, v51, v74, s[30:31]
	;; [unrolled: 1-line block ×17, first 2 shown]
	v_cmp_eq_u32_e64 s[40:41], 2, v87
	v_cndmask_b32_e64 v45, v45, v48, s[42:43]
	v_cndmask_b32_e64 v29, v29, v73, s[42:43]
	v_cndmask_b32_e64 v13, v13, v71, s[42:43]
	v_cndmask_b32_e64 v44, v44, v48, s[44:45]
	v_cndmask_b32_e64 v28, v28, v73, s[44:45]
	v_cndmask_b32_e64 v12, v12, v71, s[44:45]
	v_cndmask_b32_e64 v43, v43, v48, s[50:51]
	v_cndmask_b32_e64 v27, v27, v73, s[50:51]
	v_cndmask_b32_e64 v11, v11, v71, s[50:51]
	v_cndmask_b32_e64 v42, v42, v48, s[48:49]
	v_cndmask_b32_e64 v26, v26, v73, s[48:49]
	v_cndmask_b32_e64 v10, v10, v71, s[48:49]
	v_cndmask_b32_e64 v41, v41, v48, s[72:73]
	v_cndmask_b32_e64 v25, v25, v73, s[72:73]
	v_cndmask_b32_e64 v9, v9, v71, s[72:73]
	v_cndmask_b32_e64 v40, v40, v48, s[52:53]
	v_cndmask_b32_e64 v24, v24, v73, s[52:53]
	v_cndmask_b32_e64 v8, v8, v71, s[52:53]
	v_cndmask_b32_e64 v39, v39, v48, s[70:71]
	v_cndmask_b32_e64 v23, v23, v73, s[70:71]
	v_cndmask_b32_e64 v7, v7, v71, s[70:71]
	v_cndmask_b32_e64 v38, v38, v48, s[56:57]
	v_cndmask_b32_e64 v22, v22, v73, s[56:57]
	v_cndmask_b32_e64 v6, v6, v71, s[56:57]
	v_cndmask_b32_e64 v37, v37, v48, s[58:59]
	v_cndmask_b32_e64 v21, v21, v73, s[58:59]
	v_cndmask_b32_e64 v5, v5, v71, s[58:59]
	v_cndmask_b32_e64 v36, v36, v48, s[60:61]
	v_cndmask_b32_e64 v20, v20, v73, s[60:61]
	v_cndmask_b32_e64 v4, v4, v71, s[60:61]
	v_cndmask_b32_e64 v35, v35, v48, s[62:63]
	v_cndmask_b32_e64 v19, v19, v73, s[62:63]
	v_cndmask_b32_e64 v3, v3, v71, s[62:63]
	v_cndmask_b32_e64 v34, v34, v48, s[66:67]
	v_cndmask_b32_e64 v18, v18, v73, s[66:67]
	v_cndmask_b32_e64 v2, v2, v71, s[66:67]
	v_cndmask_b32_e64 v48, v32, v33, s[34:35]
	v_cndmask_b32_e64 v73, v16, v17, s[34:35]
	v_cndmask_b32_e64 v71, v0, v1, s[34:35]
	v_cndmask_b32_e64 v74, v74, v62, s[40:41]
	v_cmp_eq_u32_e64 s[42:43], 3, v87
	v_cndmask_b32_e64 v48, v48, v34, s[38:39]
	v_cndmask_b32_e64 v73, v73, v18, s[38:39]
	v_cndmask_b32_e64 v71, v71, v2, s[38:39]
	v_cndmask_b32_e64 v74, v74, v61, s[42:43]
	v_cmp_eq_u32_e64 s[44:45], 4, v87
	v_cndmask_b32_e64 v48, v48, v35, s[28:29]
	v_cndmask_b32_e64 v73, v73, v19, s[28:29]
	v_cndmask_b32_e64 v71, v71, v3, s[28:29]
	v_cndmask_b32_e64 v74, v74, v60, s[44:45]
	;; [unrolled: 5-line block ×10, first 2 shown]
	v_cndmask_b32_e64 v48, v48, v44, s[10:11]
	v_cndmask_b32_e64 v73, v73, v28, s[10:11]
	;; [unrolled: 1-line block ×4, first 2 shown]
	v_cmp_eq_u32_e64 s[88:89], 14, v87
	v_cndmask_b32_e64 v48, v48, v45, s[30:31]
	v_cndmask_b32_e64 v73, v73, v29, s[30:31]
	;; [unrolled: 1-line block ×4, first 2 shown]
	v_cmp_eq_u32_e64 s[92:93], 15, v87
	v_cndmask_b32_e64 v48, v48, v46, s[6:7]
	v_cndmask_b32_e64 v73, v73, v30, s[6:7]
	v_cndmask_b32_e64 v71, v71, v14, s[6:7]
	v_cndmask_b32_e64 v74, v74, v49, s[92:93]
	v_cndmask_b32_e32 v48, v48, v47, vcc
	v_cndmask_b32_e32 v73, v73, v31, vcc
	;; [unrolled: 1-line block ×3, first 2 shown]
	ds_bpermute_b32 v74, v100, v74
	ds_bpermute_b32 v48, v100, v48
	;; [unrolled: 1-line block ×4, first 2 shown]
	v_cmp_eq_u32_e64 s[60:61], 0, v87
	s_waitcnt lgkmcnt(3)
	v_cndmask_b32_e64 v63, v63, v74, s[36:37]
	s_waitcnt lgkmcnt(2)
	v_cndmask_b32_e32 v47, v47, v48, vcc
	v_cndmask_b32_e64 v70, v70, v74, s[60:61]
	s_waitcnt lgkmcnt(1)
	v_cndmask_b32_e32 v31, v31, v73, vcc
	s_waitcnt lgkmcnt(0)
	v_cndmask_b32_e32 v15, v15, v71, vcc
	v_cmp_eq_u32_e32 vcc, 1, v88
	v_cndmask_b32_e64 v49, v49, v74, s[92:93]
	v_cndmask_b32_e64 v50, v50, v74, s[88:89]
	;; [unrolled: 1-line block ×14, first 2 shown]
	v_cndmask_b32_e32 v74, v70, v63, vcc
	v_cndmask_b32_e64 v46, v46, v48, s[6:7]
	v_cndmask_b32_e64 v30, v30, v73, s[6:7]
	;; [unrolled: 1-line block ×3, first 2 shown]
	v_cmp_eq_u32_e64 s[6:7], 2, v88
	v_cndmask_b32_e64 v1, v1, v71, s[34:35]
	v_cndmask_b32_e64 v0, v0, v71, s[8:9]
	;; [unrolled: 1-line block ×6, first 2 shown]
	v_cmp_eq_u32_e64 s[30:31], 3, v88
	v_cndmask_b32_e64 v12, v12, v71, s[10:11]
	v_cndmask_b32_e64 v11, v11, v71, s[12:13]
	;; [unrolled: 1-line block ×13, first 2 shown]
	v_cmp_eq_u32_e64 s[46:47], 4, v88
	v_cndmask_b32_e64 v71, v71, v2, s[40:41]
	v_cmp_eq_u32_e64 s[52:53], 5, v88
	v_cndmask_b32_e64 v74, v74, v60, s[46:47]
	v_cndmask_b32_e64 v71, v71, v3, s[42:43]
	;; [unrolled: 1-line block ×3, first 2 shown]
	v_cmp_eq_u32_e64 s[58:59], 6, v88
	v_cndmask_b32_e64 v71, v71, v4, s[44:45]
	v_cmp_eq_u32_e64 s[64:65], 7, v88
	v_cndmask_b32_e64 v74, v74, v58, s[58:59]
	v_cndmask_b32_e64 v33, v33, v48, s[34:35]
	;; [unrolled: 1-line block ×17, first 2 shown]
	v_cmp_eq_u32_e64 s[70:71], 8, v88
	v_cndmask_b32_e64 v39, v39, v48, s[90:91]
	v_cndmask_b32_e64 v23, v23, v73, s[90:91]
	;; [unrolled: 1-line block ×16, first 2 shown]
	v_cmp_eq_u32_e64 s[66:67], 9, v88
	v_cndmask_b32_e64 v48, v48, v34, s[40:41]
	v_cndmask_b32_e64 v73, v73, v18, s[40:41]
	v_cndmask_b32_e64 v71, v71, v7, s[68:69]
	v_cndmask_b32_e64 v74, v74, v55, s[66:67]
	v_cmp_eq_u32_e64 s[62:63], 10, v88
	v_cndmask_b32_e64 v48, v48, v35, s[42:43]
	v_cndmask_b32_e64 v73, v73, v19, s[42:43]
	v_cndmask_b32_e64 v71, v71, v8, s[72:73]
	v_cndmask_b32_e64 v74, v74, v54, s[62:63]
	;; [unrolled: 5-line block ×7, first 2 shown]
	v_cndmask_b32_e64 v48, v48, v41, s[74:75]
	v_cndmask_b32_e64 v73, v73, v25, s[74:75]
	;; [unrolled: 1-line block ×3, first 2 shown]
	ds_bpermute_b32 v74, v100, v74
	v_cndmask_b32_e64 v48, v48, v42, s[56:57]
	v_cndmask_b32_e64 v73, v73, v26, s[56:57]
	;; [unrolled: 1-line block ×5, first 2 shown]
	ds_bpermute_b32 v71, v100, v71
	v_cndmask_b32_e64 v48, v48, v44, s[80:81]
	v_cndmask_b32_e64 v73, v73, v28, s[80:81]
	;; [unrolled: 1-line block ×6, first 2 shown]
	v_cmp_eq_u32_e64 s[48:49], 0, v88
	s_waitcnt lgkmcnt(1)
	v_cndmask_b32_e32 v63, v63, v74, vcc
	v_cndmask_b32_e64 v48, v48, v47, s[92:93]
	v_cndmask_b32_e64 v73, v73, v31, s[92:93]
	;; [unrolled: 1-line block ×3, first 2 shown]
	v_cmp_eq_u32_e64 s[8:9], 1, v89
	v_cndmask_b32_e64 v49, v49, v74, s[94:95]
	v_cndmask_b32_e64 v50, v50, v74, s[90:91]
	;; [unrolled: 1-line block ×14, first 2 shown]
	ds_bpermute_b32 v48, v100, v48
	ds_bpermute_b32 v73, v100, v73
	s_waitcnt lgkmcnt(2)
	v_cndmask_b32_e64 v74, v15, v71, s[92:93]
	v_cndmask_b32_e64 v15, v70, v63, s[8:9]
	v_cmp_eq_u32_e64 s[10:11], 2, v89
	v_cndmask_b32_e64 v77, v14, v71, s[88:89]
	v_cmp_eq_u32_e64 s[12:13], 3, v89
	v_cndmask_b32_e64 v14, v15, v62, s[10:11]
	v_cndmask_b32_e64 v103, v13, v71, s[84:85]
	;; [unrolled: 1-line block ×3, first 2 shown]
	v_cmp_eq_u32_e64 s[14:15], 4, v89
	v_cndmask_b32_e64 v106, v12, v71, s[80:81]
	v_cmp_eq_u32_e64 s[16:17], 5, v89
	v_cndmask_b32_e64 v12, v13, v60, s[14:15]
	v_cndmask_b32_e64 v108, v11, v71, s[76:77]
	v_cndmask_b32_e64 v11, v12, v59, s[16:17]
	v_cmp_eq_u32_e64 s[18:19], 6, v89
	v_cndmask_b32_e64 v110, v10, v71, s[56:57]
	s_waitcnt lgkmcnt(1)
	v_cndmask_b32_e64 v41, v41, v48, s[74:75]
	v_cndmask_b32_e64 v10, v11, v58, s[18:19]
	s_waitcnt lgkmcnt(0)
	v_cndmask_b32_e64 v111, v25, v73, s[74:75]
	v_cndmask_b32_e64 v112, v9, v71, s[74:75]
	v_cmp_eq_u32_e64 s[74:75], 7, v89
	v_cndmask_b32_e64 v40, v40, v48, s[72:73]
	v_cndmask_b32_e64 v113, v24, v73, s[72:73]
	;; [unrolled: 1-line block ×4, first 2 shown]
	v_cmp_eq_u32_e64 s[72:73], 8, v89
	v_cndmask_b32_e64 v43, v43, v48, s[76:77]
	v_cndmask_b32_e64 v107, v27, v73, s[76:77]
	;; [unrolled: 1-line block ×3, first 2 shown]
	v_cmp_eq_u32_e64 s[76:77], 9, v89
	v_cndmask_b32_e64 v104, v44, v48, s[80:81]
	v_cndmask_b32_e64 v105, v28, v73, s[80:81]
	v_cndmask_b32_e64 v117, v7, v71, s[68:69]
	v_cndmask_b32_e64 v7, v8, v55, s[76:77]
	v_cmp_eq_u32_e64 s[80:81], 10, v89
	v_cndmask_b32_e64 v120, v6, v71, s[54:55]
	v_cmp_eq_u32_e64 s[28:29], 11, v89
	v_cndmask_b32_e64 v6, v7, v54, s[80:81]
	v_cndmask_b32_e64 v123, v5, v71, s[50:51]
	;; [unrolled: 1-line block ×3, first 2 shown]
	v_cmp_eq_u32_e64 s[34:35], 12, v89
	v_cndmask_b32_e64 v126, v4, v71, s[44:45]
	v_cmp_eq_u32_e64 s[38:39], 13, v89
	v_cndmask_b32_e64 v4, v5, v52, s[34:35]
	v_cndmask_b32_e64 v75, v46, v48, s[88:89]
	;; [unrolled: 1-line block ×7, first 2 shown]
	v_cmp_eq_u32_e64 s[40:41], 14, v89
	v_cndmask_b32_e64 v5, v17, v73, s[36:37]
	v_cndmask_b32_e64 v6, v1, v71, s[36:37]
	;; [unrolled: 1-line block ×7, first 2 shown]
	v_cndmask_b32_e32 v13, v12, v4, vcc
	v_cndmask_b32_e32 v15, v14, v5, vcc
	;; [unrolled: 1-line block ×3, first 2 shown]
	v_cndmask_b32_e64 v91, v35, v48, s[42:43]
	v_cndmask_b32_e64 v92, v19, v73, s[42:43]
	;; [unrolled: 1-line block ×33, first 2 shown]
	v_cmp_eq_u32_e64 s[56:57], 15, v89
	v_cndmask_b32_e64 v13, v13, v41, s[66:67]
	v_cndmask_b32_e64 v15, v15, v111, s[66:67]
	;; [unrolled: 1-line block ×7, first 2 shown]
	ds_bpermute_b32 v17, v100, v1
	v_cndmask_b32_e64 v13, v13, v43, s[78:79]
	v_cndmask_b32_e64 v15, v15, v107, s[78:79]
	;; [unrolled: 1-line block ×20, first 2 shown]
	v_cmp_eq_u32_e64 s[54:55], 0, v89
	s_waitcnt lgkmcnt(0)
	v_cndmask_b32_e64 v25, v56, v17, s[72:73]
	v_cndmask_b32_e64 v22, v63, v17, s[8:9]
	ds_bpermute_b32 v13, v100, v13
	ds_bpermute_b32 v15, v100, v15
	;; [unrolled: 1-line block ×3, first 2 shown]
	v_cndmask_b32_e64 v0, v70, v17, s[54:55]
	v_cmp_eq_u32_e64 s[36:37], 1, v90
	v_cndmask_b32_e64 v7, v49, v17, s[56:57]
	v_cndmask_b32_e64 v8, v50, v17, s[40:41]
	;; [unrolled: 1-line block ×14, first 2 shown]
	v_cmp_eq_u32_e64 s[42:43], 2, v90
	v_cmp_eq_u32_e64 s[44:45], 3, v90
	;; [unrolled: 1-line block ×3, first 2 shown]
	v_cndmask_b32_e64 v19, v17, v21, s[42:43]
	v_cndmask_b32_e64 v35, v19, v2, s[44:45]
	;; [unrolled: 1-line block ×3, first 2 shown]
	v_cmp_eq_u32_e64 s[60:61], 5, v90
	s_waitcnt lgkmcnt(2)
	v_cndmask_b32_e64 v57, v42, v13, s[62:63]
	s_waitcnt lgkmcnt(0)
	v_cndmask_b32_e64 v48, v110, v56, s[62:63]
	v_cndmask_b32_e64 v38, v37, v28, s[60:61]
	;; [unrolled: 1-line block ×3, first 2 shown]
	v_cmp_eq_u32_e64 s[62:63], 6, v90
	v_cndmask_b32_e64 v58, v41, v13, s[66:67]
	v_cndmask_b32_e64 v49, v112, v56, s[66:67]
	v_cndmask_b32_e64 v39, v38, v27, s[62:63]
	v_cndmask_b32_e64 v38, v111, v15, s[66:67]
	v_cmp_eq_u32_e64 s[66:67], 7, v90
	v_cmp_eq_u32_e64 s[68:69], 8, v90
	v_cndmask_b32_e64 v59, v40, v13, s[70:71]
	v_cndmask_b32_e64 v41, v39, v26, s[66:67]
	;; [unrolled: 1-line block ×6, first 2 shown]
	v_cmp_eq_u32_e64 s[64:65], 9, v90
	v_cndmask_b32_e64 v61, v118, v13, s[58:59]
	v_cndmask_b32_e64 v52, v120, v56, s[58:59]
	;; [unrolled: 1-line block ×4, first 2 shown]
	v_cmp_eq_u32_e64 s[58:59], 10, v90
	v_cndmask_b32_e64 v29, v47, v13, s[94:95]
	v_cndmask_b32_e64 v47, v43, v13, s[78:79]
	v_cndmask_b32_e64 v43, v42, v23, s[58:59]
	v_cndmask_b32_e64 v62, v121, v13, s[52:53]
	v_cndmask_b32_e64 v42, v122, v15, s[52:53]
	v_cndmask_b32_e64 v53, v123, v56, s[52:53]
	v_cmp_eq_u32_e64 s[52:53], 11, v90
	v_cndmask_b32_e64 v63, v124, v13, s[46:47]
	v_cndmask_b32_e64 v54, v126, v56, s[46:47]
	v_cndmask_b32_e64 v55, v43, v11, s[52:53]
	v_cndmask_b32_e64 v43, v125, v15, s[46:47]
	v_cmp_eq_u32_e64 s[46:47], 12, v90
	v_cndmask_b32_e64 v70, v91, v13, s[30:31]
	v_cndmask_b32_e64 v71, v92, v15, s[30:31]
	v_cndmask_b32_e64 v69, v55, v10, s[46:47]
	v_cndmask_b32_e64 v55, v93, v56, s[30:31]
	v_cmp_eq_u32_e64 s[30:31], 13, v90
	v_cndmask_b32_e64 v68, v68, v13, s[6:7]
	v_cndmask_b32_e64 v46, v46, v15, s[6:7]
	v_cndmask_b32_e64 v69, v69, v9, s[30:31]
	v_cndmask_b32_e64 v73, v3, v56, s[6:7]
	v_cmp_eq_u32_e64 s[6:7], 14, v90
	v_cndmask_b32_e64 v18, v74, v56, s[94:95]
	v_cndmask_b32_e64 v30, v75, v13, s[90:91]
	;; [unrolled: 1-line block ×3, first 2 shown]
	v_cndmask_b32_e32 v69, v4, v13, vcc
	v_cndmask_b32_e32 v74, v5, v15, vcc
	v_cndmask_b32_e32 v75, v6, v56, vcc
	v_cmp_eq_u32_e32 vcc, 15, v90
	v_cndmask_b32_e64 v32, v77, v56, s[90:91]
	v_cndmask_b32_e64 v77, v12, v13, s[48:49]
	v_cndmask_b32_e32 v3, v3, v7, vcc
	v_cndmask_b32_e64 v16, v76, v15, s[90:91]
	ds_bpermute_b32 v76, v100, v3
	v_cndmask_b32_e64 v3, v77, v69, s[8:9]
	v_cndmask_b32_e64 v3, v3, v68, s[10:11]
	;; [unrolled: 1-line block ×15, first 2 shown]
	s_waitcnt lgkmcnt(0)
	v_cndmask_b32_e64 v6, v27, v76, s[62:63]
	v_cndmask_b32_e64 v3, v3, v45, s[34:35]
	;; [unrolled: 1-line block ×11, first 2 shown]
	ds_bpermute_b32 v23, v100, v3
	v_cndmask_b32_e64 v27, v27, v42, s[16:17]
	v_cndmask_b32_e64 v27, v27, v41, s[18:19]
	;; [unrolled: 1-line block ×14, first 2 shown]
	v_cndmask_b32_e32 v15, v7, v76, vcc
	v_cndmask_b32_e64 v7, v26, v76, s[66:67]
	s_waitcnt lgkmcnt(0)
	v_cndmask_b32_e64 v26, v47, v23, s[28:29]
	v_cndmask_b32_e64 v44, v57, v23, s[80:81]
	;; [unrolled: 1-line block ×36, first 2 shown]
	ds_bpermute_b32 v69, v100, v27
	v_cndmask_b32_e64 v27, v56, v75, s[8:9]
	v_cndmask_b32_e64 v23, v23, v57, s[66:67]
	;; [unrolled: 1-line block ×18, first 2 shown]
	v_cndmask_b32_e32 v23, v23, v21, vcc
	v_cndmask_b32_e64 v27, v27, v35, s[28:29]
	ds_bpermute_b32 v77, v100, v23
	v_cndmask_b32_e64 v27, v27, v34, s[34:35]
	v_cndmask_b32_e64 v27, v27, v33, s[38:39]
	;; [unrolled: 1-line block ×4, first 2 shown]
	v_cmp_eq_u32_e64 s[48:49], 0, v90
	v_cndmask_b32_e64 v11, v11, v76, s[52:53]
	v_cndmask_b32_e64 v5, v28, v76, s[60:61]
	ds_bpermute_b32 v70, v100, v27
	s_waitcnt lgkmcnt(2)
	v_cndmask_b32_e64 v92, v20, v69, s[56:57]
	v_cndmask_b32_e64 v0, v0, v76, s[48:49]
	s_waitcnt lgkmcnt(1)
	v_cndmask_b32_e32 v31, v21, v77, vcc
	v_cndmask_b32_e64 v30, v22, v77, s[6:7]
	v_cndmask_b32_e64 v28, v25, v77, s[46:47]
	;; [unrolled: 1-line block ×38, first 2 shown]
	v_cndmask_b32_e32 v16, v16, v92, vcc
	ds_bpermute_b32 v91, v100, v16
	s_waitcnt lgkmcnt(1)
	v_cndmask_b32_e64 v93, v18, v70, s[56:57]
	v_cndmask_b32_e64 v29, v24, v77, s[30:31]
	;; [unrolled: 1-line block ×7, first 2 shown]
	s_waitcnt lgkmcnt(0)
	v_cndmask_b32_e64 v46, v44, v91, s[6:7]
	v_cndmask_b32_e64 v44, v57, v91, s[46:47]
	;; [unrolled: 1-line block ×37, first 2 shown]
	v_cndmask_b32_e32 v32, v32, v93, vcc
	v_cndmask_b32_e32 v47, v92, v91, vcc
	ds_bpermute_b32 v92, v100, v32
	v_readlane_b32 s71, v127, 25
	v_cndmask_b32_e64 v45, v45, v91, s[30:31]
	v_cndmask_b32_e64 v33, v74, v91, s[36:37]
	v_readlane_b32 s28, v127, 10
	s_waitcnt lgkmcnt(0)
	v_cndmask_b32_e64 v62, v57, v92, s[6:7]
	v_readlane_b32 s6, v127, 27
	v_cndmask_b32_e64 v61, v58, v92, s[30:31]
	v_cndmask_b32_e64 v57, v49, v92, s[64:65]
	;; [unrolled: 1-line block ×3, first 2 shown]
	v_readlane_b32 s7, v127, 28
	v_readlane_b32 s30, v127, 12
	;; [unrolled: 1-line block ×3, first 2 shown]
	s_mov_b32 s1, 0
	s_max_i32 s70, s71, 0
	v_subrev_u32_e32 v101, s99, v101
	v_cndmask_b32_e64 v42, v37, v91, s[58:59]
	v_cndmask_b32_e64 v37, v60, v91, s[60:61]
	;; [unrolled: 1-line block ×5, first 2 shown]
	v_cndmask_b32_e32 v63, v93, v92, vcc
	v_cndmask_b32_e64 v60, v59, v92, s[46:47]
	v_cndmask_b32_e64 v59, v68, v92, s[52:53]
	;; [unrolled: 1-line block ×11, first 2 shown]
	v_lshl_add_u64 v[70:71], s[6:7], 0, v[64:65]
	s_mov_b64 s[6:7], 0
	s_mov_b32 s16, 0
	v_readlane_b32 s29, v127, 11
	v_readlane_b32 s31, v127, 13
	;; [unrolled: 1-line block ×10, first 2 shown]
	s_mov_b64 s[42:43], 0x80
	s_mov_b64 s[44:45], 0xc0
	v_readlane_b32 s46, v127, 26
                                        ; implicit-def: $sgpr8_sgpr9
	s_branch .LBB107_32
.LBB107_30:                             ;   in Loop: Header=BB107_32 Depth=2
	s_or_b64 exec, exec, s[12:13]
	s_andn2_b64 s[8:9], s[8:9], exec
	s_and_b64 s[12:13], s[14:15], exec
	s_or_b64 s[8:9], s[8:9], s[12:13]
.LBB107_31:                             ;   in Loop: Header=BB107_32 Depth=2
	s_or_b64 exec, exec, s[10:11]
	s_and_b64 s[10:11], exec, s[8:9]
	s_or_b64 s[6:7], s[10:11], s[6:7]
	s_andn2_b64 exec, exec, s[6:7]
	s_cbranch_execz .LBB107_35
.LBB107_32:                             ;   Parent Loop BB107_7 Depth=1
                                        ; =>  This Inner Loop Header: Depth=2
	s_and_b32 s12, s1, 24
	v_or_b32_e32 v73, s12, v98
	v_add_u32_e32 v68, s70, v73
	v_cmp_gt_u32_e32 vcc, 32, v68
	s_or_b64 s[8:9], s[8:9], exec
	s_and_saveexec_b64 s[10:11], vcc
	s_cbranch_execz .LBB107_31
; %bb.33:                               ;   in Loop: Header=BB107_32 Depth=2
	s_add_i32 s13, s16, 1
	s_set_gpr_idx_on s16, gpr_idx(SRC0)
	v_mov_b32_e32 v68, v0
	s_set_gpr_idx_off
	v_cvt_f16_f32_e32 v68, v68
	s_set_gpr_idx_on s13, gpr_idx(SRC0)
	v_mov_b32_e32 v69, v0
	s_set_gpr_idx_off
	v_cvt_f16_f32_sdwa v69, v69 dst_sel:WORD_1 dst_unused:UNUSED_PAD src0_sel:DWORD
	v_mul_lo_u32 v74, v73, s21
	v_ashrrev_i32_e32 v75, 31, v74
	v_lshl_add_u64 v[74:75], v[74:75], 1, v[70:71]
	v_or_b32_e32 v68, v69, v68
	;;#ASMSTART
	global_atomic_pk_add_f16 v[74:75], v68, off
	
	;;#ASMEND
	s_set_gpr_idx_on s16, gpr_idx(SRC0)
	v_mov_b32_e32 v68, v16
	s_set_gpr_idx_off
	v_cvt_f16_f32_e32 v68, v68
	s_set_gpr_idx_on s13, gpr_idx(SRC0)
	v_mov_b32_e32 v69, v16
	s_set_gpr_idx_off
	v_cvt_f16_f32_sdwa v69, v69 dst_sel:WORD_1 dst_unused:UNUSED_PAD src0_sel:DWORD
	v_lshl_add_u64 v[76:77], v[74:75], 0, 64
	v_or_b32_e32 v73, s12, v99
	s_mov_b64 s[14:15], -1
	v_or_b32_e32 v68, v69, v68
	;;#ASMSTART
	global_atomic_pk_add_f16 v[76:77], v68, off
	
	;;#ASMEND
	s_set_gpr_idx_on s16, gpr_idx(SRC0)
	v_mov_b32_e32 v68, v32
	s_set_gpr_idx_off
	v_cvt_f16_f32_e32 v68, v68
	s_set_gpr_idx_on s13, gpr_idx(SRC0)
	v_mov_b32_e32 v69, v32
	s_set_gpr_idx_off
	v_cvt_f16_f32_sdwa v69, v69 dst_sel:WORD_1 dst_unused:UNUSED_PAD src0_sel:DWORD
	v_lshl_add_u64 v[76:77], v[74:75], 0, s[42:43]
	v_lshl_add_u64 v[74:75], v[74:75], 0, s[44:45]
	v_or_b32_e32 v68, v69, v68
	;;#ASMSTART
	global_atomic_pk_add_f16 v[76:77], v68, off
	
	;;#ASMEND
	s_set_gpr_idx_on s16, gpr_idx(SRC0)
	v_mov_b32_e32 v68, v48
	s_set_gpr_idx_off
	v_cvt_f16_f32_e32 v68, v68
	s_set_gpr_idx_on s13, gpr_idx(SRC0)
	v_mov_b32_e32 v69, v48
	s_set_gpr_idx_off
	v_cvt_f16_f32_sdwa v69, v69 dst_sel:WORD_1 dst_unused:UNUSED_PAD src0_sel:DWORD
	s_nop 0
	v_or_b32_e32 v68, v69, v68
	;;#ASMSTART
	global_atomic_pk_add_f16 v[74:75], v68, off
	
	;;#ASMEND
	v_add_u32_e32 v68, s70, v73
	v_cmp_gt_u32_e32 vcc, 32, v68
	s_and_saveexec_b64 s[12:13], vcc
	s_cbranch_execz .LBB107_30
; %bb.34:                               ;   in Loop: Header=BB107_32 Depth=2
	s_add_i32 s14, s16, 2
	s_add_i32 s15, s16, 3
	s_set_gpr_idx_on s14, gpr_idx(SRC0)
	v_mov_b32_e32 v68, v0
	s_set_gpr_idx_off
	v_cvt_f16_f32_e32 v68, v68
	s_set_gpr_idx_on s15, gpr_idx(SRC0)
	v_mov_b32_e32 v69, v0
	s_set_gpr_idx_off
	v_cvt_f16_f32_sdwa v69, v69 dst_sel:WORD_1 dst_unused:UNUSED_PAD src0_sel:DWORD
	v_mul_lo_u32 v74, v73, s21
	v_ashrrev_i32_e32 v75, 31, v74
	v_lshl_add_u64 v[74:75], v[74:75], 1, v[70:71]
	v_or_b32_e32 v68, v69, v68
	;;#ASMSTART
	global_atomic_pk_add_f16 v[74:75], v68, off
	
	;;#ASMEND
	s_set_gpr_idx_on s14, gpr_idx(SRC0)
	v_mov_b32_e32 v68, v16
	s_set_gpr_idx_off
	v_cvt_f16_f32_e32 v68, v68
	s_set_gpr_idx_on s15, gpr_idx(SRC0)
	v_mov_b32_e32 v69, v16
	s_set_gpr_idx_off
	v_cvt_f16_f32_sdwa v69, v69 dst_sel:WORD_1 dst_unused:UNUSED_PAD src0_sel:DWORD
	v_lshl_add_u64 v[76:77], v[74:75], 0, 64
	s_add_i32 s16, s16, 4
	s_add_i32 s1, s1, 8
	v_or_b32_e32 v68, v69, v68
	;;#ASMSTART
	global_atomic_pk_add_f16 v[76:77], v68, off
	
	;;#ASMEND
	s_set_gpr_idx_on s14, gpr_idx(SRC0)
	v_mov_b32_e32 v68, v32
	s_set_gpr_idx_off
	v_cvt_f16_f32_e32 v68, v68
	s_set_gpr_idx_on s15, gpr_idx(SRC0)
	v_mov_b32_e32 v69, v32
	s_set_gpr_idx_off
	v_cvt_f16_f32_sdwa v69, v69 dst_sel:WORD_1 dst_unused:UNUSED_PAD src0_sel:DWORD
	v_lshl_add_u64 v[76:77], v[74:75], 0, s[42:43]
	s_cmp_eq_u32 s16, 16
	v_lshl_add_u64 v[74:75], v[74:75], 0, s[44:45]
	v_or_b32_e32 v68, v69, v68
	;;#ASMSTART
	global_atomic_pk_add_f16 v[76:77], v68, off
	
	;;#ASMEND
	s_set_gpr_idx_on s14, gpr_idx(SRC0)
	v_mov_b32_e32 v68, v48
	s_set_gpr_idx_off
	v_cvt_f16_f32_e32 v68, v68
	s_set_gpr_idx_on s15, gpr_idx(SRC0)
	v_mov_b32_e32 v69, v48
	s_set_gpr_idx_off
	v_cvt_f16_f32_sdwa v69, v69 dst_sel:WORD_1 dst_unused:UNUSED_PAD src0_sel:DWORD
	s_cselect_b64 s[14:15], -1, 0
	s_orn2_b64 s[14:15], s[14:15], exec
	v_or_b32_e32 v68, v69, v68
	;;#ASMSTART
	global_atomic_pk_add_f16 v[74:75], v68, off
	
	;;#ASMEND
	s_branch .LBB107_30
.LBB107_35:                             ;   in Loop: Header=BB107_7 Depth=1
	s_or_b64 exec, exec, s[6:7]
	v_readlane_b32 s72, v127, 2
	v_readlane_b32 s8, v127, 23
	;; [unrolled: 1-line block ×12, first 2 shown]
.LBB107_36:                             ;   in Loop: Header=BB107_7 Depth=1
	s_or_b64 exec, exec, s[8:9]
.LBB107_37:                             ;   in Loop: Header=BB107_7 Depth=1
	s_andn2_saveexec_b64 s[2:3], s[2:3]
	s_cbranch_execz .LBB107_46
; %bb.38:                               ;   in Loop: Header=BB107_7 Depth=1
	s_lshl_b32 s12, s99, 2
	v_cmp_gt_i32_e32 vcc, s12, v101
	s_and_saveexec_b64 s[6:7], vcc
	s_cbranch_execz .LBB107_45
; %bb.39:                               ;   in Loop: Header=BB107_7 Depth=1
	scratch_load_dwordx2 v[0:1], off, off   ; 8-byte Folded Reload
	s_mul_i32 s0, s0, s23
	s_ashr_i32 s1, s0, 31
	s_add_u32 s0, s74, s0
	s_addc_u32 s1, s75, s1
	s_ashr_i32 s8, s46, 31
	s_add_u32 s0, s0, s46
	s_addc_u32 s1, s1, s8
	s_waitcnt vmcnt(0)
	v_lshl_add_u64 v[0:1], s[0:1], 0, v[0:1]
	v_lshl_add_u64 v[8:9], v[0:1], 0, v[66:67]
	s_mov_b64 s[0:1], 0
	s_branch .LBB107_41
.LBB107_40:                             ;   in Loop: Header=BB107_41 Depth=2
	s_or_b64 exec, exec, s[8:9]
	v_lshl_or_b32 v12, v10, 11, v94
	;;#ASMSTART
	s_waitcnt vmcnt(1)
	;;#ASMEND
	ds_write2_b32 v12, v4, v5 offset1:32
	ds_write2_b32 v12, v6, v7 offset0:64 offset1:96
	v_add_u32_e32 v4, 0x400, v12
	v_add_u32_e32 v101, s26, v101
	;;#ASMSTART
	s_waitcnt vmcnt(0)
	;;#ASMEND
	ds_write2_b32 v4, v0, v1 offset1:32
	ds_write2_b32 v4, v2, v3 offset0:64 offset1:96
	v_add_u32_e32 v0, 1, v79
	v_add_u32_e32 v72, s26, v10
	v_cmp_le_i32_e32 vcc, s12, v101
	ds_write_b32 v11, v0 offset:16
	v_add_u32_e32 v0, 2, v79
	s_or_b64 s[0:1], vcc, s[0:1]
	v_cmp_lt_i32_e32 vcc, 15, v72
	s_nop 1
	v_cndmask_b32_e32 v79, v79, v0, vcc
	s_andn2_b64 exec, exec, s[0:1]
	s_cbranch_execz .LBB107_44
.LBB107_41:                             ;   Parent Loop BB107_7 Depth=1
                                        ; =>  This Loop Header: Depth=2
                                        ;       Child Loop BB107_43 Depth 3
	v_cmp_gt_i32_e32 vcc, 16, v72
	s_nop 1
	v_cndmask_b32_e64 v0, -16, 0, vcc
	v_add_u32_e32 v10, v0, v72
	v_ashrrev_i32_e32 v0, 31, v101
	v_lshrrev_b32_e32 v0, 30, v0
	v_add_u32_e32 v0, v101, v0
	v_and_b32_e32 v1, -4, v0
	v_lshlrev_b32_e32 v0, 4, v0
	v_sub_u32_e32 v2, v101, v1
	v_and_b32_e32 v0, 0xffffffc0, v0
	v_ashrrev_i32_e32 v1, 31, v0
	v_mul_lo_u32 v2, s24, v2
	v_lshl_add_u64 v[0:1], v[8:9], 0, v[0:1]
	v_ashrrev_i32_e32 v3, 31, v2
	v_lshl_add_u64 v[0:1], v[0:1], 0, v[2:3]
	v_lshlrev_b32_e32 v11, 2, v10
	;;#ASMSTART
	global_load_dwordx4 v[4:7], v[0:1], off offset:0   sc0 sc1 nt  
	global_load_dwordx4 v[0:3], v[0:1], off offset:32  sc0 sc1 nt  
	
	;;#ASMEND
	ds_read_b32 v12, v11 offset:40976
	v_add_u32_e32 v11, 0xa000, v11
	s_waitcnt lgkmcnt(0)
	v_cmp_ne_u32_e32 vcc, v12, v79
	s_and_saveexec_b64 s[8:9], vcc
	s_cbranch_execz .LBB107_40
; %bb.42:                               ;   in Loop: Header=BB107_41 Depth=2
	s_mov_b64 s[10:11], 0
.LBB107_43:                             ;   Parent Loop BB107_7 Depth=1
                                        ;     Parent Loop BB107_41 Depth=2
                                        ; =>    This Inner Loop Header: Depth=3
	;;#ASMSTART
	s_sleep 0
	;;#ASMEND
	ds_read_b32 v12, v11 offset:16
	s_waitcnt lgkmcnt(0)
	v_cmp_eq_u32_e32 vcc, v12, v79
	s_or_b64 s[10:11], vcc, s[10:11]
	s_andn2_b64 exec, exec, s[10:11]
	s_cbranch_execnz .LBB107_43
	s_branch .LBB107_40
.LBB107_44:                             ;   in Loop: Header=BB107_7 Depth=1
	s_or_b64 exec, exec, s[0:1]
.LBB107_45:                             ;   in Loop: Header=BB107_7 Depth=1
	s_or_b64 exec, exec, s[6:7]
	v_subrev_u32_e32 v101, s12, v101
.LBB107_46:                             ;   in Loop: Header=BB107_7 Depth=1
	s_or_b64 exec, exec, s[2:3]
.LBB107_47:                             ;   in Loop: Header=BB107_7 Depth=1
	s_andn2_saveexec_b64 s[0:1], s[4:5]
	s_cbranch_execz .LBB107_6
; %bb.48:                               ;   in Loop: Header=BB107_7 Depth=1
	v_cmp_gt_i32_e32 vcc, s99, v101
	s_and_saveexec_b64 s[2:3], vcc
	s_cbranch_execz .LBB107_5
; %bb.49:                               ;   in Loop: Header=BB107_7 Depth=1
	s_mul_i32 s96, s96, s22
	s_ashr_i32 s4, s96, 31
	s_add_u32 s5, s72, s96
	s_addc_u32 s6, s73, s4
	s_ashr_i32 s7, s46, 31
	v_cmp_le_i32_e32 vcc, s71, v95
	s_add_u32 s4, s5, s46
	s_addc_u32 s5, s6, s7
	v_cndmask_b32_e32 v0, 0, v96, vcc
	v_ashrrev_i32_e32 v1, 31, v0
	v_lshl_add_u64 v[0:1], s[4:5], 0, v[0:1]
	v_lshl_add_u64 v[8:9], v[0:1], 0, v[66:67]
	s_mov_b64 s[4:5], 0
	s_branch .LBB107_51
.LBB107_50:                             ;   in Loop: Header=BB107_51 Depth=2
	s_or_b64 exec, exec, s[6:7]
	v_lshl_add_u32 v12, v10, 11, v97
	;;#ASMSTART
	s_waitcnt vmcnt(1)
	;;#ASMEND
	ds_write2_b32 v12, v4, v5 offset1:32
	ds_write2_b32 v12, v6, v7 offset0:64 offset1:96
	v_add_u32_e32 v4, 0x400, v12
	v_add_u32_e32 v101, s25, v101
	;;#ASMSTART
	s_waitcnt vmcnt(0)
	;;#ASMEND
	ds_write2_b32 v4, v0, v1 offset1:32
	ds_write2_b32 v4, v2, v3 offset0:64 offset1:96
	v_add_u32_e32 v0, 1, v79
	v_add_u32_e32 v72, s25, v10
	v_cmp_le_i32_e32 vcc, s99, v101
	ds_write_b32 v11, v0
	v_add_u32_e32 v0, 2, v79
	s_or_b64 s[4:5], vcc, s[4:5]
	v_cmp_lt_i32_e32 vcc, 3, v72
	s_nop 1
	v_cndmask_b32_e32 v79, v79, v0, vcc
	s_andn2_b64 exec, exec, s[4:5]
	s_cbranch_execz .LBB107_4
.LBB107_51:                             ;   Parent Loop BB107_7 Depth=1
                                        ; =>  This Loop Header: Depth=2
                                        ;       Child Loop BB107_53 Depth 3
	v_cmp_gt_i32_e32 vcc, 4, v72
	s_nop 1
	v_cndmask_b32_e64 v0, -4, 0, vcc
	v_add_u32_e32 v10, v0, v72
	v_lshlrev_b32_e32 v0, 6, v101
	v_ashrrev_i32_e32 v1, 31, v0
	v_lshl_add_u64 v[0:1], v[8:9], 0, v[0:1]
	v_lshlrev_b32_e32 v11, 2, v10
	;;#ASMSTART
	global_load_dwordx4 v[4:7], v[0:1], off offset:0   
	global_load_dwordx4 v[0:3], v[0:1], off offset:32  
	
	;;#ASMEND
	ds_read_b32 v12, v11 offset:40960
	v_add_u32_e32 v11, 0xa000, v11
	s_waitcnt lgkmcnt(0)
	v_cmp_ne_u32_e32 vcc, v12, v79
	s_and_saveexec_b64 s[6:7], vcc
	s_cbranch_execz .LBB107_50
; %bb.52:                               ;   in Loop: Header=BB107_51 Depth=2
	s_mov_b64 s[8:9], 0
.LBB107_53:                             ;   Parent Loop BB107_7 Depth=1
                                        ;     Parent Loop BB107_51 Depth=2
                                        ; =>    This Inner Loop Header: Depth=3
	;;#ASMSTART
	s_sleep 0
	;;#ASMEND
	ds_read_b32 v12, v11
	s_waitcnt lgkmcnt(0)
	v_cmp_eq_u32_e32 vcc, v12, v79
	s_or_b64 s[8:9], vcc, s[8:9]
	s_andn2_b64 exec, exec, s[8:9]
	s_cbranch_execnz .LBB107_53
	s_branch .LBB107_50
.LBB107_54:
	s_endpgm
	.section	.rodata,"a",@progbits
	.p2align	6, 0x0
	.amdhsa_kernel _Z19_skinny_gemm_kernelILi1ELi4ELi4ELi32ELi4EEvPKhS1_P6__halfPKfiiiiiiii
		.amdhsa_group_segment_fixed_size 41040
		.amdhsa_private_segment_fixed_size 12
		.amdhsa_kernarg_size 64
		.amdhsa_user_sgpr_count 2
		.amdhsa_user_sgpr_dispatch_ptr 0
		.amdhsa_user_sgpr_queue_ptr 0
		.amdhsa_user_sgpr_kernarg_segment_ptr 1
		.amdhsa_user_sgpr_dispatch_id 0
		.amdhsa_user_sgpr_kernarg_preload_length 0
		.amdhsa_user_sgpr_kernarg_preload_offset 0
		.amdhsa_user_sgpr_private_segment_size 0
		.amdhsa_uses_dynamic_stack 0
		.amdhsa_enable_private_segment 1
		.amdhsa_system_sgpr_workgroup_id_x 1
		.amdhsa_system_sgpr_workgroup_id_y 0
		.amdhsa_system_sgpr_workgroup_id_z 0
		.amdhsa_system_sgpr_workgroup_info 0
		.amdhsa_system_vgpr_workitem_id 0
		.amdhsa_next_free_vgpr 128
		.amdhsa_next_free_sgpr 100
		.amdhsa_accum_offset 128
		.amdhsa_reserve_vcc 1
		.amdhsa_float_round_mode_32 0
		.amdhsa_float_round_mode_16_64 0
		.amdhsa_float_denorm_mode_32 3
		.amdhsa_float_denorm_mode_16_64 3
		.amdhsa_dx10_clamp 1
		.amdhsa_ieee_mode 1
		.amdhsa_fp16_overflow 0
		.amdhsa_tg_split 0
		.amdhsa_exception_fp_ieee_invalid_op 0
		.amdhsa_exception_fp_denorm_src 0
		.amdhsa_exception_fp_ieee_div_zero 0
		.amdhsa_exception_fp_ieee_overflow 0
		.amdhsa_exception_fp_ieee_underflow 0
		.amdhsa_exception_fp_ieee_inexact 0
		.amdhsa_exception_int_div_zero 0
	.end_amdhsa_kernel
	.section	.text._Z19_skinny_gemm_kernelILi1ELi4ELi4ELi32ELi4EEvPKhS1_P6__halfPKfiiiiiiii,"axG",@progbits,_Z19_skinny_gemm_kernelILi1ELi4ELi4ELi32ELi4EEvPKhS1_P6__halfPKfiiiiiiii,comdat
.Lfunc_end107:
	.size	_Z19_skinny_gemm_kernelILi1ELi4ELi4ELi32ELi4EEvPKhS1_P6__halfPKfiiiiiiii, .Lfunc_end107-_Z19_skinny_gemm_kernelILi1ELi4ELi4ELi32ELi4EEvPKhS1_P6__halfPKfiiiiiiii
                                        ; -- End function
	.set _Z19_skinny_gemm_kernelILi1ELi4ELi4ELi32ELi4EEvPKhS1_P6__halfPKfiiiiiiii.num_vgpr, 128
	.set _Z19_skinny_gemm_kernelILi1ELi4ELi4ELi32ELi4EEvPKhS1_P6__halfPKfiiiiiiii.num_agpr, 0
	.set _Z19_skinny_gemm_kernelILi1ELi4ELi4ELi32ELi4EEvPKhS1_P6__halfPKfiiiiiiii.numbered_sgpr, 100
	.set _Z19_skinny_gemm_kernelILi1ELi4ELi4ELi32ELi4EEvPKhS1_P6__halfPKfiiiiiiii.num_named_barrier, 0
	.set _Z19_skinny_gemm_kernelILi1ELi4ELi4ELi32ELi4EEvPKhS1_P6__halfPKfiiiiiiii.private_seg_size, 12
	.set _Z19_skinny_gemm_kernelILi1ELi4ELi4ELi32ELi4EEvPKhS1_P6__halfPKfiiiiiiii.uses_vcc, 1
	.set _Z19_skinny_gemm_kernelILi1ELi4ELi4ELi32ELi4EEvPKhS1_P6__halfPKfiiiiiiii.uses_flat_scratch, 0
	.set _Z19_skinny_gemm_kernelILi1ELi4ELi4ELi32ELi4EEvPKhS1_P6__halfPKfiiiiiiii.has_dyn_sized_stack, 0
	.set _Z19_skinny_gemm_kernelILi1ELi4ELi4ELi32ELi4EEvPKhS1_P6__halfPKfiiiiiiii.has_recursion, 0
	.set _Z19_skinny_gemm_kernelILi1ELi4ELi4ELi32ELi4EEvPKhS1_P6__halfPKfiiiiiiii.has_indirect_call, 0
	.section	.AMDGPU.csdata,"",@progbits
; Kernel info:
; codeLenInByte = 14032
; TotalNumSgprs: 106
; NumVgprs: 128
; NumAgprs: 0
; TotalNumVgprs: 128
; ScratchSize: 12
; MemoryBound: 0
; FloatMode: 240
; IeeeMode: 1
; LDSByteSize: 41040 bytes/workgroup (compile time only)
; SGPRBlocks: 13
; VGPRBlocks: 15
; NumSGPRsForWavesPerEU: 106
; NumVGPRsForWavesPerEU: 128
; AccumOffset: 128
; Occupancy: 4
; WaveLimiterHint : 0
; COMPUTE_PGM_RSRC2:SCRATCH_EN: 1
; COMPUTE_PGM_RSRC2:USER_SGPR: 2
; COMPUTE_PGM_RSRC2:TRAP_HANDLER: 0
; COMPUTE_PGM_RSRC2:TGID_X_EN: 1
; COMPUTE_PGM_RSRC2:TGID_Y_EN: 0
; COMPUTE_PGM_RSRC2:TGID_Z_EN: 0
; COMPUTE_PGM_RSRC2:TIDIG_COMP_CNT: 0
; COMPUTE_PGM_RSRC3_GFX90A:ACCUM_OFFSET: 31
; COMPUTE_PGM_RSRC3_GFX90A:TG_SPLIT: 0
	.section	.text._Z19_skinny_gemm_kernelILi1ELi4ELi5ELi16ELi4EEvPKhS1_P6__halfPKfiiiiiiii,"axG",@progbits,_Z19_skinny_gemm_kernelILi1ELi4ELi5ELi16ELi4EEvPKhS1_P6__halfPKfiiiiiiii,comdat
	.protected	_Z19_skinny_gemm_kernelILi1ELi4ELi5ELi16ELi4EEvPKhS1_P6__halfPKfiiiiiiii ; -- Begin function _Z19_skinny_gemm_kernelILi1ELi4ELi5ELi16ELi4EEvPKhS1_P6__halfPKfiiiiiiii
	.globl	_Z19_skinny_gemm_kernelILi1ELi4ELi5ELi16ELi4EEvPKhS1_P6__halfPKfiiiiiiii
	.p2align	8
	.type	_Z19_skinny_gemm_kernelILi1ELi4ELi5ELi16ELi4EEvPKhS1_P6__halfPKfiiiiiiii,@function
_Z19_skinny_gemm_kernelILi1ELi4ELi5ELi16ELi4EEvPKhS1_P6__halfPKfiiiiiiii: ; @_Z19_skinny_gemm_kernelILi1ELi4ELi5ELi16ELi4EEvPKhS1_P6__halfPKfiiiiiiii
; %bb.0:
	v_cmp_gt_u32_e32 vcc, 25, v0
	v_lshlrev_b32_e32 v1, 2, v0
	s_and_saveexec_b64 s[4:5], vcc
; %bb.1:
	v_mov_b32_e32 v2, 0
	ds_write_b32 v1, v2 offset:51200
; %bb.2:
	s_or_b64 exec, exec, s[4:5]
	s_load_dwordx8 s[20:27], s[0:1], 0x20
	s_waitcnt lgkmcnt(0)
	s_barrier
	s_add_i32 s3, s20, 15
	s_ashr_i32 s5, s3, 31
	s_add_i32 s4, s21, 63
	s_lshr_b32 s5, s5, 28
	s_ashr_i32 s6, s4, 31
	s_add_i32 s3, s3, s5
	s_ashr_i32 s33, s3, 4
	s_lshr_b32 s3, s6, 26
	s_add_i32 s4, s4, s3
	s_ashr_i32 s50, s4, 6
	s_mul_i32 s3, s50, s33
	s_mul_i32 s3, s3, s24
	s_add_i32 s4, s3, 0x12f
	s_mul_hi_i32 s4, s4, 0x6bca1af3
	s_lshr_b32 s5, s4, 31
	s_ashr_i32 s4, s4, 7
	s_add_i32 s4, s4, s5
	s_add_i32 s5, s2, 1
	s_mul_i32 s5, s4, s5
	v_cvt_f64_i32_e32 v[2:3], s3
	v_cvt_f64_u32_e32 v[4:5], s5
	v_min_f64 v[2:3], v[2:3], v[4:5]
	v_cvt_i32_f64_e32 v17, v[2:3]
	s_mul_i32 s51, s4, s2
	v_cmp_ge_i32_e32 vcc, s51, v17
	s_cbranch_vccnz .LBB108_51
; %bb.3:
	v_lshrrev_b32_e32 v2, 6, v0
	s_add_i32 s4, s26, s25
	s_load_dwordx8 s[36:43], s[0:1], 0x0
	v_cmp_le_i32_e64 s[0:1], s4, v2
	v_mov_b32_e32 v3, s25
	v_cmp_le_i32_e64 s[2:3], s25, v2
	v_mov_b32_e32 v4, s26
	v_cndmask_b32_e64 v4, 0, v4, s[0:1]
	v_cndmask_b32_e64 v3, 0, v3, s[2:3]
	s_abs_i32 s5, s24
	v_add_u32_e32 v3, v3, v4
	v_cvt_f32_u32_e32 v4, s5
	v_sub_u32_e32 v24, v2, v3
	s_ashr_i32 s6, s22, 31
	s_lshr_b32 s6, s6, 25
	v_rcp_iflag_f32_e32 v3, v4
	s_sub_i32 s9, 0, s5
	s_add_i32 s6, s22, s6
	s_ashr_i32 s6, s6, 7
	v_mul_f32_e32 v3, 0x4f7ffffe, v3
	v_cvt_u32_f32_e32 v3, v3
	s_abs_i32 s8, s6
	s_xor_b32 s7, s6, s24
	s_ashr_i32 s7, s7, 31
	v_readfirstlane_b32 s10, v3
	s_mul_i32 s9, s9, s10
	s_mul_hi_u32 s9, s10, s9
	s_add_i32 s10, s10, s9
	s_mul_hi_u32 s9, s8, s10
	s_mul_i32 s10, s9, s5
	s_sub_i32 s8, s8, s10
	s_add_i32 s10, s9, 1
	s_sub_i32 s11, s8, s5
	s_cmp_ge_u32 s8, s5
	s_cselect_b32 s9, s10, s9
	s_cselect_b32 s8, s11, s8
	s_add_i32 s10, s9, 1
	s_cmp_ge_u32 s8, s5
	s_cselect_b32 s5, s10, s9
	s_xor_b32 s5, s5, s7
	s_sub_i32 s52, s5, s7
	s_add_i32 s24, s24, -1
	s_mul_i32 s5, s52, s24
	s_add_i32 s4, s4, s27
	s_sub_i32 s53, s6, s5
	v_cmp_gt_i32_e64 s[4:5], s4, v2
	v_lshlrev_b32_e32 v2, 1, v0
	v_lshlrev_b32_e32 v3, 4, v0
	v_and_b32_e32 v1, 60, v1
	v_and_b32_e32 v2, 64, v2
	;; [unrolled: 1-line block ×3, first 2 shown]
	s_abs_i32 s54, s33
	v_or3_b32 v39, v1, v2, v4
	v_and_b32_e32 v1, 1, v0
	v_cvt_f32_u32_e32 v6, s54
	v_lshlrev_b32_e32 v2, 1, v1
	v_lshrrev_b32_e32 v4, 2, v0
	v_and_b32_e32 v16, 14, v0
	v_sub_u32_e32 v2, v0, v2
	v_and_or_b32 v41, v4, 12, v1
	v_bitop3_b32 v42, v0, 1, v0 bitop3:0xc
	v_bitop3_b32 v43, v0, 3, 1 bitop3:0x6c
	v_and_b32_e32 v20, 48, v3
	v_bfe_u32 v1, v0, 2, 4
	v_and_b32_e32 v3, 60, v0
	v_lshlrev_b32_e32 v5, 8, v0
	v_lshlrev_b32_e32 v0, 6, v0
	v_and_b32_e32 v5, 0x200, v5
	v_and_b32_e32 v0, 64, v0
	v_or3_b32 v47, v3, v5, v0
	v_rcp_iflag_f32_e32 v0, v6
	s_abs_i32 s56, s50
	v_mul_lo_u32 v22, s23, v1
	v_mul_lo_u32 v49, s22, v1
	v_cvt_f32_u32_e32 v1, s56
	v_mul_f32_e32 v0, 0x4f7ffffe, v0
	v_cvt_u32_f32_e32 v0, v0
	v_mad_u64_u32 v[18:19], s[6:7], s21, v41, v[16:17]
	v_rcp_iflag_f32_e32 v1, v1
	v_readfirstlane_b32 s7, v0
	s_sub_i32 s6, 0, s54
	s_mul_i32 s6, s6, s7
	v_mul_f32_e32 v0, 0x4f7ffffe, v1
	v_cvt_u32_f32_e32 v0, v0
	s_mul_hi_u32 s6, s7, s6
	v_add_u32_e32 v2, 1, v2
	s_add_i32 s58, s7, s6
	s_sub_i32 s6, 0, s56
	v_readfirstlane_b32 s7, v0
	v_mbcnt_lo_u32_b32 v0, -1, 0
	v_and_b32_e32 v2, 63, v2
	s_mul_i32 s6, s6, s7
	v_mbcnt_hi_u32_b32 v0, -1, v0
	s_mul_hi_u32 s6, s7, s6
	v_and_or_b32 v0, v0, 64, v2
	v_cndmask_b32_e64 v38, 0, 1, s[0:1]
	v_or_b32_e32 v40, 0xa000, v39
	v_or_b32_e32 v44, 16, v16
	;; [unrolled: 1-line block ×4, first 2 shown]
	v_ashrrev_i32_e32 v19, 31, v18
	s_ashr_i32 s29, s21, 31
	s_mov_b32 s28, s21
	v_ashrrev_i32_e32 v23, 31, v22
	v_mov_b32_e32 v21, 0
	s_lshl_b32 s55, s23, 4
	v_bitop3_b32 v48, v4, 15, v4 bitop3:0xc
	v_or_b32_e32 v50, 0xa000, v47
	s_ashr_i32 s57, s33, 31
	s_ashr_i32 s59, s50, 31
	s_add_i32 s60, s7, s6
	s_mov_b64 s[30:31], 0x60
	v_lshlrev_b32_e32 v51, 2, v0
	v_not_b32_e32 v52, 19
	v_mov_b32_e32 v53, v24
	s_branch .LBB108_7
.LBB108_4:                              ;   in Loop: Header=BB108_7 Depth=1
	s_or_b64 exec, exec, s[10:11]
.LBB108_5:                              ;   in Loop: Header=BB108_7 Depth=1
	s_or_b64 exec, exec, s[8:9]
	v_subrev_u32_e32 v53, s61, v53
.LBB108_6:                              ;   in Loop: Header=BB108_7 Depth=1
	s_or_b64 exec, exec, s[6:7]
	s_add_i32 s51, s51, 1
	v_cmp_ge_i32_e32 vcc, s51, v17
	s_cbranch_vccnz .LBB108_51
.LBB108_7:                              ; =>This Loop Header: Depth=1
                                        ;     Child Loop BB108_13 Depth 2
                                        ;       Child Loop BB108_15 Depth 3
                                        ;       Child Loop BB108_18 Depth 3
	;; [unrolled: 1-line block ×5, first 2 shown]
                                        ;     Child Loop BB108_38 Depth 2
                                        ;       Child Loop BB108_40 Depth 3
                                        ;     Child Loop BB108_48 Depth 2
                                        ;       Child Loop BB108_50 Depth 3
	s_abs_i32 s7, s51
	s_mul_hi_u32 s8, s7, s58
	s_mul_i32 s9, s8, s54
	s_ashr_i32 s6, s51, 31
	s_sub_i32 s7, s7, s9
	s_xor_b32 s6, s6, s57
	s_add_i32 s9, s8, 1
	s_sub_i32 s10, s7, s54
	s_cmp_ge_u32 s7, s54
	s_cselect_b32 s8, s9, s8
	s_cselect_b32 s7, s10, s7
	s_add_i32 s9, s8, 1
	s_cmp_ge_u32 s7, s54
	s_cselect_b32 s7, s9, s8
	s_xor_b32 s7, s7, s6
	s_sub_i32 s6, s7, s6
	s_abs_i32 s8, s6
	s_mul_i32 s7, s6, s33
	s_mul_hi_u32 s9, s8, s60
	s_sub_i32 s7, s51, s7
	s_mul_i32 s10, s9, s56
	s_lshl_b32 s62, s7, 4
	s_ashr_i32 s7, s6, 31
	s_sub_i32 s8, s8, s10
	s_xor_b32 s7, s7, s59
	s_add_i32 s10, s9, 1
	s_sub_i32 s11, s8, s56
	s_cmp_ge_u32 s8, s56
	s_cselect_b32 s9, s10, s9
	s_cselect_b32 s8, s11, s8
	s_add_i32 s10, s9, 1
	s_cmp_ge_u32 s8, s56
	s_cselect_b32 s8, s10, s9
	s_xor_b32 s8, s8, s7
	s_sub_i32 s7, s8, s7
	s_mul_i32 s8, s7, s52
	s_lshl_b32 s63, s8, 7
	s_cmp_eq_u32 s7, s24
	s_cselect_b32 s61, s53, s52
	s_sub_i32 s64, s62, s20
	s_add_i32 s64, s64, 16
	s_and_saveexec_b64 s[8:9], s[2:3]
	s_xor_b64 s[34:35], exec, s[8:9]
	s_cbranch_execz .LBB108_44
; %bb.8:                                ;   in Loop: Header=BB108_7 Depth=1
	s_mul_i32 s7, s7, s50
	s_sub_i32 s6, s6, s7
	s_lshl_b32 s6, s6, 6
	s_sub_i32 s45, s6, s21
	s_add_i32 s45, s45, 64
	s_max_i32 s7, s45, 0
	s_sub_i32 s44, s6, s7
	s_and_saveexec_b64 s[6:7], s[0:1]
	s_xor_b64 s[46:47], exec, s[6:7]
	s_cbranch_execz .LBB108_34
; %bb.9:                                ;   in Loop: Header=BB108_7 Depth=1
	s_and_saveexec_b64 s[48:49], s[4:5]
	s_cbranch_execz .LBB108_33
; %bb.10:                               ;   in Loop: Header=BB108_7 Depth=1
	s_waitcnt lgkmcnt(0)
	global_load_dword v54, v21, s[42:43]
	v_mov_b32_e32 v15, 0
	v_cmp_gt_i32_e32 vcc, s61, v53
	v_mov_b32_e32 v14, v15
	v_mov_b32_e32 v13, v15
	;; [unrolled: 1-line block ×15, first 2 shown]
	s_and_saveexec_b64 s[6:7], vcc
	s_cbranch_execz .LBB108_29
; %bb.11:                               ;   in Loop: Header=BB108_7 Depth=1
	v_mov_b32_e32 v0, 0
	s_mov_b64 s[8:9], 0
	v_mov_b32_e32 v1, v0
	v_mov_b32_e32 v2, v0
	v_mov_b32_e32 v3, v0
	v_mov_b32_e32 v4, v0
	v_mov_b32_e32 v5, v0
	v_mov_b32_e32 v6, v0
	v_mov_b32_e32 v7, v0
	v_mov_b32_e32 v8, v0
	v_mov_b32_e32 v9, v0
	v_mov_b32_e32 v10, v0
	v_mov_b32_e32 v11, v0
	v_mov_b32_e32 v12, v0
	v_mov_b32_e32 v13, v0
	v_mov_b32_e32 v14, v0
	v_mov_b32_e32 v15, v0
	s_branch .LBB108_13
.LBB108_12:                             ;   in Loop: Header=BB108_13 Depth=2
	s_or_b64 exec, exec, s[10:11]
	v_add_u32_e32 v33, 0x1800, v32
	ds_read2_b32 v[34:35], v33 offset1:32
	v_add_u32_e32 v53, s27, v53
	v_cmp_le_i32_e32 vcc, s61, v53
	s_or_b64 s[8:9], vcc, s[8:9]
	s_waitcnt lgkmcnt(0)
	v_mfma_f32_16x16x32_fp8_fp8 v[0:3], v[26:27], v[34:35], v[0:3]
	ds_read2_b32 v[26:27], v33 offset0:128 offset1:160
	v_add_u32_e32 v34, 0x1c00, v32
	ds_read2_b32 v[32:33], v34 offset1:32
	s_waitcnt lgkmcnt(1)
	v_mfma_f32_16x16x32_fp8_fp8 v[0:3], v[24:25], v[26:27], v[0:3]
	ds_read2_b32 v[26:27], v34 offset0:128 offset1:160
	v_add_u32_e32 v24, s27, v56
	v_add_u32_e32 v25, 2, v38
	s_waitcnt lgkmcnt(1)
	v_mfma_f32_16x16x32_fp8_fp8 v[0:3], v[30:31], v[32:33], v[0:3]
	v_cmp_lt_i32_e32 vcc, 4, v24
	;;#ASMSTART
	s_waitcnt lgkmcnt(0)
	;;#ASMEND
	ds_write_b32 v55, v57 offset:51232
	s_waitcnt lgkmcnt(1)
	v_mfma_f32_16x16x32_fp8_fp8 v[0:3], v[28:29], v[26:27], v[0:3]
	v_cndmask_b32_e32 v38, v38, v25, vcc
	s_andn2_b64 exec, exec, s[8:9]
	s_cbranch_execz .LBB108_28
.LBB108_13:                             ;   Parent Loop BB108_7 Depth=1
                                        ; =>  This Loop Header: Depth=2
                                        ;       Child Loop BB108_15 Depth 3
                                        ;       Child Loop BB108_18 Depth 3
	;; [unrolled: 1-line block ×5, first 2 shown]
	v_cmp_gt_i32_e32 vcc, 5, v24
	s_nop 1
	v_cndmask_b32_e64 v25, -5, 0, vcc
	v_add_u32_e32 v56, v25, v24
	v_lshlrev_b32_e32 v55, 4, v56
	ds_read_b32 v24, v55 offset:51220
	s_waitcnt lgkmcnt(0)
	v_cmp_ne_u32_e32 vcc, v24, v38
	s_and_saveexec_b64 s[10:11], vcc
	s_cbranch_execz .LBB108_16
; %bb.14:                               ;   in Loop: Header=BB108_13 Depth=2
	s_mov_b64 s[12:13], 0
.LBB108_15:                             ;   Parent Loop BB108_7 Depth=1
                                        ;     Parent Loop BB108_13 Depth=2
                                        ; =>    This Inner Loop Header: Depth=3
	;;#ASMSTART
	s_sleep 0
	;;#ASMEND
	ds_read_b32 v24, v55 offset:51220
	s_waitcnt lgkmcnt(0)
	v_cmp_eq_u32_e32 vcc, v24, v38
	s_or_b64 s[12:13], vcc, s[12:13]
	s_andn2_b64 exec, exec, s[12:13]
	s_cbranch_execnz .LBB108_15
.LBB108_16:                             ;   in Loop: Header=BB108_13 Depth=2
	s_or_b64 exec, exec, s[10:11]
	v_lshlrev_b32_e32 v58, 13, v56
	v_or_b32_e32 v24, v39, v58
	ds_read2_b32 v[28:29], v24 offset1:32
	ds_read2_b32 v[32:33], v24 offset0:128 offset1:160
	v_add_u32_e32 v24, 0x400, v24
	v_add_u32_e32 v57, 1, v38
	ds_read2_b32 v[36:37], v24 offset1:32
	ds_read2_b32 v[34:35], v24 offset0:128 offset1:160
	;;#ASMSTART
	s_waitcnt lgkmcnt(0)
	;;#ASMEND
	ds_write_b32 v55, v57 offset:51220
	v_lshlrev_b32_e32 v24, 2, v56
	ds_read_b32 v25, v24 offset:51200
	v_add_u32_e32 v59, 0xc800, v24
	s_waitcnt lgkmcnt(0)
	v_cmp_ne_u32_e32 vcc, v25, v38
	s_and_saveexec_b64 s[10:11], vcc
	s_cbranch_execz .LBB108_19
; %bb.17:                               ;   in Loop: Header=BB108_13 Depth=2
	s_mov_b64 s[12:13], 0
.LBB108_18:                             ;   Parent Loop BB108_7 Depth=1
                                        ;     Parent Loop BB108_13 Depth=2
                                        ; =>    This Inner Loop Header: Depth=3
	;;#ASMSTART
	s_sleep 0
	;;#ASMEND
	ds_read_b32 v24, v59
	s_waitcnt lgkmcnt(0)
	v_cmp_eq_u32_e32 vcc, v24, v38
	s_or_b64 s[12:13], vcc, s[12:13]
	s_andn2_b64 exec, exec, s[12:13]
	s_cbranch_execnz .LBB108_18
.LBB108_19:                             ;   in Loop: Header=BB108_13 Depth=2
	s_or_b64 exec, exec, s[10:11]
	v_lshl_add_u32 v30, v56, 11, v40
	ds_read2_b32 v[26:27], v30 offset1:32
	ds_read2_b32 v[24:25], v30 offset0:128 offset1:160
	v_add_u32_e32 v60, 0x400, v30
	ds_read2_b32 v[30:31], v60 offset1:32
	ds_write_b32 v59, v57
	s_waitcnt lgkmcnt(3)
	v_mfma_f32_16x16x32_fp8_fp8 v[12:15], v[26:27], v[28:29], v[12:15]
	ds_read2_b32 v[28:29], v60 offset0:128 offset1:160
	s_waitcnt lgkmcnt(3)
	v_mfma_f32_16x16x32_fp8_fp8 v[12:15], v[24:25], v[32:33], v[12:15]
	ds_read_b32 v32, v55 offset:51224
	s_waitcnt lgkmcnt(0)
	v_cmp_ne_u32_e32 vcc, v32, v38
	v_mfma_f32_16x16x32_fp8_fp8 v[12:15], v[30:31], v[36:37], v[12:15]
	v_mfma_f32_16x16x32_fp8_fp8 v[12:15], v[28:29], v[34:35], v[12:15]
	s_and_saveexec_b64 s[10:11], vcc
	s_cbranch_execz .LBB108_22
; %bb.20:                               ;   in Loop: Header=BB108_13 Depth=2
	s_mov_b64 s[12:13], 0
.LBB108_21:                             ;   Parent Loop BB108_7 Depth=1
                                        ;     Parent Loop BB108_13 Depth=2
                                        ; =>    This Inner Loop Header: Depth=3
	;;#ASMSTART
	s_sleep 0
	;;#ASMEND
	ds_read_b32 v32, v55 offset:51224
	s_waitcnt lgkmcnt(0)
	v_cmp_eq_u32_e32 vcc, v32, v38
	s_or_b64 s[12:13], vcc, s[12:13]
	s_andn2_b64 exec, exec, s[12:13]
	s_cbranch_execnz .LBB108_21
.LBB108_22:                             ;   in Loop: Header=BB108_13 Depth=2
	s_or_b64 exec, exec, s[10:11]
	v_add_u32_e32 v32, v39, v58
	v_add_u32_e32 v33, 0x800, v32
	ds_read2_b32 v[34:35], v33 offset1:32
	s_waitcnt lgkmcnt(0)
	v_mfma_f32_16x16x32_fp8_fp8 v[8:11], v[26:27], v[34:35], v[8:11]
	ds_read2_b32 v[34:35], v33 offset0:128 offset1:160
	v_add_u32_e32 v33, 0xc00, v32
	s_waitcnt lgkmcnt(0)
	v_mfma_f32_16x16x32_fp8_fp8 v[8:11], v[24:25], v[34:35], v[8:11]
	ds_read2_b32 v[34:35], v33 offset1:32
	ds_read2_b32 v[36:37], v33 offset0:128 offset1:160
	;;#ASMSTART
	s_waitcnt lgkmcnt(0)
	;;#ASMEND
	ds_read_b32 v33, v55 offset:51228
	s_waitcnt lgkmcnt(2)
	v_mfma_f32_16x16x32_fp8_fp8 v[8:11], v[30:31], v[34:35], v[8:11]
	ds_write_b32 v55, v57 offset:51224
	s_waitcnt lgkmcnt(1)
	v_cmp_ne_u32_e32 vcc, v33, v38
	v_mfma_f32_16x16x32_fp8_fp8 v[8:11], v[28:29], v[36:37], v[8:11]
	s_and_saveexec_b64 s[10:11], vcc
	s_cbranch_execz .LBB108_25
; %bb.23:                               ;   in Loop: Header=BB108_13 Depth=2
	s_mov_b64 s[12:13], 0
.LBB108_24:                             ;   Parent Loop BB108_7 Depth=1
                                        ;     Parent Loop BB108_13 Depth=2
                                        ; =>    This Inner Loop Header: Depth=3
	;;#ASMSTART
	s_sleep 0
	;;#ASMEND
	ds_read_b32 v33, v55 offset:51228
	s_waitcnt lgkmcnt(0)
	v_cmp_eq_u32_e32 vcc, v33, v38
	s_or_b64 s[12:13], vcc, s[12:13]
	s_andn2_b64 exec, exec, s[12:13]
	s_cbranch_execnz .LBB108_24
.LBB108_25:                             ;   in Loop: Header=BB108_13 Depth=2
	s_or_b64 exec, exec, s[10:11]
	v_add_u32_e32 v33, 0x1000, v32
	ds_read2_b32 v[34:35], v33 offset1:32
	s_waitcnt lgkmcnt(0)
	v_mfma_f32_16x16x32_fp8_fp8 v[4:7], v[26:27], v[34:35], v[4:7]
	ds_read2_b32 v[34:35], v33 offset0:128 offset1:160
	v_add_u32_e32 v33, 0x1400, v32
	s_waitcnt lgkmcnt(0)
	v_mfma_f32_16x16x32_fp8_fp8 v[4:7], v[24:25], v[34:35], v[4:7]
	ds_read2_b32 v[34:35], v33 offset1:32
	ds_read2_b32 v[36:37], v33 offset0:128 offset1:160
	;;#ASMSTART
	s_waitcnt lgkmcnt(0)
	;;#ASMEND
	ds_read_b32 v33, v55 offset:51232
	s_waitcnt lgkmcnt(2)
	v_mfma_f32_16x16x32_fp8_fp8 v[4:7], v[30:31], v[34:35], v[4:7]
	ds_write_b32 v55, v57 offset:51228
	s_waitcnt lgkmcnt(1)
	v_cmp_ne_u32_e32 vcc, v33, v38
	v_mfma_f32_16x16x32_fp8_fp8 v[4:7], v[28:29], v[36:37], v[4:7]
	s_and_saveexec_b64 s[10:11], vcc
	s_cbranch_execz .LBB108_12
; %bb.26:                               ;   in Loop: Header=BB108_13 Depth=2
	s_mov_b64 s[12:13], 0
.LBB108_27:                             ;   Parent Loop BB108_7 Depth=1
                                        ;     Parent Loop BB108_13 Depth=2
                                        ; =>    This Inner Loop Header: Depth=3
	;;#ASMSTART
	s_sleep 0
	;;#ASMEND
	ds_read_b32 v33, v55 offset:51232
	s_waitcnt lgkmcnt(0)
	v_cmp_eq_u32_e32 vcc, v33, v38
	s_or_b64 s[12:13], vcc, s[12:13]
	s_andn2_b64 exec, exec, s[12:13]
	s_cbranch_execnz .LBB108_27
	s_branch .LBB108_12
.LBB108_28:                             ;   in Loop: Header=BB108_7 Depth=1
	s_or_b64 exec, exec, s[8:9]
.LBB108_29:                             ;   in Loop: Header=BB108_7 Depth=1
	s_or_b64 exec, exec, s[6:7]
	v_cmp_le_i32_e32 vcc, s45, v16
	v_cmp_eq_u32_e64 s[6:7], 2, v42
	v_cmp_eq_u32_e64 s[8:9], 3, v42
	s_waitcnt vmcnt(0)
	v_cndmask_b32_e32 v26, 0, v54, vcc
	v_pk_mul_f32 v[14:15], v[26:27], v[14:15] op_sel_hi:[0,1]
	v_pk_mul_f32 v[26:27], v[26:27], v[12:13] op_sel_hi:[0,1]
	v_cmp_eq_u32_e32 vcc, 1, v42
	v_cmp_eq_u32_e64 s[10:11], 0, v42
	v_cmp_le_i32_e64 s[14:15], s45, v44
	v_cndmask_b32_e32 v12, v26, v27, vcc
	v_cndmask_b32_e64 v12, v12, v14, s[6:7]
	v_cndmask_b32_e64 v12, v12, v15, s[8:9]
	ds_bpermute_b32 v25, v51, v12
	v_cmp_eq_u32_e64 s[12:13], 1, v43
	v_cmp_le_i32_e64 s[18:19], s45, v45
	v_cmp_eq_u32_e64 s[16:17], 3, v43
	s_waitcnt lgkmcnt(0)
	v_cndmask_b32_e64 v12, v15, v25, s[8:9]
	v_cndmask_b32_e64 v15, v26, v25, s[10:11]
	v_cndmask_b32_e64 v26, 0, v54, s[14:15]
	v_cndmask_b32_e64 v13, v14, v25, s[6:7]
	v_cndmask_b32_e32 v14, v27, v25, vcc
	v_pk_mul_f32 v[10:11], v[26:27], v[10:11] op_sel_hi:[0,1]
	v_pk_mul_f32 v[26:27], v[26:27], v[8:9] op_sel_hi:[0,1]
	v_cndmask_b32_e32 v8, v26, v27, vcc
	v_cndmask_b32_e64 v8, v8, v10, s[6:7]
	v_cndmask_b32_e64 v8, v8, v11, s[8:9]
	ds_bpermute_b32 v28, v51, v8
	v_cndmask_b32_e64 v25, v15, v14, s[12:13]
	v_cmp_eq_u32_e64 s[14:15], 2, v43
	s_waitcnt lgkmcnt(0)
	v_cndmask_b32_e64 v9, v11, v28, s[8:9]
	v_cndmask_b32_e64 v8, v25, v13, s[14:15]
	;; [unrolled: 1-line block ×3, first 2 shown]
	v_cndmask_b32_e32 v25, v27, v28, vcc
	v_cndmask_b32_e64 v26, v26, v28, s[10:11]
	v_cndmask_b32_e64 v28, 0, v54, s[18:19]
	v_pk_mul_f32 v[30:31], v[28:29], v[4:5] op_sel_hi:[0,1]
	v_pk_mul_f32 v[6:7], v[28:29], v[6:7] op_sel_hi:[0,1]
	v_cndmask_b32_e32 v4, v30, v31, vcc
	v_cndmask_b32_e64 v4, v4, v6, s[6:7]
	v_cndmask_b32_e64 v4, v4, v7, s[8:9]
	ds_bpermute_b32 v11, v51, v4
	v_cmp_le_i32_e64 s[18:19], s45, v46
	v_cndmask_b32_e64 v4, v26, v25, s[12:13]
	v_cndmask_b32_e64 v4, v4, v10, s[14:15]
	;; [unrolled: 1-line block ×3, first 2 shown]
	s_waitcnt lgkmcnt(0)
	v_cndmask_b32_e64 v29, v30, v11, s[10:11]
	v_cndmask_b32_e64 v30, 0, v54, s[18:19]
	v_cndmask_b32_e32 v28, v31, v11, vcc
	v_pk_mul_f32 v[32:33], v[30:31], v[2:3] op_sel_hi:[0,1]
	v_pk_mul_f32 v[30:31], v[30:31], v[0:1] op_sel_hi:[0,1]
	v_cndmask_b32_e32 v0, v30, v31, vcc
	v_cndmask_b32_e64 v0, v0, v32, s[6:7]
	v_cndmask_b32_e64 v0, v0, v33, s[8:9]
	ds_bpermute_b32 v1, v51, v0
	v_cndmask_b32_e64 v6, v6, v11, s[6:7]
	v_cndmask_b32_e64 v0, v29, v28, s[12:13]
	;; [unrolled: 1-line block ×5, first 2 shown]
	v_cmp_ne_u32_e32 vcc, 0, v42
	ds_bpermute_b32 v2, v51, v0
	s_waitcnt lgkmcnt(1)
	v_cndmask_b32_e64 v3, v33, v1, s[8:9]
	v_cndmask_b32_e64 v7, v32, v1, s[6:7]
	v_cndmask_b32_e32 v0, v31, v1, vcc
	v_cndmask_b32_e64 v1, v30, v1, s[10:11]
	v_cndmask_b32_e64 v11, v1, v0, s[12:13]
	v_cndmask_b32_e64 v11, v11, v7, s[14:15]
	v_cndmask_b32_e64 v4, v4, v9, s[16:17]
	v_cndmask_b32_e64 v11, v11, v3, s[16:17]
	ds_bpermute_b32 v8, v51, v8
	ds_bpermute_b32 v4, v51, v4
	;; [unrolled: 1-line block ×3, first 2 shown]
	s_max_i32 s6, s64, 0
	v_add_u32_e32 v27, s6, v41
	v_cmp_gt_u32_e32 vcc, 16, v27
	s_and_saveexec_b64 s[12:13], vcc
	s_cbranch_execz .LBB108_32
; %bb.30:                               ;   in Loop: Header=BB108_7 Depth=1
	v_cmp_eq_u32_e64 s[8:9], 1, v43
	v_cmp_eq_u32_e64 s[10:11], 0, v43
	v_cmp_eq_u32_e32 vcc, 3, v43
	s_waitcnt lgkmcnt(2)
	v_cndmask_b32_e64 v14, v14, v8, s[8:9]
	s_waitcnt lgkmcnt(1)
	v_cndmask_b32_e64 v25, v25, v4, s[8:9]
	v_cndmask_b32_e64 v28, v28, v2, s[8:9]
	s_waitcnt lgkmcnt(0)
	v_cndmask_b32_e64 v30, v0, v11, s[8:9]
	s_mul_i32 s8, s62, s21
	s_ashr_i32 s9, s8, 31
	s_lshl_b64 s[8:9], s[8:9], 1
	v_cndmask_b32_e64 v15, v15, v8, s[10:11]
	v_cndmask_b32_e64 v26, v26, v4, s[10:11]
	;; [unrolled: 1-line block ×4, first 2 shown]
	s_add_u32 s10, s40, s8
	s_addc_u32 s11, s41, s9
	s_ashr_i32 s45, s44, 31
	v_cvt_f16_f32_e32 v15, v15
	v_cvt_f16_f32_sdwa v14, v14 dst_sel:WORD_1 dst_unused:UNUSED_PAD src0_sel:DWORD
	v_cvt_f16_f32_e32 v26, v26
	v_cvt_f16_f32_sdwa v25, v25 dst_sel:WORD_1 dst_unused:UNUSED_PAD src0_sel:DWORD
	s_lshl_b64 s[8:9], s[44:45], 1
	s_add_u32 s8, s10, s8
	s_addc_u32 s9, s11, s9
	v_lshl_add_u64 v[0:1], v[18:19], 1, s[8:9]
	v_or_b32_e32 v14, v14, v15
	v_or_b32_e32 v25, v25, v26
	;;#ASMSTART
	global_atomic_pk_add_f16 v[0:1], v14, off
	
	;;#ASMEND
	v_lshl_add_u64 v[14:15], v[0:1], 0, 32
	;;#ASMSTART
	global_atomic_pk_add_f16 v[14:15], v25, off
	
	;;#ASMEND
	v_cvt_f16_f32_e32 v25, v29
	v_cvt_f16_f32_sdwa v26, v28 dst_sel:WORD_1 dst_unused:UNUSED_PAD src0_sel:DWORD
	v_cvt_f16_f32_e32 v28, v31
	v_cvt_f16_f32_sdwa v29, v30 dst_sel:WORD_1 dst_unused:UNUSED_PAD src0_sel:DWORD
	v_cmp_eq_u32_e64 s[6:7], 2, v43
	v_lshl_add_u64 v[14:15], v[0:1], 0, 64
	v_or_b32_e32 v25, v26, v25
	v_cmp_gt_u32_e64 s[8:9], 14, v27
	;;#ASMSTART
	global_atomic_pk_add_f16 v[14:15], v25, off
	
	;;#ASMEND
	v_lshl_add_u64 v[14:15], v[0:1], 0, s[30:31]
	v_or_b32_e32 v25, v29, v28
	;;#ASMSTART
	global_atomic_pk_add_f16 v[14:15], v25, off
	
	;;#ASMEND
	s_and_b64 exec, exec, s[8:9]
	s_cbranch_execz .LBB108_32
; %bb.31:                               ;   in Loop: Header=BB108_7 Depth=1
	v_cndmask_b32_e32 v12, v12, v8, vcc
	v_cndmask_b32_e64 v8, v13, v8, s[6:7]
	v_cndmask_b32_e32 v9, v9, v4, vcc
	v_cndmask_b32_e64 v4, v10, v4, s[6:7]
	;; [unrolled: 2-line block ×3, first 2 shown]
	v_cndmask_b32_e32 v10, v3, v11, vcc
	v_cvt_f16_f32_e32 v2, v8
	v_cvt_f16_f32_sdwa v3, v12 dst_sel:WORD_1 dst_unused:UNUSED_PAD src0_sel:DWORD
	v_cvt_f16_f32_e32 v4, v4
	v_cvt_f16_f32_sdwa v8, v9 dst_sel:WORD_1 dst_unused:UNUSED_PAD src0_sel:DWORD
	v_cndmask_b32_e64 v7, v7, v11, s[6:7]
	v_lshl_add_u64 v[0:1], s[28:29], 2, v[0:1]
	v_or_b32_e32 v2, v3, v2
	v_or_b32_e32 v4, v8, v4
	;;#ASMSTART
	global_atomic_pk_add_f16 v[0:1], v2, off
	
	;;#ASMEND
	v_lshl_add_u64 v[2:3], v[0:1], 0, 32
	;;#ASMSTART
	global_atomic_pk_add_f16 v[2:3], v4, off
	
	;;#ASMEND
	v_cvt_f16_f32_e32 v4, v6
	v_cvt_f16_f32_sdwa v5, v5 dst_sel:WORD_1 dst_unused:UNUSED_PAD src0_sel:DWORD
	v_cvt_f16_f32_e32 v6, v7
	v_cvt_f16_f32_sdwa v7, v10 dst_sel:WORD_1 dst_unused:UNUSED_PAD src0_sel:DWORD
	v_lshl_add_u64 v[2:3], v[0:1], 0, 64
	v_or_b32_e32 v4, v5, v4
	;;#ASMSTART
	global_atomic_pk_add_f16 v[2:3], v4, off
	
	;;#ASMEND
	v_lshl_add_u64 v[0:1], v[0:1], 0, s[30:31]
	v_or_b32_e32 v2, v7, v6
	;;#ASMSTART
	global_atomic_pk_add_f16 v[0:1], v2, off
	
	;;#ASMEND
.LBB108_32:                             ;   in Loop: Header=BB108_7 Depth=1
	s_or_b64 exec, exec, s[12:13]
	v_subrev_u32_e32 v53, s61, v53
.LBB108_33:                             ;   in Loop: Header=BB108_7 Depth=1
	s_or_b64 exec, exec, s[48:49]
.LBB108_34:                             ;   in Loop: Header=BB108_7 Depth=1
	s_andn2_saveexec_b64 s[6:7], s[46:47]
	s_cbranch_execz .LBB108_43
; %bb.35:                               ;   in Loop: Header=BB108_7 Depth=1
	s_lshl_b32 s16, s61, 2
	v_cmp_gt_i32_e32 vcc, s16, v53
	s_and_saveexec_b64 s[8:9], vcc
	s_cbranch_execz .LBB108_42
; %bb.36:                               ;   in Loop: Header=BB108_7 Depth=1
	s_mul_i32 s10, s44, s23
	s_ashr_i32 s11, s10, 31
	s_waitcnt lgkmcnt(0)
	s_add_u32 s10, s38, s10
	s_addc_u32 s11, s39, s11
	s_ashr_i32 s12, s63, 31
	s_add_u32 s10, s10, s63
	s_addc_u32 s11, s11, s12
	v_lshl_add_u64 v[0:1], s[10:11], 0, v[22:23]
	v_lshl_add_u64 v[8:9], v[0:1], 0, v[20:21]
	s_mov_b64 s[10:11], 0
	s_branch .LBB108_38
.LBB108_37:                             ;   in Loop: Header=BB108_38 Depth=2
	s_or_b64 exec, exec, s[12:13]
	v_lshl_or_b32 v12, v10, 11, v47
	;;#ASMSTART
	s_waitcnt vmcnt(1)
	;;#ASMEND
	ds_write2_b32 v12, v4, v5 offset1:32
	ds_write2_b32 v12, v6, v7 offset0:64 offset1:96
	v_add_u32_e32 v4, 0x400, v12
	v_add_u32_e32 v53, s26, v53
	;;#ASMSTART
	s_waitcnt vmcnt(0)
	;;#ASMEND
	ds_write2_b32 v4, v0, v1 offset1:32
	ds_write2_b32 v4, v2, v3 offset0:64 offset1:96
	v_add_u32_e32 v0, 1, v38
	v_add_u32_e32 v24, s26, v10
	v_cmp_le_i32_e32 vcc, s16, v53
	ds_write_b32 v11, v0 offset:20
	v_add_u32_e32 v0, 2, v38
	s_or_b64 s[10:11], vcc, s[10:11]
	v_cmp_lt_i32_e32 vcc, 19, v24
	s_nop 1
	v_cndmask_b32_e32 v38, v38, v0, vcc
	s_andn2_b64 exec, exec, s[10:11]
	s_cbranch_execz .LBB108_41
.LBB108_38:                             ;   Parent Loop BB108_7 Depth=1
                                        ; =>  This Loop Header: Depth=2
                                        ;       Child Loop BB108_40 Depth 3
	v_cmp_gt_i32_e32 vcc, 20, v24
	s_nop 1
	v_cndmask_b32_e64 v0, v52, 0, vcc
	v_add_u32_e32 v10, v0, v24
	v_ashrrev_i32_e32 v0, 31, v53
	v_lshrrev_b32_e32 v0, 30, v0
	v_add_u32_e32 v0, v53, v0
	v_and_b32_e32 v1, -4, v0
	v_lshlrev_b32_e32 v0, 5, v0
	v_sub_u32_e32 v2, v53, v1
	v_and_b32_e32 v0, 0xffffff80, v0
	v_ashrrev_i32_e32 v1, 31, v0
	v_mul_lo_u32 v2, s55, v2
	v_lshl_add_u64 v[0:1], v[8:9], 0, v[0:1]
	v_ashrrev_i32_e32 v3, 31, v2
	v_lshl_add_u64 v[0:1], v[0:1], 0, v[2:3]
	v_lshlrev_b32_e32 v11, 2, v10
	;;#ASMSTART
	global_load_dwordx4 v[4:7], v[0:1], off offset:0   sc0 sc1 nt  
	global_load_dwordx4 v[0:3], v[0:1], off offset:64  sc0 sc1 nt  
	
	;;#ASMEND
	ds_read_b32 v12, v11 offset:51220
	v_add_u32_e32 v11, 0xc800, v11
	s_waitcnt lgkmcnt(0)
	v_cmp_ne_u32_e32 vcc, v12, v38
	s_and_saveexec_b64 s[12:13], vcc
	s_cbranch_execz .LBB108_37
; %bb.39:                               ;   in Loop: Header=BB108_38 Depth=2
	s_mov_b64 s[14:15], 0
.LBB108_40:                             ;   Parent Loop BB108_7 Depth=1
                                        ;     Parent Loop BB108_38 Depth=2
                                        ; =>    This Inner Loop Header: Depth=3
	;;#ASMSTART
	s_sleep 0
	;;#ASMEND
	ds_read_b32 v12, v11 offset:20
	s_waitcnt lgkmcnt(0)
	v_cmp_eq_u32_e32 vcc, v12, v38
	s_or_b64 s[14:15], vcc, s[14:15]
	s_andn2_b64 exec, exec, s[14:15]
	s_cbranch_execnz .LBB108_40
	s_branch .LBB108_37
.LBB108_41:                             ;   in Loop: Header=BB108_7 Depth=1
	s_or_b64 exec, exec, s[10:11]
.LBB108_42:                             ;   in Loop: Header=BB108_7 Depth=1
	s_or_b64 exec, exec, s[8:9]
	v_subrev_u32_e32 v53, s16, v53
.LBB108_43:                             ;   in Loop: Header=BB108_7 Depth=1
	s_or_b64 exec, exec, s[6:7]
.LBB108_44:                             ;   in Loop: Header=BB108_7 Depth=1
	s_andn2_saveexec_b64 s[6:7], s[34:35]
	s_cbranch_execz .LBB108_6
; %bb.45:                               ;   in Loop: Header=BB108_7 Depth=1
	v_cmp_gt_i32_e32 vcc, s61, v53
	s_and_saveexec_b64 s[8:9], vcc
	s_cbranch_execz .LBB108_5
; %bb.46:                               ;   in Loop: Header=BB108_7 Depth=1
	s_mul_i32 s62, s62, s22
	s_ashr_i32 s10, s62, 31
	s_waitcnt lgkmcnt(0)
	s_add_u32 s11, s36, s62
	s_addc_u32 s12, s37, s10
	s_ashr_i32 s13, s63, 31
	v_cmp_le_i32_e32 vcc, s64, v48
	s_add_u32 s10, s11, s63
	s_addc_u32 s11, s12, s13
	v_cndmask_b32_e32 v0, 0, v49, vcc
	v_ashrrev_i32_e32 v1, 31, v0
	v_lshl_add_u64 v[0:1], s[10:11], 0, v[0:1]
	v_lshl_add_u64 v[8:9], v[0:1], 0, v[20:21]
	s_mov_b64 s[10:11], 0
	s_branch .LBB108_48
.LBB108_47:                             ;   in Loop: Header=BB108_48 Depth=2
	s_or_b64 exec, exec, s[12:13]
	v_lshl_add_u32 v12, v10, 11, v50
	;;#ASMSTART
	s_waitcnt vmcnt(1)
	;;#ASMEND
	ds_write2_b32 v12, v4, v5 offset1:32
	ds_write2_b32 v12, v6, v7 offset0:64 offset1:96
	v_add_u32_e32 v4, 0x400, v12
	v_add_u32_e32 v53, s25, v53
	;;#ASMSTART
	s_waitcnt vmcnt(0)
	;;#ASMEND
	ds_write2_b32 v4, v0, v1 offset1:32
	ds_write2_b32 v4, v2, v3 offset0:64 offset1:96
	v_add_u32_e32 v0, 1, v38
	v_add_u32_e32 v24, s25, v10
	v_cmp_le_i32_e32 vcc, s61, v53
	ds_write_b32 v11, v0
	v_add_u32_e32 v0, 2, v38
	s_or_b64 s[10:11], vcc, s[10:11]
	v_cmp_lt_i32_e32 vcc, 4, v24
	s_nop 1
	v_cndmask_b32_e32 v38, v38, v0, vcc
	s_andn2_b64 exec, exec, s[10:11]
	s_cbranch_execz .LBB108_4
.LBB108_48:                             ;   Parent Loop BB108_7 Depth=1
                                        ; =>  This Loop Header: Depth=2
                                        ;       Child Loop BB108_50 Depth 3
	v_cmp_gt_i32_e32 vcc, 5, v24
	s_nop 1
	v_cndmask_b32_e64 v0, -5, 0, vcc
	v_add_u32_e32 v10, v0, v24
	v_lshlrev_b32_e32 v0, 7, v53
	v_ashrrev_i32_e32 v1, 31, v0
	v_lshl_add_u64 v[0:1], v[8:9], 0, v[0:1]
	v_lshlrev_b32_e32 v11, 2, v10
	;;#ASMSTART
	global_load_dwordx4 v[4:7], v[0:1], off offset:0   
	global_load_dwordx4 v[0:3], v[0:1], off offset:64  
	
	;;#ASMEND
	ds_read_b32 v12, v11 offset:51200
	v_add_u32_e32 v11, 0xc800, v11
	s_waitcnt lgkmcnt(0)
	v_cmp_ne_u32_e32 vcc, v12, v38
	s_and_saveexec_b64 s[12:13], vcc
	s_cbranch_execz .LBB108_47
; %bb.49:                               ;   in Loop: Header=BB108_48 Depth=2
	s_mov_b64 s[14:15], 0
.LBB108_50:                             ;   Parent Loop BB108_7 Depth=1
                                        ;     Parent Loop BB108_48 Depth=2
                                        ; =>    This Inner Loop Header: Depth=3
	;;#ASMSTART
	s_sleep 0
	;;#ASMEND
	ds_read_b32 v12, v11
	s_waitcnt lgkmcnt(0)
	v_cmp_eq_u32_e32 vcc, v12, v38
	s_or_b64 s[14:15], vcc, s[14:15]
	s_andn2_b64 exec, exec, s[14:15]
	s_cbranch_execnz .LBB108_50
	s_branch .LBB108_47
.LBB108_51:
	s_endpgm
	.section	.rodata,"a",@progbits
	.p2align	6, 0x0
	.amdhsa_kernel _Z19_skinny_gemm_kernelILi1ELi4ELi5ELi16ELi4EEvPKhS1_P6__halfPKfiiiiiiii
		.amdhsa_group_segment_fixed_size 51300
		.amdhsa_private_segment_fixed_size 0
		.amdhsa_kernarg_size 64
		.amdhsa_user_sgpr_count 2
		.amdhsa_user_sgpr_dispatch_ptr 0
		.amdhsa_user_sgpr_queue_ptr 0
		.amdhsa_user_sgpr_kernarg_segment_ptr 1
		.amdhsa_user_sgpr_dispatch_id 0
		.amdhsa_user_sgpr_kernarg_preload_length 0
		.amdhsa_user_sgpr_kernarg_preload_offset 0
		.amdhsa_user_sgpr_private_segment_size 0
		.amdhsa_uses_dynamic_stack 0
		.amdhsa_enable_private_segment 0
		.amdhsa_system_sgpr_workgroup_id_x 1
		.amdhsa_system_sgpr_workgroup_id_y 0
		.amdhsa_system_sgpr_workgroup_id_z 0
		.amdhsa_system_sgpr_workgroup_info 0
		.amdhsa_system_vgpr_workitem_id 0
		.amdhsa_next_free_vgpr 61
		.amdhsa_next_free_sgpr 65
		.amdhsa_accum_offset 64
		.amdhsa_reserve_vcc 1
		.amdhsa_float_round_mode_32 0
		.amdhsa_float_round_mode_16_64 0
		.amdhsa_float_denorm_mode_32 3
		.amdhsa_float_denorm_mode_16_64 3
		.amdhsa_dx10_clamp 1
		.amdhsa_ieee_mode 1
		.amdhsa_fp16_overflow 0
		.amdhsa_tg_split 0
		.amdhsa_exception_fp_ieee_invalid_op 0
		.amdhsa_exception_fp_denorm_src 0
		.amdhsa_exception_fp_ieee_div_zero 0
		.amdhsa_exception_fp_ieee_overflow 0
		.amdhsa_exception_fp_ieee_underflow 0
		.amdhsa_exception_fp_ieee_inexact 0
		.amdhsa_exception_int_div_zero 0
	.end_amdhsa_kernel
	.section	.text._Z19_skinny_gemm_kernelILi1ELi4ELi5ELi16ELi4EEvPKhS1_P6__halfPKfiiiiiiii,"axG",@progbits,_Z19_skinny_gemm_kernelILi1ELi4ELi5ELi16ELi4EEvPKhS1_P6__halfPKfiiiiiiii,comdat
.Lfunc_end108:
	.size	_Z19_skinny_gemm_kernelILi1ELi4ELi5ELi16ELi4EEvPKhS1_P6__halfPKfiiiiiiii, .Lfunc_end108-_Z19_skinny_gemm_kernelILi1ELi4ELi5ELi16ELi4EEvPKhS1_P6__halfPKfiiiiiiii
                                        ; -- End function
	.set _Z19_skinny_gemm_kernelILi1ELi4ELi5ELi16ELi4EEvPKhS1_P6__halfPKfiiiiiiii.num_vgpr, 61
	.set _Z19_skinny_gemm_kernelILi1ELi4ELi5ELi16ELi4EEvPKhS1_P6__halfPKfiiiiiiii.num_agpr, 0
	.set _Z19_skinny_gemm_kernelILi1ELi4ELi5ELi16ELi4EEvPKhS1_P6__halfPKfiiiiiiii.numbered_sgpr, 65
	.set _Z19_skinny_gemm_kernelILi1ELi4ELi5ELi16ELi4EEvPKhS1_P6__halfPKfiiiiiiii.num_named_barrier, 0
	.set _Z19_skinny_gemm_kernelILi1ELi4ELi5ELi16ELi4EEvPKhS1_P6__halfPKfiiiiiiii.private_seg_size, 0
	.set _Z19_skinny_gemm_kernelILi1ELi4ELi5ELi16ELi4EEvPKhS1_P6__halfPKfiiiiiiii.uses_vcc, 1
	.set _Z19_skinny_gemm_kernelILi1ELi4ELi5ELi16ELi4EEvPKhS1_P6__halfPKfiiiiiiii.uses_flat_scratch, 0
	.set _Z19_skinny_gemm_kernelILi1ELi4ELi5ELi16ELi4EEvPKhS1_P6__halfPKfiiiiiiii.has_dyn_sized_stack, 0
	.set _Z19_skinny_gemm_kernelILi1ELi4ELi5ELi16ELi4EEvPKhS1_P6__halfPKfiiiiiiii.has_recursion, 0
	.set _Z19_skinny_gemm_kernelILi1ELi4ELi5ELi16ELi4EEvPKhS1_P6__halfPKfiiiiiiii.has_indirect_call, 0
	.section	.AMDGPU.csdata,"",@progbits
; Kernel info:
; codeLenInByte = 4064
; TotalNumSgprs: 71
; NumVgprs: 61
; NumAgprs: 0
; TotalNumVgprs: 61
; ScratchSize: 0
; MemoryBound: 0
; FloatMode: 240
; IeeeMode: 1
; LDSByteSize: 51300 bytes/workgroup (compile time only)
; SGPRBlocks: 8
; VGPRBlocks: 7
; NumSGPRsForWavesPerEU: 71
; NumVGPRsForWavesPerEU: 61
; AccumOffset: 64
; Occupancy: 8
; WaveLimiterHint : 0
; COMPUTE_PGM_RSRC2:SCRATCH_EN: 0
; COMPUTE_PGM_RSRC2:USER_SGPR: 2
; COMPUTE_PGM_RSRC2:TRAP_HANDLER: 0
; COMPUTE_PGM_RSRC2:TGID_X_EN: 1
; COMPUTE_PGM_RSRC2:TGID_Y_EN: 0
; COMPUTE_PGM_RSRC2:TGID_Z_EN: 0
; COMPUTE_PGM_RSRC2:TIDIG_COMP_CNT: 0
; COMPUTE_PGM_RSRC3_GFX90A:ACCUM_OFFSET: 15
; COMPUTE_PGM_RSRC3_GFX90A:TG_SPLIT: 0
	.section	.text._Z19_skinny_gemm_kernelILi1ELi4ELi5ELi32ELi4EEvPKhS1_P6__halfPKfiiiiiiii,"axG",@progbits,_Z19_skinny_gemm_kernelILi1ELi4ELi5ELi32ELi4EEvPKhS1_P6__halfPKfiiiiiiii,comdat
	.protected	_Z19_skinny_gemm_kernelILi1ELi4ELi5ELi32ELi4EEvPKhS1_P6__halfPKfiiiiiiii ; -- Begin function _Z19_skinny_gemm_kernelILi1ELi4ELi5ELi32ELi4EEvPKhS1_P6__halfPKfiiiiiiii
	.globl	_Z19_skinny_gemm_kernelILi1ELi4ELi5ELi32ELi4EEvPKhS1_P6__halfPKfiiiiiiii
	.p2align	8
	.type	_Z19_skinny_gemm_kernelILi1ELi4ELi5ELi32ELi4EEvPKhS1_P6__halfPKfiiiiiiii,@function
_Z19_skinny_gemm_kernelILi1ELi4ELi5ELi32ELi4EEvPKhS1_P6__halfPKfiiiiiiii: ; @_Z19_skinny_gemm_kernelILi1ELi4ELi5ELi32ELi4EEvPKhS1_P6__halfPKfiiiiiiii
; %bb.0:
	v_cmp_gt_u32_e32 vcc, 25, v0
	s_and_saveexec_b64 s[4:5], vcc
; %bb.1:
	v_lshlrev_b32_e32 v1, 2, v0
	v_mov_b32_e32 v2, 0
	ds_write_b32 v1, v2 offset:51200
; %bb.2:
	s_or_b64 exec, exec, s[4:5]
	s_load_dwordx8 s[20:27], s[0:1], 0x20
	s_waitcnt lgkmcnt(0)
	s_barrier
	s_add_i32 s3, s20, 31
	s_ashr_i32 s5, s3, 31
	s_add_i32 s4, s21, 0x7f
	s_lshr_b32 s5, s5, 27
	s_ashr_i32 s6, s4, 31
	s_add_i32 s3, s3, s5
	s_ashr_i32 s14, s3, 5
	s_lshr_b32 s3, s6, 25
	s_add_i32 s4, s4, s3
	s_ashr_i32 s15, s4, 7
	s_mul_i32 s3, s15, s14
	s_mul_i32 s3, s3, s24
	s_add_i32 s4, s3, 0x12f
	s_mul_hi_i32 s4, s4, 0x6bca1af3
	s_lshr_b32 s5, s4, 31
	s_ashr_i32 s4, s4, 7
	s_add_i32 s4, s4, s5
	s_add_i32 s5, s2, 1
	s_mul_i32 s5, s4, s5
	v_cvt_f64_i32_e32 v[2:3], s3
	v_cvt_f64_u32_e32 v[4:5], s5
	v_min_f64 v[2:3], v[2:3], v[4:5]
	v_cvt_i32_f64_e32 v78, v[2:3]
	s_mul_i32 s33, s4, s2
	v_cmp_ge_i32_e32 vcc, s33, v78
	s_cbranch_vccnz .LBB109_54
; %bb.3:
	s_load_dwordx8 s[72:79], s[0:1], 0x0
	v_lshrrev_b32_e32 v1, 6, v0
	s_add_i32 s0, s26, s25
	v_cmp_le_i32_e64 s[28:29], s0, v1
	v_mov_b32_e32 v2, s25
	v_cmp_le_i32_e64 s[30:31], s25, v1
	v_mov_b32_e32 v3, s26
	v_cndmask_b32_e64 v3, 0, v3, s[28:29]
	v_cndmask_b32_e64 v2, 0, v2, s[30:31]
	s_abs_i32 s1, s24
	v_add_u32_e32 v2, v2, v3
	v_cvt_f32_u32_e32 v3, s1
	v_sub_u32_e32 v72, v1, v2
	s_ashr_i32 s2, s22, 31
	s_lshr_b32 s2, s2, 26
	v_rcp_iflag_f32_e32 v2, v3
	s_sub_i32 s5, 0, s1
	s_add_i32 s2, s22, s2
	s_ashr_i32 s2, s2, 6
	v_mul_f32_e32 v2, 0x4f7ffffe, v2
	v_cvt_u32_f32_e32 v2, v2
	s_abs_i32 s4, s2
	s_xor_b32 s3, s2, s24
	s_ashr_i32 s3, s3, 31
	v_readfirstlane_b32 s6, v2
	s_mul_i32 s5, s5, s6
	s_mul_hi_u32 s5, s6, s5
	s_add_i32 s6, s6, s5
	s_mul_hi_u32 s5, s4, s6
	s_mul_i32 s6, s5, s1
	s_sub_i32 s4, s4, s6
	s_add_i32 s6, s5, 1
	s_sub_i32 s7, s4, s1
	s_cmp_ge_u32 s4, s1
	s_cselect_b32 s5, s6, s5
	s_cselect_b32 s4, s7, s4
	s_add_i32 s6, s5, 1
	s_cmp_ge_u32 s4, s1
	v_lshrrev_b32_e32 v2, 3, v0
	v_lshrrev_b32_e32 v7, 1, v0
	s_cselect_b32 s1, s6, s5
	s_add_i32 s0, s0, s27
	v_and_b32_e32 v80, 31, v0
	v_and_b32_e32 v3, 4, v2
	;; [unrolled: 1-line block ×3, first 2 shown]
	v_lshlrev_b32_e32 v7, 4, v0
	v_cmp_gt_i32_e64 s[36:37], s0, v1
	v_lshlrev_b32_e32 v1, 2, v80
	v_lshlrev_b32_e32 v2, 6, v3
	v_and_b32_e32 v7, 0x200, v7
	s_abs_i32 s97, s14
                                        ; implicit-def: $vgpr127 : SGPR spill to VGPR lane
	v_or_b32_e32 v4, 0xa000, v1
	v_or_b32_e32 v82, v1, v2
	v_and_b32_e32 v5, 1, v0
	v_or_b32_e32 v94, v1, v7
	v_cvt_f32_u32_e32 v1, s97
	v_writelane_b32 v127, s14, 0
	v_or_b32_e32 v81, v4, v2
	v_lshlrev_b32_e32 v2, 1, v5
	v_writelane_b32 v127, s15, 1
	v_sub_u32_e32 v2, v0, v2
	s_waitcnt lgkmcnt(0)
	v_writelane_b32 v127, s72, 2
	v_add_u32_e32 v2, 1, v2
	v_and_b32_e32 v6, 63, v2
	v_writelane_b32 v127, s73, 3
	v_bitop3_b32 v83, v0, 1, v0 bitop3:0xc
	v_bitop3_b32 v84, v0, 3, 1 bitop3:0x6c
	;; [unrolled: 1-line block ×8, first 2 shown]
	v_and_b32_e32 v2, 30, v0
	v_bitop3_b32 v95, v0, 31, v0 bitop3:0xc
	v_rcp_iflag_f32_e32 v0, v1
	s_abs_i32 s98, s15
	v_writelane_b32 v127, s74, 4
	v_cvt_f32_u32_e32 v1, s98
	v_writelane_b32 v127, s75, 5
	v_writelane_b32 v127, s76, 6
	;; [unrolled: 1-line block ×3, first 2 shown]
	v_mul_f32_e32 v0, 0x4f7ffffe, v0
	v_writelane_b32 v127, s78, 8
	v_cvt_u32_f32_e32 v0, v0
	v_rcp_iflag_f32_e32 v1, v1
	v_writelane_b32 v127, s79, 9
	v_cndmask_b32_e64 v79, 0, 1, s[28:29]
	s_xor_b32 s1, s1, s3
	v_writelane_b32 v127, s28, 10
	s_sub_i32 s17, s1, s3
	s_add_i32 s34, s24, -1
	v_writelane_b32 v127, s29, 11
	s_mul_i32 s1, s17, s34
	v_writelane_b32 v127, s30, 12
	s_sub_i32 s35, s2, s1
	v_readfirstlane_b32 s1, v0
	v_mul_f32_e32 v0, 0x4f7ffffe, v1
	v_writelane_b32 v127, s31, 13
	v_cvt_u32_f32_e32 v0, v0
	v_writelane_b32 v127, s17, 14
	s_sub_i32 s0, 0, s97
	v_writelane_b32 v127, s34, 15
	s_mul_i32 s0, s0, s1
	v_writelane_b32 v127, s35, 16
	s_mul_hi_u32 s0, s1, s0
	v_writelane_b32 v127, s36, 17
	s_ashr_i32 s38, s14, 31
	s_add_i32 s39, s1, s0
	s_sub_i32 s0, 0, s98
	v_readfirstlane_b32 s1, v0
	v_writelane_b32 v127, s37, 18
	s_mul_i32 s0, s0, s1
	v_mbcnt_lo_u32_b32 v0, -1, 0
	v_writelane_b32 v127, s38, 19
	s_ashr_i32 s40, s15, 31
	s_mul_hi_u32 s0, s1, s0
	v_mbcnt_hi_u32_b32 v0, -1, v0
	v_writelane_b32 v127, s39, 20
	v_mov_b32_e32 v65, 0
	v_mul_lo_u32 v8, s23, v80
	v_or_b32_e32 v98, v5, v3
	s_add_i32 s41, s1, s0
	v_and_or_b32 v0, v0, 64, v6
	v_writelane_b32 v127, s40, 21
	v_ashrrev_i32_e32 v9, 31, v8
	v_mov_b32_e32 v67, v65
	s_lshl_b32 s24, s23, 5
	v_mul_lo_u32 v96, s22, v80
	v_or_b32_e32 v97, v4, v7
	v_or_b32_e32 v99, 2, v98
	v_lshlrev_b32_e32 v64, 1, v2
	v_lshlrev_b32_e32 v100, 2, v0
	v_not_b32_e32 v101, 19
	v_mov_b32_e32 v102, v72
	v_writelane_b32 v127, s41, 22
	scratch_store_dwordx2 off, v[8:9], off  ; 8-byte Folded Spill
	s_branch .LBB109_7
.LBB109_4:                              ;   in Loop: Header=BB109_7 Depth=1
	s_or_b64 exec, exec, s[4:5]
.LBB109_5:                              ;   in Loop: Header=BB109_7 Depth=1
	s_or_b64 exec, exec, s[2:3]
	v_subrev_u32_e32 v102, s99, v102
.LBB109_6:                              ;   in Loop: Header=BB109_7 Depth=1
	s_or_b64 exec, exec, s[0:1]
	s_add_i32 s33, s33, 1
	v_cmp_ge_i32_e32 vcc, s33, v78
	s_cbranch_vccnz .LBB109_54
.LBB109_7:                              ; =>This Loop Header: Depth=1
                                        ;     Child Loop BB109_13 Depth 2
                                        ;       Child Loop BB109_15 Depth 3
                                        ;       Child Loop BB109_18 Depth 3
	;; [unrolled: 1-line block ×5, first 2 shown]
                                        ;     Child Loop BB109_32 Depth 2
                                        ;     Child Loop BB109_41 Depth 2
                                        ;       Child Loop BB109_43 Depth 3
                                        ;     Child Loop BB109_51 Depth 2
                                        ;       Child Loop BB109_53 Depth 3
	s_abs_i32 s1, s33
	s_mul_hi_u32 s2, s1, s39
	s_mul_i32 s3, s2, s97
	s_ashr_i32 s0, s33, 31
	s_sub_i32 s1, s1, s3
	s_xor_b32 s0, s0, s38
	s_add_i32 s3, s2, 1
	s_sub_i32 s4, s1, s97
	s_cmp_ge_u32 s1, s97
	s_cselect_b32 s2, s3, s2
	s_cselect_b32 s1, s4, s1
	s_add_i32 s3, s2, 1
	s_cmp_ge_u32 s1, s97
	s_cselect_b32 s1, s3, s2
	s_xor_b32 s1, s1, s0
	s_sub_i32 s0, s1, s0
	s_abs_i32 s2, s0
	s_mul_i32 s1, s0, s14
	s_mul_hi_u32 s3, s2, s41
	s_sub_i32 s1, s33, s1
	s_mul_i32 s4, s3, s98
	s_lshl_b32 s96, s1, 5
	s_ashr_i32 s1, s0, 31
	s_sub_i32 s2, s2, s4
	s_xor_b32 s1, s1, s40
	s_add_i32 s4, s3, 1
	s_sub_i32 s5, s2, s98
	s_cmp_ge_u32 s2, s98
	s_cselect_b32 s3, s4, s3
	s_cselect_b32 s2, s5, s2
	s_add_i32 s4, s3, 1
	s_cmp_ge_u32 s2, s98
	s_cselect_b32 s2, s4, s3
	s_xor_b32 s2, s2, s1
	s_sub_i32 s1, s2, s1
	s_mul_i32 s2, s1, s17
	s_lshl_b32 s46, s2, 6
	s_cmp_eq_u32 s1, s34
	s_cselect_b32 s99, s35, s17
	s_sub_i32 s2, s96, s20
	s_add_i32 s71, s2, 32
	s_and_saveexec_b64 s[2:3], s[30:31]
	s_xor_b64 s[4:5], exec, s[2:3]
	s_cbranch_execz .LBB109_47
; %bb.8:                                ;   in Loop: Header=BB109_7 Depth=1
	s_mul_i32 s1, s1, s15
	s_sub_i32 s0, s0, s1
	s_lshl_b32 s0, s0, 7
	s_sub_i32 s70, s0, s21
	s_addk_i32 s70, 0x80
	s_max_i32 s1, s70, 0
	s_sub_i32 s0, s0, s1
	s_and_saveexec_b64 s[2:3], s[28:29]
	s_xor_b64 s[2:3], exec, s[2:3]
	s_cbranch_execz .LBB109_37
; %bb.9:                                ;   in Loop: Header=BB109_7 Depth=1
	s_and_saveexec_b64 s[8:9], s[36:37]
	s_cbranch_execz .LBB109_36
; %bb.10:                               ;   in Loop: Header=BB109_7 Depth=1
	global_load_dword v103, v65, s[78:79]
	v_writelane_b32 v127, s8, 23
	v_mov_b32_e32 v63, 0
	v_cmp_gt_i32_e32 vcc, s99, v102
	v_writelane_b32 v127, s9, 24
	v_mov_b32_e32 v62, v63
	v_mov_b32_e32 v61, v63
	;; [unrolled: 1-line block ×63, first 2 shown]
	s_and_saveexec_b64 s[6:7], vcc
	s_cbranch_execz .LBB109_29
; %bb.11:                               ;   in Loop: Header=BB109_7 Depth=1
	v_mov_b32_e32 v0, 0
	s_mov_b64 s[8:9], 0
	v_mov_b32_e32 v1, v0
	v_mov_b32_e32 v2, v0
	;; [unrolled: 1-line block ×63, first 2 shown]
	s_branch .LBB109_13
.LBB109_12:                             ;   in Loop: Header=BB109_13 Depth=2
	s_or_b64 exec, exec, s[10:11]
	v_add_u32_e32 v110, 0x1800, v107
	ds_read2_b32 v[108:109], v110 offset1:32
	v_add_u32_e32 v102, s27, v102
	s_waitcnt lgkmcnt(0)
	v_mfma_f32_32x32x16_fp8_fp8 v[0:15], v[76:77], v[108:109], v[0:15]
	ds_read2_b32 v[76:77], v110 offset0:128 offset1:160
	s_waitcnt lgkmcnt(0)
	v_mfma_f32_32x32x16_fp8_fp8 v[0:15], v[74:75], v[76:77], v[0:15]
	v_add_u32_e32 v76, 0x1c00, v107
	ds_read2_b32 v[74:75], v76 offset1:32
	ds_read2_b32 v[76:77], v76 offset0:128 offset1:160
	ds_write_b32 v105, v106 offset:51228
	s_waitcnt lgkmcnt(2)
	v_mfma_f32_32x32x16_fp8_fp8 v[0:15], v[72:73], v[74:75], v[0:15]
	v_add_u32_e32 v72, s27, v104
	v_add_u32_e32 v73, 2, v79
	v_cmp_lt_i32_e32 vcc, 4, v72
	s_nop 1
	v_cndmask_b32_e32 v79, v79, v73, vcc
	v_cmp_le_i32_e32 vcc, s99, v102
	s_waitcnt lgkmcnt(1)
	v_mfma_f32_32x32x16_fp8_fp8 v[0:15], v[70:71], v[76:77], v[0:15]
	s_or_b64 s[8:9], vcc, s[8:9]
	s_andn2_b64 exec, exec, s[8:9]
	s_cbranch_execz .LBB109_28
.LBB109_13:                             ;   Parent Loop BB109_7 Depth=1
                                        ; =>  This Loop Header: Depth=2
                                        ;       Child Loop BB109_15 Depth 3
                                        ;       Child Loop BB109_18 Depth 3
	;; [unrolled: 1-line block ×5, first 2 shown]
	v_cmp_gt_i32_e32 vcc, 5, v72
	s_nop 1
	v_cndmask_b32_e64 v70, -5, 0, vcc
	v_add_u32_e32 v104, v70, v72
	v_lshlrev_b32_e32 v105, 5, v104
	ds_read_b32 v70, v105 offset:51200
	s_waitcnt lgkmcnt(0)
	v_cmp_ne_u32_e32 vcc, v70, v79
	s_and_saveexec_b64 s[10:11], vcc
	s_cbranch_execz .LBB109_16
; %bb.14:                               ;   in Loop: Header=BB109_13 Depth=2
	s_mov_b64 s[12:13], 0
.LBB109_15:                             ;   Parent Loop BB109_7 Depth=1
                                        ;     Parent Loop BB109_13 Depth=2
                                        ; =>    This Inner Loop Header: Depth=3
	;;#ASMSTART
	s_sleep 0
	;;#ASMEND
	ds_read_b32 v70, v105 offset:51200
	s_waitcnt lgkmcnt(0)
	v_cmp_eq_u32_e32 vcc, v70, v79
	s_or_b64 s[12:13], vcc, s[12:13]
	s_andn2_b64 exec, exec, s[12:13]
	s_cbranch_execnz .LBB109_15
.LBB109_16:                             ;   in Loop: Header=BB109_13 Depth=2
	s_or_b64 exec, exec, s[10:11]
	v_lshl_add_u32 v70, v104, 11, v81
	ds_read2_b32 v[76:77], v70 offset1:32
	ds_read2_b32 v[74:75], v70 offset0:128 offset1:160
	v_add_u32_e32 v70, 0x400, v70
	ds_read2_b32 v[72:73], v70 offset1:32
	ds_read_b32 v107, v105 offset:51204
	ds_read2_b32 v[70:71], v70 offset0:128 offset1:160
	v_add_u32_e32 v106, 1, v79
	ds_write_b32 v105, v106 offset:51200
	s_waitcnt lgkmcnt(2)
	v_cmp_ne_u32_e32 vcc, v107, v79
	s_and_saveexec_b64 s[10:11], vcc
	s_cbranch_execz .LBB109_19
; %bb.17:                               ;   in Loop: Header=BB109_13 Depth=2
	s_mov_b64 s[12:13], 0
.LBB109_18:                             ;   Parent Loop BB109_7 Depth=1
                                        ;     Parent Loop BB109_13 Depth=2
                                        ; =>    This Inner Loop Header: Depth=3
	;;#ASMSTART
	s_sleep 0
	;;#ASMEND
	ds_read_b32 v107, v105 offset:51204
	s_waitcnt lgkmcnt(0)
	v_cmp_eq_u32_e32 vcc, v107, v79
	s_or_b64 s[12:13], vcc, s[12:13]
	s_andn2_b64 exec, exec, s[12:13]
	s_cbranch_execnz .LBB109_18
.LBB109_19:                             ;   in Loop: Header=BB109_13 Depth=2
	s_or_b64 exec, exec, s[10:11]
	v_lshlrev_b32_e32 v107, 13, v104
	v_or_b32_e32 v110, v82, v107
	ds_read2_b32 v[108:109], v110 offset1:32
	ds_write_b32 v105, v106 offset:51204
	s_waitcnt lgkmcnt(1)
	v_mfma_f32_32x32x16_fp8_fp8 v[48:63], v[76:77], v[108:109], v[48:63]
	ds_read2_b32 v[108:109], v110 offset0:128 offset1:160
	v_add_u32_e32 v110, 0x400, v110
	s_waitcnt lgkmcnt(0)
	v_mfma_f32_32x32x16_fp8_fp8 v[48:63], v[74:75], v[108:109], v[48:63]
	ds_read2_b32 v[108:109], v110 offset1:32
	s_waitcnt lgkmcnt(0)
	v_mfma_f32_32x32x16_fp8_fp8 v[48:63], v[72:73], v[108:109], v[48:63]
	ds_read2_b32 v[108:109], v110 offset0:128 offset1:160
	ds_read_b32 v110, v105 offset:51212
	s_waitcnt lgkmcnt(0)
	v_cmp_ne_u32_e32 vcc, v110, v79
	v_mfma_f32_32x32x16_fp8_fp8 v[48:63], v[70:71], v[108:109], v[48:63]
	s_and_saveexec_b64 s[10:11], vcc
	s_cbranch_execz .LBB109_22
; %bb.20:                               ;   in Loop: Header=BB109_13 Depth=2
	s_mov_b64 s[12:13], 0
.LBB109_21:                             ;   Parent Loop BB109_7 Depth=1
                                        ;     Parent Loop BB109_13 Depth=2
                                        ; =>    This Inner Loop Header: Depth=3
	;;#ASMSTART
	s_sleep 0
	;;#ASMEND
	ds_read_b32 v108, v105 offset:51212
	s_waitcnt lgkmcnt(0)
	v_cmp_eq_u32_e32 vcc, v108, v79
	s_or_b64 s[12:13], vcc, s[12:13]
	s_andn2_b64 exec, exec, s[12:13]
	s_cbranch_execnz .LBB109_21
.LBB109_22:                             ;   in Loop: Header=BB109_13 Depth=2
	s_or_b64 exec, exec, s[10:11]
	v_add_u32_e32 v107, v82, v107
	v_add_u32_e32 v110, 0x800, v107
	ds_read2_b32 v[108:109], v110 offset1:32
	ds_write_b32 v105, v106 offset:51212
	s_waitcnt lgkmcnt(1)
	v_mfma_f32_32x32x16_fp8_fp8 v[32:47], v[76:77], v[108:109], v[32:47]
	ds_read2_b32 v[108:109], v110 offset0:128 offset1:160
	v_add_u32_e32 v110, 0xc00, v107
	s_waitcnt lgkmcnt(0)
	v_mfma_f32_32x32x16_fp8_fp8 v[32:47], v[74:75], v[108:109], v[32:47]
	ds_read2_b32 v[108:109], v110 offset1:32
	s_waitcnt lgkmcnt(0)
	v_mfma_f32_32x32x16_fp8_fp8 v[32:47], v[72:73], v[108:109], v[32:47]
	ds_read2_b32 v[108:109], v110 offset0:128 offset1:160
	ds_read_b32 v110, v105 offset:51220
	s_waitcnt lgkmcnt(0)
	v_cmp_ne_u32_e32 vcc, v110, v79
	v_mfma_f32_32x32x16_fp8_fp8 v[32:47], v[70:71], v[108:109], v[32:47]
	s_and_saveexec_b64 s[10:11], vcc
	s_cbranch_execz .LBB109_25
; %bb.23:                               ;   in Loop: Header=BB109_13 Depth=2
	s_mov_b64 s[12:13], 0
.LBB109_24:                             ;   Parent Loop BB109_7 Depth=1
                                        ;     Parent Loop BB109_13 Depth=2
                                        ; =>    This Inner Loop Header: Depth=3
	;;#ASMSTART
	s_sleep 0
	;;#ASMEND
	ds_read_b32 v108, v105 offset:51220
	s_waitcnt lgkmcnt(0)
	v_cmp_eq_u32_e32 vcc, v108, v79
	s_or_b64 s[12:13], vcc, s[12:13]
	s_andn2_b64 exec, exec, s[12:13]
	s_cbranch_execnz .LBB109_24
.LBB109_25:                             ;   in Loop: Header=BB109_13 Depth=2
	s_or_b64 exec, exec, s[10:11]
	v_add_u32_e32 v110, 0x1000, v107
	ds_read2_b32 v[108:109], v110 offset1:32
	s_waitcnt lgkmcnt(0)
	v_mfma_f32_32x32x16_fp8_fp8 v[16:31], v[76:77], v[108:109], v[16:31]
	ds_read2_b32 v[108:109], v110 offset0:128 offset1:160
	v_add_u32_e32 v110, 0x1400, v107
	s_waitcnt lgkmcnt(0)
	v_mfma_f32_32x32x16_fp8_fp8 v[16:31], v[74:75], v[108:109], v[16:31]
	ds_read2_b32 v[108:109], v110 offset1:32
	s_waitcnt lgkmcnt(0)
	v_mfma_f32_32x32x16_fp8_fp8 v[16:31], v[72:73], v[108:109], v[16:31]
	ds_read_b32 v111, v105 offset:51228
	ds_read2_b32 v[108:109], v110 offset0:128 offset1:160
	ds_write_b32 v105, v106 offset:51220
	s_waitcnt lgkmcnt(2)
	v_cmp_ne_u32_e32 vcc, v111, v79
	s_waitcnt lgkmcnt(1)
	v_mfma_f32_32x32x16_fp8_fp8 v[16:31], v[70:71], v[108:109], v[16:31]
	s_and_saveexec_b64 s[10:11], vcc
	s_cbranch_execz .LBB109_12
; %bb.26:                               ;   in Loop: Header=BB109_13 Depth=2
	s_mov_b64 s[12:13], 0
.LBB109_27:                             ;   Parent Loop BB109_7 Depth=1
                                        ;     Parent Loop BB109_13 Depth=2
                                        ; =>    This Inner Loop Header: Depth=3
	;;#ASMSTART
	s_sleep 0
	;;#ASMEND
	ds_read_b32 v108, v105 offset:51228
	s_waitcnt lgkmcnt(0)
	v_cmp_eq_u32_e32 vcc, v108, v79
	s_or_b64 s[12:13], vcc, s[12:13]
	s_andn2_b64 exec, exec, s[12:13]
	s_cbranch_execnz .LBB109_27
	s_branch .LBB109_12
.LBB109_28:                             ;   in Loop: Header=BB109_7 Depth=1
	s_or_b64 exec, exec, s[8:9]
.LBB109_29:                             ;   in Loop: Header=BB109_7 Depth=1
	v_writelane_b32 v127, s71, 25
	v_writelane_b32 v127, s46, 26
	s_or_b64 exec, exec, s[6:7]
	v_cmp_le_i32_e32 vcc, s70, v80
	v_cmp_eq_u32_e64 s[64:65], 1, v83
	v_cmp_eq_u32_e64 s[36:37], 2, v83
	s_waitcnt vmcnt(0)
	v_cndmask_b32_e32 v70, 0, v103, vcc
	v_pk_mul_f32 v[48:49], v[70:71], v[48:49] op_sel_hi:[0,1]
	v_pk_mul_f32 v[62:63], v[70:71], v[62:63] op_sel_hi:[0,1]
	;; [unrolled: 1-line block ×8, first 2 shown]
	v_cndmask_b32_e64 v70, v48, v49, s[64:65]
	v_cndmask_b32_e64 v70, v70, v50, s[36:37]
	v_cmp_eq_u32_e64 s[40:41], 3, v83
	v_cmp_eq_u32_e64 s[42:43], 4, v83
	v_cmp_eq_u32_e64 s[44:45], 5, v83
	v_cndmask_b32_e64 v70, v70, v51, s[40:41]
	v_cndmask_b32_e64 v70, v70, v52, s[42:43]
	v_cndmask_b32_e64 v70, v70, v53, s[44:45]
	v_cmp_eq_u32_e64 s[46:47], 6, v83
	v_cmp_eq_u32_e64 s[48:49], 7, v83
	v_cmp_eq_u32_e64 s[50:51], 8, v83
	v_cndmask_b32_e64 v70, v70, v54, s[46:47]
	v_cndmask_b32_e64 v70, v70, v55, s[48:49]
	v_cndmask_b32_e64 v70, v70, v56, s[50:51]
	v_cmp_eq_u32_e64 s[52:53], 9, v83
	v_cmp_eq_u32_e64 s[54:55], 10, v83
	v_cmp_eq_u32_e64 s[56:57], 11, v83
	v_cndmask_b32_e64 v70, v70, v57, s[52:53]
	v_cndmask_b32_e64 v70, v70, v58, s[54:55]
	v_cndmask_b32_e64 v70, v70, v59, s[56:57]
	v_cmp_eq_u32_e64 s[58:59], 12, v83
	v_cmp_eq_u32_e64 s[60:61], 13, v83
	v_cmp_eq_u32_e64 s[62:63], 14, v83
	v_cndmask_b32_e64 v70, v70, v60, s[58:59]
	v_cndmask_b32_e64 v70, v70, v61, s[60:61]
	v_cndmask_b32_e64 v70, v70, v62, s[62:63]
	v_cmp_eq_u32_e64 s[66:67], 15, v83
	s_mul_i32 s6, s96, s21
	s_ashr_i32 s7, s6, 31
	v_cndmask_b32_e64 v70, v70, v63, s[66:67]
	ds_bpermute_b32 v70, v100, v70
	s_lshl_b64 s[6:7], s[6:7], 1
	v_cmp_eq_u32_e64 s[34:35], 0, v83
	s_add_u32 s68, s76, s6
	v_cmp_eq_u32_e32 vcc, 1, v84
	s_waitcnt lgkmcnt(0)
	v_cndmask_b32_e64 v63, v63, v70, s[66:67]
	v_cndmask_b32_e64 v62, v62, v70, s[62:63]
	;; [unrolled: 1-line block ×16, first 2 shown]
	s_addc_u32 s69, s77, s7
	v_cndmask_b32_e32 v48, v70, v105, vcc
	v_cmp_eq_u32_e64 s[6:7], 2, v84
	v_cmp_eq_u32_e64 s[8:9], 3, v84
	;; [unrolled: 1-line block ×3, first 2 shown]
	v_cndmask_b32_e64 v48, v48, v104, s[6:7]
	v_cndmask_b32_e64 v48, v48, v77, s[8:9]
	;; [unrolled: 1-line block ×3, first 2 shown]
	v_cmp_eq_u32_e64 s[12:13], 5, v84
	v_cmp_eq_u32_e64 s[14:15], 6, v84
	;; [unrolled: 1-line block ×3, first 2 shown]
	v_cndmask_b32_e64 v48, v48, v75, s[12:13]
	v_cndmask_b32_e64 v48, v48, v74, s[14:15]
	;; [unrolled: 1-line block ×3, first 2 shown]
	v_cmp_eq_u32_e64 s[18:19], 8, v84
	v_cmp_eq_u32_e64 s[74:75], 9, v84
	;; [unrolled: 1-line block ×3, first 2 shown]
	v_cndmask_b32_e64 v48, v48, v56, s[18:19]
	v_cndmask_b32_e64 v48, v48, v57, s[74:75]
	s_ashr_i32 s1, s0, 31
	v_cndmask_b32_e64 v48, v48, v58, s[76:77]
	v_cmp_eq_u32_e64 s[78:79], 11, v84
	s_lshl_b64 s[38:39], s[0:1], 1
	v_cmp_eq_u32_e64 s[80:81], 12, v84
	v_cndmask_b32_e64 v48, v48, v59, s[78:79]
	s_add_u32 s38, s68, s38
	v_cndmask_b32_e64 v48, v48, v60, s[80:81]
	v_cmp_eq_u32_e64 s[28:29], 13, v84
	s_addc_u32 s39, s69, s39
	v_cmp_eq_u32_e64 s[30:31], 14, v84
	v_cndmask_b32_e64 v48, v48, v61, s[28:29]
	v_writelane_b32 v127, s38, 27
	v_cndmask_b32_e64 v48, v48, v62, s[30:31]
	v_or_b32_e32 v68, 64, v80
	v_writelane_b32 v127, s39, 28
	v_cmp_eq_u32_e64 s[38:39], 15, v84
	v_cmp_eq_u32_e64 s[72:73], 9, v85
	;; [unrolled: 1-line block ×3, first 2 shown]
	v_cndmask_b32_e64 v48, v48, v63, s[38:39]
	ds_bpermute_b32 v71, v100, v48
	v_or_b32_e32 v48, 32, v80
	v_cmp_le_i32_e64 s[68:69], s70, v48
	v_cmp_eq_u32_e64 s[86:87], 6, v86
	v_cmp_eq_u32_e64 s[90:91], 7, v86
	v_cndmask_b32_e64 v48, 0, v103, s[68:69]
	v_cmp_le_i32_e64 s[68:69], s70, v68
	v_or_b32_e32 v68, 0x60, v80
	s_waitcnt lgkmcnt(0)
	v_cndmask_b32_e64 v54, v58, v71, s[76:77]
	v_cndmask_b32_e64 v58, v74, v71, s[14:15]
	;; [unrolled: 1-line block ×3, first 2 shown]
	v_cmp_le_i32_e64 s[68:69], s70, v68
	v_cndmask_b32_e64 v49, v63, v71, s[38:39]
	v_pk_mul_f32 v[30:31], v[74:75], v[30:31] op_sel_hi:[0,1]
	v_pk_mul_f32 v[28:29], v[74:75], v[28:29] op_sel_hi:[0,1]
	;; [unrolled: 1-line block ×8, first 2 shown]
	v_cndmask_b32_e64 v74, 0, v103, s[68:69]
	v_pk_mul_f32 v[32:33], v[48:49], v[32:33] op_sel_hi:[0,1]
	v_cmp_eq_u32_e64 s[68:69], 0, v84
	v_pk_mul_f32 v[0:1], v[74:75], v[0:1] op_sel_hi:[0,1]
	v_cndmask_b32_e64 v50, v62, v71, s[30:31]
	v_cndmask_b32_e64 v51, v61, v71, s[28:29]
	;; [unrolled: 1-line block ×11, first 2 shown]
	v_cndmask_b32_e32 v63, v105, v71, vcc
	v_pk_mul_f32 v[46:47], v[48:49], v[46:47] op_sel_hi:[0,1]
	v_pk_mul_f32 v[44:45], v[48:49], v[44:45] op_sel_hi:[0,1]
	;; [unrolled: 1-line block ×7, first 2 shown]
	v_cndmask_b32_e64 v48, v32, v33, s[64:65]
	v_cndmask_b32_e64 v73, v16, v17, s[64:65]
	v_cndmask_b32_e64 v70, v70, v71, s[68:69]
	v_pk_mul_f32 v[2:3], v[74:75], v[2:3] op_sel_hi:[0,1]
	v_cndmask_b32_e64 v71, v0, v1, s[64:65]
	v_cndmask_b32_e64 v48, v48, v34, s[36:37]
	v_cndmask_b32_e64 v73, v73, v18, s[36:37]
	v_cndmask_b32_e64 v71, v71, v2, s[36:37]
	v_cndmask_b32_e64 v48, v48, v35, s[40:41]
	v_cndmask_b32_e64 v73, v73, v19, s[40:41]
	v_pk_mul_f32 v[4:5], v[74:75], v[4:5] op_sel_hi:[0,1]
	v_cndmask_b32_e64 v71, v71, v3, s[40:41]
	v_cndmask_b32_e64 v48, v48, v36, s[42:43]
	v_cndmask_b32_e64 v73, v73, v20, s[42:43]
	;; [unrolled: 7-line block ×7, first 2 shown]
	v_cndmask_b32_e64 v71, v71, v14, s[62:63]
	v_cndmask_b32_e64 v48, v48, v47, s[66:67]
	;; [unrolled: 1-line block ×4, first 2 shown]
	ds_bpermute_b32 v48, v100, v48
	ds_bpermute_b32 v73, v100, v73
	ds_bpermute_b32 v71, v100, v71
	v_cmp_eq_u32_e64 s[70:71], 7, v85
	v_cmp_eq_u32_e64 s[84:85], 13, v87
	s_waitcnt lgkmcnt(2)
	v_cndmask_b32_e64 v34, v34, v48, s[36:37]
	s_waitcnt lgkmcnt(1)
	v_cndmask_b32_e64 v18, v18, v73, s[36:37]
	;; [unrolled: 2-line block ×3, first 2 shown]
	v_cmp_ne_u32_e64 s[36:37], 0, v83
	v_cndmask_b32_e64 v33, v33, v48, s[64:65]
	v_cndmask_b32_e64 v17, v17, v73, s[64:65]
	v_cmp_eq_u32_e64 s[64:65], 1, v85
	v_cndmask_b32_e64 v1, v1, v71, s[36:37]
	v_cndmask_b32_e64 v32, v32, v48, s[34:35]
	;; [unrolled: 1-line block ×8, first 2 shown]
	v_cmp_eq_u32_e64 s[66:67], 2, v85
	v_cndmask_b32_e64 v46, v46, v48, s[62:63]
	v_cndmask_b32_e64 v30, v30, v73, s[62:63]
	;; [unrolled: 1-line block ×36, first 2 shown]
	v_cndmask_b32_e32 v48, v32, v33, vcc
	v_cndmask_b32_e32 v73, v16, v17, vcc
	;; [unrolled: 1-line block ×3, first 2 shown]
	v_cndmask_b32_e64 v74, v74, v62, s[66:67]
	v_cmp_eq_u32_e64 s[62:63], 3, v85
	v_cndmask_b32_e64 v48, v48, v34, s[6:7]
	v_cndmask_b32_e64 v73, v73, v18, s[6:7]
	v_cndmask_b32_e64 v71, v71, v2, s[6:7]
	v_cndmask_b32_e64 v74, v74, v61, s[62:63]
	v_cmp_eq_u32_e64 s[60:61], 4, v85
	v_cndmask_b32_e64 v48, v48, v35, s[8:9]
	v_cndmask_b32_e64 v73, v73, v19, s[8:9]
	v_cndmask_b32_e64 v71, v71, v3, s[8:9]
	;; [unrolled: 5-line block ×4, first 2 shown]
	v_cndmask_b32_e64 v74, v74, v58, s[56:57]
	v_cndmask_b32_e64 v48, v48, v38, s[14:15]
	;; [unrolled: 1-line block ×5, first 2 shown]
	v_cmp_eq_u32_e64 s[52:53], 8, v85
	v_cndmask_b32_e64 v48, v48, v39, s[16:17]
	v_cndmask_b32_e64 v73, v73, v23, s[16:17]
	;; [unrolled: 1-line block ×8, first 2 shown]
	v_cmp_eq_u32_e64 s[48:49], 10, v85
	v_cndmask_b32_e64 v48, v48, v41, s[74:75]
	v_cndmask_b32_e64 v73, v73, v25, s[74:75]
	v_cndmask_b32_e64 v71, v71, v9, s[74:75]
	v_cndmask_b32_e64 v74, v74, v54, s[48:49]
	v_cmp_eq_u32_e64 s[50:51], 11, v85
	v_cndmask_b32_e64 v48, v48, v42, s[76:77]
	v_cndmask_b32_e64 v73, v73, v26, s[76:77]
	v_cndmask_b32_e64 v71, v71, v10, s[76:77]
	v_cndmask_b32_e64 v74, v74, v53, s[50:51]
	;; [unrolled: 5-line block ×6, first 2 shown]
	v_cndmask_b32_e64 v48, v48, v47, s[38:39]
	v_cndmask_b32_e64 v73, v73, v31, s[38:39]
	;; [unrolled: 1-line block ×3, first 2 shown]
	ds_bpermute_b32 v74, v100, v74
	ds_bpermute_b32 v48, v100, v48
	;; [unrolled: 1-line block ×4, first 2 shown]
	v_cmp_eq_u32_e64 s[46:47], 0, v85
	s_waitcnt lgkmcnt(3)
	v_cndmask_b32_e64 v63, v63, v74, s[64:65]
	v_cmp_eq_u32_e64 s[34:35], 1, v86
	v_cndmask_b32_e64 v70, v70, v74, s[46:47]
	s_waitcnt lgkmcnt(2)
	v_cndmask_b32_e32 v33, v33, v48, vcc
	s_waitcnt lgkmcnt(1)
	v_cndmask_b32_e32 v17, v17, v73, vcc
	;; [unrolled: 2-line block ×3, first 2 shown]
	v_cndmask_b32_e64 v32, v32, v48, s[68:69]
	v_cndmask_b32_e64 v16, v16, v73, s[68:69]
	;; [unrolled: 1-line block ×24, first 2 shown]
	v_cmp_eq_u32_e64 s[38:39], 2, v86
	v_cndmask_b32_e64 v45, v45, v48, s[28:29]
	v_cndmask_b32_e64 v29, v29, v73, s[28:29]
	;; [unrolled: 1-line block ×40, first 2 shown]
	v_cmp_eq_u32_e64 s[28:29], 3, v86
	v_cndmask_b32_e64 v48, v48, v34, s[66:67]
	v_cndmask_b32_e64 v73, v73, v18, s[66:67]
	;; [unrolled: 1-line block ×8, first 2 shown]
	v_cmp_eq_u32_e64 s[78:79], 5, v86
	v_cndmask_b32_e64 v48, v48, v36, s[60:61]
	v_cndmask_b32_e64 v73, v73, v20, s[60:61]
	;; [unrolled: 1-line block ×12, first 2 shown]
	v_cmp_eq_u32_e64 s[18:19], 8, v86
	v_cndmask_b32_e64 v48, v48, v39, s[70:71]
	v_cndmask_b32_e64 v73, v73, v23, s[70:71]
	v_cndmask_b32_e64 v71, v71, v7, s[70:71]
	v_cndmask_b32_e64 v74, v74, v56, s[18:19]
	v_cmp_eq_u32_e64 s[16:17], 9, v86
	v_cndmask_b32_e64 v48, v48, v40, s[52:53]
	v_cndmask_b32_e64 v73, v73, v24, s[52:53]
	v_cndmask_b32_e64 v71, v71, v8, s[52:53]
	v_cndmask_b32_e64 v74, v74, v55, s[16:17]
	;; [unrolled: 5-line block ×7, first 2 shown]
	v_cmp_eq_u32_e32 vcc, 15, v86
	v_cndmask_b32_e64 v48, v48, v46, s[40:41]
	v_cndmask_b32_e64 v73, v73, v30, s[40:41]
	;; [unrolled: 1-line block ×3, first 2 shown]
	v_cndmask_b32_e32 v74, v74, v49, vcc
	v_cndmask_b32_e64 v48, v48, v47, s[36:37]
	v_cndmask_b32_e64 v73, v73, v31, s[36:37]
	;; [unrolled: 1-line block ×3, first 2 shown]
	ds_bpermute_b32 v74, v100, v74
	ds_bpermute_b32 v48, v100, v48
	;; [unrolled: 1-line block ×4, first 2 shown]
	v_cmp_eq_u32_e64 s[8:9], 0, v86
	s_waitcnt lgkmcnt(3)
	v_cndmask_b32_e64 v63, v63, v74, s[34:35]
	s_waitcnt lgkmcnt(2)
	v_cndmask_b32_e64 v47, v47, v48, s[36:37]
	v_cndmask_b32_e64 v70, v70, v74, s[8:9]
	s_waitcnt lgkmcnt(1)
	v_cndmask_b32_e64 v31, v31, v73, s[36:37]
	s_waitcnt lgkmcnt(0)
	v_cndmask_b32_e64 v15, v15, v71, s[36:37]
	v_cmp_eq_u32_e64 s[36:37], 1, v87
	v_cndmask_b32_e64 v33, v33, v48, s[64:65]
	v_cndmask_b32_e64 v17, v17, v73, s[64:65]
	;; [unrolled: 1-line block ×6, first 2 shown]
	v_cndmask_b32_e32 v49, v49, v74, vcc
	v_cndmask_b32_e64 v50, v50, v74, s[6:7]
	v_cndmask_b32_e64 v51, v51, v74, s[30:31]
	;; [unrolled: 1-line block ×17, first 2 shown]
	v_cmp_eq_u32_e64 s[40:41], 2, v87
	v_cndmask_b32_e64 v45, v45, v48, s[42:43]
	v_cndmask_b32_e64 v29, v29, v73, s[42:43]
	;; [unrolled: 1-line block ×40, first 2 shown]
	v_cmp_eq_u32_e64 s[42:43], 3, v87
	v_cndmask_b32_e64 v48, v48, v34, s[38:39]
	v_cndmask_b32_e64 v73, v73, v18, s[38:39]
	v_cndmask_b32_e64 v71, v71, v2, s[38:39]
	v_cndmask_b32_e64 v74, v74, v61, s[42:43]
	v_cmp_eq_u32_e64 s[44:45], 4, v87
	v_cndmask_b32_e64 v48, v48, v35, s[28:29]
	v_cndmask_b32_e64 v73, v73, v19, s[28:29]
	v_cndmask_b32_e64 v71, v71, v3, s[28:29]
	v_cndmask_b32_e64 v74, v74, v60, s[44:45]
	;; [unrolled: 5-line block ×10, first 2 shown]
	v_cndmask_b32_e64 v48, v48, v44, s[10:11]
	v_cndmask_b32_e64 v73, v73, v28, s[10:11]
	;; [unrolled: 1-line block ×4, first 2 shown]
	v_cmp_eq_u32_e64 s[88:89], 14, v87
	v_cndmask_b32_e64 v48, v48, v45, s[30:31]
	v_cndmask_b32_e64 v73, v73, v29, s[30:31]
	;; [unrolled: 1-line block ×4, first 2 shown]
	v_cmp_eq_u32_e64 s[92:93], 15, v87
	v_cndmask_b32_e64 v48, v48, v46, s[6:7]
	v_cndmask_b32_e64 v73, v73, v30, s[6:7]
	;; [unrolled: 1-line block ×4, first 2 shown]
	v_cndmask_b32_e32 v48, v48, v47, vcc
	v_cndmask_b32_e32 v73, v73, v31, vcc
	;; [unrolled: 1-line block ×3, first 2 shown]
	ds_bpermute_b32 v74, v100, v74
	ds_bpermute_b32 v48, v100, v48
	;; [unrolled: 1-line block ×4, first 2 shown]
	v_cmp_eq_u32_e64 s[60:61], 0, v87
	s_waitcnt lgkmcnt(3)
	v_cndmask_b32_e64 v63, v63, v74, s[36:37]
	s_waitcnt lgkmcnt(2)
	v_cndmask_b32_e32 v47, v47, v48, vcc
	v_cndmask_b32_e64 v70, v70, v74, s[60:61]
	s_waitcnt lgkmcnt(1)
	v_cndmask_b32_e32 v31, v31, v73, vcc
	s_waitcnt lgkmcnt(0)
	v_cndmask_b32_e32 v15, v15, v71, vcc
	v_cmp_eq_u32_e32 vcc, 1, v88
	v_cndmask_b32_e64 v49, v49, v74, s[92:93]
	v_cndmask_b32_e64 v50, v50, v74, s[88:89]
	;; [unrolled: 1-line block ×14, first 2 shown]
	v_cndmask_b32_e32 v74, v70, v63, vcc
	v_cndmask_b32_e64 v46, v46, v48, s[6:7]
	v_cndmask_b32_e64 v30, v30, v73, s[6:7]
	;; [unrolled: 1-line block ×3, first 2 shown]
	v_cmp_eq_u32_e64 s[6:7], 2, v88
	v_cndmask_b32_e64 v1, v1, v71, s[34:35]
	v_cndmask_b32_e64 v0, v0, v71, s[8:9]
	;; [unrolled: 1-line block ×6, first 2 shown]
	v_cmp_eq_u32_e64 s[30:31], 3, v88
	v_cndmask_b32_e64 v12, v12, v71, s[10:11]
	v_cndmask_b32_e64 v11, v11, v71, s[12:13]
	;; [unrolled: 1-line block ×13, first 2 shown]
	v_cmp_eq_u32_e64 s[46:47], 4, v88
	v_cndmask_b32_e64 v71, v71, v2, s[40:41]
	v_cmp_eq_u32_e64 s[52:53], 5, v88
	v_cndmask_b32_e64 v74, v74, v60, s[46:47]
	v_cndmask_b32_e64 v71, v71, v3, s[42:43]
	;; [unrolled: 1-line block ×3, first 2 shown]
	v_cmp_eq_u32_e64 s[58:59], 6, v88
	v_cndmask_b32_e64 v71, v71, v4, s[44:45]
	v_cmp_eq_u32_e64 s[64:65], 7, v88
	v_cndmask_b32_e64 v74, v74, v58, s[58:59]
	v_cndmask_b32_e64 v33, v33, v48, s[34:35]
	;; [unrolled: 1-line block ×17, first 2 shown]
	v_cmp_eq_u32_e64 s[70:71], 8, v88
	v_cndmask_b32_e64 v39, v39, v48, s[90:91]
	v_cndmask_b32_e64 v23, v23, v73, s[90:91]
	;; [unrolled: 1-line block ×16, first 2 shown]
	v_cmp_eq_u32_e64 s[66:67], 9, v88
	v_cndmask_b32_e64 v48, v48, v34, s[40:41]
	v_cndmask_b32_e64 v73, v73, v18, s[40:41]
	v_cndmask_b32_e64 v71, v71, v7, s[68:69]
	v_cndmask_b32_e64 v74, v74, v55, s[66:67]
	v_cmp_eq_u32_e64 s[62:63], 10, v88
	v_cndmask_b32_e64 v48, v48, v35, s[42:43]
	v_cndmask_b32_e64 v73, v73, v19, s[42:43]
	v_cndmask_b32_e64 v71, v71, v8, s[72:73]
	v_cndmask_b32_e64 v74, v74, v54, s[62:63]
	;; [unrolled: 5-line block ×7, first 2 shown]
	v_cndmask_b32_e64 v48, v48, v41, s[74:75]
	v_cndmask_b32_e64 v73, v73, v25, s[74:75]
	;; [unrolled: 1-line block ×3, first 2 shown]
	ds_bpermute_b32 v74, v100, v74
	v_cndmask_b32_e64 v48, v48, v42, s[56:57]
	v_cndmask_b32_e64 v73, v73, v26, s[56:57]
	;; [unrolled: 1-line block ×5, first 2 shown]
	ds_bpermute_b32 v71, v100, v71
	v_cndmask_b32_e64 v48, v48, v44, s[80:81]
	v_cndmask_b32_e64 v73, v73, v28, s[80:81]
	;; [unrolled: 1-line block ×6, first 2 shown]
	v_cmp_eq_u32_e64 s[48:49], 0, v88
	s_waitcnt lgkmcnt(1)
	v_cndmask_b32_e32 v63, v63, v74, vcc
	v_cndmask_b32_e64 v48, v48, v47, s[92:93]
	v_cndmask_b32_e64 v73, v73, v31, s[92:93]
	;; [unrolled: 1-line block ×3, first 2 shown]
	v_cmp_eq_u32_e64 s[8:9], 1, v89
	v_cndmask_b32_e64 v49, v49, v74, s[94:95]
	v_cndmask_b32_e64 v50, v50, v74, s[90:91]
	;; [unrolled: 1-line block ×14, first 2 shown]
	ds_bpermute_b32 v48, v100, v48
	ds_bpermute_b32 v73, v100, v73
	s_waitcnt lgkmcnt(2)
	v_cndmask_b32_e64 v74, v15, v71, s[92:93]
	v_cndmask_b32_e64 v15, v70, v63, s[8:9]
	v_cmp_eq_u32_e64 s[10:11], 2, v89
	v_cndmask_b32_e64 v77, v14, v71, s[88:89]
	v_cmp_eq_u32_e64 s[12:13], 3, v89
	v_cndmask_b32_e64 v14, v15, v62, s[10:11]
	v_cndmask_b32_e64 v104, v13, v71, s[84:85]
	;; [unrolled: 1-line block ×3, first 2 shown]
	v_cmp_eq_u32_e64 s[14:15], 4, v89
	v_cndmask_b32_e64 v107, v12, v71, s[80:81]
	v_cmp_eq_u32_e64 s[16:17], 5, v89
	v_cndmask_b32_e64 v12, v13, v60, s[14:15]
	v_cndmask_b32_e64 v109, v11, v71, s[76:77]
	;; [unrolled: 1-line block ×3, first 2 shown]
	v_cmp_eq_u32_e64 s[18:19], 6, v89
	v_cndmask_b32_e64 v111, v10, v71, s[56:57]
	s_waitcnt lgkmcnt(1)
	v_cndmask_b32_e64 v41, v41, v48, s[74:75]
	v_cndmask_b32_e64 v10, v11, v58, s[18:19]
	s_waitcnt lgkmcnt(0)
	v_cndmask_b32_e64 v112, v25, v73, s[74:75]
	v_cndmask_b32_e64 v113, v9, v71, s[74:75]
	v_cmp_eq_u32_e64 s[74:75], 7, v89
	v_cndmask_b32_e64 v40, v40, v48, s[72:73]
	v_cndmask_b32_e64 v114, v24, v73, s[72:73]
	;; [unrolled: 1-line block ×4, first 2 shown]
	v_cmp_eq_u32_e64 s[72:73], 8, v89
	v_cndmask_b32_e64 v43, v43, v48, s[76:77]
	v_cndmask_b32_e64 v108, v27, v73, s[76:77]
	;; [unrolled: 1-line block ×3, first 2 shown]
	v_cmp_eq_u32_e64 s[76:77], 9, v89
	v_cndmask_b32_e64 v105, v44, v48, s[80:81]
	v_cndmask_b32_e64 v106, v28, v73, s[80:81]
	;; [unrolled: 1-line block ×4, first 2 shown]
	v_cmp_eq_u32_e64 s[80:81], 10, v89
	v_cndmask_b32_e64 v121, v6, v71, s[54:55]
	v_cmp_eq_u32_e64 s[28:29], 11, v89
	v_cndmask_b32_e64 v6, v7, v54, s[80:81]
	v_cndmask_b32_e64 v124, v5, v71, s[50:51]
	v_cndmask_b32_e64 v5, v6, v53, s[28:29]
	v_cmp_eq_u32_e64 s[34:35], 12, v89
	v_cndmask_b32_e64 v91, v4, v71, s[44:45]
	v_cmp_eq_u32_e64 s[38:39], 13, v89
	v_cndmask_b32_e64 v4, v5, v52, s[34:35]
	v_cndmask_b32_e64 v75, v46, v48, s[88:89]
	;; [unrolled: 1-line block ×7, first 2 shown]
	v_cmp_eq_u32_e64 s[40:41], 14, v89
	v_cndmask_b32_e64 v5, v17, v73, s[36:37]
	v_cndmask_b32_e64 v6, v1, v71, s[36:37]
	;; [unrolled: 1-line block ×7, first 2 shown]
	v_cndmask_b32_e32 v13, v12, v4, vcc
	v_cndmask_b32_e32 v15, v14, v5, vcc
	;; [unrolled: 1-line block ×3, first 2 shown]
	v_cndmask_b32_e64 v92, v35, v48, s[42:43]
	v_cndmask_b32_e64 v93, v19, v73, s[42:43]
	;; [unrolled: 1-line block ×33, first 2 shown]
	v_cmp_eq_u32_e64 s[56:57], 15, v89
	v_cndmask_b32_e64 v13, v13, v41, s[66:67]
	v_cndmask_b32_e64 v15, v15, v112, s[66:67]
	;; [unrolled: 1-line block ×7, first 2 shown]
	ds_bpermute_b32 v17, v100, v1
	v_cndmask_b32_e64 v13, v13, v43, s[78:79]
	v_cndmask_b32_e64 v15, v15, v108, s[78:79]
	;; [unrolled: 1-line block ×20, first 2 shown]
	v_cmp_eq_u32_e64 s[54:55], 0, v89
	s_waitcnt lgkmcnt(0)
	v_cndmask_b32_e64 v25, v56, v17, s[72:73]
	v_cndmask_b32_e64 v22, v63, v17, s[8:9]
	ds_bpermute_b32 v13, v100, v13
	ds_bpermute_b32 v15, v100, v15
	;; [unrolled: 1-line block ×3, first 2 shown]
	v_cndmask_b32_e64 v0, v70, v17, s[54:55]
	v_cmp_eq_u32_e64 s[36:37], 1, v90
	v_cndmask_b32_e64 v7, v49, v17, s[56:57]
	v_cndmask_b32_e64 v8, v50, v17, s[40:41]
	;; [unrolled: 1-line block ×14, first 2 shown]
	v_cmp_eq_u32_e64 s[42:43], 2, v90
	v_cmp_eq_u32_e64 s[44:45], 3, v90
	;; [unrolled: 1-line block ×3, first 2 shown]
	v_cndmask_b32_e64 v19, v17, v21, s[42:43]
	v_cndmask_b32_e64 v35, v19, v2, s[44:45]
	;; [unrolled: 1-line block ×3, first 2 shown]
	v_cmp_eq_u32_e64 s[60:61], 5, v90
	s_waitcnt lgkmcnt(2)
	v_cndmask_b32_e64 v57, v42, v13, s[62:63]
	s_waitcnt lgkmcnt(0)
	v_cndmask_b32_e64 v48, v111, v56, s[62:63]
	v_cndmask_b32_e64 v38, v37, v28, s[60:61]
	;; [unrolled: 1-line block ×3, first 2 shown]
	v_cmp_eq_u32_e64 s[62:63], 6, v90
	v_cndmask_b32_e64 v58, v41, v13, s[66:67]
	v_cndmask_b32_e64 v49, v113, v56, s[66:67]
	v_cndmask_b32_e64 v39, v38, v27, s[62:63]
	v_cndmask_b32_e64 v38, v112, v15, s[66:67]
	v_cmp_eq_u32_e64 s[66:67], 7, v90
	v_cmp_eq_u32_e64 s[68:69], 8, v90
	v_cndmask_b32_e64 v59, v40, v13, s[70:71]
	v_cndmask_b32_e64 v41, v39, v26, s[66:67]
	;; [unrolled: 1-line block ×6, first 2 shown]
	v_cmp_eq_u32_e64 s[64:65], 9, v90
	v_cndmask_b32_e64 v61, v119, v13, s[58:59]
	v_cndmask_b32_e64 v52, v121, v56, s[58:59]
	;; [unrolled: 1-line block ×4, first 2 shown]
	v_cmp_eq_u32_e64 s[58:59], 10, v90
	v_cndmask_b32_e64 v29, v47, v13, s[94:95]
	v_cndmask_b32_e64 v47, v43, v13, s[78:79]
	;; [unrolled: 1-line block ×6, first 2 shown]
	v_cmp_eq_u32_e64 s[52:53], 11, v90
	v_cndmask_b32_e64 v63, v125, v13, s[46:47]
	v_cndmask_b32_e64 v54, v91, v56, s[46:47]
	v_cndmask_b32_e64 v55, v43, v11, s[52:53]
	v_cndmask_b32_e64 v43, v126, v15, s[46:47]
	v_cmp_eq_u32_e64 s[46:47], 12, v90
	v_cndmask_b32_e64 v71, v92, v13, s[30:31]
	v_cndmask_b32_e64 v73, v93, v15, s[30:31]
	v_cndmask_b32_e64 v70, v55, v10, s[46:47]
	v_cndmask_b32_e64 v55, v68, v56, s[30:31]
	;; [unrolled: 5-line block ×3, first 2 shown]
	v_cmp_eq_u32_e64 s[6:7], 14, v90
	v_cndmask_b32_e64 v18, v74, v56, s[94:95]
	v_cndmask_b32_e64 v30, v75, v13, s[90:91]
	;; [unrolled: 1-line block ×3, first 2 shown]
	v_cndmask_b32_e32 v68, v4, v13, vcc
	v_cndmask_b32_e32 v74, v5, v15, vcc
	;; [unrolled: 1-line block ×3, first 2 shown]
	v_cmp_eq_u32_e32 vcc, 15, v90
	v_cndmask_b32_e64 v32, v77, v56, s[90:91]
	v_cndmask_b32_e64 v77, v12, v13, s[48:49]
	v_cndmask_b32_e32 v3, v3, v7, vcc
	v_cndmask_b32_e64 v16, v76, v15, s[90:91]
	ds_bpermute_b32 v76, v100, v3
	v_cndmask_b32_e64 v3, v77, v68, s[8:9]
	v_cndmask_b32_e64 v3, v3, v69, s[10:11]
	;; [unrolled: 1-line block ×15, first 2 shown]
	s_waitcnt lgkmcnt(0)
	v_cndmask_b32_e64 v6, v27, v76, s[62:63]
	v_cndmask_b32_e64 v3, v3, v45, s[34:35]
	;; [unrolled: 1-line block ×11, first 2 shown]
	ds_bpermute_b32 v23, v100, v3
	v_cndmask_b32_e64 v27, v27, v42, s[16:17]
	v_cndmask_b32_e64 v27, v27, v41, s[18:19]
	v_cndmask_b32_e64 v39, v114, v15, s[70:71]
	v_cndmask_b32_e64 v27, v27, v40, s[74:75]
	v_cndmask_b32_e64 v27, v27, v39, s[72:73]
	v_cndmask_b32_e64 v27, v27, v38, s[76:77]
	v_cndmask_b32_e64 v33, v104, v56, s[86:87]
	v_cndmask_b32_e64 v34, v107, v56, s[82:83]
	v_cndmask_b32_e64 v36, v108, v15, s[78:79]
	v_cndmask_b32_e64 v35, v109, v56, s[78:79]
	v_cndmask_b32_e64 v50, v115, v56, s[70:71]
	v_cndmask_b32_e64 v56, v44, v56, s[48:49]
	s_waitcnt lgkmcnt(0)
	v_cndmask_b32_e64 v44, v57, v23, s[80:81]
	v_cndmask_b32_e64 v57, v60, v23, s[74:75]
	;; [unrolled: 1-line block ×8, first 2 shown]
	v_cndmask_b32_e32 v15, v7, v76, vcc
	v_cndmask_b32_e64 v14, v8, v76, s[6:7]
	v_cndmask_b32_e64 v13, v9, v76, s[30:31]
	;; [unrolled: 1-line block ×31, first 2 shown]
	ds_bpermute_b32 v69, v100, v27
	v_cndmask_b32_e64 v27, v56, v75, s[8:9]
	v_cndmask_b32_e64 v23, v23, v57, s[66:67]
	;; [unrolled: 1-line block ×18, first 2 shown]
	v_cndmask_b32_e32 v23, v23, v21, vcc
	v_cndmask_b32_e64 v27, v27, v35, s[28:29]
	ds_bpermute_b32 v77, v100, v23
	v_cndmask_b32_e64 v27, v27, v34, s[34:35]
	v_cndmask_b32_e64 v27, v27, v33, s[38:39]
	;; [unrolled: 1-line block ×4, first 2 shown]
	v_cmp_eq_u32_e64 s[48:49], 0, v90
	v_cndmask_b32_e64 v11, v11, v76, s[52:53]
	v_cndmask_b32_e64 v5, v28, v76, s[60:61]
	ds_bpermute_b32 v71, v100, v27
	s_waitcnt lgkmcnt(2)
	v_cndmask_b32_e64 v92, v20, v69, s[56:57]
	v_cndmask_b32_e64 v0, v0, v76, s[48:49]
	s_waitcnt lgkmcnt(1)
	v_cndmask_b32_e32 v31, v21, v77, vcc
	v_cndmask_b32_e64 v30, v22, v77, s[6:7]
	v_cndmask_b32_e64 v28, v25, v77, s[46:47]
	;; [unrolled: 1-line block ×38, first 2 shown]
	v_cndmask_b32_e32 v16, v16, v92, vcc
	ds_bpermute_b32 v91, v100, v16
	s_waitcnt lgkmcnt(1)
	v_cndmask_b32_e64 v93, v18, v71, s[56:57]
	v_cndmask_b32_e64 v29, v24, v77, s[30:31]
	;; [unrolled: 1-line block ×7, first 2 shown]
	s_waitcnt lgkmcnt(0)
	v_cndmask_b32_e64 v46, v44, v91, s[6:7]
	v_cndmask_b32_e64 v44, v57, v91, s[46:47]
	;; [unrolled: 1-line block ×37, first 2 shown]
	v_cndmask_b32_e32 v32, v32, v93, vcc
	v_cndmask_b32_e32 v47, v92, v91, vcc
	ds_bpermute_b32 v92, v100, v32
	v_readlane_b32 s71, v127, 25
	v_cndmask_b32_e64 v45, v45, v91, s[30:31]
	v_cndmask_b32_e64 v33, v74, v91, s[36:37]
	v_readlane_b32 s28, v127, 10
	s_waitcnt lgkmcnt(0)
	v_cndmask_b32_e64 v62, v57, v92, s[6:7]
	v_readlane_b32 s6, v127, 27
	v_cndmask_b32_e64 v61, v58, v92, s[30:31]
	v_cndmask_b32_e64 v57, v49, v92, s[64:65]
	;; [unrolled: 1-line block ×3, first 2 shown]
	v_readlane_b32 s7, v127, 28
	v_readlane_b32 s30, v127, 12
	;; [unrolled: 1-line block ×3, first 2 shown]
	s_mov_b32 s1, 0
	s_max_i32 s70, s71, 0
	v_subrev_u32_e32 v102, s99, v102
	v_cndmask_b32_e64 v42, v37, v91, s[58:59]
	v_cndmask_b32_e64 v37, v60, v91, s[60:61]
	;; [unrolled: 1-line block ×5, first 2 shown]
	v_cndmask_b32_e32 v63, v93, v92, vcc
	v_cndmask_b32_e64 v60, v59, v92, s[46:47]
	v_cndmask_b32_e64 v59, v68, v92, s[52:53]
	;; [unrolled: 1-line block ×11, first 2 shown]
	v_lshl_add_u64 v[70:71], s[6:7], 0, v[64:65]
	s_mov_b64 s[6:7], 0
	s_mov_b32 s16, 0
	v_readlane_b32 s29, v127, 11
	v_readlane_b32 s31, v127, 13
	;; [unrolled: 1-line block ×10, first 2 shown]
	s_mov_b64 s[42:43], 0x80
	s_mov_b64 s[44:45], 0xc0
	v_readlane_b32 s46, v127, 26
                                        ; implicit-def: $sgpr8_sgpr9
	s_branch .LBB109_32
.LBB109_30:                             ;   in Loop: Header=BB109_32 Depth=2
	s_or_b64 exec, exec, s[12:13]
	s_andn2_b64 s[8:9], s[8:9], exec
	s_and_b64 s[12:13], s[14:15], exec
	s_or_b64 s[8:9], s[8:9], s[12:13]
.LBB109_31:                             ;   in Loop: Header=BB109_32 Depth=2
	s_or_b64 exec, exec, s[10:11]
	s_and_b64 s[10:11], exec, s[8:9]
	s_or_b64 s[6:7], s[10:11], s[6:7]
	s_andn2_b64 exec, exec, s[6:7]
	s_cbranch_execz .LBB109_35
.LBB109_32:                             ;   Parent Loop BB109_7 Depth=1
                                        ; =>  This Inner Loop Header: Depth=2
	s_and_b32 s12, s1, 24
	v_or_b32_e32 v73, s12, v98
	v_add_u32_e32 v68, s70, v73
	v_cmp_gt_u32_e32 vcc, 32, v68
	s_or_b64 s[8:9], s[8:9], exec
	s_and_saveexec_b64 s[10:11], vcc
	s_cbranch_execz .LBB109_31
; %bb.33:                               ;   in Loop: Header=BB109_32 Depth=2
	s_add_i32 s13, s16, 1
	s_set_gpr_idx_on s16, gpr_idx(SRC0)
	v_mov_b32_e32 v68, v0
	s_set_gpr_idx_off
	v_cvt_f16_f32_e32 v68, v68
	s_set_gpr_idx_on s13, gpr_idx(SRC0)
	v_mov_b32_e32 v69, v0
	s_set_gpr_idx_off
	v_cvt_f16_f32_sdwa v69, v69 dst_sel:WORD_1 dst_unused:UNUSED_PAD src0_sel:DWORD
	v_mul_lo_u32 v74, v73, s21
	v_ashrrev_i32_e32 v75, 31, v74
	v_lshl_add_u64 v[74:75], v[74:75], 1, v[70:71]
	v_or_b32_e32 v68, v69, v68
	;;#ASMSTART
	global_atomic_pk_add_f16 v[74:75], v68, off
	
	;;#ASMEND
	s_set_gpr_idx_on s16, gpr_idx(SRC0)
	v_mov_b32_e32 v68, v16
	s_set_gpr_idx_off
	v_cvt_f16_f32_e32 v68, v68
	s_set_gpr_idx_on s13, gpr_idx(SRC0)
	v_mov_b32_e32 v69, v16
	s_set_gpr_idx_off
	v_cvt_f16_f32_sdwa v69, v69 dst_sel:WORD_1 dst_unused:UNUSED_PAD src0_sel:DWORD
	v_lshl_add_u64 v[76:77], v[74:75], 0, 64
	v_or_b32_e32 v73, s12, v99
	s_mov_b64 s[14:15], -1
	v_or_b32_e32 v68, v69, v68
	;;#ASMSTART
	global_atomic_pk_add_f16 v[76:77], v68, off
	
	;;#ASMEND
	s_set_gpr_idx_on s16, gpr_idx(SRC0)
	v_mov_b32_e32 v68, v32
	s_set_gpr_idx_off
	v_cvt_f16_f32_e32 v68, v68
	s_set_gpr_idx_on s13, gpr_idx(SRC0)
	v_mov_b32_e32 v69, v32
	s_set_gpr_idx_off
	v_cvt_f16_f32_sdwa v69, v69 dst_sel:WORD_1 dst_unused:UNUSED_PAD src0_sel:DWORD
	v_lshl_add_u64 v[76:77], v[74:75], 0, s[42:43]
	v_lshl_add_u64 v[74:75], v[74:75], 0, s[44:45]
	v_or_b32_e32 v68, v69, v68
	;;#ASMSTART
	global_atomic_pk_add_f16 v[76:77], v68, off
	
	;;#ASMEND
	s_set_gpr_idx_on s16, gpr_idx(SRC0)
	v_mov_b32_e32 v68, v48
	s_set_gpr_idx_off
	v_cvt_f16_f32_e32 v68, v68
	s_set_gpr_idx_on s13, gpr_idx(SRC0)
	v_mov_b32_e32 v69, v48
	s_set_gpr_idx_off
	v_cvt_f16_f32_sdwa v69, v69 dst_sel:WORD_1 dst_unused:UNUSED_PAD src0_sel:DWORD
	s_nop 0
	v_or_b32_e32 v68, v69, v68
	;;#ASMSTART
	global_atomic_pk_add_f16 v[74:75], v68, off
	
	;;#ASMEND
	v_add_u32_e32 v68, s70, v73
	v_cmp_gt_u32_e32 vcc, 32, v68
	s_and_saveexec_b64 s[12:13], vcc
	s_cbranch_execz .LBB109_30
; %bb.34:                               ;   in Loop: Header=BB109_32 Depth=2
	s_add_i32 s14, s16, 2
	s_add_i32 s15, s16, 3
	s_set_gpr_idx_on s14, gpr_idx(SRC0)
	v_mov_b32_e32 v68, v0
	s_set_gpr_idx_off
	v_cvt_f16_f32_e32 v68, v68
	s_set_gpr_idx_on s15, gpr_idx(SRC0)
	v_mov_b32_e32 v69, v0
	s_set_gpr_idx_off
	v_cvt_f16_f32_sdwa v69, v69 dst_sel:WORD_1 dst_unused:UNUSED_PAD src0_sel:DWORD
	v_mul_lo_u32 v74, v73, s21
	v_ashrrev_i32_e32 v75, 31, v74
	v_lshl_add_u64 v[74:75], v[74:75], 1, v[70:71]
	v_or_b32_e32 v68, v69, v68
	;;#ASMSTART
	global_atomic_pk_add_f16 v[74:75], v68, off
	
	;;#ASMEND
	s_set_gpr_idx_on s14, gpr_idx(SRC0)
	v_mov_b32_e32 v68, v16
	s_set_gpr_idx_off
	v_cvt_f16_f32_e32 v68, v68
	s_set_gpr_idx_on s15, gpr_idx(SRC0)
	v_mov_b32_e32 v69, v16
	s_set_gpr_idx_off
	v_cvt_f16_f32_sdwa v69, v69 dst_sel:WORD_1 dst_unused:UNUSED_PAD src0_sel:DWORD
	v_lshl_add_u64 v[76:77], v[74:75], 0, 64
	s_add_i32 s16, s16, 4
	s_add_i32 s1, s1, 8
	v_or_b32_e32 v68, v69, v68
	;;#ASMSTART
	global_atomic_pk_add_f16 v[76:77], v68, off
	
	;;#ASMEND
	s_set_gpr_idx_on s14, gpr_idx(SRC0)
	v_mov_b32_e32 v68, v32
	s_set_gpr_idx_off
	v_cvt_f16_f32_e32 v68, v68
	s_set_gpr_idx_on s15, gpr_idx(SRC0)
	v_mov_b32_e32 v69, v32
	s_set_gpr_idx_off
	v_cvt_f16_f32_sdwa v69, v69 dst_sel:WORD_1 dst_unused:UNUSED_PAD src0_sel:DWORD
	v_lshl_add_u64 v[76:77], v[74:75], 0, s[42:43]
	s_cmp_eq_u32 s16, 16
	v_lshl_add_u64 v[74:75], v[74:75], 0, s[44:45]
	v_or_b32_e32 v68, v69, v68
	;;#ASMSTART
	global_atomic_pk_add_f16 v[76:77], v68, off
	
	;;#ASMEND
	s_set_gpr_idx_on s14, gpr_idx(SRC0)
	v_mov_b32_e32 v68, v48
	s_set_gpr_idx_off
	v_cvt_f16_f32_e32 v68, v68
	s_set_gpr_idx_on s15, gpr_idx(SRC0)
	v_mov_b32_e32 v69, v48
	s_set_gpr_idx_off
	v_cvt_f16_f32_sdwa v69, v69 dst_sel:WORD_1 dst_unused:UNUSED_PAD src0_sel:DWORD
	s_cselect_b64 s[14:15], -1, 0
	s_orn2_b64 s[14:15], s[14:15], exec
	v_or_b32_e32 v68, v69, v68
	;;#ASMSTART
	global_atomic_pk_add_f16 v[74:75], v68, off
	
	;;#ASMEND
	s_branch .LBB109_30
.LBB109_35:                             ;   in Loop: Header=BB109_7 Depth=1
	s_or_b64 exec, exec, s[6:7]
	v_readlane_b32 s72, v127, 2
	v_readlane_b32 s8, v127, 23
	;; [unrolled: 1-line block ×12, first 2 shown]
.LBB109_36:                             ;   in Loop: Header=BB109_7 Depth=1
	s_or_b64 exec, exec, s[8:9]
.LBB109_37:                             ;   in Loop: Header=BB109_7 Depth=1
	s_andn2_saveexec_b64 s[2:3], s[2:3]
	s_cbranch_execz .LBB109_46
; %bb.38:                               ;   in Loop: Header=BB109_7 Depth=1
	s_lshl_b32 s12, s99, 2
	v_cmp_gt_i32_e32 vcc, s12, v102
	s_and_saveexec_b64 s[6:7], vcc
	s_cbranch_execz .LBB109_45
; %bb.39:                               ;   in Loop: Header=BB109_7 Depth=1
	scratch_load_dwordx2 v[0:1], off, off   ; 8-byte Folded Reload
	s_mul_i32 s0, s0, s23
	s_ashr_i32 s1, s0, 31
	s_add_u32 s0, s74, s0
	s_addc_u32 s1, s75, s1
	s_ashr_i32 s8, s46, 31
	s_add_u32 s0, s0, s46
	s_addc_u32 s1, s1, s8
	s_waitcnt vmcnt(0)
	v_lshl_add_u64 v[0:1], s[0:1], 0, v[0:1]
	v_lshl_add_u64 v[8:9], v[0:1], 0, v[66:67]
	s_mov_b64 s[0:1], 0
	s_branch .LBB109_41
.LBB109_40:                             ;   in Loop: Header=BB109_41 Depth=2
	s_or_b64 exec, exec, s[8:9]
	v_lshl_or_b32 v12, v10, 11, v94
	;;#ASMSTART
	s_waitcnt vmcnt(1)
	;;#ASMEND
	ds_write2_b32 v12, v4, v5 offset1:32
	ds_write2_b32 v12, v6, v7 offset0:64 offset1:96
	v_add_u32_e32 v4, 0x400, v12
	v_add_u32_e32 v102, s26, v102
	;;#ASMSTART
	s_waitcnt vmcnt(0)
	;;#ASMEND
	ds_write2_b32 v4, v0, v1 offset1:32
	ds_write2_b32 v4, v2, v3 offset0:64 offset1:96
	v_add_u32_e32 v0, 1, v79
	v_add_u32_e32 v72, s26, v10
	v_cmp_le_i32_e32 vcc, s12, v102
	ds_write_b32 v11, v0 offset:20
	v_add_u32_e32 v0, 2, v79
	s_or_b64 s[0:1], vcc, s[0:1]
	v_cmp_lt_i32_e32 vcc, 19, v72
	s_nop 1
	v_cndmask_b32_e32 v79, v79, v0, vcc
	s_andn2_b64 exec, exec, s[0:1]
	s_cbranch_execz .LBB109_44
.LBB109_41:                             ;   Parent Loop BB109_7 Depth=1
                                        ; =>  This Loop Header: Depth=2
                                        ;       Child Loop BB109_43 Depth 3
	v_cmp_gt_i32_e32 vcc, 20, v72
	s_nop 1
	v_cndmask_b32_e64 v0, v101, 0, vcc
	v_add_u32_e32 v10, v0, v72
	v_ashrrev_i32_e32 v0, 31, v102
	v_lshrrev_b32_e32 v0, 30, v0
	v_add_u32_e32 v0, v102, v0
	v_and_b32_e32 v1, -4, v0
	v_lshlrev_b32_e32 v0, 4, v0
	v_sub_u32_e32 v2, v102, v1
	v_and_b32_e32 v0, 0xffffffc0, v0
	v_ashrrev_i32_e32 v1, 31, v0
	v_mul_lo_u32 v2, s24, v2
	v_lshl_add_u64 v[0:1], v[8:9], 0, v[0:1]
	v_ashrrev_i32_e32 v3, 31, v2
	v_lshl_add_u64 v[0:1], v[0:1], 0, v[2:3]
	v_lshlrev_b32_e32 v11, 2, v10
	;;#ASMSTART
	global_load_dwordx4 v[4:7], v[0:1], off offset:0   sc0 sc1 nt  
	global_load_dwordx4 v[0:3], v[0:1], off offset:32  sc0 sc1 nt  
	
	;;#ASMEND
	ds_read_b32 v12, v11 offset:51220
	v_add_u32_e32 v11, 0xc800, v11
	s_waitcnt lgkmcnt(0)
	v_cmp_ne_u32_e32 vcc, v12, v79
	s_and_saveexec_b64 s[8:9], vcc
	s_cbranch_execz .LBB109_40
; %bb.42:                               ;   in Loop: Header=BB109_41 Depth=2
	s_mov_b64 s[10:11], 0
.LBB109_43:                             ;   Parent Loop BB109_7 Depth=1
                                        ;     Parent Loop BB109_41 Depth=2
                                        ; =>    This Inner Loop Header: Depth=3
	;;#ASMSTART
	s_sleep 0
	;;#ASMEND
	ds_read_b32 v12, v11 offset:20
	s_waitcnt lgkmcnt(0)
	v_cmp_eq_u32_e32 vcc, v12, v79
	s_or_b64 s[10:11], vcc, s[10:11]
	s_andn2_b64 exec, exec, s[10:11]
	s_cbranch_execnz .LBB109_43
	s_branch .LBB109_40
.LBB109_44:                             ;   in Loop: Header=BB109_7 Depth=1
	s_or_b64 exec, exec, s[0:1]
.LBB109_45:                             ;   in Loop: Header=BB109_7 Depth=1
	s_or_b64 exec, exec, s[6:7]
	v_subrev_u32_e32 v102, s12, v102
.LBB109_46:                             ;   in Loop: Header=BB109_7 Depth=1
	s_or_b64 exec, exec, s[2:3]
.LBB109_47:                             ;   in Loop: Header=BB109_7 Depth=1
	s_andn2_saveexec_b64 s[0:1], s[4:5]
	s_cbranch_execz .LBB109_6
; %bb.48:                               ;   in Loop: Header=BB109_7 Depth=1
	v_cmp_gt_i32_e32 vcc, s99, v102
	s_and_saveexec_b64 s[2:3], vcc
	s_cbranch_execz .LBB109_5
; %bb.49:                               ;   in Loop: Header=BB109_7 Depth=1
	s_mul_i32 s96, s96, s22
	s_ashr_i32 s4, s96, 31
	s_add_u32 s5, s72, s96
	s_addc_u32 s6, s73, s4
	s_ashr_i32 s7, s46, 31
	v_cmp_le_i32_e32 vcc, s71, v95
	s_add_u32 s4, s5, s46
	s_addc_u32 s5, s6, s7
	v_cndmask_b32_e32 v0, 0, v96, vcc
	v_ashrrev_i32_e32 v1, 31, v0
	v_lshl_add_u64 v[0:1], s[4:5], 0, v[0:1]
	v_lshl_add_u64 v[8:9], v[0:1], 0, v[66:67]
	s_mov_b64 s[4:5], 0
	s_branch .LBB109_51
.LBB109_50:                             ;   in Loop: Header=BB109_51 Depth=2
	s_or_b64 exec, exec, s[6:7]
	v_lshl_add_u32 v12, v10, 11, v97
	;;#ASMSTART
	s_waitcnt vmcnt(1)
	;;#ASMEND
	ds_write2_b32 v12, v4, v5 offset1:32
	ds_write2_b32 v12, v6, v7 offset0:64 offset1:96
	v_add_u32_e32 v4, 0x400, v12
	v_add_u32_e32 v102, s25, v102
	;;#ASMSTART
	s_waitcnt vmcnt(0)
	;;#ASMEND
	ds_write2_b32 v4, v0, v1 offset1:32
	ds_write2_b32 v4, v2, v3 offset0:64 offset1:96
	v_add_u32_e32 v0, 1, v79
	v_add_u32_e32 v72, s25, v10
	v_cmp_le_i32_e32 vcc, s99, v102
	ds_write_b32 v11, v0
	v_add_u32_e32 v0, 2, v79
	s_or_b64 s[4:5], vcc, s[4:5]
	v_cmp_lt_i32_e32 vcc, 4, v72
	s_nop 1
	v_cndmask_b32_e32 v79, v79, v0, vcc
	s_andn2_b64 exec, exec, s[4:5]
	s_cbranch_execz .LBB109_4
.LBB109_51:                             ;   Parent Loop BB109_7 Depth=1
                                        ; =>  This Loop Header: Depth=2
                                        ;       Child Loop BB109_53 Depth 3
	v_cmp_gt_i32_e32 vcc, 5, v72
	s_nop 1
	v_cndmask_b32_e64 v0, -5, 0, vcc
	v_add_u32_e32 v10, v0, v72
	v_lshlrev_b32_e32 v0, 6, v102
	v_ashrrev_i32_e32 v1, 31, v0
	v_lshl_add_u64 v[0:1], v[8:9], 0, v[0:1]
	v_lshlrev_b32_e32 v11, 2, v10
	;;#ASMSTART
	global_load_dwordx4 v[4:7], v[0:1], off offset:0   
	global_load_dwordx4 v[0:3], v[0:1], off offset:32  
	
	;;#ASMEND
	ds_read_b32 v12, v11 offset:51200
	v_add_u32_e32 v11, 0xc800, v11
	s_waitcnt lgkmcnt(0)
	v_cmp_ne_u32_e32 vcc, v12, v79
	s_and_saveexec_b64 s[6:7], vcc
	s_cbranch_execz .LBB109_50
; %bb.52:                               ;   in Loop: Header=BB109_51 Depth=2
	s_mov_b64 s[8:9], 0
.LBB109_53:                             ;   Parent Loop BB109_7 Depth=1
                                        ;     Parent Loop BB109_51 Depth=2
                                        ; =>    This Inner Loop Header: Depth=3
	;;#ASMSTART
	s_sleep 0
	;;#ASMEND
	ds_read_b32 v12, v11
	s_waitcnt lgkmcnt(0)
	v_cmp_eq_u32_e32 vcc, v12, v79
	s_or_b64 s[8:9], vcc, s[8:9]
	s_andn2_b64 exec, exec, s[8:9]
	s_cbranch_execnz .LBB109_53
	s_branch .LBB109_50
.LBB109_54:
	s_endpgm
	.section	.rodata,"a",@progbits
	.p2align	6, 0x0
	.amdhsa_kernel _Z19_skinny_gemm_kernelILi1ELi4ELi5ELi32ELi4EEvPKhS1_P6__halfPKfiiiiiiii
		.amdhsa_group_segment_fixed_size 51300
		.amdhsa_private_segment_fixed_size 12
		.amdhsa_kernarg_size 64
		.amdhsa_user_sgpr_count 2
		.amdhsa_user_sgpr_dispatch_ptr 0
		.amdhsa_user_sgpr_queue_ptr 0
		.amdhsa_user_sgpr_kernarg_segment_ptr 1
		.amdhsa_user_sgpr_dispatch_id 0
		.amdhsa_user_sgpr_kernarg_preload_length 0
		.amdhsa_user_sgpr_kernarg_preload_offset 0
		.amdhsa_user_sgpr_private_segment_size 0
		.amdhsa_uses_dynamic_stack 0
		.amdhsa_enable_private_segment 1
		.amdhsa_system_sgpr_workgroup_id_x 1
		.amdhsa_system_sgpr_workgroup_id_y 0
		.amdhsa_system_sgpr_workgroup_id_z 0
		.amdhsa_system_sgpr_workgroup_info 0
		.amdhsa_system_vgpr_workitem_id 0
		.amdhsa_next_free_vgpr 128
		.amdhsa_next_free_sgpr 100
		.amdhsa_accum_offset 128
		.amdhsa_reserve_vcc 1
		.amdhsa_float_round_mode_32 0
		.amdhsa_float_round_mode_16_64 0
		.amdhsa_float_denorm_mode_32 3
		.amdhsa_float_denorm_mode_16_64 3
		.amdhsa_dx10_clamp 1
		.amdhsa_ieee_mode 1
		.amdhsa_fp16_overflow 0
		.amdhsa_tg_split 0
		.amdhsa_exception_fp_ieee_invalid_op 0
		.amdhsa_exception_fp_denorm_src 0
		.amdhsa_exception_fp_ieee_div_zero 0
		.amdhsa_exception_fp_ieee_overflow 0
		.amdhsa_exception_fp_ieee_underflow 0
		.amdhsa_exception_fp_ieee_inexact 0
		.amdhsa_exception_int_div_zero 0
	.end_amdhsa_kernel
	.section	.text._Z19_skinny_gemm_kernelILi1ELi4ELi5ELi32ELi4EEvPKhS1_P6__halfPKfiiiiiiii,"axG",@progbits,_Z19_skinny_gemm_kernelILi1ELi4ELi5ELi32ELi4EEvPKhS1_P6__halfPKfiiiiiiii,comdat
.Lfunc_end109:
	.size	_Z19_skinny_gemm_kernelILi1ELi4ELi5ELi32ELi4EEvPKhS1_P6__halfPKfiiiiiiii, .Lfunc_end109-_Z19_skinny_gemm_kernelILi1ELi4ELi5ELi32ELi4EEvPKhS1_P6__halfPKfiiiiiiii
                                        ; -- End function
	.set _Z19_skinny_gemm_kernelILi1ELi4ELi5ELi32ELi4EEvPKhS1_P6__halfPKfiiiiiiii.num_vgpr, 128
	.set _Z19_skinny_gemm_kernelILi1ELi4ELi5ELi32ELi4EEvPKhS1_P6__halfPKfiiiiiiii.num_agpr, 0
	.set _Z19_skinny_gemm_kernelILi1ELi4ELi5ELi32ELi4EEvPKhS1_P6__halfPKfiiiiiiii.numbered_sgpr, 100
	.set _Z19_skinny_gemm_kernelILi1ELi4ELi5ELi32ELi4EEvPKhS1_P6__halfPKfiiiiiiii.num_named_barrier, 0
	.set _Z19_skinny_gemm_kernelILi1ELi4ELi5ELi32ELi4EEvPKhS1_P6__halfPKfiiiiiiii.private_seg_size, 12
	.set _Z19_skinny_gemm_kernelILi1ELi4ELi5ELi32ELi4EEvPKhS1_P6__halfPKfiiiiiiii.uses_vcc, 1
	.set _Z19_skinny_gemm_kernelILi1ELi4ELi5ELi32ELi4EEvPKhS1_P6__halfPKfiiiiiiii.uses_flat_scratch, 0
	.set _Z19_skinny_gemm_kernelILi1ELi4ELi5ELi32ELi4EEvPKhS1_P6__halfPKfiiiiiiii.has_dyn_sized_stack, 0
	.set _Z19_skinny_gemm_kernelILi1ELi4ELi5ELi32ELi4EEvPKhS1_P6__halfPKfiiiiiiii.has_recursion, 0
	.set _Z19_skinny_gemm_kernelILi1ELi4ELi5ELi32ELi4EEvPKhS1_P6__halfPKfiiiiiiii.has_indirect_call, 0
	.section	.AMDGPU.csdata,"",@progbits
; Kernel info:
; codeLenInByte = 14036
; TotalNumSgprs: 106
; NumVgprs: 128
; NumAgprs: 0
; TotalNumVgprs: 128
; ScratchSize: 12
; MemoryBound: 0
; FloatMode: 240
; IeeeMode: 1
; LDSByteSize: 51300 bytes/workgroup (compile time only)
; SGPRBlocks: 13
; VGPRBlocks: 15
; NumSGPRsForWavesPerEU: 106
; NumVGPRsForWavesPerEU: 128
; AccumOffset: 128
; Occupancy: 4
; WaveLimiterHint : 0
; COMPUTE_PGM_RSRC2:SCRATCH_EN: 1
; COMPUTE_PGM_RSRC2:USER_SGPR: 2
; COMPUTE_PGM_RSRC2:TRAP_HANDLER: 0
; COMPUTE_PGM_RSRC2:TGID_X_EN: 1
; COMPUTE_PGM_RSRC2:TGID_Y_EN: 0
; COMPUTE_PGM_RSRC2:TGID_Z_EN: 0
; COMPUTE_PGM_RSRC2:TIDIG_COMP_CNT: 0
; COMPUTE_PGM_RSRC3_GFX90A:ACCUM_OFFSET: 31
; COMPUTE_PGM_RSRC3_GFX90A:TG_SPLIT: 0
	.section	.text._Z19_skinny_gemm_kernelILi1ELi4ELi6ELi16ELi4EEvPKhS1_P6__halfPKfiiiiiiii,"axG",@progbits,_Z19_skinny_gemm_kernelILi1ELi4ELi6ELi16ELi4EEvPKhS1_P6__halfPKfiiiiiiii,comdat
	.protected	_Z19_skinny_gemm_kernelILi1ELi4ELi6ELi16ELi4EEvPKhS1_P6__halfPKfiiiiiiii ; -- Begin function _Z19_skinny_gemm_kernelILi1ELi4ELi6ELi16ELi4EEvPKhS1_P6__halfPKfiiiiiiii
	.globl	_Z19_skinny_gemm_kernelILi1ELi4ELi6ELi16ELi4EEvPKhS1_P6__halfPKfiiiiiiii
	.p2align	8
	.type	_Z19_skinny_gemm_kernelILi1ELi4ELi6ELi16ELi4EEvPKhS1_P6__halfPKfiiiiiiii,@function
_Z19_skinny_gemm_kernelILi1ELi4ELi6ELi16ELi4EEvPKhS1_P6__halfPKfiiiiiiii: ; @_Z19_skinny_gemm_kernelILi1ELi4ELi6ELi16ELi4EEvPKhS1_P6__halfPKfiiiiiiii
; %bb.0:
	v_cmp_gt_u32_e32 vcc, 30, v0
	v_lshlrev_b32_e32 v1, 2, v0
	s_and_saveexec_b64 s[4:5], vcc
; %bb.1:
	v_mov_b32_e32 v2, 0
	ds_write_b32 v1, v2 offset:61440
; %bb.2:
	s_or_b64 exec, exec, s[4:5]
	s_load_dwordx8 s[20:27], s[0:1], 0x20
	s_waitcnt lgkmcnt(0)
	s_barrier
	s_add_i32 s3, s20, 15
	s_ashr_i32 s5, s3, 31
	s_add_i32 s4, s21, 63
	s_lshr_b32 s5, s5, 28
	s_ashr_i32 s6, s4, 31
	s_add_i32 s3, s3, s5
	s_ashr_i32 s33, s3, 4
	s_lshr_b32 s3, s6, 26
	s_add_i32 s4, s4, s3
	s_ashr_i32 s50, s4, 6
	s_mul_i32 s3, s50, s33
	s_mul_i32 s3, s3, s24
	s_add_i32 s4, s3, 0x12f
	s_mul_hi_i32 s4, s4, 0x6bca1af3
	s_lshr_b32 s5, s4, 31
	s_ashr_i32 s4, s4, 7
	s_add_i32 s4, s4, s5
	s_add_i32 s5, s2, 1
	s_mul_i32 s5, s4, s5
	v_cvt_f64_i32_e32 v[2:3], s3
	v_cvt_f64_u32_e32 v[4:5], s5
	v_min_f64 v[2:3], v[2:3], v[4:5]
	v_cvt_i32_f64_e32 v17, v[2:3]
	s_mul_i32 s51, s4, s2
	v_cmp_ge_i32_e32 vcc, s51, v17
	s_cbranch_vccnz .LBB110_51
; %bb.3:
	v_lshrrev_b32_e32 v2, 6, v0
	s_add_i32 s4, s26, s25
	s_load_dwordx8 s[36:43], s[0:1], 0x0
	v_cmp_le_i32_e64 s[0:1], s4, v2
	v_mov_b32_e32 v3, s25
	v_cmp_le_i32_e64 s[2:3], s25, v2
	v_mov_b32_e32 v4, s26
	v_cndmask_b32_e64 v4, 0, v4, s[0:1]
	v_cndmask_b32_e64 v3, 0, v3, s[2:3]
	s_abs_i32 s5, s24
	v_add_u32_e32 v3, v3, v4
	v_cvt_f32_u32_e32 v4, s5
	v_sub_u32_e32 v24, v2, v3
	s_ashr_i32 s6, s22, 31
	s_lshr_b32 s6, s6, 25
	v_rcp_iflag_f32_e32 v3, v4
	s_sub_i32 s9, 0, s5
	s_add_i32 s6, s22, s6
	s_ashr_i32 s6, s6, 7
	v_mul_f32_e32 v3, 0x4f7ffffe, v3
	v_cvt_u32_f32_e32 v3, v3
	s_abs_i32 s8, s6
	s_xor_b32 s7, s6, s24
	s_ashr_i32 s7, s7, 31
	v_readfirstlane_b32 s10, v3
	s_mul_i32 s9, s9, s10
	s_mul_hi_u32 s9, s10, s9
	s_add_i32 s10, s10, s9
	s_mul_hi_u32 s9, s8, s10
	s_mul_i32 s10, s9, s5
	s_sub_i32 s8, s8, s10
	s_add_i32 s10, s9, 1
	s_sub_i32 s11, s8, s5
	s_cmp_ge_u32 s8, s5
	s_cselect_b32 s9, s10, s9
	s_cselect_b32 s8, s11, s8
	s_add_i32 s10, s9, 1
	s_cmp_ge_u32 s8, s5
	s_cselect_b32 s5, s10, s9
	s_xor_b32 s5, s5, s7
	s_sub_i32 s52, s5, s7
	s_add_i32 s24, s24, -1
	s_mul_i32 s5, s52, s24
	s_add_i32 s4, s4, s27
	s_sub_i32 s53, s6, s5
	v_cmp_gt_i32_e64 s[4:5], s4, v2
	v_lshlrev_b32_e32 v2, 1, v0
	v_lshlrev_b32_e32 v3, 4, v0
	v_and_b32_e32 v1, 60, v1
	v_and_b32_e32 v2, 64, v2
	;; [unrolled: 1-line block ×3, first 2 shown]
	s_abs_i32 s54, s33
	v_or3_b32 v39, v1, v2, v4
	v_and_b32_e32 v1, 1, v0
	v_cvt_f32_u32_e32 v6, s54
	v_lshlrev_b32_e32 v2, 1, v1
	v_lshrrev_b32_e32 v4, 2, v0
	v_and_b32_e32 v16, 14, v0
	v_sub_u32_e32 v2, v0, v2
	v_and_or_b32 v41, v4, 12, v1
	v_bitop3_b32 v42, v0, 1, v0 bitop3:0xc
	v_bitop3_b32 v43, v0, 3, 1 bitop3:0x6c
	v_and_b32_e32 v20, 48, v3
	v_bfe_u32 v1, v0, 2, 4
	v_and_b32_e32 v3, 60, v0
	v_lshlrev_b32_e32 v5, 8, v0
	v_lshlrev_b32_e32 v0, 6, v0
	v_and_b32_e32 v5, 0x200, v5
	v_and_b32_e32 v0, 64, v0
	v_or3_b32 v47, v3, v5, v0
	v_rcp_iflag_f32_e32 v0, v6
	s_abs_i32 s56, s50
	v_mul_lo_u32 v22, s23, v1
	v_mul_lo_u32 v49, s22, v1
	v_cvt_f32_u32_e32 v1, s56
	v_mul_f32_e32 v0, 0x4f7ffffe, v0
	v_cvt_u32_f32_e32 v0, v0
	v_mad_u64_u32 v[18:19], s[6:7], s21, v41, v[16:17]
	v_rcp_iflag_f32_e32 v1, v1
	v_readfirstlane_b32 s7, v0
	s_sub_i32 s6, 0, s54
	s_mul_i32 s6, s6, s7
	v_mul_f32_e32 v0, 0x4f7ffffe, v1
	v_cvt_u32_f32_e32 v0, v0
	s_mul_hi_u32 s6, s7, s6
	v_add_u32_e32 v2, 1, v2
	s_add_i32 s58, s7, s6
	s_sub_i32 s6, 0, s56
	v_readfirstlane_b32 s7, v0
	v_mbcnt_lo_u32_b32 v0, -1, 0
	v_and_b32_e32 v2, 63, v2
	s_mul_i32 s6, s6, s7
	v_mbcnt_hi_u32_b32 v0, -1, v0
	s_mul_hi_u32 s6, s7, s6
	v_and_or_b32 v0, v0, 64, v2
	v_cndmask_b32_e64 v38, 0, 1, s[0:1]
	v_or_b32_e32 v40, 0xc000, v39
	v_or_b32_e32 v44, 16, v16
	v_or_b32_e32 v45, 32, v16
	v_or_b32_e32 v46, 48, v16
	v_ashrrev_i32_e32 v19, 31, v18
	s_ashr_i32 s29, s21, 31
	s_mov_b32 s28, s21
	v_ashrrev_i32_e32 v23, 31, v22
	v_mov_b32_e32 v21, 0
	s_lshl_b32 s55, s23, 4
	v_bitop3_b32 v48, v4, 15, v4 bitop3:0xc
	v_or_b32_e32 v50, 0xc000, v47
	s_ashr_i32 s57, s33, 31
	s_ashr_i32 s59, s50, 31
	s_add_i32 s60, s7, s6
	s_mov_b64 s[30:31], 0x60
	v_lshlrev_b32_e32 v51, 2, v0
	v_not_b32_e32 v52, 23
	v_mov_b32_e32 v53, v24
	s_branch .LBB110_7
.LBB110_4:                              ;   in Loop: Header=BB110_7 Depth=1
	s_or_b64 exec, exec, s[10:11]
.LBB110_5:                              ;   in Loop: Header=BB110_7 Depth=1
	s_or_b64 exec, exec, s[8:9]
	v_subrev_u32_e32 v53, s61, v53
.LBB110_6:                              ;   in Loop: Header=BB110_7 Depth=1
	s_or_b64 exec, exec, s[6:7]
	s_add_i32 s51, s51, 1
	v_cmp_ge_i32_e32 vcc, s51, v17
	s_cbranch_vccnz .LBB110_51
.LBB110_7:                              ; =>This Loop Header: Depth=1
                                        ;     Child Loop BB110_13 Depth 2
                                        ;       Child Loop BB110_15 Depth 3
                                        ;       Child Loop BB110_18 Depth 3
	;; [unrolled: 1-line block ×5, first 2 shown]
                                        ;     Child Loop BB110_38 Depth 2
                                        ;       Child Loop BB110_40 Depth 3
                                        ;     Child Loop BB110_48 Depth 2
                                        ;       Child Loop BB110_50 Depth 3
	s_abs_i32 s7, s51
	s_mul_hi_u32 s8, s7, s58
	s_mul_i32 s9, s8, s54
	s_ashr_i32 s6, s51, 31
	s_sub_i32 s7, s7, s9
	s_xor_b32 s6, s6, s57
	s_add_i32 s9, s8, 1
	s_sub_i32 s10, s7, s54
	s_cmp_ge_u32 s7, s54
	s_cselect_b32 s8, s9, s8
	s_cselect_b32 s7, s10, s7
	s_add_i32 s9, s8, 1
	s_cmp_ge_u32 s7, s54
	s_cselect_b32 s7, s9, s8
	s_xor_b32 s7, s7, s6
	s_sub_i32 s6, s7, s6
	s_abs_i32 s8, s6
	s_mul_i32 s7, s6, s33
	s_mul_hi_u32 s9, s8, s60
	s_sub_i32 s7, s51, s7
	s_mul_i32 s10, s9, s56
	s_lshl_b32 s62, s7, 4
	s_ashr_i32 s7, s6, 31
	s_sub_i32 s8, s8, s10
	s_xor_b32 s7, s7, s59
	s_add_i32 s10, s9, 1
	s_sub_i32 s11, s8, s56
	s_cmp_ge_u32 s8, s56
	s_cselect_b32 s9, s10, s9
	s_cselect_b32 s8, s11, s8
	s_add_i32 s10, s9, 1
	s_cmp_ge_u32 s8, s56
	s_cselect_b32 s8, s10, s9
	s_xor_b32 s8, s8, s7
	s_sub_i32 s7, s8, s7
	s_mul_i32 s8, s7, s52
	s_lshl_b32 s63, s8, 7
	s_cmp_eq_u32 s7, s24
	s_cselect_b32 s61, s53, s52
	s_sub_i32 s64, s62, s20
	s_add_i32 s64, s64, 16
	s_and_saveexec_b64 s[8:9], s[2:3]
	s_xor_b64 s[34:35], exec, s[8:9]
	s_cbranch_execz .LBB110_44
; %bb.8:                                ;   in Loop: Header=BB110_7 Depth=1
	s_mul_i32 s7, s7, s50
	s_sub_i32 s6, s6, s7
	s_lshl_b32 s6, s6, 6
	s_sub_i32 s45, s6, s21
	s_add_i32 s45, s45, 64
	s_max_i32 s7, s45, 0
	s_sub_i32 s44, s6, s7
	s_and_saveexec_b64 s[6:7], s[0:1]
	s_xor_b64 s[46:47], exec, s[6:7]
	s_cbranch_execz .LBB110_34
; %bb.9:                                ;   in Loop: Header=BB110_7 Depth=1
	s_and_saveexec_b64 s[48:49], s[4:5]
	s_cbranch_execz .LBB110_33
; %bb.10:                               ;   in Loop: Header=BB110_7 Depth=1
	s_waitcnt lgkmcnt(0)
	global_load_dword v54, v21, s[42:43]
	v_mov_b32_e32 v15, 0
	v_cmp_gt_i32_e32 vcc, s61, v53
	v_mov_b32_e32 v14, v15
	v_mov_b32_e32 v13, v15
	v_mov_b32_e32 v12, v15
	v_mov_b32_e32 v11, v15
	v_mov_b32_e32 v10, v15
	v_mov_b32_e32 v9, v15
	v_mov_b32_e32 v8, v15
	v_mov_b32_e32 v7, v15
	v_mov_b32_e32 v6, v15
	v_mov_b32_e32 v5, v15
	v_mov_b32_e32 v4, v15
	v_mov_b32_e32 v3, v15
	v_mov_b32_e32 v2, v15
	v_mov_b32_e32 v1, v15
	v_mov_b32_e32 v0, v15
	s_and_saveexec_b64 s[6:7], vcc
	s_cbranch_execz .LBB110_29
; %bb.11:                               ;   in Loop: Header=BB110_7 Depth=1
	v_mov_b32_e32 v0, 0
	s_mov_b64 s[8:9], 0
	v_mov_b32_e32 v1, v0
	v_mov_b32_e32 v2, v0
	;; [unrolled: 1-line block ×15, first 2 shown]
	s_branch .LBB110_13
.LBB110_12:                             ;   in Loop: Header=BB110_13 Depth=2
	s_or_b64 exec, exec, s[10:11]
	v_add_u32_e32 v33, 0x1800, v32
	ds_read2_b32 v[34:35], v33 offset1:32
	v_add_u32_e32 v53, s27, v53
	v_cmp_le_i32_e32 vcc, s61, v53
	s_or_b64 s[8:9], vcc, s[8:9]
	s_waitcnt lgkmcnt(0)
	v_mfma_f32_16x16x32_fp8_fp8 v[0:3], v[26:27], v[34:35], v[0:3]
	ds_read2_b32 v[26:27], v33 offset0:128 offset1:160
	v_add_u32_e32 v34, 0x1c00, v32
	ds_read2_b32 v[32:33], v34 offset1:32
	s_waitcnt lgkmcnt(1)
	v_mfma_f32_16x16x32_fp8_fp8 v[0:3], v[24:25], v[26:27], v[0:3]
	ds_read2_b32 v[26:27], v34 offset0:128 offset1:160
	v_add_u32_e32 v24, s27, v56
	v_add_u32_e32 v25, 2, v38
	s_waitcnt lgkmcnt(1)
	v_mfma_f32_16x16x32_fp8_fp8 v[0:3], v[30:31], v[32:33], v[0:3]
	v_cmp_lt_i32_e32 vcc, 5, v24
	;;#ASMSTART
	s_waitcnt lgkmcnt(0)
	;;#ASMEND
	ds_write_b32 v55, v57 offset:61476
	s_waitcnt lgkmcnt(1)
	v_mfma_f32_16x16x32_fp8_fp8 v[0:3], v[28:29], v[26:27], v[0:3]
	v_cndmask_b32_e32 v38, v38, v25, vcc
	s_andn2_b64 exec, exec, s[8:9]
	s_cbranch_execz .LBB110_28
.LBB110_13:                             ;   Parent Loop BB110_7 Depth=1
                                        ; =>  This Loop Header: Depth=2
                                        ;       Child Loop BB110_15 Depth 3
                                        ;       Child Loop BB110_18 Depth 3
	;; [unrolled: 1-line block ×5, first 2 shown]
	v_cmp_gt_i32_e32 vcc, 6, v24
	s_nop 1
	v_cndmask_b32_e64 v25, -6, 0, vcc
	v_add_u32_e32 v56, v25, v24
	v_lshlrev_b32_e32 v55, 4, v56
	ds_read_b32 v24, v55 offset:61464
	s_waitcnt lgkmcnt(0)
	v_cmp_ne_u32_e32 vcc, v24, v38
	s_and_saveexec_b64 s[10:11], vcc
	s_cbranch_execz .LBB110_16
; %bb.14:                               ;   in Loop: Header=BB110_13 Depth=2
	s_mov_b64 s[12:13], 0
.LBB110_15:                             ;   Parent Loop BB110_7 Depth=1
                                        ;     Parent Loop BB110_13 Depth=2
                                        ; =>    This Inner Loop Header: Depth=3
	;;#ASMSTART
	s_sleep 0
	;;#ASMEND
	ds_read_b32 v24, v55 offset:61464
	s_waitcnt lgkmcnt(0)
	v_cmp_eq_u32_e32 vcc, v24, v38
	s_or_b64 s[12:13], vcc, s[12:13]
	s_andn2_b64 exec, exec, s[12:13]
	s_cbranch_execnz .LBB110_15
.LBB110_16:                             ;   in Loop: Header=BB110_13 Depth=2
	s_or_b64 exec, exec, s[10:11]
	v_lshlrev_b32_e32 v58, 13, v56
	v_or_b32_e32 v24, v39, v58
	ds_read2_b32 v[28:29], v24 offset1:32
	ds_read2_b32 v[32:33], v24 offset0:128 offset1:160
	v_add_u32_e32 v24, 0x400, v24
	v_add_u32_e32 v57, 1, v38
	ds_read2_b32 v[36:37], v24 offset1:32
	ds_read2_b32 v[34:35], v24 offset0:128 offset1:160
	;;#ASMSTART
	s_waitcnt lgkmcnt(0)
	;;#ASMEND
	ds_write_b32 v55, v57 offset:61464
	v_lshlrev_b32_e32 v24, 2, v56
	ds_read_b32 v25, v24 offset:61440
	v_add_u32_e32 v59, 0xf000, v24
	s_waitcnt lgkmcnt(0)
	v_cmp_ne_u32_e32 vcc, v25, v38
	s_and_saveexec_b64 s[10:11], vcc
	s_cbranch_execz .LBB110_19
; %bb.17:                               ;   in Loop: Header=BB110_13 Depth=2
	s_mov_b64 s[12:13], 0
.LBB110_18:                             ;   Parent Loop BB110_7 Depth=1
                                        ;     Parent Loop BB110_13 Depth=2
                                        ; =>    This Inner Loop Header: Depth=3
	;;#ASMSTART
	s_sleep 0
	;;#ASMEND
	ds_read_b32 v24, v59
	s_waitcnt lgkmcnt(0)
	v_cmp_eq_u32_e32 vcc, v24, v38
	s_or_b64 s[12:13], vcc, s[12:13]
	s_andn2_b64 exec, exec, s[12:13]
	s_cbranch_execnz .LBB110_18
.LBB110_19:                             ;   in Loop: Header=BB110_13 Depth=2
	s_or_b64 exec, exec, s[10:11]
	v_lshl_add_u32 v30, v56, 11, v40
	ds_read2_b32 v[26:27], v30 offset1:32
	ds_read2_b32 v[24:25], v30 offset0:128 offset1:160
	v_add_u32_e32 v60, 0x400, v30
	ds_read2_b32 v[30:31], v60 offset1:32
	ds_write_b32 v59, v57
	s_waitcnt lgkmcnt(3)
	v_mfma_f32_16x16x32_fp8_fp8 v[12:15], v[26:27], v[28:29], v[12:15]
	ds_read2_b32 v[28:29], v60 offset0:128 offset1:160
	s_waitcnt lgkmcnt(3)
	v_mfma_f32_16x16x32_fp8_fp8 v[12:15], v[24:25], v[32:33], v[12:15]
	ds_read_b32 v32, v55 offset:61468
	s_waitcnt lgkmcnt(0)
	v_cmp_ne_u32_e32 vcc, v32, v38
	v_mfma_f32_16x16x32_fp8_fp8 v[12:15], v[30:31], v[36:37], v[12:15]
	v_mfma_f32_16x16x32_fp8_fp8 v[12:15], v[28:29], v[34:35], v[12:15]
	s_and_saveexec_b64 s[10:11], vcc
	s_cbranch_execz .LBB110_22
; %bb.20:                               ;   in Loop: Header=BB110_13 Depth=2
	s_mov_b64 s[12:13], 0
.LBB110_21:                             ;   Parent Loop BB110_7 Depth=1
                                        ;     Parent Loop BB110_13 Depth=2
                                        ; =>    This Inner Loop Header: Depth=3
	;;#ASMSTART
	s_sleep 0
	;;#ASMEND
	ds_read_b32 v32, v55 offset:61468
	s_waitcnt lgkmcnt(0)
	v_cmp_eq_u32_e32 vcc, v32, v38
	s_or_b64 s[12:13], vcc, s[12:13]
	s_andn2_b64 exec, exec, s[12:13]
	s_cbranch_execnz .LBB110_21
.LBB110_22:                             ;   in Loop: Header=BB110_13 Depth=2
	s_or_b64 exec, exec, s[10:11]
	v_add_u32_e32 v32, v39, v58
	v_add_u32_e32 v33, 0x800, v32
	ds_read2_b32 v[34:35], v33 offset1:32
	s_waitcnt lgkmcnt(0)
	v_mfma_f32_16x16x32_fp8_fp8 v[8:11], v[26:27], v[34:35], v[8:11]
	ds_read2_b32 v[34:35], v33 offset0:128 offset1:160
	v_add_u32_e32 v33, 0xc00, v32
	s_waitcnt lgkmcnt(0)
	v_mfma_f32_16x16x32_fp8_fp8 v[8:11], v[24:25], v[34:35], v[8:11]
	ds_read2_b32 v[34:35], v33 offset1:32
	ds_read2_b32 v[36:37], v33 offset0:128 offset1:160
	;;#ASMSTART
	s_waitcnt lgkmcnt(0)
	;;#ASMEND
	ds_read_b32 v33, v55 offset:61472
	s_waitcnt lgkmcnt(2)
	v_mfma_f32_16x16x32_fp8_fp8 v[8:11], v[30:31], v[34:35], v[8:11]
	ds_write_b32 v55, v57 offset:61468
	s_waitcnt lgkmcnt(1)
	v_cmp_ne_u32_e32 vcc, v33, v38
	v_mfma_f32_16x16x32_fp8_fp8 v[8:11], v[28:29], v[36:37], v[8:11]
	s_and_saveexec_b64 s[10:11], vcc
	s_cbranch_execz .LBB110_25
; %bb.23:                               ;   in Loop: Header=BB110_13 Depth=2
	s_mov_b64 s[12:13], 0
.LBB110_24:                             ;   Parent Loop BB110_7 Depth=1
                                        ;     Parent Loop BB110_13 Depth=2
                                        ; =>    This Inner Loop Header: Depth=3
	;;#ASMSTART
	s_sleep 0
	;;#ASMEND
	ds_read_b32 v33, v55 offset:61472
	s_waitcnt lgkmcnt(0)
	v_cmp_eq_u32_e32 vcc, v33, v38
	s_or_b64 s[12:13], vcc, s[12:13]
	s_andn2_b64 exec, exec, s[12:13]
	s_cbranch_execnz .LBB110_24
.LBB110_25:                             ;   in Loop: Header=BB110_13 Depth=2
	s_or_b64 exec, exec, s[10:11]
	v_add_u32_e32 v33, 0x1000, v32
	ds_read2_b32 v[34:35], v33 offset1:32
	s_waitcnt lgkmcnt(0)
	v_mfma_f32_16x16x32_fp8_fp8 v[4:7], v[26:27], v[34:35], v[4:7]
	ds_read2_b32 v[34:35], v33 offset0:128 offset1:160
	v_add_u32_e32 v33, 0x1400, v32
	s_waitcnt lgkmcnt(0)
	v_mfma_f32_16x16x32_fp8_fp8 v[4:7], v[24:25], v[34:35], v[4:7]
	ds_read2_b32 v[34:35], v33 offset1:32
	ds_read2_b32 v[36:37], v33 offset0:128 offset1:160
	;;#ASMSTART
	s_waitcnt lgkmcnt(0)
	;;#ASMEND
	ds_read_b32 v33, v55 offset:61476
	s_waitcnt lgkmcnt(2)
	v_mfma_f32_16x16x32_fp8_fp8 v[4:7], v[30:31], v[34:35], v[4:7]
	ds_write_b32 v55, v57 offset:61472
	s_waitcnt lgkmcnt(1)
	v_cmp_ne_u32_e32 vcc, v33, v38
	v_mfma_f32_16x16x32_fp8_fp8 v[4:7], v[28:29], v[36:37], v[4:7]
	s_and_saveexec_b64 s[10:11], vcc
	s_cbranch_execz .LBB110_12
; %bb.26:                               ;   in Loop: Header=BB110_13 Depth=2
	s_mov_b64 s[12:13], 0
.LBB110_27:                             ;   Parent Loop BB110_7 Depth=1
                                        ;     Parent Loop BB110_13 Depth=2
                                        ; =>    This Inner Loop Header: Depth=3
	;;#ASMSTART
	s_sleep 0
	;;#ASMEND
	ds_read_b32 v33, v55 offset:61476
	s_waitcnt lgkmcnt(0)
	v_cmp_eq_u32_e32 vcc, v33, v38
	s_or_b64 s[12:13], vcc, s[12:13]
	s_andn2_b64 exec, exec, s[12:13]
	s_cbranch_execnz .LBB110_27
	s_branch .LBB110_12
.LBB110_28:                             ;   in Loop: Header=BB110_7 Depth=1
	s_or_b64 exec, exec, s[8:9]
.LBB110_29:                             ;   in Loop: Header=BB110_7 Depth=1
	s_or_b64 exec, exec, s[6:7]
	v_cmp_le_i32_e32 vcc, s45, v16
	v_cmp_eq_u32_e64 s[6:7], 2, v42
	v_cmp_eq_u32_e64 s[8:9], 3, v42
	s_waitcnt vmcnt(0)
	v_cndmask_b32_e32 v26, 0, v54, vcc
	v_pk_mul_f32 v[14:15], v[26:27], v[14:15] op_sel_hi:[0,1]
	v_pk_mul_f32 v[26:27], v[26:27], v[12:13] op_sel_hi:[0,1]
	v_cmp_eq_u32_e32 vcc, 1, v42
	v_cmp_eq_u32_e64 s[10:11], 0, v42
	v_cmp_le_i32_e64 s[14:15], s45, v44
	v_cndmask_b32_e32 v12, v26, v27, vcc
	v_cndmask_b32_e64 v12, v12, v14, s[6:7]
	v_cndmask_b32_e64 v12, v12, v15, s[8:9]
	ds_bpermute_b32 v25, v51, v12
	v_cmp_eq_u32_e64 s[12:13], 1, v43
	v_cmp_le_i32_e64 s[18:19], s45, v45
	v_cmp_eq_u32_e64 s[16:17], 3, v43
	s_waitcnt lgkmcnt(0)
	v_cndmask_b32_e64 v12, v15, v25, s[8:9]
	v_cndmask_b32_e64 v15, v26, v25, s[10:11]
	;; [unrolled: 1-line block ×4, first 2 shown]
	v_cndmask_b32_e32 v14, v27, v25, vcc
	v_pk_mul_f32 v[10:11], v[26:27], v[10:11] op_sel_hi:[0,1]
	v_pk_mul_f32 v[26:27], v[26:27], v[8:9] op_sel_hi:[0,1]
	v_cndmask_b32_e32 v8, v26, v27, vcc
	v_cndmask_b32_e64 v8, v8, v10, s[6:7]
	v_cndmask_b32_e64 v8, v8, v11, s[8:9]
	ds_bpermute_b32 v28, v51, v8
	v_cndmask_b32_e64 v25, v15, v14, s[12:13]
	v_cmp_eq_u32_e64 s[14:15], 2, v43
	s_waitcnt lgkmcnt(0)
	v_cndmask_b32_e64 v9, v11, v28, s[8:9]
	v_cndmask_b32_e64 v8, v25, v13, s[14:15]
	;; [unrolled: 1-line block ×3, first 2 shown]
	v_cndmask_b32_e32 v25, v27, v28, vcc
	v_cndmask_b32_e64 v26, v26, v28, s[10:11]
	v_cndmask_b32_e64 v28, 0, v54, s[18:19]
	v_pk_mul_f32 v[30:31], v[28:29], v[4:5] op_sel_hi:[0,1]
	v_pk_mul_f32 v[6:7], v[28:29], v[6:7] op_sel_hi:[0,1]
	v_cndmask_b32_e32 v4, v30, v31, vcc
	v_cndmask_b32_e64 v4, v4, v6, s[6:7]
	v_cndmask_b32_e64 v4, v4, v7, s[8:9]
	ds_bpermute_b32 v11, v51, v4
	v_cmp_le_i32_e64 s[18:19], s45, v46
	v_cndmask_b32_e64 v4, v26, v25, s[12:13]
	v_cndmask_b32_e64 v4, v4, v10, s[14:15]
	;; [unrolled: 1-line block ×3, first 2 shown]
	s_waitcnt lgkmcnt(0)
	v_cndmask_b32_e64 v29, v30, v11, s[10:11]
	v_cndmask_b32_e64 v30, 0, v54, s[18:19]
	v_cndmask_b32_e32 v28, v31, v11, vcc
	v_pk_mul_f32 v[32:33], v[30:31], v[2:3] op_sel_hi:[0,1]
	v_pk_mul_f32 v[30:31], v[30:31], v[0:1] op_sel_hi:[0,1]
	v_cndmask_b32_e32 v0, v30, v31, vcc
	v_cndmask_b32_e64 v0, v0, v32, s[6:7]
	v_cndmask_b32_e64 v0, v0, v33, s[8:9]
	ds_bpermute_b32 v1, v51, v0
	v_cndmask_b32_e64 v6, v6, v11, s[6:7]
	v_cndmask_b32_e64 v0, v29, v28, s[12:13]
	;; [unrolled: 1-line block ×5, first 2 shown]
	v_cmp_ne_u32_e32 vcc, 0, v42
	ds_bpermute_b32 v2, v51, v0
	s_waitcnt lgkmcnt(1)
	v_cndmask_b32_e64 v3, v33, v1, s[8:9]
	v_cndmask_b32_e64 v7, v32, v1, s[6:7]
	v_cndmask_b32_e32 v0, v31, v1, vcc
	v_cndmask_b32_e64 v1, v30, v1, s[10:11]
	v_cndmask_b32_e64 v11, v1, v0, s[12:13]
	;; [unrolled: 1-line block ×5, first 2 shown]
	ds_bpermute_b32 v8, v51, v8
	ds_bpermute_b32 v4, v51, v4
	;; [unrolled: 1-line block ×3, first 2 shown]
	s_max_i32 s6, s64, 0
	v_add_u32_e32 v27, s6, v41
	v_cmp_gt_u32_e32 vcc, 16, v27
	s_and_saveexec_b64 s[12:13], vcc
	s_cbranch_execz .LBB110_32
; %bb.30:                               ;   in Loop: Header=BB110_7 Depth=1
	v_cmp_eq_u32_e64 s[8:9], 1, v43
	v_cmp_eq_u32_e64 s[10:11], 0, v43
	v_cmp_eq_u32_e32 vcc, 3, v43
	s_waitcnt lgkmcnt(2)
	v_cndmask_b32_e64 v14, v14, v8, s[8:9]
	s_waitcnt lgkmcnt(1)
	v_cndmask_b32_e64 v25, v25, v4, s[8:9]
	v_cndmask_b32_e64 v28, v28, v2, s[8:9]
	s_waitcnt lgkmcnt(0)
	v_cndmask_b32_e64 v30, v0, v11, s[8:9]
	s_mul_i32 s8, s62, s21
	s_ashr_i32 s9, s8, 31
	s_lshl_b64 s[8:9], s[8:9], 1
	v_cndmask_b32_e64 v15, v15, v8, s[10:11]
	v_cndmask_b32_e64 v26, v26, v4, s[10:11]
	;; [unrolled: 1-line block ×4, first 2 shown]
	s_add_u32 s10, s40, s8
	s_addc_u32 s11, s41, s9
	s_ashr_i32 s45, s44, 31
	v_cvt_f16_f32_e32 v15, v15
	v_cvt_f16_f32_sdwa v14, v14 dst_sel:WORD_1 dst_unused:UNUSED_PAD src0_sel:DWORD
	v_cvt_f16_f32_e32 v26, v26
	v_cvt_f16_f32_sdwa v25, v25 dst_sel:WORD_1 dst_unused:UNUSED_PAD src0_sel:DWORD
	s_lshl_b64 s[8:9], s[44:45], 1
	s_add_u32 s8, s10, s8
	s_addc_u32 s9, s11, s9
	v_lshl_add_u64 v[0:1], v[18:19], 1, s[8:9]
	v_or_b32_e32 v14, v14, v15
	v_or_b32_e32 v25, v25, v26
	;;#ASMSTART
	global_atomic_pk_add_f16 v[0:1], v14, off
	
	;;#ASMEND
	v_lshl_add_u64 v[14:15], v[0:1], 0, 32
	;;#ASMSTART
	global_atomic_pk_add_f16 v[14:15], v25, off
	
	;;#ASMEND
	v_cvt_f16_f32_e32 v25, v29
	v_cvt_f16_f32_sdwa v26, v28 dst_sel:WORD_1 dst_unused:UNUSED_PAD src0_sel:DWORD
	v_cvt_f16_f32_e32 v28, v31
	v_cvt_f16_f32_sdwa v29, v30 dst_sel:WORD_1 dst_unused:UNUSED_PAD src0_sel:DWORD
	v_cmp_eq_u32_e64 s[6:7], 2, v43
	v_lshl_add_u64 v[14:15], v[0:1], 0, 64
	v_or_b32_e32 v25, v26, v25
	v_cmp_gt_u32_e64 s[8:9], 14, v27
	;;#ASMSTART
	global_atomic_pk_add_f16 v[14:15], v25, off
	
	;;#ASMEND
	v_lshl_add_u64 v[14:15], v[0:1], 0, s[30:31]
	v_or_b32_e32 v25, v29, v28
	;;#ASMSTART
	global_atomic_pk_add_f16 v[14:15], v25, off
	
	;;#ASMEND
	s_and_b64 exec, exec, s[8:9]
	s_cbranch_execz .LBB110_32
; %bb.31:                               ;   in Loop: Header=BB110_7 Depth=1
	v_cndmask_b32_e32 v12, v12, v8, vcc
	v_cndmask_b32_e64 v8, v13, v8, s[6:7]
	v_cndmask_b32_e32 v9, v9, v4, vcc
	v_cndmask_b32_e64 v4, v10, v4, s[6:7]
	;; [unrolled: 2-line block ×3, first 2 shown]
	v_cndmask_b32_e32 v10, v3, v11, vcc
	v_cvt_f16_f32_e32 v2, v8
	v_cvt_f16_f32_sdwa v3, v12 dst_sel:WORD_1 dst_unused:UNUSED_PAD src0_sel:DWORD
	v_cvt_f16_f32_e32 v4, v4
	v_cvt_f16_f32_sdwa v8, v9 dst_sel:WORD_1 dst_unused:UNUSED_PAD src0_sel:DWORD
	v_cndmask_b32_e64 v7, v7, v11, s[6:7]
	v_lshl_add_u64 v[0:1], s[28:29], 2, v[0:1]
	v_or_b32_e32 v2, v3, v2
	v_or_b32_e32 v4, v8, v4
	;;#ASMSTART
	global_atomic_pk_add_f16 v[0:1], v2, off
	
	;;#ASMEND
	v_lshl_add_u64 v[2:3], v[0:1], 0, 32
	;;#ASMSTART
	global_atomic_pk_add_f16 v[2:3], v4, off
	
	;;#ASMEND
	v_cvt_f16_f32_e32 v4, v6
	v_cvt_f16_f32_sdwa v5, v5 dst_sel:WORD_1 dst_unused:UNUSED_PAD src0_sel:DWORD
	v_cvt_f16_f32_e32 v6, v7
	v_cvt_f16_f32_sdwa v7, v10 dst_sel:WORD_1 dst_unused:UNUSED_PAD src0_sel:DWORD
	v_lshl_add_u64 v[2:3], v[0:1], 0, 64
	v_or_b32_e32 v4, v5, v4
	;;#ASMSTART
	global_atomic_pk_add_f16 v[2:3], v4, off
	
	;;#ASMEND
	v_lshl_add_u64 v[0:1], v[0:1], 0, s[30:31]
	v_or_b32_e32 v2, v7, v6
	;;#ASMSTART
	global_atomic_pk_add_f16 v[0:1], v2, off
	
	;;#ASMEND
.LBB110_32:                             ;   in Loop: Header=BB110_7 Depth=1
	s_or_b64 exec, exec, s[12:13]
	v_subrev_u32_e32 v53, s61, v53
.LBB110_33:                             ;   in Loop: Header=BB110_7 Depth=1
	s_or_b64 exec, exec, s[48:49]
.LBB110_34:                             ;   in Loop: Header=BB110_7 Depth=1
	s_andn2_saveexec_b64 s[6:7], s[46:47]
	s_cbranch_execz .LBB110_43
; %bb.35:                               ;   in Loop: Header=BB110_7 Depth=1
	s_lshl_b32 s16, s61, 2
	v_cmp_gt_i32_e32 vcc, s16, v53
	s_and_saveexec_b64 s[8:9], vcc
	s_cbranch_execz .LBB110_42
; %bb.36:                               ;   in Loop: Header=BB110_7 Depth=1
	s_mul_i32 s10, s44, s23
	s_ashr_i32 s11, s10, 31
	s_waitcnt lgkmcnt(0)
	s_add_u32 s10, s38, s10
	s_addc_u32 s11, s39, s11
	s_ashr_i32 s12, s63, 31
	s_add_u32 s10, s10, s63
	s_addc_u32 s11, s11, s12
	v_lshl_add_u64 v[0:1], s[10:11], 0, v[22:23]
	v_lshl_add_u64 v[8:9], v[0:1], 0, v[20:21]
	s_mov_b64 s[10:11], 0
	s_branch .LBB110_38
.LBB110_37:                             ;   in Loop: Header=BB110_38 Depth=2
	s_or_b64 exec, exec, s[12:13]
	v_lshl_or_b32 v12, v10, 11, v47
	;;#ASMSTART
	s_waitcnt vmcnt(1)
	;;#ASMEND
	ds_write2_b32 v12, v4, v5 offset1:32
	ds_write2_b32 v12, v6, v7 offset0:64 offset1:96
	v_add_u32_e32 v4, 0x400, v12
	v_add_u32_e32 v53, s26, v53
	;;#ASMSTART
	s_waitcnt vmcnt(0)
	;;#ASMEND
	ds_write2_b32 v4, v0, v1 offset1:32
	ds_write2_b32 v4, v2, v3 offset0:64 offset1:96
	v_add_u32_e32 v0, 1, v38
	v_add_u32_e32 v24, s26, v10
	v_cmp_le_i32_e32 vcc, s16, v53
	ds_write_b32 v11, v0 offset:24
	v_add_u32_e32 v0, 2, v38
	s_or_b64 s[10:11], vcc, s[10:11]
	v_cmp_lt_i32_e32 vcc, 23, v24
	s_nop 1
	v_cndmask_b32_e32 v38, v38, v0, vcc
	s_andn2_b64 exec, exec, s[10:11]
	s_cbranch_execz .LBB110_41
.LBB110_38:                             ;   Parent Loop BB110_7 Depth=1
                                        ; =>  This Loop Header: Depth=2
                                        ;       Child Loop BB110_40 Depth 3
	v_cmp_gt_i32_e32 vcc, 24, v24
	s_nop 1
	v_cndmask_b32_e64 v0, v52, 0, vcc
	v_add_u32_e32 v10, v0, v24
	v_ashrrev_i32_e32 v0, 31, v53
	v_lshrrev_b32_e32 v0, 30, v0
	v_add_u32_e32 v0, v53, v0
	v_and_b32_e32 v1, -4, v0
	v_lshlrev_b32_e32 v0, 5, v0
	v_sub_u32_e32 v2, v53, v1
	v_and_b32_e32 v0, 0xffffff80, v0
	v_ashrrev_i32_e32 v1, 31, v0
	v_mul_lo_u32 v2, s55, v2
	v_lshl_add_u64 v[0:1], v[8:9], 0, v[0:1]
	v_ashrrev_i32_e32 v3, 31, v2
	v_lshl_add_u64 v[0:1], v[0:1], 0, v[2:3]
	v_lshlrev_b32_e32 v11, 2, v10
	;;#ASMSTART
	global_load_dwordx4 v[4:7], v[0:1], off offset:0   sc0 sc1 nt  
	global_load_dwordx4 v[0:3], v[0:1], off offset:64  sc0 sc1 nt  
	
	;;#ASMEND
	ds_read_b32 v12, v11 offset:61464
	v_add_u32_e32 v11, 0xf000, v11
	s_waitcnt lgkmcnt(0)
	v_cmp_ne_u32_e32 vcc, v12, v38
	s_and_saveexec_b64 s[12:13], vcc
	s_cbranch_execz .LBB110_37
; %bb.39:                               ;   in Loop: Header=BB110_38 Depth=2
	s_mov_b64 s[14:15], 0
.LBB110_40:                             ;   Parent Loop BB110_7 Depth=1
                                        ;     Parent Loop BB110_38 Depth=2
                                        ; =>    This Inner Loop Header: Depth=3
	;;#ASMSTART
	s_sleep 0
	;;#ASMEND
	ds_read_b32 v12, v11 offset:24
	s_waitcnt lgkmcnt(0)
	v_cmp_eq_u32_e32 vcc, v12, v38
	s_or_b64 s[14:15], vcc, s[14:15]
	s_andn2_b64 exec, exec, s[14:15]
	s_cbranch_execnz .LBB110_40
	s_branch .LBB110_37
.LBB110_41:                             ;   in Loop: Header=BB110_7 Depth=1
	s_or_b64 exec, exec, s[10:11]
.LBB110_42:                             ;   in Loop: Header=BB110_7 Depth=1
	s_or_b64 exec, exec, s[8:9]
	v_subrev_u32_e32 v53, s16, v53
.LBB110_43:                             ;   in Loop: Header=BB110_7 Depth=1
	s_or_b64 exec, exec, s[6:7]
.LBB110_44:                             ;   in Loop: Header=BB110_7 Depth=1
	s_andn2_saveexec_b64 s[6:7], s[34:35]
	s_cbranch_execz .LBB110_6
; %bb.45:                               ;   in Loop: Header=BB110_7 Depth=1
	v_cmp_gt_i32_e32 vcc, s61, v53
	s_and_saveexec_b64 s[8:9], vcc
	s_cbranch_execz .LBB110_5
; %bb.46:                               ;   in Loop: Header=BB110_7 Depth=1
	s_mul_i32 s62, s62, s22
	s_ashr_i32 s10, s62, 31
	s_waitcnt lgkmcnt(0)
	s_add_u32 s11, s36, s62
	s_addc_u32 s12, s37, s10
	s_ashr_i32 s13, s63, 31
	v_cmp_le_i32_e32 vcc, s64, v48
	s_add_u32 s10, s11, s63
	s_addc_u32 s11, s12, s13
	v_cndmask_b32_e32 v0, 0, v49, vcc
	v_ashrrev_i32_e32 v1, 31, v0
	v_lshl_add_u64 v[0:1], s[10:11], 0, v[0:1]
	v_lshl_add_u64 v[8:9], v[0:1], 0, v[20:21]
	s_mov_b64 s[10:11], 0
	s_branch .LBB110_48
.LBB110_47:                             ;   in Loop: Header=BB110_48 Depth=2
	s_or_b64 exec, exec, s[12:13]
	v_lshl_add_u32 v12, v10, 11, v50
	;;#ASMSTART
	s_waitcnt vmcnt(1)
	;;#ASMEND
	ds_write2_b32 v12, v4, v5 offset1:32
	ds_write2_b32 v12, v6, v7 offset0:64 offset1:96
	v_add_u32_e32 v4, 0x400, v12
	v_add_u32_e32 v53, s25, v53
	;;#ASMSTART
	s_waitcnt vmcnt(0)
	;;#ASMEND
	ds_write2_b32 v4, v0, v1 offset1:32
	ds_write2_b32 v4, v2, v3 offset0:64 offset1:96
	v_add_u32_e32 v0, 1, v38
	v_add_u32_e32 v24, s25, v10
	v_cmp_le_i32_e32 vcc, s61, v53
	ds_write_b32 v11, v0
	v_add_u32_e32 v0, 2, v38
	s_or_b64 s[10:11], vcc, s[10:11]
	v_cmp_lt_i32_e32 vcc, 5, v24
	s_nop 1
	v_cndmask_b32_e32 v38, v38, v0, vcc
	s_andn2_b64 exec, exec, s[10:11]
	s_cbranch_execz .LBB110_4
.LBB110_48:                             ;   Parent Loop BB110_7 Depth=1
                                        ; =>  This Loop Header: Depth=2
                                        ;       Child Loop BB110_50 Depth 3
	v_cmp_gt_i32_e32 vcc, 6, v24
	s_nop 1
	v_cndmask_b32_e64 v0, -6, 0, vcc
	v_add_u32_e32 v10, v0, v24
	v_lshlrev_b32_e32 v0, 7, v53
	v_ashrrev_i32_e32 v1, 31, v0
	v_lshl_add_u64 v[0:1], v[8:9], 0, v[0:1]
	v_lshlrev_b32_e32 v11, 2, v10
	;;#ASMSTART
	global_load_dwordx4 v[4:7], v[0:1], off offset:0   
	global_load_dwordx4 v[0:3], v[0:1], off offset:64  
	
	;;#ASMEND
	ds_read_b32 v12, v11 offset:61440
	v_add_u32_e32 v11, 0xf000, v11
	s_waitcnt lgkmcnt(0)
	v_cmp_ne_u32_e32 vcc, v12, v38
	s_and_saveexec_b64 s[12:13], vcc
	s_cbranch_execz .LBB110_47
; %bb.49:                               ;   in Loop: Header=BB110_48 Depth=2
	s_mov_b64 s[14:15], 0
.LBB110_50:                             ;   Parent Loop BB110_7 Depth=1
                                        ;     Parent Loop BB110_48 Depth=2
                                        ; =>    This Inner Loop Header: Depth=3
	;;#ASMSTART
	s_sleep 0
	;;#ASMEND
	ds_read_b32 v12, v11
	s_waitcnt lgkmcnt(0)
	v_cmp_eq_u32_e32 vcc, v12, v38
	s_or_b64 s[14:15], vcc, s[14:15]
	s_andn2_b64 exec, exec, s[14:15]
	s_cbranch_execnz .LBB110_50
	s_branch .LBB110_47
.LBB110_51:
	s_endpgm
	.section	.rodata,"a",@progbits
	.p2align	6, 0x0
	.amdhsa_kernel _Z19_skinny_gemm_kernelILi1ELi4ELi6ELi16ELi4EEvPKhS1_P6__halfPKfiiiiiiii
		.amdhsa_group_segment_fixed_size 61560
		.amdhsa_private_segment_fixed_size 0
		.amdhsa_kernarg_size 64
		.amdhsa_user_sgpr_count 2
		.amdhsa_user_sgpr_dispatch_ptr 0
		.amdhsa_user_sgpr_queue_ptr 0
		.amdhsa_user_sgpr_kernarg_segment_ptr 1
		.amdhsa_user_sgpr_dispatch_id 0
		.amdhsa_user_sgpr_kernarg_preload_length 0
		.amdhsa_user_sgpr_kernarg_preload_offset 0
		.amdhsa_user_sgpr_private_segment_size 0
		.amdhsa_uses_dynamic_stack 0
		.amdhsa_enable_private_segment 0
		.amdhsa_system_sgpr_workgroup_id_x 1
		.amdhsa_system_sgpr_workgroup_id_y 0
		.amdhsa_system_sgpr_workgroup_id_z 0
		.amdhsa_system_sgpr_workgroup_info 0
		.amdhsa_system_vgpr_workitem_id 0
		.amdhsa_next_free_vgpr 61
		.amdhsa_next_free_sgpr 65
		.amdhsa_accum_offset 64
		.amdhsa_reserve_vcc 1
		.amdhsa_float_round_mode_32 0
		.amdhsa_float_round_mode_16_64 0
		.amdhsa_float_denorm_mode_32 3
		.amdhsa_float_denorm_mode_16_64 3
		.amdhsa_dx10_clamp 1
		.amdhsa_ieee_mode 1
		.amdhsa_fp16_overflow 0
		.amdhsa_tg_split 0
		.amdhsa_exception_fp_ieee_invalid_op 0
		.amdhsa_exception_fp_denorm_src 0
		.amdhsa_exception_fp_ieee_div_zero 0
		.amdhsa_exception_fp_ieee_overflow 0
		.amdhsa_exception_fp_ieee_underflow 0
		.amdhsa_exception_fp_ieee_inexact 0
		.amdhsa_exception_int_div_zero 0
	.end_amdhsa_kernel
	.section	.text._Z19_skinny_gemm_kernelILi1ELi4ELi6ELi16ELi4EEvPKhS1_P6__halfPKfiiiiiiii,"axG",@progbits,_Z19_skinny_gemm_kernelILi1ELi4ELi6ELi16ELi4EEvPKhS1_P6__halfPKfiiiiiiii,comdat
.Lfunc_end110:
	.size	_Z19_skinny_gemm_kernelILi1ELi4ELi6ELi16ELi4EEvPKhS1_P6__halfPKfiiiiiiii, .Lfunc_end110-_Z19_skinny_gemm_kernelILi1ELi4ELi6ELi16ELi4EEvPKhS1_P6__halfPKfiiiiiiii
                                        ; -- End function
	.set _Z19_skinny_gemm_kernelILi1ELi4ELi6ELi16ELi4EEvPKhS1_P6__halfPKfiiiiiiii.num_vgpr, 61
	.set _Z19_skinny_gemm_kernelILi1ELi4ELi6ELi16ELi4EEvPKhS1_P6__halfPKfiiiiiiii.num_agpr, 0
	.set _Z19_skinny_gemm_kernelILi1ELi4ELi6ELi16ELi4EEvPKhS1_P6__halfPKfiiiiiiii.numbered_sgpr, 65
	.set _Z19_skinny_gemm_kernelILi1ELi4ELi6ELi16ELi4EEvPKhS1_P6__halfPKfiiiiiiii.num_named_barrier, 0
	.set _Z19_skinny_gemm_kernelILi1ELi4ELi6ELi16ELi4EEvPKhS1_P6__halfPKfiiiiiiii.private_seg_size, 0
	.set _Z19_skinny_gemm_kernelILi1ELi4ELi6ELi16ELi4EEvPKhS1_P6__halfPKfiiiiiiii.uses_vcc, 1
	.set _Z19_skinny_gemm_kernelILi1ELi4ELi6ELi16ELi4EEvPKhS1_P6__halfPKfiiiiiiii.uses_flat_scratch, 0
	.set _Z19_skinny_gemm_kernelILi1ELi4ELi6ELi16ELi4EEvPKhS1_P6__halfPKfiiiiiiii.has_dyn_sized_stack, 0
	.set _Z19_skinny_gemm_kernelILi1ELi4ELi6ELi16ELi4EEvPKhS1_P6__halfPKfiiiiiiii.has_recursion, 0
	.set _Z19_skinny_gemm_kernelILi1ELi4ELi6ELi16ELi4EEvPKhS1_P6__halfPKfiiiiiiii.has_indirect_call, 0
	.section	.AMDGPU.csdata,"",@progbits
; Kernel info:
; codeLenInByte = 4064
; TotalNumSgprs: 71
; NumVgprs: 61
; NumAgprs: 0
; TotalNumVgprs: 61
; ScratchSize: 0
; MemoryBound: 0
; FloatMode: 240
; IeeeMode: 1
; LDSByteSize: 61560 bytes/workgroup (compile time only)
; SGPRBlocks: 8
; VGPRBlocks: 7
; NumSGPRsForWavesPerEU: 71
; NumVGPRsForWavesPerEU: 61
; AccumOffset: 64
; Occupancy: 8
; WaveLimiterHint : 0
; COMPUTE_PGM_RSRC2:SCRATCH_EN: 0
; COMPUTE_PGM_RSRC2:USER_SGPR: 2
; COMPUTE_PGM_RSRC2:TRAP_HANDLER: 0
; COMPUTE_PGM_RSRC2:TGID_X_EN: 1
; COMPUTE_PGM_RSRC2:TGID_Y_EN: 0
; COMPUTE_PGM_RSRC2:TGID_Z_EN: 0
; COMPUTE_PGM_RSRC2:TIDIG_COMP_CNT: 0
; COMPUTE_PGM_RSRC3_GFX90A:ACCUM_OFFSET: 15
; COMPUTE_PGM_RSRC3_GFX90A:TG_SPLIT: 0
	.section	.text._Z19_skinny_gemm_kernelILi1ELi4ELi6ELi32ELi4EEvPKhS1_P6__halfPKfiiiiiiii,"axG",@progbits,_Z19_skinny_gemm_kernelILi1ELi4ELi6ELi32ELi4EEvPKhS1_P6__halfPKfiiiiiiii,comdat
	.protected	_Z19_skinny_gemm_kernelILi1ELi4ELi6ELi32ELi4EEvPKhS1_P6__halfPKfiiiiiiii ; -- Begin function _Z19_skinny_gemm_kernelILi1ELi4ELi6ELi32ELi4EEvPKhS1_P6__halfPKfiiiiiiii
	.globl	_Z19_skinny_gemm_kernelILi1ELi4ELi6ELi32ELi4EEvPKhS1_P6__halfPKfiiiiiiii
	.p2align	8
	.type	_Z19_skinny_gemm_kernelILi1ELi4ELi6ELi32ELi4EEvPKhS1_P6__halfPKfiiiiiiii,@function
_Z19_skinny_gemm_kernelILi1ELi4ELi6ELi32ELi4EEvPKhS1_P6__halfPKfiiiiiiii: ; @_Z19_skinny_gemm_kernelILi1ELi4ELi6ELi32ELi4EEvPKhS1_P6__halfPKfiiiiiiii
; %bb.0:
	v_cmp_gt_u32_e32 vcc, 30, v0
	s_and_saveexec_b64 s[4:5], vcc
; %bb.1:
	v_lshlrev_b32_e32 v1, 2, v0
	v_mov_b32_e32 v2, 0
	ds_write_b32 v1, v2 offset:61440
; %bb.2:
	s_or_b64 exec, exec, s[4:5]
	s_load_dwordx8 s[20:27], s[0:1], 0x20
	s_waitcnt lgkmcnt(0)
	s_barrier
	s_add_i32 s3, s20, 31
	s_ashr_i32 s5, s3, 31
	s_add_i32 s4, s21, 0x7f
	s_lshr_b32 s5, s5, 27
	s_ashr_i32 s6, s4, 31
	s_add_i32 s3, s3, s5
	s_ashr_i32 s14, s3, 5
	s_lshr_b32 s3, s6, 25
	s_add_i32 s4, s4, s3
	s_ashr_i32 s15, s4, 7
	s_mul_i32 s3, s15, s14
	s_mul_i32 s3, s3, s24
	s_add_i32 s4, s3, 0x12f
	s_mul_hi_i32 s4, s4, 0x6bca1af3
	s_lshr_b32 s5, s4, 31
	s_ashr_i32 s4, s4, 7
	s_add_i32 s4, s4, s5
	s_add_i32 s5, s2, 1
	s_mul_i32 s5, s4, s5
	v_cvt_f64_i32_e32 v[2:3], s3
	v_cvt_f64_u32_e32 v[4:5], s5
	v_min_f64 v[2:3], v[2:3], v[4:5]
	v_cvt_i32_f64_e32 v78, v[2:3]
	s_mul_i32 s33, s4, s2
	v_cmp_ge_i32_e32 vcc, s33, v78
	s_cbranch_vccnz .LBB111_54
; %bb.3:
	s_load_dwordx8 s[72:79], s[0:1], 0x0
	v_lshrrev_b32_e32 v1, 6, v0
	s_add_i32 s0, s26, s25
	v_cmp_le_i32_e64 s[28:29], s0, v1
	v_mov_b32_e32 v2, s25
	v_cmp_le_i32_e64 s[30:31], s25, v1
	v_mov_b32_e32 v3, s26
	v_cndmask_b32_e64 v3, 0, v3, s[28:29]
	v_cndmask_b32_e64 v2, 0, v2, s[30:31]
	s_abs_i32 s1, s24
	v_add_u32_e32 v2, v2, v3
	v_cvt_f32_u32_e32 v3, s1
	v_sub_u32_e32 v72, v1, v2
	s_ashr_i32 s2, s22, 31
	s_lshr_b32 s2, s2, 26
	v_rcp_iflag_f32_e32 v2, v3
	s_sub_i32 s5, 0, s1
	s_add_i32 s2, s22, s2
	s_ashr_i32 s2, s2, 6
	v_mul_f32_e32 v2, 0x4f7ffffe, v2
	v_cvt_u32_f32_e32 v2, v2
	s_abs_i32 s4, s2
	s_xor_b32 s3, s2, s24
	s_ashr_i32 s3, s3, 31
	v_readfirstlane_b32 s6, v2
	s_mul_i32 s5, s5, s6
	s_mul_hi_u32 s5, s6, s5
	s_add_i32 s6, s6, s5
	s_mul_hi_u32 s5, s4, s6
	s_mul_i32 s6, s5, s1
	s_sub_i32 s4, s4, s6
	s_add_i32 s6, s5, 1
	s_sub_i32 s7, s4, s1
	s_cmp_ge_u32 s4, s1
	s_cselect_b32 s5, s6, s5
	s_cselect_b32 s4, s7, s4
	s_add_i32 s6, s5, 1
	s_cmp_ge_u32 s4, s1
	v_lshrrev_b32_e32 v2, 3, v0
	v_lshrrev_b32_e32 v7, 1, v0
	s_cselect_b32 s1, s6, s5
	s_add_i32 s0, s0, s27
	v_and_b32_e32 v80, 31, v0
	v_and_b32_e32 v3, 4, v2
	;; [unrolled: 1-line block ×3, first 2 shown]
	v_lshlrev_b32_e32 v7, 4, v0
	v_cmp_gt_i32_e64 s[36:37], s0, v1
	v_lshlrev_b32_e32 v1, 2, v80
	v_lshlrev_b32_e32 v2, 6, v3
	v_and_b32_e32 v7, 0x200, v7
	s_abs_i32 s97, s14
                                        ; implicit-def: $vgpr127 : SGPR spill to VGPR lane
	v_or_b32_e32 v4, 0xc000, v1
	v_or_b32_e32 v82, v1, v2
	v_and_b32_e32 v5, 1, v0
	v_or_b32_e32 v94, v1, v7
	v_cvt_f32_u32_e32 v1, s97
	v_writelane_b32 v127, s14, 0
	v_or_b32_e32 v81, v4, v2
	v_lshlrev_b32_e32 v2, 1, v5
	v_writelane_b32 v127, s15, 1
	v_sub_u32_e32 v2, v0, v2
	s_waitcnt lgkmcnt(0)
	v_writelane_b32 v127, s72, 2
	v_add_u32_e32 v2, 1, v2
	v_and_b32_e32 v6, 63, v2
	v_writelane_b32 v127, s73, 3
	v_bitop3_b32 v83, v0, 1, v0 bitop3:0xc
	v_bitop3_b32 v84, v0, 3, 1 bitop3:0x6c
	;; [unrolled: 1-line block ×8, first 2 shown]
	v_and_b32_e32 v2, 30, v0
	v_bitop3_b32 v95, v0, 31, v0 bitop3:0xc
	v_rcp_iflag_f32_e32 v0, v1
	s_abs_i32 s98, s15
	v_writelane_b32 v127, s74, 4
	v_cvt_f32_u32_e32 v1, s98
	v_writelane_b32 v127, s75, 5
	v_writelane_b32 v127, s76, 6
	;; [unrolled: 1-line block ×3, first 2 shown]
	v_mul_f32_e32 v0, 0x4f7ffffe, v0
	v_writelane_b32 v127, s78, 8
	v_cvt_u32_f32_e32 v0, v0
	v_rcp_iflag_f32_e32 v1, v1
	v_writelane_b32 v127, s79, 9
	v_cndmask_b32_e64 v79, 0, 1, s[28:29]
	s_xor_b32 s1, s1, s3
	v_writelane_b32 v127, s28, 10
	s_sub_i32 s17, s1, s3
	s_add_i32 s34, s24, -1
	v_writelane_b32 v127, s29, 11
	s_mul_i32 s1, s17, s34
	v_writelane_b32 v127, s30, 12
	s_sub_i32 s35, s2, s1
	v_readfirstlane_b32 s1, v0
	v_mul_f32_e32 v0, 0x4f7ffffe, v1
	v_writelane_b32 v127, s31, 13
	v_cvt_u32_f32_e32 v0, v0
	v_writelane_b32 v127, s17, 14
	s_sub_i32 s0, 0, s97
	v_writelane_b32 v127, s34, 15
	s_mul_i32 s0, s0, s1
	v_writelane_b32 v127, s35, 16
	s_mul_hi_u32 s0, s1, s0
	v_writelane_b32 v127, s36, 17
	s_ashr_i32 s38, s14, 31
	s_add_i32 s39, s1, s0
	s_sub_i32 s0, 0, s98
	v_readfirstlane_b32 s1, v0
	v_writelane_b32 v127, s37, 18
	s_mul_i32 s0, s0, s1
	v_mbcnt_lo_u32_b32 v0, -1, 0
	v_writelane_b32 v127, s38, 19
	s_ashr_i32 s40, s15, 31
	s_mul_hi_u32 s0, s1, s0
	v_mbcnt_hi_u32_b32 v0, -1, v0
	v_writelane_b32 v127, s39, 20
	v_mov_b32_e32 v65, 0
	v_mul_lo_u32 v8, s23, v80
	v_or_b32_e32 v98, v5, v3
	s_add_i32 s41, s1, s0
	v_and_or_b32 v0, v0, 64, v6
	v_writelane_b32 v127, s40, 21
	v_ashrrev_i32_e32 v9, 31, v8
	v_mov_b32_e32 v67, v65
	s_lshl_b32 s24, s23, 5
	v_mul_lo_u32 v96, s22, v80
	v_or_b32_e32 v97, v4, v7
	v_or_b32_e32 v99, 2, v98
	v_lshlrev_b32_e32 v64, 1, v2
	v_lshlrev_b32_e32 v100, 2, v0
	v_not_b32_e32 v101, 23
	v_mov_b32_e32 v102, v72
	v_writelane_b32 v127, s41, 22
	scratch_store_dwordx2 off, v[8:9], off  ; 8-byte Folded Spill
	s_branch .LBB111_7
.LBB111_4:                              ;   in Loop: Header=BB111_7 Depth=1
	s_or_b64 exec, exec, s[4:5]
.LBB111_5:                              ;   in Loop: Header=BB111_7 Depth=1
	s_or_b64 exec, exec, s[2:3]
	v_subrev_u32_e32 v102, s99, v102
.LBB111_6:                              ;   in Loop: Header=BB111_7 Depth=1
	s_or_b64 exec, exec, s[0:1]
	s_add_i32 s33, s33, 1
	v_cmp_ge_i32_e32 vcc, s33, v78
	s_cbranch_vccnz .LBB111_54
.LBB111_7:                              ; =>This Loop Header: Depth=1
                                        ;     Child Loop BB111_13 Depth 2
                                        ;       Child Loop BB111_15 Depth 3
                                        ;       Child Loop BB111_18 Depth 3
	;; [unrolled: 1-line block ×5, first 2 shown]
                                        ;     Child Loop BB111_32 Depth 2
                                        ;     Child Loop BB111_41 Depth 2
                                        ;       Child Loop BB111_43 Depth 3
                                        ;     Child Loop BB111_51 Depth 2
                                        ;       Child Loop BB111_53 Depth 3
	s_abs_i32 s1, s33
	s_mul_hi_u32 s2, s1, s39
	s_mul_i32 s3, s2, s97
	s_ashr_i32 s0, s33, 31
	s_sub_i32 s1, s1, s3
	s_xor_b32 s0, s0, s38
	s_add_i32 s3, s2, 1
	s_sub_i32 s4, s1, s97
	s_cmp_ge_u32 s1, s97
	s_cselect_b32 s2, s3, s2
	s_cselect_b32 s1, s4, s1
	s_add_i32 s3, s2, 1
	s_cmp_ge_u32 s1, s97
	s_cselect_b32 s1, s3, s2
	s_xor_b32 s1, s1, s0
	s_sub_i32 s0, s1, s0
	s_abs_i32 s2, s0
	s_mul_i32 s1, s0, s14
	s_mul_hi_u32 s3, s2, s41
	s_sub_i32 s1, s33, s1
	s_mul_i32 s4, s3, s98
	s_lshl_b32 s96, s1, 5
	s_ashr_i32 s1, s0, 31
	s_sub_i32 s2, s2, s4
	s_xor_b32 s1, s1, s40
	s_add_i32 s4, s3, 1
	s_sub_i32 s5, s2, s98
	s_cmp_ge_u32 s2, s98
	s_cselect_b32 s3, s4, s3
	s_cselect_b32 s2, s5, s2
	s_add_i32 s4, s3, 1
	s_cmp_ge_u32 s2, s98
	s_cselect_b32 s2, s4, s3
	s_xor_b32 s2, s2, s1
	s_sub_i32 s1, s2, s1
	s_mul_i32 s2, s1, s17
	s_lshl_b32 s46, s2, 6
	s_cmp_eq_u32 s1, s34
	s_cselect_b32 s99, s35, s17
	s_sub_i32 s2, s96, s20
	s_add_i32 s71, s2, 32
	s_and_saveexec_b64 s[2:3], s[30:31]
	s_xor_b64 s[4:5], exec, s[2:3]
	s_cbranch_execz .LBB111_47
; %bb.8:                                ;   in Loop: Header=BB111_7 Depth=1
	s_mul_i32 s1, s1, s15
	s_sub_i32 s0, s0, s1
	s_lshl_b32 s0, s0, 7
	s_sub_i32 s70, s0, s21
	s_addk_i32 s70, 0x80
	s_max_i32 s1, s70, 0
	s_sub_i32 s0, s0, s1
	s_and_saveexec_b64 s[2:3], s[28:29]
	s_xor_b64 s[2:3], exec, s[2:3]
	s_cbranch_execz .LBB111_37
; %bb.9:                                ;   in Loop: Header=BB111_7 Depth=1
	s_and_saveexec_b64 s[8:9], s[36:37]
	s_cbranch_execz .LBB111_36
; %bb.10:                               ;   in Loop: Header=BB111_7 Depth=1
	global_load_dword v103, v65, s[78:79]
	v_writelane_b32 v127, s8, 23
	v_mov_b32_e32 v63, 0
	v_cmp_gt_i32_e32 vcc, s99, v102
	v_writelane_b32 v127, s9, 24
	v_mov_b32_e32 v62, v63
	v_mov_b32_e32 v61, v63
	;; [unrolled: 1-line block ×63, first 2 shown]
	s_and_saveexec_b64 s[6:7], vcc
	s_cbranch_execz .LBB111_29
; %bb.11:                               ;   in Loop: Header=BB111_7 Depth=1
	v_mov_b32_e32 v0, 0
	s_mov_b64 s[8:9], 0
	v_mov_b32_e32 v1, v0
	v_mov_b32_e32 v2, v0
	;; [unrolled: 1-line block ×63, first 2 shown]
	s_branch .LBB111_13
.LBB111_12:                             ;   in Loop: Header=BB111_13 Depth=2
	s_or_b64 exec, exec, s[10:11]
	v_add_u32_e32 v110, 0x1800, v107
	ds_read2_b32 v[108:109], v110 offset1:32
	v_add_u32_e32 v102, s27, v102
	s_waitcnt lgkmcnt(0)
	v_mfma_f32_32x32x16_fp8_fp8 v[0:15], v[76:77], v[108:109], v[0:15]
	ds_read2_b32 v[76:77], v110 offset0:128 offset1:160
	s_waitcnt lgkmcnt(0)
	v_mfma_f32_32x32x16_fp8_fp8 v[0:15], v[74:75], v[76:77], v[0:15]
	v_add_u32_e32 v76, 0x1c00, v107
	ds_read2_b32 v[74:75], v76 offset1:32
	ds_read2_b32 v[76:77], v76 offset0:128 offset1:160
	ds_write_b32 v105, v106 offset:61468
	s_waitcnt lgkmcnt(2)
	v_mfma_f32_32x32x16_fp8_fp8 v[0:15], v[72:73], v[74:75], v[0:15]
	v_add_u32_e32 v72, s27, v104
	v_add_u32_e32 v73, 2, v79
	v_cmp_lt_i32_e32 vcc, 5, v72
	s_nop 1
	v_cndmask_b32_e32 v79, v79, v73, vcc
	v_cmp_le_i32_e32 vcc, s99, v102
	s_waitcnt lgkmcnt(1)
	v_mfma_f32_32x32x16_fp8_fp8 v[0:15], v[70:71], v[76:77], v[0:15]
	s_or_b64 s[8:9], vcc, s[8:9]
	s_andn2_b64 exec, exec, s[8:9]
	s_cbranch_execz .LBB111_28
.LBB111_13:                             ;   Parent Loop BB111_7 Depth=1
                                        ; =>  This Loop Header: Depth=2
                                        ;       Child Loop BB111_15 Depth 3
                                        ;       Child Loop BB111_18 Depth 3
	;; [unrolled: 1-line block ×5, first 2 shown]
	v_cmp_gt_i32_e32 vcc, 6, v72
	s_nop 1
	v_cndmask_b32_e64 v70, -6, 0, vcc
	v_add_u32_e32 v104, v70, v72
	v_lshlrev_b32_e32 v105, 5, v104
	ds_read_b32 v70, v105 offset:61440
	s_waitcnt lgkmcnt(0)
	v_cmp_ne_u32_e32 vcc, v70, v79
	s_and_saveexec_b64 s[10:11], vcc
	s_cbranch_execz .LBB111_16
; %bb.14:                               ;   in Loop: Header=BB111_13 Depth=2
	s_mov_b64 s[12:13], 0
.LBB111_15:                             ;   Parent Loop BB111_7 Depth=1
                                        ;     Parent Loop BB111_13 Depth=2
                                        ; =>    This Inner Loop Header: Depth=3
	;;#ASMSTART
	s_sleep 0
	;;#ASMEND
	ds_read_b32 v70, v105 offset:61440
	s_waitcnt lgkmcnt(0)
	v_cmp_eq_u32_e32 vcc, v70, v79
	s_or_b64 s[12:13], vcc, s[12:13]
	s_andn2_b64 exec, exec, s[12:13]
	s_cbranch_execnz .LBB111_15
.LBB111_16:                             ;   in Loop: Header=BB111_13 Depth=2
	s_or_b64 exec, exec, s[10:11]
	v_lshl_add_u32 v70, v104, 11, v81
	ds_read2_b32 v[76:77], v70 offset1:32
	ds_read2_b32 v[74:75], v70 offset0:128 offset1:160
	v_add_u32_e32 v70, 0x400, v70
	ds_read2_b32 v[72:73], v70 offset1:32
	ds_read_b32 v107, v105 offset:61444
	ds_read2_b32 v[70:71], v70 offset0:128 offset1:160
	v_add_u32_e32 v106, 1, v79
	ds_write_b32 v105, v106 offset:61440
	s_waitcnt lgkmcnt(2)
	v_cmp_ne_u32_e32 vcc, v107, v79
	s_and_saveexec_b64 s[10:11], vcc
	s_cbranch_execz .LBB111_19
; %bb.17:                               ;   in Loop: Header=BB111_13 Depth=2
	s_mov_b64 s[12:13], 0
.LBB111_18:                             ;   Parent Loop BB111_7 Depth=1
                                        ;     Parent Loop BB111_13 Depth=2
                                        ; =>    This Inner Loop Header: Depth=3
	;;#ASMSTART
	s_sleep 0
	;;#ASMEND
	ds_read_b32 v107, v105 offset:61444
	s_waitcnt lgkmcnt(0)
	v_cmp_eq_u32_e32 vcc, v107, v79
	s_or_b64 s[12:13], vcc, s[12:13]
	s_andn2_b64 exec, exec, s[12:13]
	s_cbranch_execnz .LBB111_18
.LBB111_19:                             ;   in Loop: Header=BB111_13 Depth=2
	s_or_b64 exec, exec, s[10:11]
	v_lshlrev_b32_e32 v107, 13, v104
	v_or_b32_e32 v110, v82, v107
	ds_read2_b32 v[108:109], v110 offset1:32
	ds_write_b32 v105, v106 offset:61444
	s_waitcnt lgkmcnt(1)
	v_mfma_f32_32x32x16_fp8_fp8 v[48:63], v[76:77], v[108:109], v[48:63]
	ds_read2_b32 v[108:109], v110 offset0:128 offset1:160
	v_add_u32_e32 v110, 0x400, v110
	s_waitcnt lgkmcnt(0)
	v_mfma_f32_32x32x16_fp8_fp8 v[48:63], v[74:75], v[108:109], v[48:63]
	ds_read2_b32 v[108:109], v110 offset1:32
	s_waitcnt lgkmcnt(0)
	v_mfma_f32_32x32x16_fp8_fp8 v[48:63], v[72:73], v[108:109], v[48:63]
	ds_read2_b32 v[108:109], v110 offset0:128 offset1:160
	ds_read_b32 v110, v105 offset:61452
	s_waitcnt lgkmcnt(0)
	v_cmp_ne_u32_e32 vcc, v110, v79
	v_mfma_f32_32x32x16_fp8_fp8 v[48:63], v[70:71], v[108:109], v[48:63]
	s_and_saveexec_b64 s[10:11], vcc
	s_cbranch_execz .LBB111_22
; %bb.20:                               ;   in Loop: Header=BB111_13 Depth=2
	s_mov_b64 s[12:13], 0
.LBB111_21:                             ;   Parent Loop BB111_7 Depth=1
                                        ;     Parent Loop BB111_13 Depth=2
                                        ; =>    This Inner Loop Header: Depth=3
	;;#ASMSTART
	s_sleep 0
	;;#ASMEND
	ds_read_b32 v108, v105 offset:61452
	s_waitcnt lgkmcnt(0)
	v_cmp_eq_u32_e32 vcc, v108, v79
	s_or_b64 s[12:13], vcc, s[12:13]
	s_andn2_b64 exec, exec, s[12:13]
	s_cbranch_execnz .LBB111_21
.LBB111_22:                             ;   in Loop: Header=BB111_13 Depth=2
	s_or_b64 exec, exec, s[10:11]
	v_add_u32_e32 v107, v82, v107
	v_add_u32_e32 v110, 0x800, v107
	ds_read2_b32 v[108:109], v110 offset1:32
	ds_write_b32 v105, v106 offset:61452
	s_waitcnt lgkmcnt(1)
	v_mfma_f32_32x32x16_fp8_fp8 v[32:47], v[76:77], v[108:109], v[32:47]
	ds_read2_b32 v[108:109], v110 offset0:128 offset1:160
	v_add_u32_e32 v110, 0xc00, v107
	s_waitcnt lgkmcnt(0)
	v_mfma_f32_32x32x16_fp8_fp8 v[32:47], v[74:75], v[108:109], v[32:47]
	ds_read2_b32 v[108:109], v110 offset1:32
	s_waitcnt lgkmcnt(0)
	v_mfma_f32_32x32x16_fp8_fp8 v[32:47], v[72:73], v[108:109], v[32:47]
	ds_read2_b32 v[108:109], v110 offset0:128 offset1:160
	ds_read_b32 v110, v105 offset:61460
	s_waitcnt lgkmcnt(0)
	v_cmp_ne_u32_e32 vcc, v110, v79
	v_mfma_f32_32x32x16_fp8_fp8 v[32:47], v[70:71], v[108:109], v[32:47]
	s_and_saveexec_b64 s[10:11], vcc
	s_cbranch_execz .LBB111_25
; %bb.23:                               ;   in Loop: Header=BB111_13 Depth=2
	s_mov_b64 s[12:13], 0
.LBB111_24:                             ;   Parent Loop BB111_7 Depth=1
                                        ;     Parent Loop BB111_13 Depth=2
                                        ; =>    This Inner Loop Header: Depth=3
	;;#ASMSTART
	s_sleep 0
	;;#ASMEND
	ds_read_b32 v108, v105 offset:61460
	s_waitcnt lgkmcnt(0)
	v_cmp_eq_u32_e32 vcc, v108, v79
	s_or_b64 s[12:13], vcc, s[12:13]
	s_andn2_b64 exec, exec, s[12:13]
	s_cbranch_execnz .LBB111_24
.LBB111_25:                             ;   in Loop: Header=BB111_13 Depth=2
	s_or_b64 exec, exec, s[10:11]
	v_add_u32_e32 v110, 0x1000, v107
	ds_read2_b32 v[108:109], v110 offset1:32
	s_waitcnt lgkmcnt(0)
	v_mfma_f32_32x32x16_fp8_fp8 v[16:31], v[76:77], v[108:109], v[16:31]
	ds_read2_b32 v[108:109], v110 offset0:128 offset1:160
	v_add_u32_e32 v110, 0x1400, v107
	s_waitcnt lgkmcnt(0)
	v_mfma_f32_32x32x16_fp8_fp8 v[16:31], v[74:75], v[108:109], v[16:31]
	ds_read2_b32 v[108:109], v110 offset1:32
	s_waitcnt lgkmcnt(0)
	v_mfma_f32_32x32x16_fp8_fp8 v[16:31], v[72:73], v[108:109], v[16:31]
	ds_read_b32 v111, v105 offset:61468
	ds_read2_b32 v[108:109], v110 offset0:128 offset1:160
	ds_write_b32 v105, v106 offset:61460
	s_waitcnt lgkmcnt(2)
	v_cmp_ne_u32_e32 vcc, v111, v79
	s_waitcnt lgkmcnt(1)
	v_mfma_f32_32x32x16_fp8_fp8 v[16:31], v[70:71], v[108:109], v[16:31]
	s_and_saveexec_b64 s[10:11], vcc
	s_cbranch_execz .LBB111_12
; %bb.26:                               ;   in Loop: Header=BB111_13 Depth=2
	s_mov_b64 s[12:13], 0
.LBB111_27:                             ;   Parent Loop BB111_7 Depth=1
                                        ;     Parent Loop BB111_13 Depth=2
                                        ; =>    This Inner Loop Header: Depth=3
	;;#ASMSTART
	s_sleep 0
	;;#ASMEND
	ds_read_b32 v108, v105 offset:61468
	s_waitcnt lgkmcnt(0)
	v_cmp_eq_u32_e32 vcc, v108, v79
	s_or_b64 s[12:13], vcc, s[12:13]
	s_andn2_b64 exec, exec, s[12:13]
	s_cbranch_execnz .LBB111_27
	s_branch .LBB111_12
.LBB111_28:                             ;   in Loop: Header=BB111_7 Depth=1
	s_or_b64 exec, exec, s[8:9]
.LBB111_29:                             ;   in Loop: Header=BB111_7 Depth=1
	v_writelane_b32 v127, s71, 25
	v_writelane_b32 v127, s46, 26
	s_or_b64 exec, exec, s[6:7]
	v_cmp_le_i32_e32 vcc, s70, v80
	v_cmp_eq_u32_e64 s[64:65], 1, v83
	v_cmp_eq_u32_e64 s[36:37], 2, v83
	s_waitcnt vmcnt(0)
	v_cndmask_b32_e32 v70, 0, v103, vcc
	v_pk_mul_f32 v[48:49], v[70:71], v[48:49] op_sel_hi:[0,1]
	v_pk_mul_f32 v[62:63], v[70:71], v[62:63] op_sel_hi:[0,1]
	;; [unrolled: 1-line block ×8, first 2 shown]
	v_cndmask_b32_e64 v70, v48, v49, s[64:65]
	v_cndmask_b32_e64 v70, v70, v50, s[36:37]
	v_cmp_eq_u32_e64 s[40:41], 3, v83
	v_cmp_eq_u32_e64 s[42:43], 4, v83
	v_cmp_eq_u32_e64 s[44:45], 5, v83
	v_cndmask_b32_e64 v70, v70, v51, s[40:41]
	v_cndmask_b32_e64 v70, v70, v52, s[42:43]
	v_cndmask_b32_e64 v70, v70, v53, s[44:45]
	v_cmp_eq_u32_e64 s[46:47], 6, v83
	v_cmp_eq_u32_e64 s[48:49], 7, v83
	v_cmp_eq_u32_e64 s[50:51], 8, v83
	v_cndmask_b32_e64 v70, v70, v54, s[46:47]
	;; [unrolled: 6-line block ×4, first 2 shown]
	v_cndmask_b32_e64 v70, v70, v61, s[60:61]
	v_cndmask_b32_e64 v70, v70, v62, s[62:63]
	v_cmp_eq_u32_e64 s[66:67], 15, v83
	s_mul_i32 s6, s96, s21
	s_ashr_i32 s7, s6, 31
	v_cndmask_b32_e64 v70, v70, v63, s[66:67]
	ds_bpermute_b32 v70, v100, v70
	s_lshl_b64 s[6:7], s[6:7], 1
	v_cmp_eq_u32_e64 s[34:35], 0, v83
	s_add_u32 s68, s76, s6
	v_cmp_eq_u32_e32 vcc, 1, v84
	s_waitcnt lgkmcnt(0)
	v_cndmask_b32_e64 v63, v63, v70, s[66:67]
	v_cndmask_b32_e64 v62, v62, v70, s[62:63]
	;; [unrolled: 1-line block ×16, first 2 shown]
	s_addc_u32 s69, s77, s7
	v_cndmask_b32_e32 v48, v70, v105, vcc
	v_cmp_eq_u32_e64 s[6:7], 2, v84
	v_cmp_eq_u32_e64 s[8:9], 3, v84
	;; [unrolled: 1-line block ×3, first 2 shown]
	v_cndmask_b32_e64 v48, v48, v104, s[6:7]
	v_cndmask_b32_e64 v48, v48, v77, s[8:9]
	;; [unrolled: 1-line block ×3, first 2 shown]
	v_cmp_eq_u32_e64 s[12:13], 5, v84
	v_cmp_eq_u32_e64 s[14:15], 6, v84
	;; [unrolled: 1-line block ×3, first 2 shown]
	v_cndmask_b32_e64 v48, v48, v75, s[12:13]
	v_cndmask_b32_e64 v48, v48, v74, s[14:15]
	;; [unrolled: 1-line block ×3, first 2 shown]
	v_cmp_eq_u32_e64 s[18:19], 8, v84
	v_cmp_eq_u32_e64 s[74:75], 9, v84
	;; [unrolled: 1-line block ×3, first 2 shown]
	v_cndmask_b32_e64 v48, v48, v56, s[18:19]
	v_cndmask_b32_e64 v48, v48, v57, s[74:75]
	s_ashr_i32 s1, s0, 31
	v_cndmask_b32_e64 v48, v48, v58, s[76:77]
	v_cmp_eq_u32_e64 s[78:79], 11, v84
	s_lshl_b64 s[38:39], s[0:1], 1
	v_cmp_eq_u32_e64 s[80:81], 12, v84
	v_cndmask_b32_e64 v48, v48, v59, s[78:79]
	s_add_u32 s38, s68, s38
	v_cndmask_b32_e64 v48, v48, v60, s[80:81]
	v_cmp_eq_u32_e64 s[28:29], 13, v84
	s_addc_u32 s39, s69, s39
	v_cmp_eq_u32_e64 s[30:31], 14, v84
	v_cndmask_b32_e64 v48, v48, v61, s[28:29]
	v_writelane_b32 v127, s38, 27
	v_cndmask_b32_e64 v48, v48, v62, s[30:31]
	v_or_b32_e32 v68, 64, v80
	v_writelane_b32 v127, s39, 28
	v_cmp_eq_u32_e64 s[38:39], 15, v84
	v_cmp_eq_u32_e64 s[72:73], 9, v85
	v_cmp_eq_u32_e64 s[82:83], 4, v86
	v_cndmask_b32_e64 v48, v48, v63, s[38:39]
	ds_bpermute_b32 v71, v100, v48
	v_or_b32_e32 v48, 32, v80
	v_cmp_le_i32_e64 s[68:69], s70, v48
	v_cmp_eq_u32_e64 s[86:87], 6, v86
	v_cmp_eq_u32_e64 s[90:91], 7, v86
	v_cndmask_b32_e64 v48, 0, v103, s[68:69]
	v_cmp_le_i32_e64 s[68:69], s70, v68
	v_or_b32_e32 v68, 0x60, v80
	s_waitcnt lgkmcnt(0)
	v_cndmask_b32_e64 v54, v58, v71, s[76:77]
	v_cndmask_b32_e64 v58, v74, v71, s[14:15]
	;; [unrolled: 1-line block ×3, first 2 shown]
	v_cmp_le_i32_e64 s[68:69], s70, v68
	v_cndmask_b32_e64 v49, v63, v71, s[38:39]
	v_pk_mul_f32 v[30:31], v[74:75], v[30:31] op_sel_hi:[0,1]
	v_pk_mul_f32 v[28:29], v[74:75], v[28:29] op_sel_hi:[0,1]
	v_pk_mul_f32 v[26:27], v[74:75], v[26:27] op_sel_hi:[0,1]
	v_pk_mul_f32 v[24:25], v[74:75], v[24:25] op_sel_hi:[0,1]
	v_pk_mul_f32 v[22:23], v[74:75], v[22:23] op_sel_hi:[0,1]
	v_pk_mul_f32 v[20:21], v[74:75], v[20:21] op_sel_hi:[0,1]
	v_pk_mul_f32 v[18:19], v[74:75], v[18:19] op_sel_hi:[0,1]
	v_pk_mul_f32 v[16:17], v[74:75], v[16:17] op_sel_hi:[0,1]
	v_cndmask_b32_e64 v74, 0, v103, s[68:69]
	v_pk_mul_f32 v[32:33], v[48:49], v[32:33] op_sel_hi:[0,1]
	v_cmp_eq_u32_e64 s[68:69], 0, v84
	v_pk_mul_f32 v[0:1], v[74:75], v[0:1] op_sel_hi:[0,1]
	v_cndmask_b32_e64 v50, v62, v71, s[30:31]
	v_cndmask_b32_e64 v51, v61, v71, s[28:29]
	;; [unrolled: 1-line block ×11, first 2 shown]
	v_cndmask_b32_e32 v63, v105, v71, vcc
	v_pk_mul_f32 v[46:47], v[48:49], v[46:47] op_sel_hi:[0,1]
	v_pk_mul_f32 v[44:45], v[48:49], v[44:45] op_sel_hi:[0,1]
	;; [unrolled: 1-line block ×7, first 2 shown]
	v_cndmask_b32_e64 v48, v32, v33, s[64:65]
	v_cndmask_b32_e64 v73, v16, v17, s[64:65]
	v_cndmask_b32_e64 v70, v70, v71, s[68:69]
	v_pk_mul_f32 v[2:3], v[74:75], v[2:3] op_sel_hi:[0,1]
	v_cndmask_b32_e64 v71, v0, v1, s[64:65]
	v_cndmask_b32_e64 v48, v48, v34, s[36:37]
	v_cndmask_b32_e64 v73, v73, v18, s[36:37]
	v_cndmask_b32_e64 v71, v71, v2, s[36:37]
	v_cndmask_b32_e64 v48, v48, v35, s[40:41]
	v_cndmask_b32_e64 v73, v73, v19, s[40:41]
	v_pk_mul_f32 v[4:5], v[74:75], v[4:5] op_sel_hi:[0,1]
	v_cndmask_b32_e64 v71, v71, v3, s[40:41]
	v_cndmask_b32_e64 v48, v48, v36, s[42:43]
	v_cndmask_b32_e64 v73, v73, v20, s[42:43]
	;; [unrolled: 7-line block ×7, first 2 shown]
	v_cndmask_b32_e64 v71, v71, v14, s[62:63]
	v_cndmask_b32_e64 v48, v48, v47, s[66:67]
	;; [unrolled: 1-line block ×4, first 2 shown]
	ds_bpermute_b32 v48, v100, v48
	ds_bpermute_b32 v73, v100, v73
	;; [unrolled: 1-line block ×3, first 2 shown]
	v_cmp_eq_u32_e64 s[70:71], 7, v85
	v_cmp_eq_u32_e64 s[84:85], 13, v87
	s_waitcnt lgkmcnt(2)
	v_cndmask_b32_e64 v34, v34, v48, s[36:37]
	s_waitcnt lgkmcnt(1)
	v_cndmask_b32_e64 v18, v18, v73, s[36:37]
	;; [unrolled: 2-line block ×3, first 2 shown]
	v_cmp_ne_u32_e64 s[36:37], 0, v83
	v_cndmask_b32_e64 v33, v33, v48, s[64:65]
	v_cndmask_b32_e64 v17, v17, v73, s[64:65]
	v_cmp_eq_u32_e64 s[64:65], 1, v85
	v_cndmask_b32_e64 v1, v1, v71, s[36:37]
	v_cndmask_b32_e64 v32, v32, v48, s[34:35]
	;; [unrolled: 1-line block ×8, first 2 shown]
	v_cmp_eq_u32_e64 s[66:67], 2, v85
	v_cndmask_b32_e64 v46, v46, v48, s[62:63]
	v_cndmask_b32_e64 v30, v30, v73, s[62:63]
	;; [unrolled: 1-line block ×36, first 2 shown]
	v_cndmask_b32_e32 v48, v32, v33, vcc
	v_cndmask_b32_e32 v73, v16, v17, vcc
	;; [unrolled: 1-line block ×3, first 2 shown]
	v_cndmask_b32_e64 v74, v74, v62, s[66:67]
	v_cmp_eq_u32_e64 s[62:63], 3, v85
	v_cndmask_b32_e64 v48, v48, v34, s[6:7]
	v_cndmask_b32_e64 v73, v73, v18, s[6:7]
	v_cndmask_b32_e64 v71, v71, v2, s[6:7]
	v_cndmask_b32_e64 v74, v74, v61, s[62:63]
	v_cmp_eq_u32_e64 s[60:61], 4, v85
	v_cndmask_b32_e64 v48, v48, v35, s[8:9]
	v_cndmask_b32_e64 v73, v73, v19, s[8:9]
	v_cndmask_b32_e64 v71, v71, v3, s[8:9]
	;; [unrolled: 5-line block ×4, first 2 shown]
	v_cndmask_b32_e64 v74, v74, v58, s[56:57]
	v_cndmask_b32_e64 v48, v48, v38, s[14:15]
	;; [unrolled: 1-line block ×5, first 2 shown]
	v_cmp_eq_u32_e64 s[52:53], 8, v85
	v_cndmask_b32_e64 v48, v48, v39, s[16:17]
	v_cndmask_b32_e64 v73, v73, v23, s[16:17]
	;; [unrolled: 1-line block ×8, first 2 shown]
	v_cmp_eq_u32_e64 s[48:49], 10, v85
	v_cndmask_b32_e64 v48, v48, v41, s[74:75]
	v_cndmask_b32_e64 v73, v73, v25, s[74:75]
	v_cndmask_b32_e64 v71, v71, v9, s[74:75]
	v_cndmask_b32_e64 v74, v74, v54, s[48:49]
	v_cmp_eq_u32_e64 s[50:51], 11, v85
	v_cndmask_b32_e64 v48, v48, v42, s[76:77]
	v_cndmask_b32_e64 v73, v73, v26, s[76:77]
	v_cndmask_b32_e64 v71, v71, v10, s[76:77]
	v_cndmask_b32_e64 v74, v74, v53, s[50:51]
	;; [unrolled: 5-line block ×6, first 2 shown]
	v_cndmask_b32_e64 v48, v48, v47, s[38:39]
	v_cndmask_b32_e64 v73, v73, v31, s[38:39]
	v_cndmask_b32_e64 v71, v71, v15, s[38:39]
	ds_bpermute_b32 v74, v100, v74
	ds_bpermute_b32 v48, v100, v48
	;; [unrolled: 1-line block ×4, first 2 shown]
	v_cmp_eq_u32_e64 s[46:47], 0, v85
	s_waitcnt lgkmcnt(3)
	v_cndmask_b32_e64 v63, v63, v74, s[64:65]
	v_cmp_eq_u32_e64 s[34:35], 1, v86
	v_cndmask_b32_e64 v70, v70, v74, s[46:47]
	s_waitcnt lgkmcnt(2)
	v_cndmask_b32_e32 v33, v33, v48, vcc
	s_waitcnt lgkmcnt(1)
	v_cndmask_b32_e32 v17, v17, v73, vcc
	;; [unrolled: 2-line block ×3, first 2 shown]
	v_cndmask_b32_e64 v32, v32, v48, s[68:69]
	v_cndmask_b32_e64 v16, v16, v73, s[68:69]
	;; [unrolled: 1-line block ×24, first 2 shown]
	v_cmp_eq_u32_e64 s[38:39], 2, v86
	v_cndmask_b32_e64 v45, v45, v48, s[28:29]
	v_cndmask_b32_e64 v29, v29, v73, s[28:29]
	;; [unrolled: 1-line block ×40, first 2 shown]
	v_cmp_eq_u32_e64 s[28:29], 3, v86
	v_cndmask_b32_e64 v48, v48, v34, s[66:67]
	v_cndmask_b32_e64 v73, v73, v18, s[66:67]
	;; [unrolled: 1-line block ×8, first 2 shown]
	v_cmp_eq_u32_e64 s[78:79], 5, v86
	v_cndmask_b32_e64 v48, v48, v36, s[60:61]
	v_cndmask_b32_e64 v73, v73, v20, s[60:61]
	v_cndmask_b32_e64 v71, v71, v4, s[60:61]
	v_cndmask_b32_e64 v74, v74, v59, s[78:79]
	v_cndmask_b32_e64 v48, v48, v37, s[58:59]
	v_cndmask_b32_e64 v73, v73, v21, s[58:59]
	v_cndmask_b32_e64 v71, v71, v5, s[58:59]
	v_cndmask_b32_e64 v74, v74, v58, s[86:87]
	v_cndmask_b32_e64 v48, v48, v38, s[56:57]
	v_cndmask_b32_e64 v73, v73, v22, s[56:57]
	v_cndmask_b32_e64 v71, v71, v6, s[56:57]
	v_cndmask_b32_e64 v74, v74, v57, s[90:91]
	v_cmp_eq_u32_e64 s[18:19], 8, v86
	v_cndmask_b32_e64 v48, v48, v39, s[70:71]
	v_cndmask_b32_e64 v73, v73, v23, s[70:71]
	v_cndmask_b32_e64 v71, v71, v7, s[70:71]
	v_cndmask_b32_e64 v74, v74, v56, s[18:19]
	v_cmp_eq_u32_e64 s[16:17], 9, v86
	v_cndmask_b32_e64 v48, v48, v40, s[52:53]
	v_cndmask_b32_e64 v73, v73, v24, s[52:53]
	v_cndmask_b32_e64 v71, v71, v8, s[52:53]
	v_cndmask_b32_e64 v74, v74, v55, s[16:17]
	v_cmp_eq_u32_e64 s[14:15], 10, v86
	v_cndmask_b32_e64 v48, v48, v41, s[72:73]
	v_cndmask_b32_e64 v73, v73, v25, s[72:73]
	v_cndmask_b32_e64 v71, v71, v9, s[72:73]
	v_cndmask_b32_e64 v74, v74, v54, s[14:15]
	v_cmp_eq_u32_e64 s[12:13], 11, v86
	v_cndmask_b32_e64 v48, v48, v42, s[48:49]
	v_cndmask_b32_e64 v73, v73, v26, s[48:49]
	v_cndmask_b32_e64 v71, v71, v10, s[48:49]
	v_cndmask_b32_e64 v74, v74, v53, s[12:13]
	v_cmp_eq_u32_e64 s[10:11], 12, v86
	v_cndmask_b32_e64 v48, v48, v43, s[50:51]
	v_cndmask_b32_e64 v73, v73, v27, s[50:51]
	v_cndmask_b32_e64 v71, v71, v11, s[50:51]
	v_cndmask_b32_e64 v74, v74, v52, s[10:11]
	v_cmp_eq_u32_e64 s[30:31], 13, v86
	v_cndmask_b32_e64 v48, v48, v44, s[44:45]
	v_cndmask_b32_e64 v73, v73, v28, s[44:45]
	v_cndmask_b32_e64 v71, v71, v12, s[44:45]
	v_cndmask_b32_e64 v74, v74, v51, s[30:31]
	v_cmp_eq_u32_e64 s[6:7], 14, v86
	v_cndmask_b32_e64 v48, v48, v45, s[42:43]
	v_cndmask_b32_e64 v73, v73, v29, s[42:43]
	v_cndmask_b32_e64 v71, v71, v13, s[42:43]
	v_cndmask_b32_e64 v74, v74, v50, s[6:7]
	v_cmp_eq_u32_e32 vcc, 15, v86
	v_cndmask_b32_e64 v48, v48, v46, s[40:41]
	v_cndmask_b32_e64 v73, v73, v30, s[40:41]
	v_cndmask_b32_e64 v71, v71, v14, s[40:41]
	v_cndmask_b32_e32 v74, v74, v49, vcc
	v_cndmask_b32_e64 v48, v48, v47, s[36:37]
	v_cndmask_b32_e64 v73, v73, v31, s[36:37]
	v_cndmask_b32_e64 v71, v71, v15, s[36:37]
	ds_bpermute_b32 v74, v100, v74
	ds_bpermute_b32 v48, v100, v48
	;; [unrolled: 1-line block ×4, first 2 shown]
	v_cmp_eq_u32_e64 s[8:9], 0, v86
	s_waitcnt lgkmcnt(3)
	v_cndmask_b32_e64 v63, v63, v74, s[34:35]
	s_waitcnt lgkmcnt(2)
	v_cndmask_b32_e64 v47, v47, v48, s[36:37]
	v_cndmask_b32_e64 v70, v70, v74, s[8:9]
	s_waitcnt lgkmcnt(1)
	v_cndmask_b32_e64 v31, v31, v73, s[36:37]
	s_waitcnt lgkmcnt(0)
	v_cndmask_b32_e64 v15, v15, v71, s[36:37]
	v_cmp_eq_u32_e64 s[36:37], 1, v87
	v_cndmask_b32_e64 v33, v33, v48, s[64:65]
	v_cndmask_b32_e64 v17, v17, v73, s[64:65]
	;; [unrolled: 1-line block ×6, first 2 shown]
	v_cndmask_b32_e32 v49, v49, v74, vcc
	v_cndmask_b32_e64 v50, v50, v74, s[6:7]
	v_cndmask_b32_e64 v51, v51, v74, s[30:31]
	;; [unrolled: 1-line block ×17, first 2 shown]
	v_cmp_eq_u32_e64 s[40:41], 2, v87
	v_cndmask_b32_e64 v45, v45, v48, s[42:43]
	v_cndmask_b32_e64 v29, v29, v73, s[42:43]
	;; [unrolled: 1-line block ×40, first 2 shown]
	v_cmp_eq_u32_e64 s[42:43], 3, v87
	v_cndmask_b32_e64 v48, v48, v34, s[38:39]
	v_cndmask_b32_e64 v73, v73, v18, s[38:39]
	v_cndmask_b32_e64 v71, v71, v2, s[38:39]
	v_cndmask_b32_e64 v74, v74, v61, s[42:43]
	v_cmp_eq_u32_e64 s[44:45], 4, v87
	v_cndmask_b32_e64 v48, v48, v35, s[28:29]
	v_cndmask_b32_e64 v73, v73, v19, s[28:29]
	v_cndmask_b32_e64 v71, v71, v3, s[28:29]
	v_cndmask_b32_e64 v74, v74, v60, s[44:45]
	;; [unrolled: 5-line block ×10, first 2 shown]
	v_cndmask_b32_e64 v48, v48, v44, s[10:11]
	v_cndmask_b32_e64 v73, v73, v28, s[10:11]
	v_cndmask_b32_e64 v71, v71, v12, s[10:11]
	v_cndmask_b32_e64 v74, v74, v51, s[84:85]
	v_cmp_eq_u32_e64 s[88:89], 14, v87
	v_cndmask_b32_e64 v48, v48, v45, s[30:31]
	v_cndmask_b32_e64 v73, v73, v29, s[30:31]
	;; [unrolled: 1-line block ×4, first 2 shown]
	v_cmp_eq_u32_e64 s[92:93], 15, v87
	v_cndmask_b32_e64 v48, v48, v46, s[6:7]
	v_cndmask_b32_e64 v73, v73, v30, s[6:7]
	;; [unrolled: 1-line block ×4, first 2 shown]
	v_cndmask_b32_e32 v48, v48, v47, vcc
	v_cndmask_b32_e32 v73, v73, v31, vcc
	;; [unrolled: 1-line block ×3, first 2 shown]
	ds_bpermute_b32 v74, v100, v74
	ds_bpermute_b32 v48, v100, v48
	;; [unrolled: 1-line block ×4, first 2 shown]
	v_cmp_eq_u32_e64 s[60:61], 0, v87
	s_waitcnt lgkmcnt(3)
	v_cndmask_b32_e64 v63, v63, v74, s[36:37]
	s_waitcnt lgkmcnt(2)
	v_cndmask_b32_e32 v47, v47, v48, vcc
	v_cndmask_b32_e64 v70, v70, v74, s[60:61]
	s_waitcnt lgkmcnt(1)
	v_cndmask_b32_e32 v31, v31, v73, vcc
	s_waitcnt lgkmcnt(0)
	v_cndmask_b32_e32 v15, v15, v71, vcc
	v_cmp_eq_u32_e32 vcc, 1, v88
	v_cndmask_b32_e64 v49, v49, v74, s[92:93]
	v_cndmask_b32_e64 v50, v50, v74, s[88:89]
	;; [unrolled: 1-line block ×14, first 2 shown]
	v_cndmask_b32_e32 v74, v70, v63, vcc
	v_cndmask_b32_e64 v46, v46, v48, s[6:7]
	v_cndmask_b32_e64 v30, v30, v73, s[6:7]
	;; [unrolled: 1-line block ×3, first 2 shown]
	v_cmp_eq_u32_e64 s[6:7], 2, v88
	v_cndmask_b32_e64 v1, v1, v71, s[34:35]
	v_cndmask_b32_e64 v0, v0, v71, s[8:9]
	;; [unrolled: 1-line block ×6, first 2 shown]
	v_cmp_eq_u32_e64 s[30:31], 3, v88
	v_cndmask_b32_e64 v12, v12, v71, s[10:11]
	v_cndmask_b32_e64 v11, v11, v71, s[12:13]
	;; [unrolled: 1-line block ×13, first 2 shown]
	v_cmp_eq_u32_e64 s[46:47], 4, v88
	v_cndmask_b32_e64 v71, v71, v2, s[40:41]
	v_cmp_eq_u32_e64 s[52:53], 5, v88
	v_cndmask_b32_e64 v74, v74, v60, s[46:47]
	v_cndmask_b32_e64 v71, v71, v3, s[42:43]
	;; [unrolled: 1-line block ×3, first 2 shown]
	v_cmp_eq_u32_e64 s[58:59], 6, v88
	v_cndmask_b32_e64 v71, v71, v4, s[44:45]
	v_cmp_eq_u32_e64 s[64:65], 7, v88
	v_cndmask_b32_e64 v74, v74, v58, s[58:59]
	v_cndmask_b32_e64 v33, v33, v48, s[34:35]
	;; [unrolled: 1-line block ×17, first 2 shown]
	v_cmp_eq_u32_e64 s[70:71], 8, v88
	v_cndmask_b32_e64 v39, v39, v48, s[90:91]
	v_cndmask_b32_e64 v23, v23, v73, s[90:91]
	;; [unrolled: 1-line block ×16, first 2 shown]
	v_cmp_eq_u32_e64 s[66:67], 9, v88
	v_cndmask_b32_e64 v48, v48, v34, s[40:41]
	v_cndmask_b32_e64 v73, v73, v18, s[40:41]
	v_cndmask_b32_e64 v71, v71, v7, s[68:69]
	v_cndmask_b32_e64 v74, v74, v55, s[66:67]
	v_cmp_eq_u32_e64 s[62:63], 10, v88
	v_cndmask_b32_e64 v48, v48, v35, s[42:43]
	v_cndmask_b32_e64 v73, v73, v19, s[42:43]
	v_cndmask_b32_e64 v71, v71, v8, s[72:73]
	v_cndmask_b32_e64 v74, v74, v54, s[62:63]
	;; [unrolled: 5-line block ×7, first 2 shown]
	v_cndmask_b32_e64 v48, v48, v41, s[74:75]
	v_cndmask_b32_e64 v73, v73, v25, s[74:75]
	v_cndmask_b32_e64 v71, v71, v14, s[88:89]
	ds_bpermute_b32 v74, v100, v74
	v_cndmask_b32_e64 v48, v48, v42, s[56:57]
	v_cndmask_b32_e64 v73, v73, v26, s[56:57]
	;; [unrolled: 1-line block ×5, first 2 shown]
	ds_bpermute_b32 v71, v100, v71
	v_cndmask_b32_e64 v48, v48, v44, s[80:81]
	v_cndmask_b32_e64 v73, v73, v28, s[80:81]
	;; [unrolled: 1-line block ×6, first 2 shown]
	v_cmp_eq_u32_e64 s[48:49], 0, v88
	s_waitcnt lgkmcnt(1)
	v_cndmask_b32_e32 v63, v63, v74, vcc
	v_cndmask_b32_e64 v48, v48, v47, s[92:93]
	v_cndmask_b32_e64 v73, v73, v31, s[92:93]
	;; [unrolled: 1-line block ×3, first 2 shown]
	v_cmp_eq_u32_e64 s[8:9], 1, v89
	v_cndmask_b32_e64 v49, v49, v74, s[94:95]
	v_cndmask_b32_e64 v50, v50, v74, s[90:91]
	;; [unrolled: 1-line block ×14, first 2 shown]
	ds_bpermute_b32 v48, v100, v48
	ds_bpermute_b32 v73, v100, v73
	s_waitcnt lgkmcnt(2)
	v_cndmask_b32_e64 v74, v15, v71, s[92:93]
	v_cndmask_b32_e64 v15, v70, v63, s[8:9]
	v_cmp_eq_u32_e64 s[10:11], 2, v89
	v_cndmask_b32_e64 v77, v14, v71, s[88:89]
	v_cmp_eq_u32_e64 s[12:13], 3, v89
	v_cndmask_b32_e64 v14, v15, v62, s[10:11]
	v_cndmask_b32_e64 v104, v13, v71, s[84:85]
	;; [unrolled: 1-line block ×3, first 2 shown]
	v_cmp_eq_u32_e64 s[14:15], 4, v89
	v_cndmask_b32_e64 v107, v12, v71, s[80:81]
	v_cmp_eq_u32_e64 s[16:17], 5, v89
	v_cndmask_b32_e64 v12, v13, v60, s[14:15]
	v_cndmask_b32_e64 v109, v11, v71, s[76:77]
	;; [unrolled: 1-line block ×3, first 2 shown]
	v_cmp_eq_u32_e64 s[18:19], 6, v89
	v_cndmask_b32_e64 v111, v10, v71, s[56:57]
	s_waitcnt lgkmcnt(1)
	v_cndmask_b32_e64 v41, v41, v48, s[74:75]
	v_cndmask_b32_e64 v10, v11, v58, s[18:19]
	s_waitcnt lgkmcnt(0)
	v_cndmask_b32_e64 v112, v25, v73, s[74:75]
	v_cndmask_b32_e64 v113, v9, v71, s[74:75]
	v_cmp_eq_u32_e64 s[74:75], 7, v89
	v_cndmask_b32_e64 v40, v40, v48, s[72:73]
	v_cndmask_b32_e64 v114, v24, v73, s[72:73]
	;; [unrolled: 1-line block ×4, first 2 shown]
	v_cmp_eq_u32_e64 s[72:73], 8, v89
	v_cndmask_b32_e64 v43, v43, v48, s[76:77]
	v_cndmask_b32_e64 v108, v27, v73, s[76:77]
	;; [unrolled: 1-line block ×3, first 2 shown]
	v_cmp_eq_u32_e64 s[76:77], 9, v89
	v_cndmask_b32_e64 v105, v44, v48, s[80:81]
	v_cndmask_b32_e64 v106, v28, v73, s[80:81]
	;; [unrolled: 1-line block ×4, first 2 shown]
	v_cmp_eq_u32_e64 s[80:81], 10, v89
	v_cndmask_b32_e64 v121, v6, v71, s[54:55]
	v_cmp_eq_u32_e64 s[28:29], 11, v89
	v_cndmask_b32_e64 v6, v7, v54, s[80:81]
	v_cndmask_b32_e64 v124, v5, v71, s[50:51]
	;; [unrolled: 1-line block ×3, first 2 shown]
	v_cmp_eq_u32_e64 s[34:35], 12, v89
	v_cndmask_b32_e64 v91, v4, v71, s[44:45]
	v_cmp_eq_u32_e64 s[38:39], 13, v89
	v_cndmask_b32_e64 v4, v5, v52, s[34:35]
	v_cndmask_b32_e64 v75, v46, v48, s[88:89]
	;; [unrolled: 1-line block ×7, first 2 shown]
	v_cmp_eq_u32_e64 s[40:41], 14, v89
	v_cndmask_b32_e64 v5, v17, v73, s[36:37]
	v_cndmask_b32_e64 v6, v1, v71, s[36:37]
	v_cndmask_b32_e64 v2, v4, v50, s[40:41]
	v_cndmask_b32_e64 v4, v33, v48, s[36:37]
	v_cndmask_b32_e64 v12, v32, v48, s[60:61]
	v_cndmask_b32_e64 v14, v16, v73, s[60:61]
	v_cndmask_b32_e64 v44, v0, v71, s[60:61]
	v_cndmask_b32_e32 v13, v12, v4, vcc
	v_cndmask_b32_e32 v15, v14, v5, vcc
	;; [unrolled: 1-line block ×3, first 2 shown]
	v_cndmask_b32_e64 v92, v35, v48, s[42:43]
	v_cndmask_b32_e64 v93, v19, v73, s[42:43]
	;; [unrolled: 1-line block ×33, first 2 shown]
	v_cmp_eq_u32_e64 s[56:57], 15, v89
	v_cndmask_b32_e64 v13, v13, v41, s[66:67]
	v_cndmask_b32_e64 v15, v15, v112, s[66:67]
	;; [unrolled: 1-line block ×7, first 2 shown]
	ds_bpermute_b32 v17, v100, v1
	v_cndmask_b32_e64 v13, v13, v43, s[78:79]
	v_cndmask_b32_e64 v15, v15, v108, s[78:79]
	;; [unrolled: 1-line block ×20, first 2 shown]
	v_cmp_eq_u32_e64 s[54:55], 0, v89
	s_waitcnt lgkmcnt(0)
	v_cndmask_b32_e64 v25, v56, v17, s[72:73]
	v_cndmask_b32_e64 v22, v63, v17, s[8:9]
	ds_bpermute_b32 v13, v100, v13
	ds_bpermute_b32 v15, v100, v15
	;; [unrolled: 1-line block ×3, first 2 shown]
	v_cndmask_b32_e64 v0, v70, v17, s[54:55]
	v_cmp_eq_u32_e64 s[36:37], 1, v90
	v_cndmask_b32_e64 v7, v49, v17, s[56:57]
	v_cndmask_b32_e64 v8, v50, v17, s[40:41]
	;; [unrolled: 1-line block ×14, first 2 shown]
	v_cmp_eq_u32_e64 s[42:43], 2, v90
	v_cmp_eq_u32_e64 s[44:45], 3, v90
	;; [unrolled: 1-line block ×3, first 2 shown]
	v_cndmask_b32_e64 v19, v17, v21, s[42:43]
	v_cndmask_b32_e64 v35, v19, v2, s[44:45]
	;; [unrolled: 1-line block ×3, first 2 shown]
	v_cmp_eq_u32_e64 s[60:61], 5, v90
	s_waitcnt lgkmcnt(2)
	v_cndmask_b32_e64 v57, v42, v13, s[62:63]
	s_waitcnt lgkmcnt(0)
	v_cndmask_b32_e64 v48, v111, v56, s[62:63]
	v_cndmask_b32_e64 v38, v37, v28, s[60:61]
	;; [unrolled: 1-line block ×3, first 2 shown]
	v_cmp_eq_u32_e64 s[62:63], 6, v90
	v_cndmask_b32_e64 v58, v41, v13, s[66:67]
	v_cndmask_b32_e64 v49, v113, v56, s[66:67]
	;; [unrolled: 1-line block ×4, first 2 shown]
	v_cmp_eq_u32_e64 s[66:67], 7, v90
	v_cmp_eq_u32_e64 s[68:69], 8, v90
	v_cndmask_b32_e64 v59, v40, v13, s[70:71]
	v_cndmask_b32_e64 v41, v39, v26, s[66:67]
	;; [unrolled: 1-line block ×6, first 2 shown]
	v_cmp_eq_u32_e64 s[64:65], 9, v90
	v_cndmask_b32_e64 v61, v119, v13, s[58:59]
	v_cndmask_b32_e64 v52, v121, v56, s[58:59]
	;; [unrolled: 1-line block ×4, first 2 shown]
	v_cmp_eq_u32_e64 s[58:59], 10, v90
	v_cndmask_b32_e64 v29, v47, v13, s[94:95]
	v_cndmask_b32_e64 v47, v43, v13, s[78:79]
	;; [unrolled: 1-line block ×6, first 2 shown]
	v_cmp_eq_u32_e64 s[52:53], 11, v90
	v_cndmask_b32_e64 v63, v125, v13, s[46:47]
	v_cndmask_b32_e64 v54, v91, v56, s[46:47]
	v_cndmask_b32_e64 v55, v43, v11, s[52:53]
	v_cndmask_b32_e64 v43, v126, v15, s[46:47]
	v_cmp_eq_u32_e64 s[46:47], 12, v90
	v_cndmask_b32_e64 v71, v92, v13, s[30:31]
	v_cndmask_b32_e64 v73, v93, v15, s[30:31]
	v_cndmask_b32_e64 v70, v55, v10, s[46:47]
	v_cndmask_b32_e64 v55, v68, v56, s[30:31]
	;; [unrolled: 5-line block ×3, first 2 shown]
	v_cmp_eq_u32_e64 s[6:7], 14, v90
	v_cndmask_b32_e64 v18, v74, v56, s[94:95]
	v_cndmask_b32_e64 v30, v75, v13, s[90:91]
	;; [unrolled: 1-line block ×3, first 2 shown]
	v_cndmask_b32_e32 v68, v4, v13, vcc
	v_cndmask_b32_e32 v74, v5, v15, vcc
	;; [unrolled: 1-line block ×3, first 2 shown]
	v_cmp_eq_u32_e32 vcc, 15, v90
	v_cndmask_b32_e64 v32, v77, v56, s[90:91]
	v_cndmask_b32_e64 v77, v12, v13, s[48:49]
	v_cndmask_b32_e32 v3, v3, v7, vcc
	v_cndmask_b32_e64 v16, v76, v15, s[90:91]
	ds_bpermute_b32 v76, v100, v3
	v_cndmask_b32_e64 v3, v77, v68, s[8:9]
	v_cndmask_b32_e64 v3, v3, v69, s[10:11]
	;; [unrolled: 1-line block ×15, first 2 shown]
	s_waitcnt lgkmcnt(0)
	v_cndmask_b32_e64 v6, v27, v76, s[62:63]
	v_cndmask_b32_e64 v3, v3, v45, s[34:35]
	;; [unrolled: 1-line block ×11, first 2 shown]
	ds_bpermute_b32 v23, v100, v3
	v_cndmask_b32_e64 v27, v27, v42, s[16:17]
	v_cndmask_b32_e64 v27, v27, v41, s[18:19]
	;; [unrolled: 1-line block ×12, first 2 shown]
	s_waitcnt lgkmcnt(0)
	v_cndmask_b32_e64 v44, v57, v23, s[80:81]
	v_cndmask_b32_e64 v57, v60, v23, s[74:75]
	;; [unrolled: 1-line block ×8, first 2 shown]
	v_cndmask_b32_e32 v15, v7, v76, vcc
	v_cndmask_b32_e64 v14, v8, v76, s[6:7]
	v_cndmask_b32_e64 v13, v9, v76, s[30:31]
	;; [unrolled: 1-line block ×31, first 2 shown]
	ds_bpermute_b32 v69, v100, v27
	v_cndmask_b32_e64 v27, v56, v75, s[8:9]
	v_cndmask_b32_e64 v23, v23, v57, s[66:67]
	;; [unrolled: 1-line block ×18, first 2 shown]
	v_cndmask_b32_e32 v23, v23, v21, vcc
	v_cndmask_b32_e64 v27, v27, v35, s[28:29]
	ds_bpermute_b32 v77, v100, v23
	v_cndmask_b32_e64 v27, v27, v34, s[34:35]
	v_cndmask_b32_e64 v27, v27, v33, s[38:39]
	v_cndmask_b32_e64 v27, v27, v32, s[40:41]
	v_cndmask_b32_e64 v27, v27, v18, s[56:57]
	v_cmp_eq_u32_e64 s[48:49], 0, v90
	v_cndmask_b32_e64 v11, v11, v76, s[52:53]
	v_cndmask_b32_e64 v5, v28, v76, s[60:61]
	ds_bpermute_b32 v71, v100, v27
	s_waitcnt lgkmcnt(2)
	v_cndmask_b32_e64 v92, v20, v69, s[56:57]
	v_cndmask_b32_e64 v0, v0, v76, s[48:49]
	s_waitcnt lgkmcnt(1)
	v_cndmask_b32_e32 v31, v21, v77, vcc
	v_cndmask_b32_e64 v30, v22, v77, s[6:7]
	v_cndmask_b32_e64 v28, v25, v77, s[46:47]
	v_cndmask_b32_e64 v27, v26, v77, s[52:53]
	v_cndmask_b32_e64 v26, v44, v77, s[58:59]
	v_cndmask_b32_e64 v25, v45, v77, s[64:65]
	v_cndmask_b32_e64 v23, v57, v77, s[66:67]
	v_cndmask_b32_e64 v22, v58, v77, s[62:63]
	v_cndmask_b32_e64 v21, v59, v77, s[60:61]
	v_cndmask_b32_e64 v20, v60, v77, s[50:51]
	v_cndmask_b32_e64 v44, v16, v69, s[40:41]
	v_cndmask_b32_e64 v45, v17, v69, s[38:39]
	v_cndmask_b32_e64 v57, v19, v69, s[34:35]
	v_cndmask_b32_e64 v36, v36, v69, s[28:29]
	v_cndmask_b32_e64 v37, v37, v69, s[80:81]
	v_cndmask_b32_e64 v38, v38, v69, s[76:77]
	v_cndmask_b32_e64 v39, v39, v69, s[72:73]
	v_cndmask_b32_e64 v58, v40, v69, s[74:75]
	v_cndmask_b32_e64 v59, v41, v69, s[18:19]
	v_cndmask_b32_e64 v60, v42, v69, s[16:17]
	v_cndmask_b32_e64 v76, v43, v69, s[14:15]
	v_cndmask_b32_e64 v73, v73, v69, s[12:13]
	v_cndmask_b32_e64 v103, v46, v69, s[10:11]
	v_cndmask_b32_e64 v74, v74, v69, s[8:9]
	v_cndmask_b32_e64 v69, v91, v69, s[54:55]
	v_cndmask_b32_e64 v16, v69, v74, s[36:37]
	v_cndmask_b32_e64 v16, v16, v103, s[42:43]
	v_cndmask_b32_e64 v16, v16, v73, s[44:45]
	v_cndmask_b32_e64 v16, v16, v76, s[50:51]
	v_cndmask_b32_e64 v16, v16, v60, s[60:61]
	v_cndmask_b32_e64 v16, v16, v59, s[62:63]
	v_cndmask_b32_e64 v16, v16, v58, s[66:67]
	v_cndmask_b32_e64 v16, v16, v39, s[68:69]
	v_cndmask_b32_e64 v16, v16, v38, s[64:65]
	v_cndmask_b32_e64 v16, v16, v37, s[58:59]
	v_cndmask_b32_e64 v16, v16, v36, s[52:53]
	v_cndmask_b32_e64 v16, v16, v57, s[46:47]
	v_cndmask_b32_e64 v16, v16, v45, s[30:31]
	v_cndmask_b32_e64 v16, v16, v44, s[6:7]
	v_cndmask_b32_e32 v16, v16, v92, vcc
	ds_bpermute_b32 v91, v100, v16
	s_waitcnt lgkmcnt(1)
	v_cndmask_b32_e64 v93, v18, v71, s[56:57]
	v_cndmask_b32_e64 v29, v24, v77, s[30:31]
	;; [unrolled: 1-line block ×7, first 2 shown]
	s_waitcnt lgkmcnt(0)
	v_cndmask_b32_e64 v46, v44, v91, s[6:7]
	v_cndmask_b32_e64 v44, v57, v91, s[46:47]
	;; [unrolled: 1-line block ×37, first 2 shown]
	v_cndmask_b32_e32 v32, v32, v93, vcc
	v_cndmask_b32_e32 v47, v92, v91, vcc
	ds_bpermute_b32 v92, v100, v32
	v_readlane_b32 s71, v127, 25
	v_cndmask_b32_e64 v45, v45, v91, s[30:31]
	v_cndmask_b32_e64 v33, v74, v91, s[36:37]
	v_readlane_b32 s28, v127, 10
	s_waitcnt lgkmcnt(0)
	v_cndmask_b32_e64 v62, v57, v92, s[6:7]
	v_readlane_b32 s6, v127, 27
	v_cndmask_b32_e64 v61, v58, v92, s[30:31]
	v_cndmask_b32_e64 v57, v49, v92, s[64:65]
	;; [unrolled: 1-line block ×3, first 2 shown]
	v_readlane_b32 s7, v127, 28
	v_readlane_b32 s30, v127, 12
	;; [unrolled: 1-line block ×3, first 2 shown]
	s_mov_b32 s1, 0
	s_max_i32 s70, s71, 0
	v_subrev_u32_e32 v102, s99, v102
	v_cndmask_b32_e64 v42, v37, v91, s[58:59]
	v_cndmask_b32_e64 v37, v60, v91, s[60:61]
	;; [unrolled: 1-line block ×5, first 2 shown]
	v_cndmask_b32_e32 v63, v93, v92, vcc
	v_cndmask_b32_e64 v60, v59, v92, s[46:47]
	v_cndmask_b32_e64 v59, v68, v92, s[52:53]
	;; [unrolled: 1-line block ×11, first 2 shown]
	v_lshl_add_u64 v[70:71], s[6:7], 0, v[64:65]
	s_mov_b64 s[6:7], 0
	s_mov_b32 s16, 0
	v_readlane_b32 s29, v127, 11
	v_readlane_b32 s31, v127, 13
	v_readlane_b32 s17, v127, 14
	v_readlane_b32 s34, v127, 15
	v_readlane_b32 s35, v127, 16
	v_readlane_b32 s37, v127, 18
	v_readlane_b32 s38, v127, 19
	v_readlane_b32 s39, v127, 20
	v_readlane_b32 s40, v127, 21
	v_readlane_b32 s41, v127, 22
	s_mov_b64 s[42:43], 0x80
	s_mov_b64 s[44:45], 0xc0
	v_readlane_b32 s46, v127, 26
                                        ; implicit-def: $sgpr8_sgpr9
	s_branch .LBB111_32
.LBB111_30:                             ;   in Loop: Header=BB111_32 Depth=2
	s_or_b64 exec, exec, s[12:13]
	s_andn2_b64 s[8:9], s[8:9], exec
	s_and_b64 s[12:13], s[14:15], exec
	s_or_b64 s[8:9], s[8:9], s[12:13]
.LBB111_31:                             ;   in Loop: Header=BB111_32 Depth=2
	s_or_b64 exec, exec, s[10:11]
	s_and_b64 s[10:11], exec, s[8:9]
	s_or_b64 s[6:7], s[10:11], s[6:7]
	s_andn2_b64 exec, exec, s[6:7]
	s_cbranch_execz .LBB111_35
.LBB111_32:                             ;   Parent Loop BB111_7 Depth=1
                                        ; =>  This Inner Loop Header: Depth=2
	s_and_b32 s12, s1, 24
	v_or_b32_e32 v73, s12, v98
	v_add_u32_e32 v68, s70, v73
	v_cmp_gt_u32_e32 vcc, 32, v68
	s_or_b64 s[8:9], s[8:9], exec
	s_and_saveexec_b64 s[10:11], vcc
	s_cbranch_execz .LBB111_31
; %bb.33:                               ;   in Loop: Header=BB111_32 Depth=2
	s_add_i32 s13, s16, 1
	s_set_gpr_idx_on s16, gpr_idx(SRC0)
	v_mov_b32_e32 v68, v0
	s_set_gpr_idx_off
	v_cvt_f16_f32_e32 v68, v68
	s_set_gpr_idx_on s13, gpr_idx(SRC0)
	v_mov_b32_e32 v69, v0
	s_set_gpr_idx_off
	v_cvt_f16_f32_sdwa v69, v69 dst_sel:WORD_1 dst_unused:UNUSED_PAD src0_sel:DWORD
	v_mul_lo_u32 v74, v73, s21
	v_ashrrev_i32_e32 v75, 31, v74
	v_lshl_add_u64 v[74:75], v[74:75], 1, v[70:71]
	v_or_b32_e32 v68, v69, v68
	;;#ASMSTART
	global_atomic_pk_add_f16 v[74:75], v68, off
	
	;;#ASMEND
	s_set_gpr_idx_on s16, gpr_idx(SRC0)
	v_mov_b32_e32 v68, v16
	s_set_gpr_idx_off
	v_cvt_f16_f32_e32 v68, v68
	s_set_gpr_idx_on s13, gpr_idx(SRC0)
	v_mov_b32_e32 v69, v16
	s_set_gpr_idx_off
	v_cvt_f16_f32_sdwa v69, v69 dst_sel:WORD_1 dst_unused:UNUSED_PAD src0_sel:DWORD
	v_lshl_add_u64 v[76:77], v[74:75], 0, 64
	v_or_b32_e32 v73, s12, v99
	s_mov_b64 s[14:15], -1
	v_or_b32_e32 v68, v69, v68
	;;#ASMSTART
	global_atomic_pk_add_f16 v[76:77], v68, off
	
	;;#ASMEND
	s_set_gpr_idx_on s16, gpr_idx(SRC0)
	v_mov_b32_e32 v68, v32
	s_set_gpr_idx_off
	v_cvt_f16_f32_e32 v68, v68
	s_set_gpr_idx_on s13, gpr_idx(SRC0)
	v_mov_b32_e32 v69, v32
	s_set_gpr_idx_off
	v_cvt_f16_f32_sdwa v69, v69 dst_sel:WORD_1 dst_unused:UNUSED_PAD src0_sel:DWORD
	v_lshl_add_u64 v[76:77], v[74:75], 0, s[42:43]
	v_lshl_add_u64 v[74:75], v[74:75], 0, s[44:45]
	v_or_b32_e32 v68, v69, v68
	;;#ASMSTART
	global_atomic_pk_add_f16 v[76:77], v68, off
	
	;;#ASMEND
	s_set_gpr_idx_on s16, gpr_idx(SRC0)
	v_mov_b32_e32 v68, v48
	s_set_gpr_idx_off
	v_cvt_f16_f32_e32 v68, v68
	s_set_gpr_idx_on s13, gpr_idx(SRC0)
	v_mov_b32_e32 v69, v48
	s_set_gpr_idx_off
	v_cvt_f16_f32_sdwa v69, v69 dst_sel:WORD_1 dst_unused:UNUSED_PAD src0_sel:DWORD
	s_nop 0
	v_or_b32_e32 v68, v69, v68
	;;#ASMSTART
	global_atomic_pk_add_f16 v[74:75], v68, off
	
	;;#ASMEND
	v_add_u32_e32 v68, s70, v73
	v_cmp_gt_u32_e32 vcc, 32, v68
	s_and_saveexec_b64 s[12:13], vcc
	s_cbranch_execz .LBB111_30
; %bb.34:                               ;   in Loop: Header=BB111_32 Depth=2
	s_add_i32 s14, s16, 2
	s_add_i32 s15, s16, 3
	s_set_gpr_idx_on s14, gpr_idx(SRC0)
	v_mov_b32_e32 v68, v0
	s_set_gpr_idx_off
	v_cvt_f16_f32_e32 v68, v68
	s_set_gpr_idx_on s15, gpr_idx(SRC0)
	v_mov_b32_e32 v69, v0
	s_set_gpr_idx_off
	v_cvt_f16_f32_sdwa v69, v69 dst_sel:WORD_1 dst_unused:UNUSED_PAD src0_sel:DWORD
	v_mul_lo_u32 v74, v73, s21
	v_ashrrev_i32_e32 v75, 31, v74
	v_lshl_add_u64 v[74:75], v[74:75], 1, v[70:71]
	v_or_b32_e32 v68, v69, v68
	;;#ASMSTART
	global_atomic_pk_add_f16 v[74:75], v68, off
	
	;;#ASMEND
	s_set_gpr_idx_on s14, gpr_idx(SRC0)
	v_mov_b32_e32 v68, v16
	s_set_gpr_idx_off
	v_cvt_f16_f32_e32 v68, v68
	s_set_gpr_idx_on s15, gpr_idx(SRC0)
	v_mov_b32_e32 v69, v16
	s_set_gpr_idx_off
	v_cvt_f16_f32_sdwa v69, v69 dst_sel:WORD_1 dst_unused:UNUSED_PAD src0_sel:DWORD
	v_lshl_add_u64 v[76:77], v[74:75], 0, 64
	s_add_i32 s16, s16, 4
	s_add_i32 s1, s1, 8
	v_or_b32_e32 v68, v69, v68
	;;#ASMSTART
	global_atomic_pk_add_f16 v[76:77], v68, off
	
	;;#ASMEND
	s_set_gpr_idx_on s14, gpr_idx(SRC0)
	v_mov_b32_e32 v68, v32
	s_set_gpr_idx_off
	v_cvt_f16_f32_e32 v68, v68
	s_set_gpr_idx_on s15, gpr_idx(SRC0)
	v_mov_b32_e32 v69, v32
	s_set_gpr_idx_off
	v_cvt_f16_f32_sdwa v69, v69 dst_sel:WORD_1 dst_unused:UNUSED_PAD src0_sel:DWORD
	v_lshl_add_u64 v[76:77], v[74:75], 0, s[42:43]
	s_cmp_eq_u32 s16, 16
	v_lshl_add_u64 v[74:75], v[74:75], 0, s[44:45]
	v_or_b32_e32 v68, v69, v68
	;;#ASMSTART
	global_atomic_pk_add_f16 v[76:77], v68, off
	
	;;#ASMEND
	s_set_gpr_idx_on s14, gpr_idx(SRC0)
	v_mov_b32_e32 v68, v48
	s_set_gpr_idx_off
	v_cvt_f16_f32_e32 v68, v68
	s_set_gpr_idx_on s15, gpr_idx(SRC0)
	v_mov_b32_e32 v69, v48
	s_set_gpr_idx_off
	v_cvt_f16_f32_sdwa v69, v69 dst_sel:WORD_1 dst_unused:UNUSED_PAD src0_sel:DWORD
	s_cselect_b64 s[14:15], -1, 0
	s_orn2_b64 s[14:15], s[14:15], exec
	v_or_b32_e32 v68, v69, v68
	;;#ASMSTART
	global_atomic_pk_add_f16 v[74:75], v68, off
	
	;;#ASMEND
	s_branch .LBB111_30
.LBB111_35:                             ;   in Loop: Header=BB111_7 Depth=1
	s_or_b64 exec, exec, s[6:7]
	v_readlane_b32 s72, v127, 2
	v_readlane_b32 s8, v127, 23
	;; [unrolled: 1-line block ×12, first 2 shown]
.LBB111_36:                             ;   in Loop: Header=BB111_7 Depth=1
	s_or_b64 exec, exec, s[8:9]
.LBB111_37:                             ;   in Loop: Header=BB111_7 Depth=1
	s_andn2_saveexec_b64 s[2:3], s[2:3]
	s_cbranch_execz .LBB111_46
; %bb.38:                               ;   in Loop: Header=BB111_7 Depth=1
	s_lshl_b32 s12, s99, 2
	v_cmp_gt_i32_e32 vcc, s12, v102
	s_and_saveexec_b64 s[6:7], vcc
	s_cbranch_execz .LBB111_45
; %bb.39:                               ;   in Loop: Header=BB111_7 Depth=1
	scratch_load_dwordx2 v[0:1], off, off   ; 8-byte Folded Reload
	s_mul_i32 s0, s0, s23
	s_ashr_i32 s1, s0, 31
	s_add_u32 s0, s74, s0
	s_addc_u32 s1, s75, s1
	s_ashr_i32 s8, s46, 31
	s_add_u32 s0, s0, s46
	s_addc_u32 s1, s1, s8
	s_waitcnt vmcnt(0)
	v_lshl_add_u64 v[0:1], s[0:1], 0, v[0:1]
	v_lshl_add_u64 v[8:9], v[0:1], 0, v[66:67]
	s_mov_b64 s[0:1], 0
	s_branch .LBB111_41
.LBB111_40:                             ;   in Loop: Header=BB111_41 Depth=2
	s_or_b64 exec, exec, s[8:9]
	v_lshl_or_b32 v12, v10, 11, v94
	;;#ASMSTART
	s_waitcnt vmcnt(1)
	;;#ASMEND
	ds_write2_b32 v12, v4, v5 offset1:32
	ds_write2_b32 v12, v6, v7 offset0:64 offset1:96
	v_add_u32_e32 v4, 0x400, v12
	v_add_u32_e32 v102, s26, v102
	;;#ASMSTART
	s_waitcnt vmcnt(0)
	;;#ASMEND
	ds_write2_b32 v4, v0, v1 offset1:32
	ds_write2_b32 v4, v2, v3 offset0:64 offset1:96
	v_add_u32_e32 v0, 1, v79
	v_add_u32_e32 v72, s26, v10
	v_cmp_le_i32_e32 vcc, s12, v102
	ds_write_b32 v11, v0 offset:24
	v_add_u32_e32 v0, 2, v79
	s_or_b64 s[0:1], vcc, s[0:1]
	v_cmp_lt_i32_e32 vcc, 23, v72
	s_nop 1
	v_cndmask_b32_e32 v79, v79, v0, vcc
	s_andn2_b64 exec, exec, s[0:1]
	s_cbranch_execz .LBB111_44
.LBB111_41:                             ;   Parent Loop BB111_7 Depth=1
                                        ; =>  This Loop Header: Depth=2
                                        ;       Child Loop BB111_43 Depth 3
	v_cmp_gt_i32_e32 vcc, 24, v72
	s_nop 1
	v_cndmask_b32_e64 v0, v101, 0, vcc
	v_add_u32_e32 v10, v0, v72
	v_ashrrev_i32_e32 v0, 31, v102
	v_lshrrev_b32_e32 v0, 30, v0
	v_add_u32_e32 v0, v102, v0
	v_and_b32_e32 v1, -4, v0
	v_lshlrev_b32_e32 v0, 4, v0
	v_sub_u32_e32 v2, v102, v1
	v_and_b32_e32 v0, 0xffffffc0, v0
	v_ashrrev_i32_e32 v1, 31, v0
	v_mul_lo_u32 v2, s24, v2
	v_lshl_add_u64 v[0:1], v[8:9], 0, v[0:1]
	v_ashrrev_i32_e32 v3, 31, v2
	v_lshl_add_u64 v[0:1], v[0:1], 0, v[2:3]
	v_lshlrev_b32_e32 v11, 2, v10
	;;#ASMSTART
	global_load_dwordx4 v[4:7], v[0:1], off offset:0   sc0 sc1 nt  
	global_load_dwordx4 v[0:3], v[0:1], off offset:32  sc0 sc1 nt  
	
	;;#ASMEND
	ds_read_b32 v12, v11 offset:61464
	v_add_u32_e32 v11, 0xf000, v11
	s_waitcnt lgkmcnt(0)
	v_cmp_ne_u32_e32 vcc, v12, v79
	s_and_saveexec_b64 s[8:9], vcc
	s_cbranch_execz .LBB111_40
; %bb.42:                               ;   in Loop: Header=BB111_41 Depth=2
	s_mov_b64 s[10:11], 0
.LBB111_43:                             ;   Parent Loop BB111_7 Depth=1
                                        ;     Parent Loop BB111_41 Depth=2
                                        ; =>    This Inner Loop Header: Depth=3
	;;#ASMSTART
	s_sleep 0
	;;#ASMEND
	ds_read_b32 v12, v11 offset:24
	s_waitcnt lgkmcnt(0)
	v_cmp_eq_u32_e32 vcc, v12, v79
	s_or_b64 s[10:11], vcc, s[10:11]
	s_andn2_b64 exec, exec, s[10:11]
	s_cbranch_execnz .LBB111_43
	s_branch .LBB111_40
.LBB111_44:                             ;   in Loop: Header=BB111_7 Depth=1
	s_or_b64 exec, exec, s[0:1]
.LBB111_45:                             ;   in Loop: Header=BB111_7 Depth=1
	s_or_b64 exec, exec, s[6:7]
	v_subrev_u32_e32 v102, s12, v102
.LBB111_46:                             ;   in Loop: Header=BB111_7 Depth=1
	s_or_b64 exec, exec, s[2:3]
.LBB111_47:                             ;   in Loop: Header=BB111_7 Depth=1
	s_andn2_saveexec_b64 s[0:1], s[4:5]
	s_cbranch_execz .LBB111_6
; %bb.48:                               ;   in Loop: Header=BB111_7 Depth=1
	v_cmp_gt_i32_e32 vcc, s99, v102
	s_and_saveexec_b64 s[2:3], vcc
	s_cbranch_execz .LBB111_5
; %bb.49:                               ;   in Loop: Header=BB111_7 Depth=1
	s_mul_i32 s96, s96, s22
	s_ashr_i32 s4, s96, 31
	s_add_u32 s5, s72, s96
	s_addc_u32 s6, s73, s4
	s_ashr_i32 s7, s46, 31
	v_cmp_le_i32_e32 vcc, s71, v95
	s_add_u32 s4, s5, s46
	s_addc_u32 s5, s6, s7
	v_cndmask_b32_e32 v0, 0, v96, vcc
	v_ashrrev_i32_e32 v1, 31, v0
	v_lshl_add_u64 v[0:1], s[4:5], 0, v[0:1]
	v_lshl_add_u64 v[8:9], v[0:1], 0, v[66:67]
	s_mov_b64 s[4:5], 0
	s_branch .LBB111_51
.LBB111_50:                             ;   in Loop: Header=BB111_51 Depth=2
	s_or_b64 exec, exec, s[6:7]
	v_lshl_add_u32 v12, v10, 11, v97
	;;#ASMSTART
	s_waitcnt vmcnt(1)
	;;#ASMEND
	ds_write2_b32 v12, v4, v5 offset1:32
	ds_write2_b32 v12, v6, v7 offset0:64 offset1:96
	v_add_u32_e32 v4, 0x400, v12
	v_add_u32_e32 v102, s25, v102
	;;#ASMSTART
	s_waitcnt vmcnt(0)
	;;#ASMEND
	ds_write2_b32 v4, v0, v1 offset1:32
	ds_write2_b32 v4, v2, v3 offset0:64 offset1:96
	v_add_u32_e32 v0, 1, v79
	v_add_u32_e32 v72, s25, v10
	v_cmp_le_i32_e32 vcc, s99, v102
	ds_write_b32 v11, v0
	v_add_u32_e32 v0, 2, v79
	s_or_b64 s[4:5], vcc, s[4:5]
	v_cmp_lt_i32_e32 vcc, 5, v72
	s_nop 1
	v_cndmask_b32_e32 v79, v79, v0, vcc
	s_andn2_b64 exec, exec, s[4:5]
	s_cbranch_execz .LBB111_4
.LBB111_51:                             ;   Parent Loop BB111_7 Depth=1
                                        ; =>  This Loop Header: Depth=2
                                        ;       Child Loop BB111_53 Depth 3
	v_cmp_gt_i32_e32 vcc, 6, v72
	s_nop 1
	v_cndmask_b32_e64 v0, -6, 0, vcc
	v_add_u32_e32 v10, v0, v72
	v_lshlrev_b32_e32 v0, 6, v102
	v_ashrrev_i32_e32 v1, 31, v0
	v_lshl_add_u64 v[0:1], v[8:9], 0, v[0:1]
	v_lshlrev_b32_e32 v11, 2, v10
	;;#ASMSTART
	global_load_dwordx4 v[4:7], v[0:1], off offset:0   
	global_load_dwordx4 v[0:3], v[0:1], off offset:32  
	
	;;#ASMEND
	ds_read_b32 v12, v11 offset:61440
	v_add_u32_e32 v11, 0xf000, v11
	s_waitcnt lgkmcnt(0)
	v_cmp_ne_u32_e32 vcc, v12, v79
	s_and_saveexec_b64 s[6:7], vcc
	s_cbranch_execz .LBB111_50
; %bb.52:                               ;   in Loop: Header=BB111_51 Depth=2
	s_mov_b64 s[8:9], 0
.LBB111_53:                             ;   Parent Loop BB111_7 Depth=1
                                        ;     Parent Loop BB111_51 Depth=2
                                        ; =>    This Inner Loop Header: Depth=3
	;;#ASMSTART
	s_sleep 0
	;;#ASMEND
	ds_read_b32 v12, v11
	s_waitcnt lgkmcnt(0)
	v_cmp_eq_u32_e32 vcc, v12, v79
	s_or_b64 s[8:9], vcc, s[8:9]
	s_andn2_b64 exec, exec, s[8:9]
	s_cbranch_execnz .LBB111_53
	s_branch .LBB111_50
.LBB111_54:
	s_endpgm
	.section	.rodata,"a",@progbits
	.p2align	6, 0x0
	.amdhsa_kernel _Z19_skinny_gemm_kernelILi1ELi4ELi6ELi32ELi4EEvPKhS1_P6__halfPKfiiiiiiii
		.amdhsa_group_segment_fixed_size 61560
		.amdhsa_private_segment_fixed_size 12
		.amdhsa_kernarg_size 64
		.amdhsa_user_sgpr_count 2
		.amdhsa_user_sgpr_dispatch_ptr 0
		.amdhsa_user_sgpr_queue_ptr 0
		.amdhsa_user_sgpr_kernarg_segment_ptr 1
		.amdhsa_user_sgpr_dispatch_id 0
		.amdhsa_user_sgpr_kernarg_preload_length 0
		.amdhsa_user_sgpr_kernarg_preload_offset 0
		.amdhsa_user_sgpr_private_segment_size 0
		.amdhsa_uses_dynamic_stack 0
		.amdhsa_enable_private_segment 1
		.amdhsa_system_sgpr_workgroup_id_x 1
		.amdhsa_system_sgpr_workgroup_id_y 0
		.amdhsa_system_sgpr_workgroup_id_z 0
		.amdhsa_system_sgpr_workgroup_info 0
		.amdhsa_system_vgpr_workitem_id 0
		.amdhsa_next_free_vgpr 128
		.amdhsa_next_free_sgpr 100
		.amdhsa_accum_offset 128
		.amdhsa_reserve_vcc 1
		.amdhsa_float_round_mode_32 0
		.amdhsa_float_round_mode_16_64 0
		.amdhsa_float_denorm_mode_32 3
		.amdhsa_float_denorm_mode_16_64 3
		.amdhsa_dx10_clamp 1
		.amdhsa_ieee_mode 1
		.amdhsa_fp16_overflow 0
		.amdhsa_tg_split 0
		.amdhsa_exception_fp_ieee_invalid_op 0
		.amdhsa_exception_fp_denorm_src 0
		.amdhsa_exception_fp_ieee_div_zero 0
		.amdhsa_exception_fp_ieee_overflow 0
		.amdhsa_exception_fp_ieee_underflow 0
		.amdhsa_exception_fp_ieee_inexact 0
		.amdhsa_exception_int_div_zero 0
	.end_amdhsa_kernel
	.section	.text._Z19_skinny_gemm_kernelILi1ELi4ELi6ELi32ELi4EEvPKhS1_P6__halfPKfiiiiiiii,"axG",@progbits,_Z19_skinny_gemm_kernelILi1ELi4ELi6ELi32ELi4EEvPKhS1_P6__halfPKfiiiiiiii,comdat
.Lfunc_end111:
	.size	_Z19_skinny_gemm_kernelILi1ELi4ELi6ELi32ELi4EEvPKhS1_P6__halfPKfiiiiiiii, .Lfunc_end111-_Z19_skinny_gemm_kernelILi1ELi4ELi6ELi32ELi4EEvPKhS1_P6__halfPKfiiiiiiii
                                        ; -- End function
	.set _Z19_skinny_gemm_kernelILi1ELi4ELi6ELi32ELi4EEvPKhS1_P6__halfPKfiiiiiiii.num_vgpr, 128
	.set _Z19_skinny_gemm_kernelILi1ELi4ELi6ELi32ELi4EEvPKhS1_P6__halfPKfiiiiiiii.num_agpr, 0
	.set _Z19_skinny_gemm_kernelILi1ELi4ELi6ELi32ELi4EEvPKhS1_P6__halfPKfiiiiiiii.numbered_sgpr, 100
	.set _Z19_skinny_gemm_kernelILi1ELi4ELi6ELi32ELi4EEvPKhS1_P6__halfPKfiiiiiiii.num_named_barrier, 0
	.set _Z19_skinny_gemm_kernelILi1ELi4ELi6ELi32ELi4EEvPKhS1_P6__halfPKfiiiiiiii.private_seg_size, 12
	.set _Z19_skinny_gemm_kernelILi1ELi4ELi6ELi32ELi4EEvPKhS1_P6__halfPKfiiiiiiii.uses_vcc, 1
	.set _Z19_skinny_gemm_kernelILi1ELi4ELi6ELi32ELi4EEvPKhS1_P6__halfPKfiiiiiiii.uses_flat_scratch, 0
	.set _Z19_skinny_gemm_kernelILi1ELi4ELi6ELi32ELi4EEvPKhS1_P6__halfPKfiiiiiiii.has_dyn_sized_stack, 0
	.set _Z19_skinny_gemm_kernelILi1ELi4ELi6ELi32ELi4EEvPKhS1_P6__halfPKfiiiiiiii.has_recursion, 0
	.set _Z19_skinny_gemm_kernelILi1ELi4ELi6ELi32ELi4EEvPKhS1_P6__halfPKfiiiiiiii.has_indirect_call, 0
	.section	.AMDGPU.csdata,"",@progbits
; Kernel info:
; codeLenInByte = 14036
; TotalNumSgprs: 106
; NumVgprs: 128
; NumAgprs: 0
; TotalNumVgprs: 128
; ScratchSize: 12
; MemoryBound: 0
; FloatMode: 240
; IeeeMode: 1
; LDSByteSize: 61560 bytes/workgroup (compile time only)
; SGPRBlocks: 13
; VGPRBlocks: 15
; NumSGPRsForWavesPerEU: 106
; NumVGPRsForWavesPerEU: 128
; AccumOffset: 128
; Occupancy: 4
; WaveLimiterHint : 0
; COMPUTE_PGM_RSRC2:SCRATCH_EN: 1
; COMPUTE_PGM_RSRC2:USER_SGPR: 2
; COMPUTE_PGM_RSRC2:TRAP_HANDLER: 0
; COMPUTE_PGM_RSRC2:TGID_X_EN: 1
; COMPUTE_PGM_RSRC2:TGID_Y_EN: 0
; COMPUTE_PGM_RSRC2:TGID_Z_EN: 0
; COMPUTE_PGM_RSRC2:TIDIG_COMP_CNT: 0
; COMPUTE_PGM_RSRC3_GFX90A:ACCUM_OFFSET: 31
; COMPUTE_PGM_RSRC3_GFX90A:TG_SPLIT: 0
	.section	.text._Z19_skinny_gemm_kernelILi1ELi5ELi1ELi8ELi4EEvPKhS1_P6__halfPKfiiiiiiii,"axG",@progbits,_Z19_skinny_gemm_kernelILi1ELi5ELi1ELi8ELi4EEvPKhS1_P6__halfPKfiiiiiiii,comdat
	.protected	_Z19_skinny_gemm_kernelILi1ELi5ELi1ELi8ELi4EEvPKhS1_P6__halfPKfiiiiiiii ; -- Begin function _Z19_skinny_gemm_kernelILi1ELi5ELi1ELi8ELi4EEvPKhS1_P6__halfPKfiiiiiiii
	.globl	_Z19_skinny_gemm_kernelILi1ELi5ELi1ELi8ELi4EEvPKhS1_P6__halfPKfiiiiiiii
	.p2align	8
	.type	_Z19_skinny_gemm_kernelILi1ELi5ELi1ELi8ELi4EEvPKhS1_P6__halfPKfiiiiiiii,@function
_Z19_skinny_gemm_kernelILi1ELi5ELi1ELi8ELi4EEvPKhS1_P6__halfPKfiiiiiiii: ; @_Z19_skinny_gemm_kernelILi1ELi5ELi1ELi8ELi4EEvPKhS1_P6__halfPKfiiiiiiii
; %bb.0:
	v_cmp_gt_u32_e32 vcc, 6, v0
	v_lshlrev_b32_e32 v1, 2, v0
	s_and_saveexec_b64 s[4:5], vcc
; %bb.1:
	v_mov_b32_e32 v2, 0
	ds_write_b32 v1, v2 offset:22528
; %bb.2:
	s_or_b64 exec, exec, s[4:5]
	s_load_dwordx8 s[12:19], s[0:1], 0x20
	s_mov_b32 s48, 0x66666667
	s_waitcnt lgkmcnt(0)
	s_barrier
	s_add_i32 s3, s12, 7
	s_ashr_i32 s5, s3, 31
	s_lshr_b32 s5, s5, 29
	s_add_i32 s4, s13, 0x4f
	s_add_i32 s3, s3, s5
	s_ashr_i32 s33, s3, 3
	s_mul_hi_i32 s3, s4, 0x66666667
	s_lshr_b32 s4, s3, 31
	s_ashr_i32 s46, s3, 5
	s_add_i32 s46, s46, s4
	s_mul_i32 s3, s46, s33
	s_mul_i32 s3, s3, s16
	s_add_i32 s4, s3, 0x12f
	s_mul_hi_i32 s4, s4, 0x6bca1af3
	s_lshr_b32 s5, s4, 31
	s_ashr_i32 s4, s4, 7
	s_add_i32 s4, s4, s5
	s_add_i32 s5, s2, 1
	s_mul_i32 s5, s4, s5
	v_cvt_f64_i32_e32 v[2:3], s3
	v_cvt_f64_u32_e32 v[4:5], s5
	v_min_f64 v[2:3], v[2:3], v[4:5]
	v_cvt_i32_f64_e32 v21, v[2:3]
	s_mul_i32 s47, s4, s2
	v_cmp_ge_i32_e32 vcc, s47, v21
	s_cbranch_vccnz .LBB112_53
; %bb.3:
	v_lshrrev_b32_e32 v2, 6, v0
	s_add_i32 s4, s18, s17
	s_load_dwordx8 s[20:27], s[0:1], 0x0
	v_cmp_le_i32_e64 s[0:1], s4, v2
	v_mov_b32_e32 v3, s17
	v_cmp_le_i32_e64 s[2:3], s17, v2
	v_mov_b32_e32 v4, s18
	v_cndmask_b32_e64 v4, 0, v4, s[0:1]
	v_cndmask_b32_e64 v3, 0, v3, s[2:3]
	s_abs_i32 s5, s16
	v_add_u32_e32 v3, v3, v4
	v_cvt_f32_u32_e32 v4, s5
	v_sub_u32_e32 v34, v2, v3
	s_ashr_i32 s6, s14, 31
	s_lshr_b32 s6, s6, 24
	v_rcp_iflag_f32_e32 v3, v4
	s_sub_i32 s9, 0, s5
	s_add_i32 s6, s14, s6
	s_ashr_i32 s6, s6, 8
	v_mul_f32_e32 v3, 0x4f7ffffe, v3
	v_cvt_u32_f32_e32 v3, v3
	s_abs_i32 s8, s6
	s_xor_b32 s7, s6, s16
	s_ashr_i32 s7, s7, 31
	v_readfirstlane_b32 s10, v3
	s_mul_i32 s9, s9, s10
	s_mul_hi_u32 s9, s10, s9
	s_add_i32 s10, s10, s9
	s_mul_hi_u32 s9, s8, s10
	s_mul_i32 s10, s9, s5
	s_sub_i32 s8, s8, s10
	s_add_i32 s10, s9, 1
	s_sub_i32 s11, s8, s5
	s_cmp_ge_u32 s8, s5
	s_cselect_b32 s9, s10, s9
	s_cselect_b32 s8, s11, s8
	s_add_i32 s10, s9, 1
	s_cmp_ge_u32 s8, s5
	s_cselect_b32 s5, s10, s9
	s_xor_b32 s5, s5, s7
	s_sub_i32 s49, s5, s7
	s_add_i32 s16, s16, -1
	s_mul_i32 s5, s49, s16
	s_add_i32 s4, s4, s19
	s_sub_i32 s50, s6, s5
	v_cmp_gt_i32_e64 s[4:5], s4, v2
	v_and_b32_e32 v2, 1, v0
	v_lshlrev_b32_e32 v3, 1, v0
	v_and_b32_e32 v3, 0x7c, v3
	v_lshlrev_b32_e32 v4, 8, v2
	v_lshlrev_b32_e32 v5, 4, v0
	s_movk_i32 s51, 0x5000
	s_movk_i32 s6, 0x7c
	v_and_b32_e32 v6, 0x200, v5
	v_or3_b32 v42, v3, v4, s51
	v_lshrrev_b32_e32 v3, 3, v0
	v_cmp_eq_u32_e32 vcc, 0, v2
	v_and_or_b32 v43, v1, s6, v6
	v_lshlrev_b32_e32 v1, 1, v2
	v_and_or_b32 v2, v3, 6, v2
	v_sub_u32_e32 v49, 8, v2
	v_mul_lo_u32 v22, s13, v2
	v_bfe_u32 v2, v0, 2, 4
	v_lshlrev_b32_e32 v4, 8, v0
	v_lshlrev_b32_e32 v6, 6, v0
	v_mul_lo_u32 v28, s15, v2
	v_and_b32_e32 v2, 60, v0
	v_and_b32_e32 v4, 0x200, v4
	;; [unrolled: 1-line block ×3, first 2 shown]
	s_abs_i32 s53, s33
	v_or3_b32 v50, v2, v4, v6
	v_cvt_f32_u32_e32 v6, s53
	v_lshlrev_b32_e32 v4, 7, v0
	v_and_b32_e32 v20, 14, v0
	v_bitop3_b32 v44, v0, 1, v0 bitop3:0xc
	v_sub_u32_e32 v1, v0, v1
	v_bfe_u32 v2, v0, 3, 3
	v_and_b32_e32 v4, 0x200, v4
	v_lshlrev_b32_e32 v0, 5, v0
	v_lshl_or_b32 v4, v2, 2, v4
	v_and_b32_e32 v0, 0x60, v0
	v_or3_b32 v51, v4, v0, s51
	v_rcp_iflag_f32_e32 v0, v6
	s_abs_i32 s54, s46
	v_mul_lo_u32 v53, s14, v2
	v_cvt_f32_u32_e32 v2, s54
	v_mul_f32_e32 v0, 0x4f7ffffe, v0
	v_cvt_u32_f32_e32 v0, v0
	s_sub_i32 s6, 0, s53
	v_rcp_iflag_f32_e32 v2, v2
	v_add_u32_e32 v1, 1, v1
	v_readfirstlane_b32 s7, v0
	s_mul_i32 s6, s6, s7
	v_mul_f32_e32 v0, 0x4f7ffffe, v2
	v_cvt_u32_f32_e32 v0, v0
	s_mul_hi_u32 s6, s7, s6
	s_add_i32 s56, s7, s6
	s_sub_i32 s6, 0, s54
	v_readfirstlane_b32 s7, v0
	v_mbcnt_lo_u32_b32 v0, -1, 0
	v_and_b32_e32 v1, 63, v1
	s_mul_i32 s6, s6, s7
	v_mbcnt_hi_u32_b32 v0, -1, v0
	v_mov_b32_e32 v7, 0xeeee
	v_mov_b32_e32 v8, 0x4444
	;; [unrolled: 1-line block ×3, first 2 shown]
	s_mul_hi_u32 s6, s7, s6
	v_and_or_b32 v0, v0, 64, v1
	v_cndmask_b32_e64 v40, 0, 1, s[0:1]
	s_mov_b32 s29, 0
	v_cndmask_b32_e32 v41, v7, v8, vcc
	v_or_b32_e32 v45, 16, v20
	v_or_b32_e32 v46, 32, v20
	;; [unrolled: 1-line block ×4, first 2 shown]
	v_ashrrev_i32_e32 v23, 31, v22
	v_and_b32_e32 v26, 48, v5
	v_ashrrev_i32_e32 v29, 31, v28
	v_mov_b32_e32 v27, v25
	s_lshl_b32 s52, s15, 4
	v_bitop3_b32 v52, v3, 7, v3 bitop3:0xc
	v_and_b32_e32 v30, 0x70, v5
	v_mov_b32_e32 v31, v25
	s_lshl_b32 s28, s17, 8
	s_ashr_i32 s55, s33, 31
	s_ashr_i32 s57, s46, 31
	s_add_i32 s58, s7, s6
	s_mov_b64 s[30:31], 0x60
	s_mov_b64 s[34:35], 0x80
	v_lshlrev_b32_e32 v54, 2, v0
	v_mov_b32_e32 v55, v34
	s_branch .LBB112_7
.LBB112_4:                              ;   in Loop: Header=BB112_7 Depth=1
	s_or_b64 exec, exec, s[10:11]
.LBB112_5:                              ;   in Loop: Header=BB112_7 Depth=1
	s_or_b64 exec, exec, s[8:9]
	v_subrev_u32_e32 v55, s59, v55
.LBB112_6:                              ;   in Loop: Header=BB112_7 Depth=1
	s_or_b64 exec, exec, s[6:7]
	s_add_i32 s47, s47, 1
	v_cmp_ge_i32_e32 vcc, s47, v21
	s_cbranch_vccnz .LBB112_53
.LBB112_7:                              ; =>This Loop Header: Depth=1
                                        ;     Child Loop BB112_13 Depth 2
                                        ;       Child Loop BB112_15 Depth 3
                                        ;       Child Loop BB112_18 Depth 3
	;; [unrolled: 1-line block ×6, first 2 shown]
                                        ;     Child Loop BB112_40 Depth 2
                                        ;       Child Loop BB112_42 Depth 3
                                        ;     Child Loop BB112_50 Depth 2
                                        ;       Child Loop BB112_52 Depth 3
	s_abs_i32 s7, s47
	s_mul_hi_u32 s8, s7, s56
	s_mul_i32 s9, s8, s53
	s_ashr_i32 s6, s47, 31
	s_sub_i32 s7, s7, s9
	s_xor_b32 s6, s6, s55
	s_add_i32 s9, s8, 1
	s_sub_i32 s10, s7, s53
	s_cmp_ge_u32 s7, s53
	s_cselect_b32 s8, s9, s8
	s_cselect_b32 s7, s10, s7
	s_add_i32 s9, s8, 1
	s_cmp_ge_u32 s7, s53
	s_cselect_b32 s7, s9, s8
	s_xor_b32 s7, s7, s6
	s_sub_i32 s6, s7, s6
	s_abs_i32 s8, s6
	s_mul_i32 s7, s6, s33
	s_mul_hi_u32 s9, s8, s58
	s_sub_i32 s7, s47, s7
	s_mul_i32 s10, s9, s54
	s_lshl_b32 s60, s7, 3
	s_ashr_i32 s7, s6, 31
	s_sub_i32 s8, s8, s10
	s_xor_b32 s7, s7, s57
	s_add_i32 s10, s9, 1
	s_sub_i32 s11, s8, s54
	s_cmp_ge_u32 s8, s54
	s_cselect_b32 s9, s10, s9
	s_cselect_b32 s8, s11, s8
	s_add_i32 s10, s9, 1
	s_cmp_ge_u32 s8, s54
	s_cselect_b32 s8, s10, s9
	s_xor_b32 s8, s8, s7
	s_sub_i32 s7, s8, s7
	s_mul_i32 s8, s7, s49
	s_lshl_b32 s61, s8, 8
	s_cmp_eq_u32 s7, s16
	s_cselect_b32 s59, s50, s49
	s_sub_i32 s62, s60, s12
	s_add_i32 s62, s62, 8
	s_and_saveexec_b64 s[8:9], s[2:3]
	s_xor_b64 s[36:37], exec, s[8:9]
	s_cbranch_execz .LBB112_46
; %bb.8:                                ;   in Loop: Header=BB112_7 Depth=1
	s_mul_i32 s7, s7, s46
	s_sub_i32 s6, s6, s7
	s_mulk_i32 s6, 0x50
	s_sub_i32 s39, s6, s13
	s_addk_i32 s39, 0x50
	s_max_i32 s7, s39, 0
	s_sub_i32 s38, s6, s7
	s_and_saveexec_b64 s[6:7], s[0:1]
	s_xor_b64 s[40:41], exec, s[6:7]
	s_cbranch_execz .LBB112_36
; %bb.9:                                ;   in Loop: Header=BB112_7 Depth=1
	s_and_saveexec_b64 s[42:43], s[4:5]
	s_cbranch_execz .LBB112_35
; %bb.10:                               ;   in Loop: Header=BB112_7 Depth=1
	s_waitcnt lgkmcnt(0)
	global_load_dword v24, v25, s[26:27]
	v_mov_b32_e32 v19, 0
	v_cmp_gt_i32_e32 vcc, s59, v55
	v_mov_b32_e32 v18, v19
	v_mov_b32_e32 v17, v19
	v_mov_b32_e32 v16, v19
	v_mov_b32_e32 v15, v19
	v_mov_b32_e32 v14, v19
	v_mov_b32_e32 v13, v19
	v_mov_b32_e32 v12, v19
	v_mov_b32_e32 v11, v19
	v_mov_b32_e32 v10, v19
	v_mov_b32_e32 v9, v19
	v_mov_b32_e32 v8, v19
	v_mov_b32_e32 v7, v19
	v_mov_b32_e32 v6, v19
	v_mov_b32_e32 v5, v19
	v_mov_b32_e32 v4, v19
	v_mov_b32_e32 v3, v19
	v_mov_b32_e32 v2, v19
	v_mov_b32_e32 v1, v19
	v_mov_b32_e32 v0, v19
	s_and_saveexec_b64 s[6:7], vcc
	s_cbranch_execz .LBB112_32
; %bb.11:                               ;   in Loop: Header=BB112_7 Depth=1
	v_mov_b32_e32 v0, 0
	s_mov_b64 s[8:9], 0
	v_mov_b32_e32 v1, v0
	v_mov_b32_e32 v2, v0
	;; [unrolled: 1-line block ×19, first 2 shown]
	s_branch .LBB112_13
.LBB112_12:                             ;   in Loop: Header=BB112_13 Depth=2
	s_or_b64 exec, exec, s[10:11]
	v_add_u32_e32 v62, 0x4000, v59
	ds_read2_b32 v[60:61], v62 offset1:32
	ds_read2_b32 v[62:63], v62 offset0:64 offset1:96
	v_add_u32_e32 v66, 0x4400, v59
	ds_read2_b32 v[64:65], v66 offset1:32
	ds_read2_b32 v[66:67], v66 offset0:64 offset1:96
	v_add_u32_e32 v55, s19, v55
	v_cmp_le_i32_e32 vcc, s59, v55
	s_waitcnt lgkmcnt(2)
	v_smfmac_f32_16x16x64_fp8_fp8 v[0:3], v[38:39], v[60:63], v41 cbsz:7 abid:1
	v_add_u32_e32 v38, 0x4800, v59
	ds_read2_b32 v[60:61], v38 offset1:32
	ds_read2_b32 v[62:63], v38 offset0:64 offset1:96
	v_add_u32_e32 v38, 0x4c00, v59
	s_waitcnt lgkmcnt(2)
	v_smfmac_f32_16x16x64_fp8_fp8 v[0:3], v[36:37], v[64:67], v41 cbsz:7 abid:1
	ds_read2_b32 v[36:37], v38 offset1:32
	ds_read2_b32 v[38:39], v38 offset0:64 offset1:96
	s_or_b64 s[8:9], vcc, s[8:9]
	ds_write_b32 v57, v58 offset:22548
	s_waitcnt lgkmcnt(3)
	v_smfmac_f32_16x16x64_fp8_fp8 v[0:3], v[34:35], v[60:63], v41 cbsz:7 abid:1
	v_add_u32_e32 v34, s19, v56
	v_add_u32_e32 v35, 2, v40
	v_cmp_lt_i32_e32 vcc, 0, v34
	s_waitcnt lgkmcnt(1)
	v_smfmac_f32_16x16x64_fp8_fp8 v[0:3], v[32:33], v[36:39], v41 cbsz:7 abid:1
	v_cndmask_b32_e32 v40, v40, v35, vcc
	s_andn2_b64 exec, exec, s[8:9]
	s_cbranch_execz .LBB112_31
.LBB112_13:                             ;   Parent Loop BB112_7 Depth=1
                                        ; =>  This Loop Header: Depth=2
                                        ;       Child Loop BB112_15 Depth 3
                                        ;       Child Loop BB112_18 Depth 3
	;; [unrolled: 1-line block ×6, first 2 shown]
	v_cmp_lt_i32_e32 vcc, 0, v34
	s_nop 1
	v_subbrev_co_u32_e32 v56, vcc, 0, v34, vcc
	v_lshlrev_b32_e32 v32, 2, v56
	ds_read_b32 v33, v32 offset:22528
	v_add_u32_e32 v59, 0x5800, v32
	s_waitcnt lgkmcnt(0)
	v_cmp_ne_u32_e32 vcc, v33, v40
	s_and_saveexec_b64 s[10:11], vcc
	s_cbranch_execz .LBB112_16
; %bb.14:                               ;   in Loop: Header=BB112_13 Depth=2
	s_mov_b64 s[44:45], 0
.LBB112_15:                             ;   Parent Loop BB112_7 Depth=1
                                        ;     Parent Loop BB112_13 Depth=2
                                        ; =>    This Inner Loop Header: Depth=3
	;;#ASMSTART
	s_sleep 0
	;;#ASMEND
	ds_read_b32 v32, v59
	s_waitcnt lgkmcnt(0)
	v_cmp_eq_u32_e32 vcc, v32, v40
	s_or_b64 s[44:45], vcc, s[44:45]
	s_andn2_b64 exec, exec, s[44:45]
	s_cbranch_execnz .LBB112_15
.LBB112_16:                             ;   in Loop: Header=BB112_13 Depth=2
	s_or_b64 exec, exec, s[10:11]
	v_lshl_add_u32 v32, v56, 11, v42
	ds_read2_b32 v[38:39], v32 offset1:32
	ds_read2_b32 v[36:37], v32 offset0:128 offset1:160
	v_add_u32_e32 v32, 0x400, v32
	v_mul_lo_u32 v57, v56, 20
	ds_read2_b32 v[34:35], v32 offset1:32
	ds_read2_b32 v[32:33], v32 offset0:128 offset1:160
	;;#ASMSTART
	s_waitcnt lgkmcnt(0)
	;;#ASMEND
	ds_read_b32 v60, v57 offset:22532
	v_add_u32_e32 v58, 1, v40
	ds_write_b32 v59, v58
	s_waitcnt lgkmcnt(1)
	v_cmp_ne_u32_e32 vcc, v60, v40
	s_and_saveexec_b64 s[10:11], vcc
	s_cbranch_execz .LBB112_19
; %bb.17:                               ;   in Loop: Header=BB112_13 Depth=2
	s_mov_b64 s[44:45], 0
.LBB112_18:                             ;   Parent Loop BB112_7 Depth=1
                                        ;     Parent Loop BB112_13 Depth=2
                                        ; =>    This Inner Loop Header: Depth=3
	;;#ASMSTART
	s_sleep 0
	;;#ASMEND
	ds_read_b32 v59, v57 offset:22532
	s_waitcnt lgkmcnt(0)
	v_cmp_eq_u32_e32 vcc, v59, v40
	s_or_b64 s[44:45], vcc, s[44:45]
	s_andn2_b64 exec, exec, s[44:45]
	s_cbranch_execnz .LBB112_18
.LBB112_19:                             ;   in Loop: Header=BB112_13 Depth=2
	s_or_b64 exec, exec, s[10:11]
	v_mul_lo_u32 v59, v56, s51
	v_or_b32_e32 v59, v43, v59
	ds_read2_b32 v[60:61], v59 offset1:32
	ds_read2_b32 v[62:63], v59 offset0:64 offset1:96
	v_add_u32_e32 v66, 0x400, v59
	ds_read2_b32 v[64:65], v66 offset1:32
	ds_read2_b32 v[66:67], v66 offset0:64 offset1:96
	s_waitcnt lgkmcnt(2)
	v_smfmac_f32_16x16x64_fp8_fp8 v[16:19], v[38:39], v[60:63], v41 cbsz:7 abid:1
	v_add_u32_e32 v62, 0x800, v59
	ds_read2_b32 v[60:61], v62 offset1:32
	ds_read2_b32 v[62:63], v62 offset0:64 offset1:96
	s_waitcnt lgkmcnt(2)
	v_smfmac_f32_16x16x64_fp8_fp8 v[16:19], v[36:37], v[64:67], v41 cbsz:7 abid:1
	v_add_u32_e32 v66, 0xc00, v59
	ds_read2_b32 v[64:65], v66 offset1:32
	s_waitcnt lgkmcnt(1)
	v_smfmac_f32_16x16x64_fp8_fp8 v[16:19], v[34:35], v[60:63], v41 cbsz:7 abid:1
	ds_read2_b32 v[66:67], v66 offset0:64 offset1:96
	ds_read_b32 v60, v57 offset:22536
	ds_write_b32 v57, v58 offset:22532
	s_waitcnt lgkmcnt(1)
	v_cmp_ne_u32_e32 vcc, v60, v40
	v_smfmac_f32_16x16x64_fp8_fp8 v[16:19], v[32:33], v[64:67], v41 cbsz:7 abid:1
	s_and_saveexec_b64 s[10:11], vcc
	s_cbranch_execz .LBB112_22
; %bb.20:                               ;   in Loop: Header=BB112_13 Depth=2
	s_mov_b64 s[44:45], 0
.LBB112_21:                             ;   Parent Loop BB112_7 Depth=1
                                        ;     Parent Loop BB112_13 Depth=2
                                        ; =>    This Inner Loop Header: Depth=3
	;;#ASMSTART
	s_sleep 0
	;;#ASMEND
	ds_read_b32 v60, v57 offset:22536
	s_waitcnt lgkmcnt(0)
	v_cmp_eq_u32_e32 vcc, v60, v40
	s_or_b64 s[44:45], vcc, s[44:45]
	s_andn2_b64 exec, exec, s[44:45]
	s_cbranch_execnz .LBB112_21
.LBB112_22:                             ;   in Loop: Header=BB112_13 Depth=2
	s_or_b64 exec, exec, s[10:11]
	v_add_u32_e32 v62, 0x1000, v59
	ds_read2_b32 v[60:61], v62 offset1:32
	ds_read2_b32 v[62:63], v62 offset0:64 offset1:96
	v_add_u32_e32 v66, 0x1400, v59
	ds_read2_b32 v[64:65], v66 offset1:32
	ds_read2_b32 v[66:67], v66 offset0:64 offset1:96
	s_waitcnt lgkmcnt(2)
	v_smfmac_f32_16x16x64_fp8_fp8 v[12:15], v[38:39], v[60:63], v41 cbsz:7 abid:1
	v_add_u32_e32 v62, 0x1800, v59
	ds_read2_b32 v[60:61], v62 offset1:32
	ds_read2_b32 v[62:63], v62 offset0:64 offset1:96
	s_waitcnt lgkmcnt(2)
	v_smfmac_f32_16x16x64_fp8_fp8 v[12:15], v[36:37], v[64:67], v41 cbsz:7 abid:1
	v_add_u32_e32 v66, 0x1c00, v59
	ds_read2_b32 v[64:65], v66 offset1:32
	s_waitcnt lgkmcnt(1)
	v_smfmac_f32_16x16x64_fp8_fp8 v[12:15], v[34:35], v[60:63], v41 cbsz:7 abid:1
	ds_read2_b32 v[66:67], v66 offset0:64 offset1:96
	ds_read_b32 v60, v57 offset:22540
	ds_write_b32 v57, v58 offset:22536
	s_waitcnt lgkmcnt(1)
	v_cmp_ne_u32_e32 vcc, v60, v40
	v_smfmac_f32_16x16x64_fp8_fp8 v[12:15], v[32:33], v[64:67], v41 cbsz:7 abid:1
	s_and_saveexec_b64 s[10:11], vcc
	s_cbranch_execz .LBB112_25
; %bb.23:                               ;   in Loop: Header=BB112_13 Depth=2
	s_mov_b64 s[44:45], 0
.LBB112_24:                             ;   Parent Loop BB112_7 Depth=1
                                        ;     Parent Loop BB112_13 Depth=2
                                        ; =>    This Inner Loop Header: Depth=3
	;;#ASMSTART
	s_sleep 0
	;;#ASMEND
	ds_read_b32 v60, v57 offset:22540
	s_waitcnt lgkmcnt(0)
	v_cmp_eq_u32_e32 vcc, v60, v40
	s_or_b64 s[44:45], vcc, s[44:45]
	s_andn2_b64 exec, exec, s[44:45]
	s_cbranch_execnz .LBB112_24
.LBB112_25:                             ;   in Loop: Header=BB112_13 Depth=2
	s_or_b64 exec, exec, s[10:11]
	v_add_u32_e32 v62, 0x2000, v59
	;; [unrolled: 41-line block ×3, first 2 shown]
	ds_read2_b32 v[60:61], v62 offset1:32
	ds_read2_b32 v[62:63], v62 offset0:64 offset1:96
	v_add_u32_e32 v66, 0x3400, v59
	ds_read2_b32 v[64:65], v66 offset1:32
	ds_read2_b32 v[66:67], v66 offset0:64 offset1:96
	s_waitcnt lgkmcnt(2)
	v_smfmac_f32_16x16x64_fp8_fp8 v[4:7], v[38:39], v[60:63], v41 cbsz:7 abid:1
	v_add_u32_e32 v62, 0x3800, v59
	ds_read2_b32 v[60:61], v62 offset1:32
	ds_read2_b32 v[62:63], v62 offset0:64 offset1:96
	s_waitcnt lgkmcnt(2)
	v_smfmac_f32_16x16x64_fp8_fp8 v[4:7], v[36:37], v[64:67], v41 cbsz:7 abid:1
	v_add_u32_e32 v66, 0x3c00, v59
	ds_read2_b32 v[64:65], v66 offset1:32
	s_waitcnt lgkmcnt(1)
	v_smfmac_f32_16x16x64_fp8_fp8 v[4:7], v[34:35], v[60:63], v41 cbsz:7 abid:1
	ds_read2_b32 v[66:67], v66 offset0:64 offset1:96
	ds_read_b32 v60, v57 offset:22548
	ds_write_b32 v57, v58 offset:22544
	s_waitcnt lgkmcnt(1)
	v_cmp_ne_u32_e32 vcc, v60, v40
	v_smfmac_f32_16x16x64_fp8_fp8 v[4:7], v[32:33], v[64:67], v41 cbsz:7 abid:1
	s_and_saveexec_b64 s[10:11], vcc
	s_cbranch_execz .LBB112_12
; %bb.29:                               ;   in Loop: Header=BB112_13 Depth=2
	s_mov_b64 s[44:45], 0
.LBB112_30:                             ;   Parent Loop BB112_7 Depth=1
                                        ;     Parent Loop BB112_13 Depth=2
                                        ; =>    This Inner Loop Header: Depth=3
	;;#ASMSTART
	s_sleep 0
	;;#ASMEND
	ds_read_b32 v60, v57 offset:22548
	s_waitcnt lgkmcnt(0)
	v_cmp_eq_u32_e32 vcc, v60, v40
	s_or_b64 s[44:45], vcc, s[44:45]
	s_andn2_b64 exec, exec, s[44:45]
	s_cbranch_execnz .LBB112_30
	s_branch .LBB112_12
.LBB112_31:                             ;   in Loop: Header=BB112_7 Depth=1
	s_or_b64 exec, exec, s[8:9]
.LBB112_32:                             ;   in Loop: Header=BB112_7 Depth=1
	s_or_b64 exec, exec, s[6:7]
	v_cmp_le_i32_e32 vcc, s39, v20
	v_mov_b32_e32 v36, v17
	v_mov_b32_e32 v37, v18
	;; [unrolled: 1-line block ×3, first 2 shown]
	s_waitcnt vmcnt(0)
	v_cndmask_b32_e32 v32, 0, v24, vcc
	v_pk_add_f32 v[16:17], v[36:37], v[16:17]
	v_cmp_eq_u32_e32 vcc, 1, v44
	v_pk_mul_f32 v[16:17], v[32:33], v[16:17] op_sel_hi:[0,1]
	v_cmp_eq_u32_e64 s[6:7], 2, v44
	v_cndmask_b32_e32 v32, v16, v17, vcc
	v_cmp_le_i32_e64 s[10:11], s39, v45
	v_mov_b32_e32 v36, v13
	v_mov_b32_e32 v37, v14
	;; [unrolled: 1-line block ×3, first 2 shown]
	v_cndmask_b32_e64 v18, v32, v18, s[6:7]
	v_cndmask_b32_e64 v32, 0, v24, s[10:11]
	v_pk_add_f32 v[12:13], v[36:37], v[12:13]
	v_cmp_eq_u32_e64 s[8:9], 3, v44
	v_pk_mul_f32 v[12:13], v[32:33], v[12:13] op_sel_hi:[0,1]
	v_cmp_le_i32_e64 s[10:11], s39, v46
	v_mov_b32_e32 v36, v9
	v_mov_b32_e32 v37, v10
	;; [unrolled: 1-line block ×3, first 2 shown]
	v_cndmask_b32_e64 v18, v18, v19, s[8:9]
	v_cndmask_b32_e32 v19, v12, v13, vcc
	v_cndmask_b32_e64 v32, 0, v24, s[10:11]
	v_pk_add_f32 v[8:9], v[36:37], v[8:9]
	v_cndmask_b32_e64 v14, v19, v14, s[6:7]
	v_pk_mul_f32 v[8:9], v[32:33], v[8:9] op_sel_hi:[0,1]
	v_cmp_le_i32_e64 s[10:11], s39, v47
	v_mov_b32_e32 v36, v5
	v_mov_b32_e32 v37, v6
	;; [unrolled: 1-line block ×3, first 2 shown]
	v_cndmask_b32_e64 v14, v14, v15, s[8:9]
	v_cndmask_b32_e32 v15, v8, v9, vcc
	v_cndmask_b32_e64 v32, 0, v24, s[10:11]
	v_pk_add_f32 v[4:5], v[36:37], v[4:5]
	v_cndmask_b32_e64 v10, v15, v10, s[6:7]
	v_pk_mul_f32 v[4:5], v[32:33], v[4:5] op_sel_hi:[0,1]
	v_cndmask_b32_e64 v10, v10, v11, s[8:9]
	v_cndmask_b32_e32 v11, v4, v5, vcc
	v_cmp_le_i32_e32 vcc, s39, v48
	v_mov_b32_e32 v32, v1
	v_mov_b32_e32 v33, v2
	;; [unrolled: 1-line block ×3, first 2 shown]
	v_cndmask_b32_e32 v24, 0, v24, vcc
	v_pk_add_f32 v[0:1], v[32:33], v[0:1]
	v_cndmask_b32_e64 v6, v11, v6, s[6:7]
	v_pk_mul_f32 v[0:1], v[24:25], v[0:1] op_sel_hi:[0,1]
	v_cmp_ne_u32_e32 vcc, 0, v44
	v_cndmask_b32_e64 v6, v6, v7, s[8:9]
	ds_bpermute_b32 v18, v54, v18
	v_cndmask_b32_e32 v7, v0, v1, vcc
	v_cndmask_b32_e64 v2, v7, v2, s[6:7]
	v_cndmask_b32_e64 v2, v2, v3, s[8:9]
	ds_bpermute_b32 v14, v54, v14
	ds_bpermute_b32 v10, v54, v10
	;; [unrolled: 1-line block ×4, first 2 shown]
	v_cmp_lt_i32_e32 vcc, s62, v49
	s_and_saveexec_b64 s[8:9], vcc
	s_cbranch_execz .LBB112_34
; %bb.33:                               ;   in Loop: Header=BB112_7 Depth=1
	s_mul_i32 s6, s60, s13
	s_ashr_i32 s7, s6, 31
	s_lshl_b64 s[6:7], s[6:7], 1
	s_add_u32 s10, s24, s6
	s_addc_u32 s11, s25, s7
	s_ashr_i32 s39, s38, 31
	s_lshl_b64 s[6:7], s[38:39], 1
	s_add_u32 s10, s10, s6
	s_addc_u32 s11, s11, s7
	v_cmp_ne_u32_e32 vcc, 0, v44
	v_cmp_eq_u32_e64 s[6:7], 0, v44
	v_lshlrev_b32_e32 v24, 1, v20
	s_waitcnt lgkmcnt(0)
	v_cndmask_b32_e32 v7, v1, v2, vcc
	v_cndmask_b32_e64 v11, v0, v2, s[6:7]
	v_cndmask_b32_e32 v0, v17, v18, vcc
	v_cndmask_b32_e64 v1, v16, v18, s[6:7]
	;; [unrolled: 2-line block ×4, first 2 shown]
	v_cvt_f16_f32_e32 v9, v1
	v_cvt_f16_f32_sdwa v10, v0 dst_sel:WORD_1 dst_unused:UNUSED_PAD src0_sel:DWORD
	v_cndmask_b32_e32 v2, v13, v14, vcc
	v_cndmask_b32_e64 v3, v12, v14, s[6:7]
	v_lshl_add_u64 v[0:1], v[22:23], 1, s[10:11]
	v_or_b32_e32 v9, v10, v9
	v_cvt_f16_f32_e32 v8, v8
	v_cvt_f16_f32_sdwa v6, v6 dst_sel:WORD_1 dst_unused:UNUSED_PAD src0_sel:DWORD
	v_lshl_add_u64 v[0:1], v[0:1], 0, v[24:25]
	;;#ASMSTART
	global_atomic_pk_add_f16 v[0:1], v9, off
	
	;;#ASMEND
	v_cvt_f16_f32_e32 v9, v3
	v_cvt_f16_f32_sdwa v10, v2 dst_sel:WORD_1 dst_unused:UNUSED_PAD src0_sel:DWORD
	v_lshl_add_u64 v[2:3], v[0:1], 0, 32
	v_or_b32_e32 v6, v6, v8
	v_cvt_f16_f32_e32 v4, v4
	v_or_b32_e32 v9, v10, v9
	;;#ASMSTART
	global_atomic_pk_add_f16 v[2:3], v9, off
	
	;;#ASMEND
	v_lshl_add_u64 v[2:3], v[0:1], 0, 64
	;;#ASMSTART
	global_atomic_pk_add_f16 v[2:3], v6, off
	
	;;#ASMEND
	v_cvt_f16_f32_sdwa v5, v5 dst_sel:WORD_1 dst_unused:UNUSED_PAD src0_sel:DWORD
	v_cvt_f16_f32_e32 v6, v11
	v_cvt_f16_f32_sdwa v7, v7 dst_sel:WORD_1 dst_unused:UNUSED_PAD src0_sel:DWORD
	v_lshl_add_u64 v[2:3], v[0:1], 0, s[30:31]
	v_or_b32_e32 v4, v5, v4
	;;#ASMSTART
	global_atomic_pk_add_f16 v[2:3], v4, off
	
	;;#ASMEND
	v_lshl_add_u64 v[0:1], v[0:1], 0, s[34:35]
	v_or_b32_e32 v2, v7, v6
	;;#ASMSTART
	global_atomic_pk_add_f16 v[0:1], v2, off
	
	;;#ASMEND
.LBB112_34:                             ;   in Loop: Header=BB112_7 Depth=1
	s_or_b64 exec, exec, s[8:9]
	v_subrev_u32_e32 v55, s59, v55
.LBB112_35:                             ;   in Loop: Header=BB112_7 Depth=1
	s_or_b64 exec, exec, s[42:43]
.LBB112_36:                             ;   in Loop: Header=BB112_7 Depth=1
	s_andn2_saveexec_b64 s[6:7], s[40:41]
	s_cbranch_execz .LBB112_45
; %bb.37:                               ;   in Loop: Header=BB112_7 Depth=1
	s_mul_i32 s42, s59, 5
	v_cmp_gt_i32_e32 vcc, s42, v55
	s_and_saveexec_b64 s[8:9], vcc
	s_cbranch_execz .LBB112_44
; %bb.38:                               ;   in Loop: Header=BB112_7 Depth=1
	s_mul_i32 s10, s38, s15
	s_ashr_i32 s11, s10, 31
	s_waitcnt lgkmcnt(0)
	s_add_u32 s10, s22, s10
	s_addc_u32 s11, s23, s11
	s_ashr_i32 s38, s61, 31
	s_add_u32 s10, s10, s61
	s_addc_u32 s11, s11, s38
	v_lshl_add_u64 v[0:1], s[10:11], 0, v[28:29]
	v_lshl_add_u64 v[16:17], v[0:1], 0, v[26:27]
	s_mov_b64 s[10:11], 0
	s_branch .LBB112_40
.LBB112_39:                             ;   in Loop: Header=BB112_40 Depth=2
	s_or_b64 exec, exec, s[38:39]
	v_lshl_or_b32 v24, v18, 12, v50
	;;#ASMSTART
	s_waitcnt vmcnt(3)
	;;#ASMEND
	ds_write2_b32 v24, v12, v13 offset1:32
	ds_write2_b32 v24, v14, v15 offset0:64 offset1:96
	v_add_u32_e32 v12, 0x400, v24
	;;#ASMSTART
	s_waitcnt vmcnt(2)
	;;#ASMEND
	ds_write2_b32 v12, v8, v9 offset1:32
	ds_write2_b32 v12, v10, v11 offset0:64 offset1:96
	v_add_u32_e32 v8, 0x800, v24
	;; [unrolled: 6-line block ×3, first 2 shown]
	v_add_u32_e32 v55, s18, v55
	;;#ASMSTART
	s_waitcnt vmcnt(0)
	;;#ASMEND
	ds_write2_b32 v4, v0, v1 offset1:32
	ds_write2_b32 v4, v2, v3 offset0:64 offset1:96
	v_add_u32_e32 v0, 1, v40
	v_add_u32_e32 v34, s18, v18
	v_cmp_le_i32_e32 vcc, s42, v55
	ds_write_b32 v19, v0 offset:4
	v_add_u32_e32 v0, 2, v40
	s_or_b64 s[10:11], vcc, s[10:11]
	v_cmp_lt_i32_e32 vcc, 4, v34
	s_nop 1
	v_cndmask_b32_e32 v40, v40, v0, vcc
	s_andn2_b64 exec, exec, s[10:11]
	s_cbranch_execz .LBB112_43
.LBB112_40:                             ;   Parent Loop BB112_7 Depth=1
                                        ; =>  This Loop Header: Depth=2
                                        ;       Child Loop BB112_42 Depth 3
	v_cmp_gt_i32_e32 vcc, 5, v34
	s_nop 1
	v_cndmask_b32_e64 v0, -5, 0, vcc
	v_add_u32_e32 v18, v0, v34
	v_mul_hi_i32 v0, v55, s48
	v_lshrrev_b32_e32 v1, 31, v0
	v_ashrrev_i32_e32 v0, 1, v0
	v_add_u32_e32 v0, v0, v1
	v_lshl_add_u32 v1, v0, 2, v0
	v_sub_u32_e32 v2, v55, v1
	v_lshlrev_b32_e32 v0, 8, v0
	v_ashrrev_i32_e32 v1, 31, v0
	v_mul_lo_u32 v2, s52, v2
	v_lshl_add_u64 v[0:1], v[16:17], 0, v[0:1]
	v_ashrrev_i32_e32 v3, 31, v2
	v_lshl_add_u64 v[0:1], v[0:1], 0, v[2:3]
	v_lshlrev_b32_e32 v19, 2, v18
	;;#ASMSTART
	global_load_dwordx4 v[12:15], v[0:1], off offset:0    sc0 sc1 nt  
	global_load_dwordx4 v[8:11], v[0:1], off offset:64   sc0 sc1 nt  
	global_load_dwordx4 v[4:7], v[0:1], off offset:128  sc0 sc1 nt  
	global_load_dwordx4 v[0:3], v[0:1], off offset:192  sc0 sc1 nt  
	
	;;#ASMEND
	ds_read_b32 v24, v19 offset:22532
	v_add_u32_e32 v19, 0x5800, v19
	s_waitcnt lgkmcnt(0)
	v_cmp_ne_u32_e32 vcc, v24, v40
	s_and_saveexec_b64 s[38:39], vcc
	s_cbranch_execz .LBB112_39
; %bb.41:                               ;   in Loop: Header=BB112_40 Depth=2
	s_mov_b64 s[40:41], 0
.LBB112_42:                             ;   Parent Loop BB112_7 Depth=1
                                        ;     Parent Loop BB112_40 Depth=2
                                        ; =>    This Inner Loop Header: Depth=3
	;;#ASMSTART
	s_sleep 0
	;;#ASMEND
	ds_read_b32 v24, v19 offset:4
	s_waitcnt lgkmcnt(0)
	v_cmp_eq_u32_e32 vcc, v24, v40
	s_or_b64 s[40:41], vcc, s[40:41]
	s_andn2_b64 exec, exec, s[40:41]
	s_cbranch_execnz .LBB112_42
	s_branch .LBB112_39
.LBB112_43:                             ;   in Loop: Header=BB112_7 Depth=1
	s_or_b64 exec, exec, s[10:11]
.LBB112_44:                             ;   in Loop: Header=BB112_7 Depth=1
	s_or_b64 exec, exec, s[8:9]
	v_subrev_u32_e32 v55, s42, v55
.LBB112_45:                             ;   in Loop: Header=BB112_7 Depth=1
	s_or_b64 exec, exec, s[6:7]
.LBB112_46:                             ;   in Loop: Header=BB112_7 Depth=1
	s_andn2_saveexec_b64 s[6:7], s[36:37]
	s_cbranch_execz .LBB112_6
; %bb.47:                               ;   in Loop: Header=BB112_7 Depth=1
	v_cmp_gt_i32_e32 vcc, s59, v55
	s_and_saveexec_b64 s[8:9], vcc
	s_cbranch_execz .LBB112_5
; %bb.48:                               ;   in Loop: Header=BB112_7 Depth=1
	s_mul_i32 s60, s60, s14
	s_ashr_i32 s10, s60, 31
	s_waitcnt lgkmcnt(0)
	s_add_u32 s11, s20, s60
	s_addc_u32 s36, s21, s10
	s_ashr_i32 s37, s61, 31
	v_cmp_le_i32_e32 vcc, s62, v52
	s_add_u32 s10, s11, s61
	s_addc_u32 s11, s36, s37
	v_cndmask_b32_e32 v0, 0, v53, vcc
	v_ashrrev_i32_e32 v1, 31, v0
	v_lshl_add_u64 v[0:1], s[10:11], 0, v[0:1]
	v_lshlrev_b32_e32 v2, 8, v55
	v_lshl_add_u64 v[0:1], v[0:1], 0, v[30:31]
	v_ashrrev_i32_e32 v3, 31, v2
	v_lshl_add_u64 v[8:9], v[0:1], 0, v[2:3]
	s_mov_b64 s[10:11], 0
	s_branch .LBB112_50
.LBB112_49:                             ;   in Loop: Header=BB112_50 Depth=2
	s_or_b64 exec, exec, s[36:37]
	;;#ASMSTART
	s_waitcnt vmcnt(1)
	v_pack_b32_f16 v12, v4, v5, op_sel:[0,0]
	v_pack_b32_f16 v13, v4, v5, op_sel:[1,1]
	;; [unrolled: 1-line block ×4, first 2 shown]
	v_swap_b32 v12, v4
	v_swap_b32 v13, v6
	;; [unrolled: 1-line block ×4, first 2 shown]
	;;#ASMEND
	v_add_u32_e32 v55, s17, v55
	v_lshl_add_u32 v12, v10, 11, v51
	ds_write2_b32 v12, v4, v5 offset1:32
	ds_write2_b32 v12, v6, v7 offset0:64 offset1:96
	;;#ASMSTART
	s_waitcnt vmcnt(0)
	v_pack_b32_f16 v4, v0, v1, op_sel:[0,0]
	v_pack_b32_f16 v5, v0, v1, op_sel:[1,1]
	;; [unrolled: 1-line block ×4, first 2 shown]
	v_swap_b32 v4, v0
	v_swap_b32 v5, v2
	;; [unrolled: 1-line block ×4, first 2 shown]
	;;#ASMEND
	v_add_u32_e32 v34, s17, v10
	v_add_u32_e32 v4, 0x400, v12
	ds_write2_b32 v4, v0, v1 offset1:32
	ds_write2_b32 v4, v2, v3 offset0:64 offset1:96
	v_add_u32_e32 v0, 1, v40
	v_cmp_le_i32_e32 vcc, s59, v55
	ds_write_b32 v11, v0
	v_add_u32_e32 v0, 2, v40
	s_or_b64 s[10:11], vcc, s[10:11]
	v_cmp_lt_i32_e32 vcc, 0, v34
	v_lshl_add_u64 v[8:9], v[8:9], 0, s[28:29]
	s_nop 0
	v_cndmask_b32_e32 v40, v40, v0, vcc
	s_andn2_b64 exec, exec, s[10:11]
	s_cbranch_execz .LBB112_4
.LBB112_50:                             ;   Parent Loop BB112_7 Depth=1
                                        ; =>  This Loop Header: Depth=2
                                        ;       Child Loop BB112_52 Depth 3
	v_cmp_lt_i32_e32 vcc, 0, v34
	;;#ASMSTART
	global_load_dwordx4 v[4:7], v[8:9], off offset:0  
	global_load_dwordx4 v[0:3], v[8:9], off offset:128
	
	;;#ASMEND
	s_nop 1
	v_subbrev_co_u32_e32 v10, vcc, 0, v34, vcc
	v_lshlrev_b32_e32 v11, 2, v10
	ds_read_b32 v12, v11 offset:22528
	v_add_u32_e32 v11, 0x5800, v11
	s_waitcnt lgkmcnt(0)
	v_cmp_ne_u32_e32 vcc, v12, v40
	s_and_saveexec_b64 s[36:37], vcc
	s_cbranch_execz .LBB112_49
; %bb.51:                               ;   in Loop: Header=BB112_50 Depth=2
	s_mov_b64 s[38:39], 0
.LBB112_52:                             ;   Parent Loop BB112_7 Depth=1
                                        ;     Parent Loop BB112_50 Depth=2
                                        ; =>    This Inner Loop Header: Depth=3
	;;#ASMSTART
	s_sleep 0
	;;#ASMEND
	ds_read_b32 v12, v11
	s_waitcnt lgkmcnt(0)
	v_cmp_eq_u32_e32 vcc, v12, v40
	s_or_b64 s[38:39], vcc, s[38:39]
	s_andn2_b64 exec, exec, s[38:39]
	s_cbranch_execnz .LBB112_52
	s_branch .LBB112_49
.LBB112_53:
	s_endpgm
	.section	.rodata,"a",@progbits
	.p2align	6, 0x0
	.amdhsa_kernel _Z19_skinny_gemm_kernelILi1ELi5ELi1ELi8ELi4EEvPKhS1_P6__halfPKfiiiiiiii
		.amdhsa_group_segment_fixed_size 22552
		.amdhsa_private_segment_fixed_size 0
		.amdhsa_kernarg_size 64
		.amdhsa_user_sgpr_count 2
		.amdhsa_user_sgpr_dispatch_ptr 0
		.amdhsa_user_sgpr_queue_ptr 0
		.amdhsa_user_sgpr_kernarg_segment_ptr 1
		.amdhsa_user_sgpr_dispatch_id 0
		.amdhsa_user_sgpr_kernarg_preload_length 0
		.amdhsa_user_sgpr_kernarg_preload_offset 0
		.amdhsa_user_sgpr_private_segment_size 0
		.amdhsa_uses_dynamic_stack 0
		.amdhsa_enable_private_segment 0
		.amdhsa_system_sgpr_workgroup_id_x 1
		.amdhsa_system_sgpr_workgroup_id_y 0
		.amdhsa_system_sgpr_workgroup_id_z 0
		.amdhsa_system_sgpr_workgroup_info 0
		.amdhsa_system_vgpr_workitem_id 0
		.amdhsa_next_free_vgpr 68
		.amdhsa_next_free_sgpr 63
		.amdhsa_accum_offset 68
		.amdhsa_reserve_vcc 1
		.amdhsa_float_round_mode_32 0
		.amdhsa_float_round_mode_16_64 0
		.amdhsa_float_denorm_mode_32 3
		.amdhsa_float_denorm_mode_16_64 3
		.amdhsa_dx10_clamp 1
		.amdhsa_ieee_mode 1
		.amdhsa_fp16_overflow 0
		.amdhsa_tg_split 0
		.amdhsa_exception_fp_ieee_invalid_op 0
		.amdhsa_exception_fp_denorm_src 0
		.amdhsa_exception_fp_ieee_div_zero 0
		.amdhsa_exception_fp_ieee_overflow 0
		.amdhsa_exception_fp_ieee_underflow 0
		.amdhsa_exception_fp_ieee_inexact 0
		.amdhsa_exception_int_div_zero 0
	.end_amdhsa_kernel
	.section	.text._Z19_skinny_gemm_kernelILi1ELi5ELi1ELi8ELi4EEvPKhS1_P6__halfPKfiiiiiiii,"axG",@progbits,_Z19_skinny_gemm_kernelILi1ELi5ELi1ELi8ELi4EEvPKhS1_P6__halfPKfiiiiiiii,comdat
.Lfunc_end112:
	.size	_Z19_skinny_gemm_kernelILi1ELi5ELi1ELi8ELi4EEvPKhS1_P6__halfPKfiiiiiiii, .Lfunc_end112-_Z19_skinny_gemm_kernelILi1ELi5ELi1ELi8ELi4EEvPKhS1_P6__halfPKfiiiiiiii
                                        ; -- End function
	.set _Z19_skinny_gemm_kernelILi1ELi5ELi1ELi8ELi4EEvPKhS1_P6__halfPKfiiiiiiii.num_vgpr, 68
	.set _Z19_skinny_gemm_kernelILi1ELi5ELi1ELi8ELi4EEvPKhS1_P6__halfPKfiiiiiiii.num_agpr, 0
	.set _Z19_skinny_gemm_kernelILi1ELi5ELi1ELi8ELi4EEvPKhS1_P6__halfPKfiiiiiiii.numbered_sgpr, 63
	.set _Z19_skinny_gemm_kernelILi1ELi5ELi1ELi8ELi4EEvPKhS1_P6__halfPKfiiiiiiii.num_named_barrier, 0
	.set _Z19_skinny_gemm_kernelILi1ELi5ELi1ELi8ELi4EEvPKhS1_P6__halfPKfiiiiiiii.private_seg_size, 0
	.set _Z19_skinny_gemm_kernelILi1ELi5ELi1ELi8ELi4EEvPKhS1_P6__halfPKfiiiiiiii.uses_vcc, 1
	.set _Z19_skinny_gemm_kernelILi1ELi5ELi1ELi8ELi4EEvPKhS1_P6__halfPKfiiiiiiii.uses_flat_scratch, 0
	.set _Z19_skinny_gemm_kernelILi1ELi5ELi1ELi8ELi4EEvPKhS1_P6__halfPKfiiiiiiii.has_dyn_sized_stack, 0
	.set _Z19_skinny_gemm_kernelILi1ELi5ELi1ELi8ELi4EEvPKhS1_P6__halfPKfiiiiiiii.has_recursion, 0
	.set _Z19_skinny_gemm_kernelILi1ELi5ELi1ELi8ELi4EEvPKhS1_P6__halfPKfiiiiiiii.has_indirect_call, 0
	.section	.AMDGPU.csdata,"",@progbits
; Kernel info:
; codeLenInByte = 4564
; TotalNumSgprs: 69
; NumVgprs: 68
; NumAgprs: 0
; TotalNumVgprs: 68
; ScratchSize: 0
; MemoryBound: 0
; FloatMode: 240
; IeeeMode: 1
; LDSByteSize: 22552 bytes/workgroup (compile time only)
; SGPRBlocks: 8
; VGPRBlocks: 8
; NumSGPRsForWavesPerEU: 69
; NumVGPRsForWavesPerEU: 68
; AccumOffset: 68
; Occupancy: 7
; WaveLimiterHint : 0
; COMPUTE_PGM_RSRC2:SCRATCH_EN: 0
; COMPUTE_PGM_RSRC2:USER_SGPR: 2
; COMPUTE_PGM_RSRC2:TRAP_HANDLER: 0
; COMPUTE_PGM_RSRC2:TGID_X_EN: 1
; COMPUTE_PGM_RSRC2:TGID_Y_EN: 0
; COMPUTE_PGM_RSRC2:TGID_Z_EN: 0
; COMPUTE_PGM_RSRC2:TIDIG_COMP_CNT: 0
; COMPUTE_PGM_RSRC3_GFX90A:ACCUM_OFFSET: 16
; COMPUTE_PGM_RSRC3_GFX90A:TG_SPLIT: 0
	.section	.text._Z19_skinny_gemm_kernelILi1ELi5ELi1ELi8ELi8EEvPKhS1_P6__halfPKfiiiiiiii,"axG",@progbits,_Z19_skinny_gemm_kernelILi1ELi5ELi1ELi8ELi8EEvPKhS1_P6__halfPKfiiiiiiii,comdat
	.protected	_Z19_skinny_gemm_kernelILi1ELi5ELi1ELi8ELi8EEvPKhS1_P6__halfPKfiiiiiiii ; -- Begin function _Z19_skinny_gemm_kernelILi1ELi5ELi1ELi8ELi8EEvPKhS1_P6__halfPKfiiiiiiii
	.globl	_Z19_skinny_gemm_kernelILi1ELi5ELi1ELi8ELi8EEvPKhS1_P6__halfPKfiiiiiiii
	.p2align	8
	.type	_Z19_skinny_gemm_kernelILi1ELi5ELi1ELi8ELi8EEvPKhS1_P6__halfPKfiiiiiiii,@function
_Z19_skinny_gemm_kernelILi1ELi5ELi1ELi8ELi8EEvPKhS1_P6__halfPKfiiiiiiii: ; @_Z19_skinny_gemm_kernelILi1ELi5ELi1ELi8ELi8EEvPKhS1_P6__halfPKfiiiiiiii
; %bb.0:
	v_cmp_gt_u32_e32 vcc, 6, v0
	v_lshlrev_b32_e32 v1, 2, v0
	s_and_saveexec_b64 s[4:5], vcc
; %bb.1:
	v_mov_b32_e32 v2, 0
	ds_write_b32 v1, v2 offset:45056
; %bb.2:
	s_or_b64 exec, exec, s[4:5]
	s_load_dwordx8 s[12:19], s[0:1], 0x20
	s_waitcnt lgkmcnt(0)
	s_barrier
	s_add_i32 s3, s12, 7
	s_ashr_i32 s5, s3, 31
	s_add_i32 s4, s13, 0x4f
	s_lshr_b32 s5, s5, 29
	s_mul_hi_i32 s4, s4, 0x66666667
	s_add_i32 s3, s3, s5
	s_ashr_i32 s15, s3, 3
	s_lshr_b32 s3, s4, 31
	s_ashr_i32 s33, s4, 5
	s_add_i32 s33, s33, s3
	s_mul_i32 s3, s33, s15
	s_mul_i32 s3, s3, s16
	s_add_i32 s4, s3, 0x12f
	s_mul_hi_i32 s4, s4, 0x6bca1af3
	s_lshr_b32 s5, s4, 31
	s_ashr_i32 s4, s4, 7
	s_add_i32 s4, s4, s5
	s_add_i32 s5, s2, 1
	s_mul_i32 s5, s4, s5
	v_cvt_f64_i32_e32 v[2:3], s3
	v_cvt_f64_u32_e32 v[4:5], s5
	v_min_f64 v[2:3], v[2:3], v[4:5]
	v_cvt_i32_f64_e32 v21, v[2:3]
	s_mul_i32 s42, s4, s2
	v_cmp_ge_i32_e32 vcc, s42, v21
	s_cbranch_vccnz .LBB113_53
; %bb.3:
	v_lshrrev_b32_e32 v2, 6, v0
	s_add_i32 s4, s18, s17
	s_load_dwordx2 s[24:25], s[0:1], 0x0
	s_load_dwordx4 s[20:23], s[0:1], 0x10
	v_cmp_le_i32_e64 s[0:1], s4, v2
	v_mov_b32_e32 v3, s17
	v_cmp_le_i32_e64 s[2:3], s17, v2
	v_mov_b32_e32 v4, s18
	v_cndmask_b32_e64 v4, 0, v4, s[0:1]
	v_cndmask_b32_e64 v3, 0, v3, s[2:3]
	s_abs_i32 s5, s16
	v_add_u32_e32 v3, v3, v4
	v_cvt_f32_u32_e32 v4, s5
	v_sub_u32_e32 v30, v2, v3
	s_ashr_i32 s6, s14, 31
	s_lshr_b32 s6, s6, 23
	v_rcp_iflag_f32_e32 v3, v4
	s_sub_i32 s9, 0, s5
	s_add_i32 s6, s14, s6
	s_ashr_i32 s6, s6, 9
	v_mul_f32_e32 v3, 0x4f7ffffe, v3
	v_cvt_u32_f32_e32 v3, v3
	s_abs_i32 s8, s6
	s_xor_b32 s7, s6, s16
	s_ashr_i32 s7, s7, 31
	v_readfirstlane_b32 s10, v3
	s_mul_i32 s9, s9, s10
	s_mul_hi_u32 s9, s10, s9
	s_add_i32 s10, s10, s9
	s_mul_hi_u32 s9, s8, s10
	s_mul_i32 s10, s9, s5
	s_sub_i32 s8, s8, s10
	s_add_i32 s10, s9, 1
	s_sub_i32 s11, s8, s5
	s_cmp_ge_u32 s8, s5
	s_cselect_b32 s9, s10, s9
	s_cselect_b32 s8, s11, s8
	s_add_i32 s10, s9, 1
	s_cmp_ge_u32 s8, s5
	s_cselect_b32 s5, s10, s9
	s_xor_b32 s5, s5, s7
	s_sub_i32 s43, s5, s7
	s_add_i32 s16, s16, -1
	s_mul_i32 s5, s43, s16
	s_add_i32 s4, s4, s19
	s_sub_i32 s44, s6, s5
	v_cmp_gt_i32_e64 s[4:5], s4, v2
	v_and_b32_e32 v2, 1, v0
	v_lshlrev_b32_e32 v3, 1, v0
	v_and_b32_e32 v3, 0x7c, v3
	v_lshlrev_b32_e32 v4, 8, v2
	v_lshlrev_b32_e32 v5, 4, v0
	s_mov_b32 s45, 0xa000
	s_movk_i32 s6, 0x7c
	v_and_b32_e32 v6, 0x200, v5
	v_or3_b32 v46, v3, v4, s45
	v_lshrrev_b32_e32 v3, 3, v0
	v_cmp_eq_u32_e32 vcc, 0, v2
	v_and_or_b32 v47, v1, s6, v6
	v_lshlrev_b32_e32 v1, 1, v2
	v_and_or_b32 v2, v3, 6, v2
	v_lshlrev_b32_e32 v4, 7, v0
	v_and_b32_e32 v20, 14, v0
	v_bitop3_b32 v48, v0, 1, v0 bitop3:0xc
	v_sub_u32_e32 v1, v0, v1
	v_sub_u32_e32 v53, 8, v2
	v_mul_lo_u32 v22, s13, v2
	v_bfe_u32 v2, v0, 3, 3
	v_and_b32_e32 v4, 0x200, v4
	v_lshlrev_b32_e32 v0, 5, v0
	v_lshl_or_b32 v4, v2, 2, v4
	v_and_b32_e32 v0, 0x60, v0
	s_abs_i32 s46, s15
	v_or3_b32 v54, v4, v0, s45
	v_cvt_f32_u32_e32 v0, s46
	s_abs_i32 s48, s33
	v_mul_lo_u32 v56, s14, v2
	v_cvt_f32_u32_e32 v2, s48
	v_rcp_iflag_f32_e32 v0, v0
	s_sub_i32 s6, 0, s46
	v_add_u32_e32 v1, 1, v1
	v_rcp_iflag_f32_e32 v2, v2
	v_mul_f32_e32 v0, 0x4f7ffffe, v0
	v_cvt_u32_f32_e32 v0, v0
	v_and_b32_e32 v1, 63, v1
	v_mov_b32_e32 v7, 0xeeee
	v_mov_b32_e32 v8, 0x4444
	v_readfirstlane_b32 s7, v0
	v_mul_f32_e32 v0, 0x4f7ffffe, v2
	v_cvt_u32_f32_e32 v0, v0
	s_mul_i32 s6, s6, s7
	s_mul_hi_u32 s6, s7, s6
	s_add_i32 s50, s7, s6
	s_sub_i32 s6, 0, s48
	v_readfirstlane_b32 s7, v0
	v_mbcnt_lo_u32_b32 v0, -1, 0
	s_mul_i32 s6, s6, s7
	v_mbcnt_hi_u32_b32 v0, -1, v0
	v_mov_b32_e32 v25, 0
	s_mul_hi_u32 s6, s7, s6
	v_and_or_b32 v0, v0, 64, v1
	v_cndmask_b32_e64 v44, 0, 1, s[0:1]
	s_mov_b32 s27, 0
	v_cndmask_b32_e32 v45, v7, v8, vcc
	v_or_b32_e32 v49, 16, v20
	v_or_b32_e32 v50, 32, v20
	;; [unrolled: 1-line block ×4, first 2 shown]
	v_ashrrev_i32_e32 v23, 31, v22
	s_lshl_b32 s47, s43, 9
	v_bitop3_b32 v55, v3, 7, v3 bitop3:0xc
	v_and_b32_e32 v26, 0x70, v5
	v_mov_b32_e32 v27, v25
	s_lshl_b32 s26, s17, 9
	s_ashr_i32 s49, s15, 31
	s_ashr_i32 s51, s33, 31
	s_add_i32 s52, s7, s6
	s_mov_b64 s[28:29], 0x60
	s_mov_b64 s[30:31], 0x80
	v_lshlrev_b32_e32 v57, 2, v0
	v_mov_b32_e32 v58, v30
	s_branch .LBB113_7
.LBB113_4:                              ;   in Loop: Header=BB113_7 Depth=1
	s_or_b64 exec, exec, s[10:11]
.LBB113_5:                              ;   in Loop: Header=BB113_7 Depth=1
	s_or_b64 exec, exec, s[8:9]
	v_subrev_u32_e32 v58, s53, v58
.LBB113_6:                              ;   in Loop: Header=BB113_7 Depth=1
	s_or_b64 exec, exec, s[6:7]
	s_add_i32 s42, s42, 1
	v_cmp_ge_i32_e32 vcc, s42, v21
	s_cbranch_vccnz .LBB113_53
.LBB113_7:                              ; =>This Loop Header: Depth=1
                                        ;     Child Loop BB113_13 Depth 2
                                        ;       Child Loop BB113_15 Depth 3
                                        ;       Child Loop BB113_18 Depth 3
	;; [unrolled: 1-line block ×6, first 2 shown]
                                        ;     Child Loop BB113_40 Depth 2
                                        ;       Child Loop BB113_42 Depth 3
                                        ;     Child Loop BB113_50 Depth 2
                                        ;       Child Loop BB113_52 Depth 3
	s_abs_i32 s7, s42
	s_mul_hi_u32 s8, s7, s50
	s_mul_i32 s9, s8, s46
	s_ashr_i32 s6, s42, 31
	s_sub_i32 s7, s7, s9
	s_xor_b32 s6, s6, s49
	s_add_i32 s9, s8, 1
	s_sub_i32 s10, s7, s46
	s_cmp_ge_u32 s7, s46
	s_cselect_b32 s8, s9, s8
	s_cselect_b32 s7, s10, s7
	s_add_i32 s9, s8, 1
	s_cmp_ge_u32 s7, s46
	s_cselect_b32 s7, s9, s8
	s_xor_b32 s7, s7, s6
	s_sub_i32 s57, s7, s6
	s_abs_i32 s7, s57
	s_mul_i32 s6, s57, s15
	s_mul_hi_u32 s8, s7, s52
	s_sub_i32 s6, s42, s6
	s_mul_i32 s9, s8, s48
	s_lshl_b32 s54, s6, 3
	s_ashr_i32 s6, s57, 31
	s_sub_i32 s7, s7, s9
	s_xor_b32 s6, s6, s51
	s_add_i32 s9, s8, 1
	s_sub_i32 s10, s7, s48
	s_cmp_ge_u32 s7, s48
	s_cselect_b32 s8, s9, s8
	s_cselect_b32 s7, s10, s7
	s_add_i32 s9, s8, 1
	s_cmp_ge_u32 s7, s48
	s_cselect_b32 s7, s9, s8
	s_xor_b32 s7, s7, s6
	s_sub_i32 s56, s7, s6
	s_cmp_eq_u32 s56, s16
	s_cselect_b32 s53, s44, s43
	s_sub_i32 s55, s54, s12
	s_add_i32 s55, s55, 8
	s_and_saveexec_b64 s[6:7], s[2:3]
	s_xor_b64 s[34:35], exec, s[6:7]
	s_cbranch_execz .LBB113_46
; %bb.8:                                ;   in Loop: Header=BB113_7 Depth=1
	s_and_saveexec_b64 s[6:7], s[0:1]
	s_xor_b64 s[36:37], exec, s[6:7]
	s_cbranch_execz .LBB113_36
; %bb.9:                                ;   in Loop: Header=BB113_7 Depth=1
	s_and_saveexec_b64 s[38:39], s[4:5]
	s_cbranch_execz .LBB113_35
; %bb.10:                               ;   in Loop: Header=BB113_7 Depth=1
	s_waitcnt lgkmcnt(0)
	global_load_dword v24, v25, s[22:23]
	v_mov_b32_e32 v19, 0
	v_cmp_gt_i32_e32 vcc, s53, v58
	v_mov_b32_e32 v18, v19
	v_mov_b32_e32 v17, v19
	;; [unrolled: 1-line block ×19, first 2 shown]
	s_and_saveexec_b64 s[6:7], vcc
	s_cbranch_execz .LBB113_32
; %bb.11:                               ;   in Loop: Header=BB113_7 Depth=1
	v_mov_b32_e32 v0, 0
	s_mov_b64 s[8:9], 0
	v_mov_b32_e32 v1, v0
	v_mov_b32_e32 v2, v0
	;; [unrolled: 1-line block ×19, first 2 shown]
	s_branch .LBB113_13
.LBB113_12:                             ;   in Loop: Header=BB113_13 Depth=2
	s_or_b64 exec, exec, s[10:11]
	v_add_u32_e32 v63, 0x8000, v62
	ds_read2_b32 v[64:65], v63 offset1:32
	ds_read2_b32 v[66:67], v63 offset0:64 offset1:96
	v_add_u32_e32 v63, 0x8400, v62
	ds_read2_b32 v[68:69], v63 offset1:32
	ds_read2_b32 v[70:71], v63 offset0:64 offset1:96
	v_add_u32_e32 v58, s19, v58
	v_cmp_le_i32_e32 vcc, s53, v58
	s_waitcnt lgkmcnt(2)
	v_smfmac_f32_16x16x64_fp8_fp8 v[0:3], v[42:43], v[64:67], v45 cbsz:7 abid:1
	v_add_u32_e32 v42, 0x8800, v62
	ds_read2_b32 v[64:65], v42 offset1:32
	ds_read2_b32 v[66:67], v42 offset0:64 offset1:96
	v_add_u32_e32 v42, 0x8c00, v62
	s_waitcnt lgkmcnt(2)
	v_smfmac_f32_16x16x64_fp8_fp8 v[0:3], v[40:41], v[68:71], v45 cbsz:7 abid:1
	ds_read2_b32 v[40:41], v42 offset1:32
	ds_read2_b32 v[42:43], v42 offset0:64 offset1:96
	s_or_b64 s[8:9], vcc, s[8:9]
	s_waitcnt lgkmcnt(2)
	v_smfmac_f32_16x16x64_fp8_fp8 v[0:3], v[38:39], v[64:67], v45 cbsz:7 abid:1
	v_add_u32_e32 v38, 0x9000, v62
	ds_read2_b32 v[64:65], v38 offset1:32
	ds_read2_b32 v[66:67], v38 offset0:64 offset1:96
	v_add_u32_e32 v38, 0x9400, v62
	s_waitcnt lgkmcnt(2)
	v_smfmac_f32_16x16x64_fp8_fp8 v[0:3], v[36:37], v[40:43], v45 cbsz:7 abid:1
	ds_read2_b32 v[36:37], v38 offset1:32
	ds_read2_b32 v[38:39], v38 offset0:64 offset1:96
	s_waitcnt lgkmcnt(2)
	v_smfmac_f32_16x16x64_fp8_fp8 v[0:3], v[34:35], v[64:67], v45 cbsz:7 abid:1
	v_add_u32_e32 v34, 0x9800, v62
	ds_read2_b32 v[40:41], v34 offset1:32
	ds_read2_b32 v[42:43], v34 offset0:64 offset1:96
	v_add_u32_e32 v34, 0x9c00, v62
	s_waitcnt lgkmcnt(2)
	v_smfmac_f32_16x16x64_fp8_fp8 v[0:3], v[32:33], v[36:39], v45 cbsz:7 abid:1
	ds_read2_b32 v[32:33], v34 offset1:32
	ds_read2_b32 v[34:35], v34 offset0:64 offset1:96
	ds_write_b32 v60, v61 offset:45076
	s_waitcnt lgkmcnt(3)
	v_smfmac_f32_16x16x64_fp8_fp8 v[0:3], v[30:31], v[40:43], v45 cbsz:7 abid:1
	v_add_u32_e32 v30, s19, v59
	v_add_u32_e32 v31, 2, v44
	v_cmp_lt_i32_e32 vcc, 0, v30
	s_waitcnt lgkmcnt(1)
	v_smfmac_f32_16x16x64_fp8_fp8 v[0:3], v[28:29], v[32:35], v45 cbsz:7 abid:1
	v_cndmask_b32_e32 v44, v44, v31, vcc
	s_andn2_b64 exec, exec, s[8:9]
	s_cbranch_execz .LBB113_31
.LBB113_13:                             ;   Parent Loop BB113_7 Depth=1
                                        ; =>  This Loop Header: Depth=2
                                        ;       Child Loop BB113_15 Depth 3
                                        ;       Child Loop BB113_18 Depth 3
	;; [unrolled: 1-line block ×6, first 2 shown]
	v_cmp_lt_i32_e32 vcc, 0, v30
	s_nop 1
	v_subbrev_co_u32_e32 v59, vcc, 0, v30, vcc
	v_lshlrev_b32_e32 v28, 2, v59
	ds_read_b32 v29, v28 offset:45056
	v_add_u32_e32 v62, 0xb000, v28
	s_waitcnt lgkmcnt(0)
	v_cmp_ne_u32_e32 vcc, v29, v44
	s_and_saveexec_b64 s[10:11], vcc
	s_cbranch_execz .LBB113_16
; %bb.14:                               ;   in Loop: Header=BB113_13 Depth=2
	s_mov_b64 s[40:41], 0
.LBB113_15:                             ;   Parent Loop BB113_7 Depth=1
                                        ;     Parent Loop BB113_13 Depth=2
                                        ; =>    This Inner Loop Header: Depth=3
	;;#ASMSTART
	s_sleep 0
	;;#ASMEND
	ds_read_b32 v28, v62
	s_waitcnt lgkmcnt(0)
	v_cmp_eq_u32_e32 vcc, v28, v44
	s_or_b64 s[40:41], vcc, s[40:41]
	s_andn2_b64 exec, exec, s[40:41]
	s_cbranch_execnz .LBB113_15
.LBB113_16:                             ;   in Loop: Header=BB113_13 Depth=2
	s_or_b64 exec, exec, s[10:11]
	v_lshl_add_u32 v28, v59, 12, v46
	v_add_u32_e32 v29, 0x400, v28
	ds_read2_b32 v[42:43], v28 offset1:32
	ds_read2_b32 v[40:41], v28 offset0:128 offset1:160
	ds_read2_b32 v[38:39], v29 offset1:32
	ds_read2_b32 v[36:37], v29 offset0:128 offset1:160
	v_add_u32_e32 v29, 0x800, v28
	v_add_u32_e32 v28, 0xc00, v28
	v_mul_lo_u32 v60, v59, 20
	ds_read2_b32 v[34:35], v29 offset1:32
	ds_read2_b32 v[32:33], v29 offset0:128 offset1:160
	ds_read2_b32 v[30:31], v28 offset1:32
	ds_read2_b32 v[28:29], v28 offset0:128 offset1:160
	;;#ASMSTART
	s_waitcnt lgkmcnt(0)
	;;#ASMEND
	ds_read_b32 v63, v60 offset:45060
	v_add_u32_e32 v61, 1, v44
	ds_write_b32 v62, v61
	s_waitcnt lgkmcnt(1)
	v_cmp_ne_u32_e32 vcc, v63, v44
	s_and_saveexec_b64 s[10:11], vcc
	s_cbranch_execz .LBB113_19
; %bb.17:                               ;   in Loop: Header=BB113_13 Depth=2
	s_mov_b64 s[40:41], 0
.LBB113_18:                             ;   Parent Loop BB113_7 Depth=1
                                        ;     Parent Loop BB113_13 Depth=2
                                        ; =>    This Inner Loop Header: Depth=3
	;;#ASMSTART
	s_sleep 0
	;;#ASMEND
	ds_read_b32 v62, v60 offset:45060
	s_waitcnt lgkmcnt(0)
	v_cmp_eq_u32_e32 vcc, v62, v44
	s_or_b64 s[40:41], vcc, s[40:41]
	s_andn2_b64 exec, exec, s[40:41]
	s_cbranch_execnz .LBB113_18
.LBB113_19:                             ;   in Loop: Header=BB113_13 Depth=2
	s_or_b64 exec, exec, s[10:11]
	v_mul_lo_u32 v62, v59, s45
	v_or_b32_e32 v62, v47, v62
	ds_read2_b32 v[64:65], v62 offset1:32
	ds_read2_b32 v[66:67], v62 offset0:64 offset1:96
	v_add_u32_e32 v63, 0x400, v62
	ds_read2_b32 v[68:69], v63 offset1:32
	ds_read2_b32 v[70:71], v63 offset0:64 offset1:96
	v_add_u32_e32 v63, 0x800, v62
	s_waitcnt lgkmcnt(2)
	v_smfmac_f32_16x16x64_fp8_fp8 v[16:19], v[42:43], v[64:67], v45 cbsz:7 abid:1
	ds_read2_b32 v[64:65], v63 offset1:32
	ds_read2_b32 v[66:67], v63 offset0:64 offset1:96
	v_add_u32_e32 v63, 0xc00, v62
	s_waitcnt lgkmcnt(2)
	v_smfmac_f32_16x16x64_fp8_fp8 v[16:19], v[40:41], v[68:71], v45 cbsz:7 abid:1
	ds_read2_b32 v[68:69], v63 offset1:32
	ds_read2_b32 v[70:71], v63 offset0:64 offset1:96
	v_add_u32_e32 v63, 0x1000, v62
	s_waitcnt lgkmcnt(2)
	v_smfmac_f32_16x16x64_fp8_fp8 v[16:19], v[38:39], v[64:67], v45 cbsz:7 abid:1
	ds_read2_b32 v[64:65], v63 offset1:32
	ds_read2_b32 v[66:67], v63 offset0:64 offset1:96
	v_add_u32_e32 v63, 0x1400, v62
	s_waitcnt lgkmcnt(2)
	v_smfmac_f32_16x16x64_fp8_fp8 v[16:19], v[36:37], v[68:71], v45 cbsz:7 abid:1
	ds_read2_b32 v[68:69], v63 offset1:32
	ds_read2_b32 v[70:71], v63 offset0:64 offset1:96
	v_add_u32_e32 v63, 0x1800, v62
	s_waitcnt lgkmcnt(2)
	v_smfmac_f32_16x16x64_fp8_fp8 v[16:19], v[34:35], v[64:67], v45 cbsz:7 abid:1
	ds_read2_b32 v[64:65], v63 offset1:32
	ds_read2_b32 v[66:67], v63 offset0:64 offset1:96
	v_add_u32_e32 v63, 0x1c00, v62
	s_waitcnt lgkmcnt(2)
	v_smfmac_f32_16x16x64_fp8_fp8 v[16:19], v[32:33], v[68:71], v45 cbsz:7 abid:1
	ds_read2_b32 v[68:69], v63 offset1:32
	ds_read2_b32 v[70:71], v63 offset0:64 offset1:96
	ds_read_b32 v63, v60 offset:45064
	ds_write_b32 v60, v61 offset:45060
	s_waitcnt lgkmcnt(4)
	v_smfmac_f32_16x16x64_fp8_fp8 v[16:19], v[30:31], v[64:67], v45 cbsz:7 abid:1
	s_waitcnt lgkmcnt(1)
	v_cmp_ne_u32_e32 vcc, v63, v44
	v_smfmac_f32_16x16x64_fp8_fp8 v[16:19], v[28:29], v[68:71], v45 cbsz:7 abid:1
	s_and_saveexec_b64 s[10:11], vcc
	s_cbranch_execz .LBB113_22
; %bb.20:                               ;   in Loop: Header=BB113_13 Depth=2
	s_mov_b64 s[40:41], 0
.LBB113_21:                             ;   Parent Loop BB113_7 Depth=1
                                        ;     Parent Loop BB113_13 Depth=2
                                        ; =>    This Inner Loop Header: Depth=3
	;;#ASMSTART
	s_sleep 0
	;;#ASMEND
	ds_read_b32 v63, v60 offset:45064
	s_waitcnt lgkmcnt(0)
	v_cmp_eq_u32_e32 vcc, v63, v44
	s_or_b64 s[40:41], vcc, s[40:41]
	s_andn2_b64 exec, exec, s[40:41]
	s_cbranch_execnz .LBB113_21
.LBB113_22:                             ;   in Loop: Header=BB113_13 Depth=2
	s_or_b64 exec, exec, s[10:11]
	v_add_u32_e32 v63, 0x2000, v62
	ds_read2_b32 v[64:65], v63 offset1:32
	ds_read2_b32 v[66:67], v63 offset0:64 offset1:96
	v_add_u32_e32 v63, 0x2400, v62
	ds_read2_b32 v[68:69], v63 offset1:32
	ds_read2_b32 v[70:71], v63 offset0:64 offset1:96
	v_add_u32_e32 v63, 0x2800, v62
	s_waitcnt lgkmcnt(2)
	v_smfmac_f32_16x16x64_fp8_fp8 v[12:15], v[42:43], v[64:67], v45 cbsz:7 abid:1
	ds_read2_b32 v[64:65], v63 offset1:32
	ds_read2_b32 v[66:67], v63 offset0:64 offset1:96
	v_add_u32_e32 v63, 0x2c00, v62
	s_waitcnt lgkmcnt(2)
	v_smfmac_f32_16x16x64_fp8_fp8 v[12:15], v[40:41], v[68:71], v45 cbsz:7 abid:1
	ds_read2_b32 v[68:69], v63 offset1:32
	ds_read2_b32 v[70:71], v63 offset0:64 offset1:96
	v_add_u32_e32 v63, 0x3000, v62
	s_waitcnt lgkmcnt(2)
	v_smfmac_f32_16x16x64_fp8_fp8 v[12:15], v[38:39], v[64:67], v45 cbsz:7 abid:1
	ds_read2_b32 v[64:65], v63 offset1:32
	ds_read2_b32 v[66:67], v63 offset0:64 offset1:96
	v_add_u32_e32 v63, 0x3400, v62
	s_waitcnt lgkmcnt(2)
	v_smfmac_f32_16x16x64_fp8_fp8 v[12:15], v[36:37], v[68:71], v45 cbsz:7 abid:1
	ds_read2_b32 v[68:69], v63 offset1:32
	ds_read2_b32 v[70:71], v63 offset0:64 offset1:96
	v_add_u32_e32 v63, 0x3800, v62
	s_waitcnt lgkmcnt(2)
	v_smfmac_f32_16x16x64_fp8_fp8 v[12:15], v[34:35], v[64:67], v45 cbsz:7 abid:1
	ds_read2_b32 v[64:65], v63 offset1:32
	ds_read2_b32 v[66:67], v63 offset0:64 offset1:96
	v_add_u32_e32 v63, 0x3c00, v62
	s_waitcnt lgkmcnt(2)
	v_smfmac_f32_16x16x64_fp8_fp8 v[12:15], v[32:33], v[68:71], v45 cbsz:7 abid:1
	ds_read2_b32 v[68:69], v63 offset1:32
	ds_read2_b32 v[70:71], v63 offset0:64 offset1:96
	ds_read_b32 v63, v60 offset:45068
	ds_write_b32 v60, v61 offset:45064
	s_waitcnt lgkmcnt(4)
	v_smfmac_f32_16x16x64_fp8_fp8 v[12:15], v[30:31], v[64:67], v45 cbsz:7 abid:1
	s_waitcnt lgkmcnt(1)
	v_cmp_ne_u32_e32 vcc, v63, v44
	v_smfmac_f32_16x16x64_fp8_fp8 v[12:15], v[28:29], v[68:71], v45 cbsz:7 abid:1
	s_and_saveexec_b64 s[10:11], vcc
	s_cbranch_execz .LBB113_25
; %bb.23:                               ;   in Loop: Header=BB113_13 Depth=2
	s_mov_b64 s[40:41], 0
.LBB113_24:                             ;   Parent Loop BB113_7 Depth=1
                                        ;     Parent Loop BB113_13 Depth=2
                                        ; =>    This Inner Loop Header: Depth=3
	;;#ASMSTART
	s_sleep 0
	;;#ASMEND
	ds_read_b32 v63, v60 offset:45068
	s_waitcnt lgkmcnt(0)
	v_cmp_eq_u32_e32 vcc, v63, v44
	s_or_b64 s[40:41], vcc, s[40:41]
	s_andn2_b64 exec, exec, s[40:41]
	s_cbranch_execnz .LBB113_24
.LBB113_25:                             ;   in Loop: Header=BB113_13 Depth=2
	s_or_b64 exec, exec, s[10:11]
	v_add_u32_e32 v63, 0x4000, v62
	;; [unrolled: 61-line block ×3, first 2 shown]
	ds_read2_b32 v[64:65], v63 offset1:32
	ds_read2_b32 v[66:67], v63 offset0:64 offset1:96
	v_add_u32_e32 v63, 0x6400, v62
	ds_read2_b32 v[68:69], v63 offset1:32
	ds_read2_b32 v[70:71], v63 offset0:64 offset1:96
	v_add_u32_e32 v63, 0x6800, v62
	s_waitcnt lgkmcnt(2)
	v_smfmac_f32_16x16x64_fp8_fp8 v[4:7], v[42:43], v[64:67], v45 cbsz:7 abid:1
	ds_read2_b32 v[64:65], v63 offset1:32
	ds_read2_b32 v[66:67], v63 offset0:64 offset1:96
	v_add_u32_e32 v63, 0x6c00, v62
	s_waitcnt lgkmcnt(2)
	v_smfmac_f32_16x16x64_fp8_fp8 v[4:7], v[40:41], v[68:71], v45 cbsz:7 abid:1
	;; [unrolled: 5-line block ×6, first 2 shown]
	ds_read2_b32 v[68:69], v63 offset1:32
	ds_read2_b32 v[70:71], v63 offset0:64 offset1:96
	ds_read_b32 v63, v60 offset:45076
	ds_write_b32 v60, v61 offset:45072
	s_waitcnt lgkmcnt(4)
	v_smfmac_f32_16x16x64_fp8_fp8 v[4:7], v[30:31], v[64:67], v45 cbsz:7 abid:1
	s_waitcnt lgkmcnt(1)
	v_cmp_ne_u32_e32 vcc, v63, v44
	v_smfmac_f32_16x16x64_fp8_fp8 v[4:7], v[28:29], v[68:71], v45 cbsz:7 abid:1
	s_and_saveexec_b64 s[10:11], vcc
	s_cbranch_execz .LBB113_12
; %bb.29:                               ;   in Loop: Header=BB113_13 Depth=2
	s_mov_b64 s[40:41], 0
.LBB113_30:                             ;   Parent Loop BB113_7 Depth=1
                                        ;     Parent Loop BB113_13 Depth=2
                                        ; =>    This Inner Loop Header: Depth=3
	;;#ASMSTART
	s_sleep 0
	;;#ASMEND
	ds_read_b32 v63, v60 offset:45076
	s_waitcnt lgkmcnt(0)
	v_cmp_eq_u32_e32 vcc, v63, v44
	s_or_b64 s[40:41], vcc, s[40:41]
	s_andn2_b64 exec, exec, s[40:41]
	s_cbranch_execnz .LBB113_30
	s_branch .LBB113_12
.LBB113_31:                             ;   in Loop: Header=BB113_7 Depth=1
	s_or_b64 exec, exec, s[8:9]
.LBB113_32:                             ;   in Loop: Header=BB113_7 Depth=1
	s_or_b64 exec, exec, s[6:7]
	s_mul_i32 s6, s56, s33
	s_sub_i32 s40, s57, s6
	s_mulk_i32 s40, 0x50
	s_sub_i32 s41, s40, s13
	s_addk_i32 s41, 0x50
	v_cmp_le_i32_e32 vcc, s41, v20
	v_mov_b32_e32 v32, v17
	v_mov_b32_e32 v33, v18
	;; [unrolled: 1-line block ×3, first 2 shown]
	s_waitcnt vmcnt(0)
	v_cndmask_b32_e32 v28, 0, v24, vcc
	v_pk_add_f32 v[16:17], v[32:33], v[16:17]
	v_cmp_eq_u32_e32 vcc, 1, v48
	v_pk_mul_f32 v[16:17], v[28:29], v[16:17] op_sel_hi:[0,1]
	v_cmp_eq_u32_e64 s[6:7], 2, v48
	v_cndmask_b32_e32 v28, v16, v17, vcc
	v_cmp_le_i32_e64 s[10:11], s41, v49
	v_mov_b32_e32 v32, v13
	v_mov_b32_e32 v33, v14
	;; [unrolled: 1-line block ×3, first 2 shown]
	v_cndmask_b32_e64 v18, v28, v18, s[6:7]
	v_cndmask_b32_e64 v28, 0, v24, s[10:11]
	v_pk_add_f32 v[12:13], v[32:33], v[12:13]
	v_cmp_eq_u32_e64 s[8:9], 3, v48
	v_pk_mul_f32 v[12:13], v[28:29], v[12:13] op_sel_hi:[0,1]
	v_cmp_le_i32_e64 s[10:11], s41, v50
	v_mov_b32_e32 v32, v9
	v_mov_b32_e32 v33, v10
	v_mov_b32_e32 v9, v11
	v_cndmask_b32_e64 v18, v18, v19, s[8:9]
	v_cndmask_b32_e32 v19, v12, v13, vcc
	v_cndmask_b32_e64 v28, 0, v24, s[10:11]
	v_pk_add_f32 v[8:9], v[32:33], v[8:9]
	v_cndmask_b32_e64 v14, v19, v14, s[6:7]
	v_pk_mul_f32 v[8:9], v[28:29], v[8:9] op_sel_hi:[0,1]
	v_cmp_le_i32_e64 s[10:11], s41, v51
	v_mov_b32_e32 v32, v5
	v_mov_b32_e32 v33, v6
	;; [unrolled: 1-line block ×3, first 2 shown]
	v_cndmask_b32_e64 v14, v14, v15, s[8:9]
	v_cndmask_b32_e32 v15, v8, v9, vcc
	v_cndmask_b32_e64 v28, 0, v24, s[10:11]
	v_pk_add_f32 v[4:5], v[32:33], v[4:5]
	v_cndmask_b32_e64 v10, v15, v10, s[6:7]
	v_pk_mul_f32 v[4:5], v[28:29], v[4:5] op_sel_hi:[0,1]
	v_cndmask_b32_e64 v10, v10, v11, s[8:9]
	v_cndmask_b32_e32 v11, v4, v5, vcc
	v_cmp_le_i32_e32 vcc, s41, v52
	v_mov_b32_e32 v28, v1
	v_mov_b32_e32 v29, v2
	;; [unrolled: 1-line block ×3, first 2 shown]
	v_cndmask_b32_e32 v24, 0, v24, vcc
	v_pk_add_f32 v[0:1], v[28:29], v[0:1]
	v_cndmask_b32_e64 v6, v11, v6, s[6:7]
	v_pk_mul_f32 v[0:1], v[24:25], v[0:1] op_sel_hi:[0,1]
	v_cmp_ne_u32_e32 vcc, 0, v48
	v_cndmask_b32_e64 v6, v6, v7, s[8:9]
	ds_bpermute_b32 v18, v57, v18
	v_cndmask_b32_e32 v7, v0, v1, vcc
	v_cndmask_b32_e64 v2, v7, v2, s[6:7]
	v_cndmask_b32_e64 v2, v2, v3, s[8:9]
	ds_bpermute_b32 v14, v57, v14
	ds_bpermute_b32 v10, v57, v10
	;; [unrolled: 1-line block ×4, first 2 shown]
	v_cmp_lt_i32_e32 vcc, s55, v53
	s_and_saveexec_b64 s[8:9], vcc
	s_cbranch_execz .LBB113_34
; %bb.33:                               ;   in Loop: Header=BB113_7 Depth=1
	s_mul_i32 s10, s54, s13
	s_max_i32 s6, s41, 0
	s_ashr_i32 s11, s10, 31
	s_sub_i32 s6, s40, s6
	s_lshl_b64 s[10:11], s[10:11], 1
	s_add_u32 s10, s20, s10
	s_addc_u32 s11, s21, s11
	s_ashr_i32 s7, s6, 31
	s_lshl_b64 s[6:7], s[6:7], 1
	s_add_u32 s10, s10, s6
	s_addc_u32 s11, s11, s7
	v_cmp_ne_u32_e32 vcc, 0, v48
	v_cmp_eq_u32_e64 s[6:7], 0, v48
	v_lshlrev_b32_e32 v24, 1, v20
	s_waitcnt lgkmcnt(0)
	v_cndmask_b32_e32 v7, v1, v2, vcc
	v_cndmask_b32_e64 v11, v0, v2, s[6:7]
	v_cndmask_b32_e32 v0, v17, v18, vcc
	v_cndmask_b32_e64 v1, v16, v18, s[6:7]
	;; [unrolled: 2-line block ×4, first 2 shown]
	v_cvt_f16_f32_e32 v9, v1
	v_cvt_f16_f32_sdwa v10, v0 dst_sel:WORD_1 dst_unused:UNUSED_PAD src0_sel:DWORD
	v_cndmask_b32_e32 v2, v13, v14, vcc
	v_cndmask_b32_e64 v3, v12, v14, s[6:7]
	v_lshl_add_u64 v[0:1], v[22:23], 1, s[10:11]
	v_or_b32_e32 v9, v10, v9
	v_cvt_f16_f32_e32 v8, v8
	v_cvt_f16_f32_sdwa v6, v6 dst_sel:WORD_1 dst_unused:UNUSED_PAD src0_sel:DWORD
	v_lshl_add_u64 v[0:1], v[0:1], 0, v[24:25]
	;;#ASMSTART
	global_atomic_pk_add_f16 v[0:1], v9, off
	
	;;#ASMEND
	v_cvt_f16_f32_e32 v9, v3
	v_cvt_f16_f32_sdwa v10, v2 dst_sel:WORD_1 dst_unused:UNUSED_PAD src0_sel:DWORD
	v_lshl_add_u64 v[2:3], v[0:1], 0, 32
	v_or_b32_e32 v6, v6, v8
	v_cvt_f16_f32_e32 v4, v4
	v_or_b32_e32 v9, v10, v9
	;;#ASMSTART
	global_atomic_pk_add_f16 v[2:3], v9, off
	
	;;#ASMEND
	v_lshl_add_u64 v[2:3], v[0:1], 0, 64
	;;#ASMSTART
	global_atomic_pk_add_f16 v[2:3], v6, off
	
	;;#ASMEND
	v_cvt_f16_f32_sdwa v5, v5 dst_sel:WORD_1 dst_unused:UNUSED_PAD src0_sel:DWORD
	v_cvt_f16_f32_e32 v6, v11
	v_cvt_f16_f32_sdwa v7, v7 dst_sel:WORD_1 dst_unused:UNUSED_PAD src0_sel:DWORD
	v_lshl_add_u64 v[2:3], v[0:1], 0, s[28:29]
	v_or_b32_e32 v4, v5, v4
	;;#ASMSTART
	global_atomic_pk_add_f16 v[2:3], v4, off
	
	;;#ASMEND
	v_lshl_add_u64 v[0:1], v[0:1], 0, s[30:31]
	v_or_b32_e32 v2, v7, v6
	;;#ASMSTART
	global_atomic_pk_add_f16 v[0:1], v2, off
	
	;;#ASMEND
.LBB113_34:                             ;   in Loop: Header=BB113_7 Depth=1
	s_or_b64 exec, exec, s[8:9]
	v_subrev_u32_e32 v58, s53, v58
.LBB113_35:                             ;   in Loop: Header=BB113_7 Depth=1
	s_or_b64 exec, exec, s[38:39]
.LBB113_36:                             ;   in Loop: Header=BB113_7 Depth=1
	s_andn2_saveexec_b64 s[6:7], s[36:37]
	s_cbranch_execz .LBB113_45
; %bb.37:                               ;   in Loop: Header=BB113_7 Depth=1
	s_mul_i32 s40, s53, 5
	v_cmp_gt_i32_e32 vcc, s40, v58
	s_and_saveexec_b64 s[8:9], vcc
	s_cbranch_execz .LBB113_44
; %bb.38:                               ;   in Loop: Header=BB113_7 Depth=1
	s_mov_b64 s[10:11], 0
	s_branch .LBB113_40
.LBB113_39:                             ;   in Loop: Header=BB113_40 Depth=2
	s_or_b64 exec, exec, s[36:37]
	v_add_u32_e32 v58, s18, v58
	v_add_u32_e32 v30, s18, v0
	v_cmp_le_i32_e32 vcc, s40, v58
	v_add_u32_e32 v0, 2, v44
	s_or_b64 s[10:11], vcc, s[10:11]
	v_cmp_lt_i32_e32 vcc, 4, v30
	v_add_u32_e32 v2, 1, v44
	;;#ASMSTART
	s_waitcnt vmcnt(3)
	;;#ASMEND
	;;#ASMSTART
	s_waitcnt vmcnt(2)
	;;#ASMEND
	;; [unrolled: 3-line block ×4, first 2 shown]
	s_nop 0
	v_cndmask_b32_e32 v44, v44, v0, vcc
	ds_write_b32 v1, v2 offset:4
	s_andn2_b64 exec, exec, s[10:11]
	s_cbranch_execz .LBB113_43
.LBB113_40:                             ;   Parent Loop BB113_7 Depth=1
                                        ; =>  This Loop Header: Depth=2
                                        ;       Child Loop BB113_42 Depth 3
	v_cmp_gt_i32_e32 vcc, 5, v30
	s_nop 1
	v_cndmask_b32_e64 v0, -5, 0, vcc
	v_add_u32_e32 v0, v0, v30
	v_lshlrev_b32_e32 v1, 2, v0
	s_waitcnt lgkmcnt(0)
	ds_read_b32 v2, v1 offset:45060
	v_add_u32_e32 v1, 0xb000, v1
	s_waitcnt lgkmcnt(0)
	v_cmp_ne_u32_e32 vcc, v2, v44
	s_and_saveexec_b64 s[36:37], vcc
	s_cbranch_execz .LBB113_39
; %bb.41:                               ;   in Loop: Header=BB113_40 Depth=2
	s_mov_b64 s[38:39], 0
.LBB113_42:                             ;   Parent Loop BB113_7 Depth=1
                                        ;     Parent Loop BB113_40 Depth=2
                                        ; =>    This Inner Loop Header: Depth=3
	;;#ASMSTART
	s_sleep 0
	;;#ASMEND
	ds_read_b32 v2, v1 offset:4
	s_waitcnt lgkmcnt(0)
	v_cmp_eq_u32_e32 vcc, v2, v44
	s_or_b64 s[38:39], vcc, s[38:39]
	s_andn2_b64 exec, exec, s[38:39]
	s_cbranch_execnz .LBB113_42
	s_branch .LBB113_39
.LBB113_43:                             ;   in Loop: Header=BB113_7 Depth=1
	s_or_b64 exec, exec, s[10:11]
.LBB113_44:                             ;   in Loop: Header=BB113_7 Depth=1
	s_or_b64 exec, exec, s[8:9]
	v_subrev_u32_e32 v58, s40, v58
.LBB113_45:                             ;   in Loop: Header=BB113_7 Depth=1
	s_or_b64 exec, exec, s[6:7]
.LBB113_46:                             ;   in Loop: Header=BB113_7 Depth=1
	s_andn2_saveexec_b64 s[6:7], s[34:35]
	s_cbranch_execz .LBB113_6
; %bb.47:                               ;   in Loop: Header=BB113_7 Depth=1
	v_cmp_gt_i32_e32 vcc, s53, v58
	s_and_saveexec_b64 s[8:9], vcc
	s_cbranch_execz .LBB113_5
; %bb.48:                               ;   in Loop: Header=BB113_7 Depth=1
	s_mul_i32 s54, s54, s14
	s_ashr_i32 s10, s54, 31
	s_waitcnt lgkmcnt(0)
	s_add_u32 s11, s24, s54
	s_mul_i32 s56, s56, s47
	s_addc_u32 s34, s25, s10
	s_ashr_i32 s35, s56, 31
	v_cmp_le_i32_e32 vcc, s55, v55
	s_add_u32 s10, s11, s56
	s_addc_u32 s11, s34, s35
	v_cndmask_b32_e32 v0, 0, v56, vcc
	v_ashrrev_i32_e32 v1, 31, v0
	v_lshl_add_u64 v[0:1], s[10:11], 0, v[0:1]
	v_lshlrev_b32_e32 v2, 9, v58
	v_lshl_add_u64 v[0:1], v[0:1], 0, v[26:27]
	v_ashrrev_i32_e32 v3, 31, v2
	v_lshl_add_u64 v[8:9], v[0:1], 0, v[2:3]
	s_mov_b64 s[10:11], 0
	s_branch .LBB113_50
.LBB113_49:                             ;   in Loop: Header=BB113_50 Depth=2
	s_or_b64 exec, exec, s[34:35]
	;;#ASMSTART
	s_waitcnt vmcnt(1)
	v_pack_b32_f16 v12, v4, v5, op_sel:[0,0]
	v_pack_b32_f16 v13, v4, v5, op_sel:[1,1]
	;; [unrolled: 1-line block ×4, first 2 shown]
	v_swap_b32 v12, v4
	v_swap_b32 v13, v6
	;; [unrolled: 1-line block ×4, first 2 shown]
	;;#ASMEND
	v_add_u32_e32 v58, s17, v58
	v_lshl_add_u32 v12, v10, 12, v54
	ds_write2_b32 v12, v4, v5 offset1:32
	ds_write2_b32 v12, v6, v7 offset0:64 offset1:96
	;;#ASMSTART
	s_waitcnt vmcnt(0)
	v_pack_b32_f16 v4, v0, v1, op_sel:[0,0]
	v_pack_b32_f16 v5, v0, v1, op_sel:[1,1]
	;; [unrolled: 1-line block ×4, first 2 shown]
	v_swap_b32 v4, v0
	v_swap_b32 v5, v2
	;; [unrolled: 1-line block ×4, first 2 shown]
	;;#ASMEND
	v_add_u32_e32 v30, s17, v10
	v_add_u32_e32 v4, 0x400, v12
	ds_write2_b32 v4, v0, v1 offset1:32
	ds_write2_b32 v4, v2, v3 offset0:64 offset1:96
	v_add_u32_e32 v0, 1, v44
	v_cmp_le_i32_e32 vcc, s53, v58
	ds_write_b32 v11, v0
	v_add_u32_e32 v0, 2, v44
	s_or_b64 s[10:11], vcc, s[10:11]
	v_cmp_lt_i32_e32 vcc, 0, v30
	v_lshl_add_u64 v[8:9], v[8:9], 0, s[26:27]
	s_nop 0
	v_cndmask_b32_e32 v44, v44, v0, vcc
	s_andn2_b64 exec, exec, s[10:11]
	s_cbranch_execz .LBB113_4
.LBB113_50:                             ;   Parent Loop BB113_7 Depth=1
                                        ; =>  This Loop Header: Depth=2
                                        ;       Child Loop BB113_52 Depth 3
	v_cmp_lt_i32_e32 vcc, 0, v30
	;;#ASMSTART
	global_load_dwordx4 v[4:7], v[8:9], off offset:0  
	global_load_dwordx4 v[0:3], v[8:9], off offset:128
	
	;;#ASMEND
	s_nop 1
	v_subbrev_co_u32_e32 v10, vcc, 0, v30, vcc
	v_lshlrev_b32_e32 v11, 2, v10
	ds_read_b32 v12, v11 offset:45056
	v_add_u32_e32 v11, 0xb000, v11
	s_waitcnt lgkmcnt(0)
	v_cmp_ne_u32_e32 vcc, v12, v44
	s_and_saveexec_b64 s[34:35], vcc
	s_cbranch_execz .LBB113_49
; %bb.51:                               ;   in Loop: Header=BB113_50 Depth=2
	s_mov_b64 s[36:37], 0
.LBB113_52:                             ;   Parent Loop BB113_7 Depth=1
                                        ;     Parent Loop BB113_50 Depth=2
                                        ; =>    This Inner Loop Header: Depth=3
	;;#ASMSTART
	s_sleep 0
	;;#ASMEND
	ds_read_b32 v12, v11
	s_waitcnt lgkmcnt(0)
	v_cmp_eq_u32_e32 vcc, v12, v44
	s_or_b64 s[36:37], vcc, s[36:37]
	s_andn2_b64 exec, exec, s[36:37]
	s_cbranch_execnz .LBB113_52
	s_branch .LBB113_49
.LBB113_53:
	s_endpgm
	.section	.rodata,"a",@progbits
	.p2align	6, 0x0
	.amdhsa_kernel _Z19_skinny_gemm_kernelILi1ELi5ELi1ELi8ELi8EEvPKhS1_P6__halfPKfiiiiiiii
		.amdhsa_group_segment_fixed_size 45080
		.amdhsa_private_segment_fixed_size 0
		.amdhsa_kernarg_size 64
		.amdhsa_user_sgpr_count 2
		.amdhsa_user_sgpr_dispatch_ptr 0
		.amdhsa_user_sgpr_queue_ptr 0
		.amdhsa_user_sgpr_kernarg_segment_ptr 1
		.amdhsa_user_sgpr_dispatch_id 0
		.amdhsa_user_sgpr_kernarg_preload_length 0
		.amdhsa_user_sgpr_kernarg_preload_offset 0
		.amdhsa_user_sgpr_private_segment_size 0
		.amdhsa_uses_dynamic_stack 0
		.amdhsa_enable_private_segment 0
		.amdhsa_system_sgpr_workgroup_id_x 1
		.amdhsa_system_sgpr_workgroup_id_y 0
		.amdhsa_system_sgpr_workgroup_id_z 0
		.amdhsa_system_sgpr_workgroup_info 0
		.amdhsa_system_vgpr_workitem_id 0
		.amdhsa_next_free_vgpr 72
		.amdhsa_next_free_sgpr 58
		.amdhsa_accum_offset 72
		.amdhsa_reserve_vcc 1
		.amdhsa_float_round_mode_32 0
		.amdhsa_float_round_mode_16_64 0
		.amdhsa_float_denorm_mode_32 3
		.amdhsa_float_denorm_mode_16_64 3
		.amdhsa_dx10_clamp 1
		.amdhsa_ieee_mode 1
		.amdhsa_fp16_overflow 0
		.amdhsa_tg_split 0
		.amdhsa_exception_fp_ieee_invalid_op 0
		.amdhsa_exception_fp_denorm_src 0
		.amdhsa_exception_fp_ieee_div_zero 0
		.amdhsa_exception_fp_ieee_overflow 0
		.amdhsa_exception_fp_ieee_underflow 0
		.amdhsa_exception_fp_ieee_inexact 0
		.amdhsa_exception_int_div_zero 0
	.end_amdhsa_kernel
	.section	.text._Z19_skinny_gemm_kernelILi1ELi5ELi1ELi8ELi8EEvPKhS1_P6__halfPKfiiiiiiii,"axG",@progbits,_Z19_skinny_gemm_kernelILi1ELi5ELi1ELi8ELi8EEvPKhS1_P6__halfPKfiiiiiiii,comdat
.Lfunc_end113:
	.size	_Z19_skinny_gemm_kernelILi1ELi5ELi1ELi8ELi8EEvPKhS1_P6__halfPKfiiiiiiii, .Lfunc_end113-_Z19_skinny_gemm_kernelILi1ELi5ELi1ELi8ELi8EEvPKhS1_P6__halfPKfiiiiiiii
                                        ; -- End function
	.set _Z19_skinny_gemm_kernelILi1ELi5ELi1ELi8ELi8EEvPKhS1_P6__halfPKfiiiiiiii.num_vgpr, 72
	.set _Z19_skinny_gemm_kernelILi1ELi5ELi1ELi8ELi8EEvPKhS1_P6__halfPKfiiiiiiii.num_agpr, 0
	.set _Z19_skinny_gemm_kernelILi1ELi5ELi1ELi8ELi8EEvPKhS1_P6__halfPKfiiiiiiii.numbered_sgpr, 58
	.set _Z19_skinny_gemm_kernelILi1ELi5ELi1ELi8ELi8EEvPKhS1_P6__halfPKfiiiiiiii.num_named_barrier, 0
	.set _Z19_skinny_gemm_kernelILi1ELi5ELi1ELi8ELi8EEvPKhS1_P6__halfPKfiiiiiiii.private_seg_size, 0
	.set _Z19_skinny_gemm_kernelILi1ELi5ELi1ELi8ELi8EEvPKhS1_P6__halfPKfiiiiiiii.uses_vcc, 1
	.set _Z19_skinny_gemm_kernelILi1ELi5ELi1ELi8ELi8EEvPKhS1_P6__halfPKfiiiiiiii.uses_flat_scratch, 0
	.set _Z19_skinny_gemm_kernelILi1ELi5ELi1ELi8ELi8EEvPKhS1_P6__halfPKfiiiiiiii.has_dyn_sized_stack, 0
	.set _Z19_skinny_gemm_kernelILi1ELi5ELi1ELi8ELi8EEvPKhS1_P6__halfPKfiiiiiiii.has_recursion, 0
	.set _Z19_skinny_gemm_kernelILi1ELi5ELi1ELi8ELi8EEvPKhS1_P6__halfPKfiiiiiiii.has_indirect_call, 0
	.section	.AMDGPU.csdata,"",@progbits
; Kernel info:
; codeLenInByte = 5000
; TotalNumSgprs: 64
; NumVgprs: 72
; NumAgprs: 0
; TotalNumVgprs: 72
; ScratchSize: 0
; MemoryBound: 0
; FloatMode: 240
; IeeeMode: 1
; LDSByteSize: 45080 bytes/workgroup (compile time only)
; SGPRBlocks: 7
; VGPRBlocks: 8
; NumSGPRsForWavesPerEU: 64
; NumVGPRsForWavesPerEU: 72
; AccumOffset: 72
; Occupancy: 7
; WaveLimiterHint : 0
; COMPUTE_PGM_RSRC2:SCRATCH_EN: 0
; COMPUTE_PGM_RSRC2:USER_SGPR: 2
; COMPUTE_PGM_RSRC2:TRAP_HANDLER: 0
; COMPUTE_PGM_RSRC2:TGID_X_EN: 1
; COMPUTE_PGM_RSRC2:TGID_Y_EN: 0
; COMPUTE_PGM_RSRC2:TGID_Z_EN: 0
; COMPUTE_PGM_RSRC2:TIDIG_COMP_CNT: 0
; COMPUTE_PGM_RSRC3_GFX90A:ACCUM_OFFSET: 17
; COMPUTE_PGM_RSRC3_GFX90A:TG_SPLIT: 0
	.section	.text._Z19_skinny_gemm_kernelILi1ELi5ELi1ELi16ELi4EEvPKhS1_P6__halfPKfiiiiiiii,"axG",@progbits,_Z19_skinny_gemm_kernelILi1ELi5ELi1ELi16ELi4EEvPKhS1_P6__halfPKfiiiiiiii,comdat
	.protected	_Z19_skinny_gemm_kernelILi1ELi5ELi1ELi16ELi4EEvPKhS1_P6__halfPKfiiiiiiii ; -- Begin function _Z19_skinny_gemm_kernelILi1ELi5ELi1ELi16ELi4EEvPKhS1_P6__halfPKfiiiiiiii
	.globl	_Z19_skinny_gemm_kernelILi1ELi5ELi1ELi16ELi4EEvPKhS1_P6__halfPKfiiiiiiii
	.p2align	8
	.type	_Z19_skinny_gemm_kernelILi1ELi5ELi1ELi16ELi4EEvPKhS1_P6__halfPKfiiiiiiii,@function
_Z19_skinny_gemm_kernelILi1ELi5ELi1ELi16ELi4EEvPKhS1_P6__halfPKfiiiiiiii: ; @_Z19_skinny_gemm_kernelILi1ELi5ELi1ELi16ELi4EEvPKhS1_P6__halfPKfiiiiiiii
; %bb.0:
	v_cmp_gt_u32_e32 vcc, 6, v0
	v_lshlrev_b32_e32 v1, 2, v0
	s_and_saveexec_b64 s[4:5], vcc
; %bb.1:
	v_mov_b32_e32 v2, 0
	ds_write_b32 v1, v2 offset:12288
; %bb.2:
	s_or_b64 exec, exec, s[4:5]
	s_load_dwordx8 s[20:27], s[0:1], 0x20
	s_mov_b32 s54, 0x66666667
	s_waitcnt lgkmcnt(0)
	s_barrier
	s_add_i32 s3, s20, 15
	s_ashr_i32 s5, s3, 31
	s_lshr_b32 s5, s5, 28
	s_add_i32 s4, s21, 0x4f
	s_add_i32 s3, s3, s5
	s_ashr_i32 s33, s3, 4
	s_mul_hi_i32 s3, s4, 0x66666667
	s_lshr_b32 s4, s3, 31
	s_ashr_i32 s52, s3, 5
	s_add_i32 s52, s52, s4
	s_mul_i32 s3, s52, s33
	s_mul_i32 s3, s3, s24
	s_add_i32 s4, s3, 0x12f
	s_mul_hi_i32 s4, s4, 0x6bca1af3
	s_lshr_b32 s5, s4, 31
	s_ashr_i32 s4, s4, 7
	s_add_i32 s4, s4, s5
	s_add_i32 s5, s2, 1
	s_mul_i32 s5, s4, s5
	v_cvt_f64_i32_e32 v[2:3], s3
	v_cvt_f64_u32_e32 v[4:5], s5
	v_min_f64 v[2:3], v[2:3], v[4:5]
	v_cvt_i32_f64_e32 v21, v[2:3]
	s_mul_i32 s53, s4, s2
	v_cmp_ge_i32_e32 vcc, s53, v21
	s_cbranch_vccnz .LBB114_54
; %bb.3:
	v_lshrrev_b32_e32 v2, 6, v0
	s_add_i32 s4, s26, s25
	s_load_dwordx8 s[36:43], s[0:1], 0x0
	v_cmp_le_i32_e64 s[0:1], s4, v2
	v_mov_b32_e32 v3, s25
	v_cmp_le_i32_e64 s[2:3], s25, v2
	v_mov_b32_e32 v4, s26
	v_cndmask_b32_e64 v4, 0, v4, s[0:1]
	v_cndmask_b32_e64 v3, 0, v3, s[2:3]
	s_abs_i32 s5, s24
	v_add_u32_e32 v3, v3, v4
	v_cvt_f32_u32_e32 v4, s5
	v_sub_u32_e32 v28, v2, v3
	s_ashr_i32 s6, s22, 31
	s_lshr_b32 s6, s6, 25
	v_rcp_iflag_f32_e32 v3, v4
	s_sub_i32 s9, 0, s5
	s_add_i32 s6, s22, s6
	s_ashr_i32 s6, s6, 7
	v_mul_f32_e32 v3, 0x4f7ffffe, v3
	v_cvt_u32_f32_e32 v3, v3
	s_abs_i32 s8, s6
	s_xor_b32 s7, s6, s24
	s_ashr_i32 s7, s7, 31
	v_readfirstlane_b32 s10, v3
	s_mul_i32 s9, s9, s10
	s_mul_hi_u32 s9, s10, s9
	s_add_i32 s10, s10, s9
	s_mul_hi_u32 s9, s8, s10
	s_mul_i32 s10, s9, s5
	s_sub_i32 s8, s8, s10
	s_add_i32 s10, s9, 1
	s_sub_i32 s11, s8, s5
	s_cmp_ge_u32 s8, s5
	s_cselect_b32 s9, s10, s9
	s_cselect_b32 s8, s11, s8
	s_add_i32 s10, s9, 1
	s_cmp_ge_u32 s8, s5
	s_cselect_b32 s5, s10, s9
	s_xor_b32 s5, s5, s7
	s_sub_i32 s55, s5, s7
	s_add_i32 s24, s24, -1
	s_mul_i32 s5, s55, s24
	s_add_i32 s4, s4, s27
	s_sub_i32 s56, s6, s5
	v_cmp_gt_i32_e64 s[4:5], s4, v2
	v_lshlrev_b32_e32 v2, 1, v0
	v_lshlrev_b32_e32 v3, 4, v0
	v_and_b32_e32 v1, 60, v1
	v_and_b32_e32 v2, 64, v2
	;; [unrolled: 1-line block ×3, first 2 shown]
	s_abs_i32 s58, s33
	v_or3_b32 v41, v1, v2, v4
	v_and_b32_e32 v1, 1, v0
	v_cvt_f32_u32_e32 v6, s58
	v_lshlrev_b32_e32 v2, 1, v1
	v_lshrrev_b32_e32 v4, 2, v0
	v_and_b32_e32 v20, 14, v0
	v_sub_u32_e32 v2, v0, v2
	v_and_or_b32 v42, v4, 12, v1
	v_bitop3_b32 v43, v0, 1, v0 bitop3:0xc
	v_bitop3_b32 v44, v0, 3, 1 bitop3:0x6c
	v_and_b32_e32 v24, 48, v3
	v_bfe_u32 v1, v0, 2, 4
	v_and_b32_e32 v3, 60, v0
	v_lshlrev_b32_e32 v5, 8, v0
	v_lshlrev_b32_e32 v0, 6, v0
	v_and_b32_e32 v5, 0x200, v5
	v_and_b32_e32 v0, 64, v0
	v_or3_b32 v49, v3, v5, v0
	v_rcp_iflag_f32_e32 v0, v6
	s_abs_i32 s60, s52
	v_mul_lo_u32 v26, s23, v1
	v_mul_lo_u32 v51, s22, v1
	v_cvt_f32_u32_e32 v1, s60
	v_mul_f32_e32 v0, 0x4f7ffffe, v0
	v_cvt_u32_f32_e32 v0, v0
	v_mad_u64_u32 v[22:23], s[6:7], s21, v42, v[20:21]
	v_rcp_iflag_f32_e32 v1, v1
	v_readfirstlane_b32 s7, v0
	s_sub_i32 s6, 0, s58
	s_mul_i32 s6, s6, s7
	v_mul_f32_e32 v0, 0x4f7ffffe, v1
	v_cvt_u32_f32_e32 v0, v0
	s_mul_hi_u32 s6, s7, s6
	v_add_u32_e32 v2, 1, v2
	s_add_i32 s62, s7, s6
	s_sub_i32 s6, 0, s60
	v_readfirstlane_b32 s7, v0
	v_mbcnt_lo_u32_b32 v0, -1, 0
	v_and_b32_e32 v2, 63, v2
	s_mul_i32 s6, s6, s7
	v_mbcnt_hi_u32_b32 v0, -1, v0
	s_mul_hi_u32 s6, s7, s6
	v_and_or_b32 v0, v0, 64, v2
	v_cndmask_b32_e64 v40, 0, 1, s[0:1]
	s_movk_i32 s57, 0x2800
	v_or_b32_e32 v45, 16, v20
	v_or_b32_e32 v46, 32, v20
	;; [unrolled: 1-line block ×4, first 2 shown]
	v_ashrrev_i32_e32 v23, 31, v22
	s_ashr_i32 s29, s21, 31
	s_mov_b32 s28, s21
	v_ashrrev_i32_e32 v27, 31, v26
	v_mov_b32_e32 v25, 0
	s_lshl_b32 s59, s23, 4
	v_bitop3_b32 v50, v4, 15, v4 bitop3:0xc
	v_or_b32_e32 v52, 0x2800, v49
	s_ashr_i32 s61, s33, 31
	s_ashr_i32 s63, s52, 31
	s_add_i32 s64, s7, s6
	s_mov_b64 s[30:31], 0x60
	s_mov_b64 s[34:35], 0x80
	v_lshlrev_b32_e32 v53, 2, v0
	v_mov_b32_e32 v54, v28
	s_branch .LBB114_7
.LBB114_4:                              ;   in Loop: Header=BB114_7 Depth=1
	s_or_b64 exec, exec, s[10:11]
.LBB114_5:                              ;   in Loop: Header=BB114_7 Depth=1
	s_or_b64 exec, exec, s[8:9]
	v_subrev_u32_e32 v54, s65, v54
.LBB114_6:                              ;   in Loop: Header=BB114_7 Depth=1
	s_or_b64 exec, exec, s[6:7]
	s_add_i32 s53, s53, 1
	v_cmp_ge_i32_e32 vcc, s53, v21
	s_cbranch_vccnz .LBB114_54
.LBB114_7:                              ; =>This Loop Header: Depth=1
                                        ;     Child Loop BB114_13 Depth 2
                                        ;       Child Loop BB114_15 Depth 3
                                        ;       Child Loop BB114_18 Depth 3
                                        ;       Child Loop BB114_21 Depth 3
                                        ;       Child Loop BB114_24 Depth 3
                                        ;       Child Loop BB114_27 Depth 3
                                        ;       Child Loop BB114_30 Depth 3
                                        ;     Child Loop BB114_41 Depth 2
                                        ;       Child Loop BB114_43 Depth 3
                                        ;     Child Loop BB114_51 Depth 2
                                        ;       Child Loop BB114_53 Depth 3
	s_abs_i32 s7, s53
	s_mul_hi_u32 s8, s7, s62
	s_mul_i32 s9, s8, s58
	s_ashr_i32 s6, s53, 31
	s_sub_i32 s7, s7, s9
	s_xor_b32 s6, s6, s61
	s_add_i32 s9, s8, 1
	s_sub_i32 s10, s7, s58
	s_cmp_ge_u32 s7, s58
	s_cselect_b32 s8, s9, s8
	s_cselect_b32 s7, s10, s7
	s_add_i32 s9, s8, 1
	s_cmp_ge_u32 s7, s58
	s_cselect_b32 s7, s9, s8
	s_xor_b32 s7, s7, s6
	s_sub_i32 s6, s7, s6
	s_abs_i32 s8, s6
	s_mul_i32 s7, s6, s33
	s_mul_hi_u32 s9, s8, s64
	s_sub_i32 s7, s53, s7
	s_mul_i32 s10, s9, s60
	s_lshl_b32 s66, s7, 4
	s_ashr_i32 s7, s6, 31
	s_sub_i32 s8, s8, s10
	s_xor_b32 s7, s7, s63
	s_add_i32 s10, s9, 1
	s_sub_i32 s11, s8, s60
	s_cmp_ge_u32 s8, s60
	s_cselect_b32 s9, s10, s9
	s_cselect_b32 s8, s11, s8
	s_add_i32 s10, s9, 1
	s_cmp_ge_u32 s8, s60
	s_cselect_b32 s8, s10, s9
	s_xor_b32 s8, s8, s7
	s_sub_i32 s7, s8, s7
	s_mul_i32 s8, s7, s55
	s_lshl_b32 s67, s8, 7
	s_cmp_eq_u32 s7, s24
	s_cselect_b32 s65, s56, s55
	s_sub_i32 s68, s66, s20
	s_add_i32 s68, s68, 16
	s_and_saveexec_b64 s[8:9], s[2:3]
	s_xor_b64 s[44:45], exec, s[8:9]
	s_cbranch_execz .LBB114_47
; %bb.8:                                ;   in Loop: Header=BB114_7 Depth=1
	s_mul_i32 s7, s7, s52
	s_sub_i32 s6, s6, s7
	s_mulk_i32 s6, 0x50
	s_sub_i32 s47, s6, s21
	s_addk_i32 s47, 0x50
	s_max_i32 s7, s47, 0
	s_sub_i32 s46, s6, s7
	s_and_saveexec_b64 s[6:7], s[0:1]
	s_xor_b64 s[48:49], exec, s[6:7]
	s_cbranch_execz .LBB114_37
; %bb.9:                                ;   in Loop: Header=BB114_7 Depth=1
	s_and_saveexec_b64 s[50:51], s[4:5]
	s_cbranch_execz .LBB114_36
; %bb.10:                               ;   in Loop: Header=BB114_7 Depth=1
	s_waitcnt lgkmcnt(0)
	global_load_dword v55, v25, s[42:43]
	v_mov_b32_e32 v19, 0
	v_cmp_gt_i32_e32 vcc, s65, v54
	v_mov_b32_e32 v18, v19
	v_mov_b32_e32 v17, v19
	;; [unrolled: 1-line block ×19, first 2 shown]
	s_and_saveexec_b64 s[6:7], vcc
	s_cbranch_execz .LBB114_32
; %bb.11:                               ;   in Loop: Header=BB114_7 Depth=1
	v_mov_b32_e32 v0, 0
	s_mov_b64 s[8:9], 0
	v_mov_b32_e32 v1, v0
	v_mov_b32_e32 v2, v0
	;; [unrolled: 1-line block ×19, first 2 shown]
	s_branch .LBB114_13
.LBB114_12:                             ;   in Loop: Header=BB114_13 Depth=2
	s_or_b64 exec, exec, s[10:11]
	v_add_u32_e32 v37, 0x2000, v36
	ds_read2_b32 v[38:39], v37 offset1:32
	v_add_u32_e32 v54, s27, v54
	v_cmp_le_i32_e32 vcc, s65, v54
	s_or_b64 s[8:9], vcc, s[8:9]
	s_waitcnt lgkmcnt(0)
	v_mfma_f32_16x16x32_fp8_fp8 v[0:3], v[28:29], v[38:39], v[0:3]
	ds_read2_b32 v[28:29], v37 offset0:128 offset1:160
	v_add_u32_e32 v38, 0x2400, v36
	ds_read2_b32 v[36:37], v38 offset1:32
	s_waitcnt lgkmcnt(1)
	v_mfma_f32_16x16x32_fp8_fp8 v[0:3], v[34:35], v[28:29], v[0:3]
	ds_read2_b32 v[34:35], v38 offset0:128 offset1:160
	v_add_u32_e32 v28, s27, v57
	v_add_u32_e32 v29, 2, v40
	s_waitcnt lgkmcnt(1)
	v_mfma_f32_16x16x32_fp8_fp8 v[0:3], v[32:33], v[36:37], v[0:3]
	v_cmp_lt_i32_e32 vcc, 0, v28
	;;#ASMSTART
	s_waitcnt lgkmcnt(0)
	;;#ASMEND
	ds_write_b32 v56, v58 offset:12308
	s_waitcnt lgkmcnt(1)
	v_mfma_f32_16x16x32_fp8_fp8 v[0:3], v[30:31], v[34:35], v[0:3]
	v_cndmask_b32_e32 v40, v40, v29, vcc
	s_andn2_b64 exec, exec, s[8:9]
	s_cbranch_execz .LBB114_31
.LBB114_13:                             ;   Parent Loop BB114_7 Depth=1
                                        ; =>  This Loop Header: Depth=2
                                        ;       Child Loop BB114_15 Depth 3
                                        ;       Child Loop BB114_18 Depth 3
	;; [unrolled: 1-line block ×6, first 2 shown]
	v_cmp_lt_i32_e32 vcc, 0, v28
	s_nop 1
	v_subbrev_co_u32_e32 v57, vcc, 0, v28, vcc
	v_mul_lo_u32 v56, v57, 20
	ds_read_b32 v28, v56 offset:12292
	s_waitcnt lgkmcnt(0)
	v_cmp_ne_u32_e32 vcc, v28, v40
	s_and_saveexec_b64 s[10:11], vcc
	s_cbranch_execz .LBB114_16
; %bb.14:                               ;   in Loop: Header=BB114_13 Depth=2
	s_mov_b64 s[12:13], 0
.LBB114_15:                             ;   Parent Loop BB114_7 Depth=1
                                        ;     Parent Loop BB114_13 Depth=2
                                        ; =>    This Inner Loop Header: Depth=3
	;;#ASMSTART
	s_sleep 0
	;;#ASMEND
	ds_read_b32 v28, v56 offset:12292
	s_waitcnt lgkmcnt(0)
	v_cmp_eq_u32_e32 vcc, v28, v40
	s_or_b64 s[12:13], vcc, s[12:13]
	s_andn2_b64 exec, exec, s[12:13]
	s_cbranch_execnz .LBB114_15
.LBB114_16:                             ;   in Loop: Header=BB114_13 Depth=2
	s_or_b64 exec, exec, s[10:11]
	v_mul_lo_u32 v59, v57, s57
	v_or_b32_e32 v28, v41, v59
	ds_read2_b32 v[32:33], v28 offset1:32
	ds_read2_b32 v[30:31], v28 offset0:128 offset1:160
	v_add_u32_e32 v28, 0x400, v28
	ds_read2_b32 v[38:39], v28 offset1:32
	ds_read2_b32 v[36:37], v28 offset0:128 offset1:160
	v_lshlrev_b32_e32 v28, 2, v57
	;;#ASMSTART
	s_waitcnt lgkmcnt(0)
	;;#ASMEND
	ds_read_b32 v29, v28 offset:12288
	v_add_u32_e32 v58, 1, v40
	v_add_u32_e32 v60, 0x3000, v28
	ds_write_b32 v56, v58 offset:12292
	s_waitcnt lgkmcnt(1)
	v_cmp_ne_u32_e32 vcc, v29, v40
	s_and_saveexec_b64 s[10:11], vcc
	s_cbranch_execz .LBB114_19
; %bb.17:                               ;   in Loop: Header=BB114_13 Depth=2
	s_mov_b64 s[12:13], 0
.LBB114_18:                             ;   Parent Loop BB114_7 Depth=1
                                        ;     Parent Loop BB114_13 Depth=2
                                        ; =>    This Inner Loop Header: Depth=3
	;;#ASMSTART
	s_sleep 0
	;;#ASMEND
	ds_read_b32 v28, v60
	s_waitcnt lgkmcnt(0)
	v_cmp_eq_u32_e32 vcc, v28, v40
	s_or_b64 s[12:13], vcc, s[12:13]
	s_andn2_b64 exec, exec, s[12:13]
	s_cbranch_execnz .LBB114_18
.LBB114_19:                             ;   in Loop: Header=BB114_13 Depth=2
	s_or_b64 exec, exec, s[10:11]
	v_or_b32_e32 v28, 0x2800, v41
	v_lshl_add_u32 v61, v57, 11, v28
	ds_read2_b32 v[28:29], v61 offset1:32
	ds_read2_b32 v[34:35], v61 offset0:128 offset1:160
	v_add_u32_e32 v61, 0x400, v61
	s_waitcnt lgkmcnt(1)
	v_mfma_f32_16x16x32_fp8_fp8 v[16:19], v[28:29], v[32:33], v[16:19]
	ds_read2_b32 v[32:33], v61 offset1:32
	s_waitcnt lgkmcnt(1)
	v_mfma_f32_16x16x32_fp8_fp8 v[16:19], v[34:35], v[30:31], v[16:19]
	s_waitcnt lgkmcnt(0)
	v_mfma_f32_16x16x32_fp8_fp8 v[16:19], v[32:33], v[38:39], v[16:19]
	ds_read2_b32 v[30:31], v61 offset0:128 offset1:160
	ds_read_b32 v38, v56 offset:12296
	ds_write_b32 v60, v58
	s_waitcnt lgkmcnt(1)
	v_cmp_ne_u32_e32 vcc, v38, v40
	v_mfma_f32_16x16x32_fp8_fp8 v[16:19], v[30:31], v[36:37], v[16:19]
	s_and_saveexec_b64 s[10:11], vcc
	s_cbranch_execz .LBB114_22
; %bb.20:                               ;   in Loop: Header=BB114_13 Depth=2
	s_mov_b64 s[12:13], 0
.LBB114_21:                             ;   Parent Loop BB114_7 Depth=1
                                        ;     Parent Loop BB114_13 Depth=2
                                        ; =>    This Inner Loop Header: Depth=3
	;;#ASMSTART
	s_sleep 0
	;;#ASMEND
	ds_read_b32 v36, v56 offset:12296
	s_waitcnt lgkmcnt(0)
	v_cmp_eq_u32_e32 vcc, v36, v40
	s_or_b64 s[12:13], vcc, s[12:13]
	s_andn2_b64 exec, exec, s[12:13]
	s_cbranch_execnz .LBB114_21
.LBB114_22:                             ;   in Loop: Header=BB114_13 Depth=2
	s_or_b64 exec, exec, s[10:11]
	v_add_u32_e32 v36, v41, v59
	v_add_u32_e32 v37, 0x800, v36
	ds_read2_b32 v[38:39], v37 offset1:32
	s_waitcnt lgkmcnt(0)
	v_mfma_f32_16x16x32_fp8_fp8 v[12:15], v[28:29], v[38:39], v[12:15]
	ds_read2_b32 v[38:39], v37 offset0:128 offset1:160
	v_add_u32_e32 v37, 0xc00, v36
	s_waitcnt lgkmcnt(0)
	v_mfma_f32_16x16x32_fp8_fp8 v[12:15], v[34:35], v[38:39], v[12:15]
	ds_read2_b32 v[38:39], v37 offset1:32
	ds_read2_b32 v[60:61], v37 offset0:128 offset1:160
	;;#ASMSTART
	s_waitcnt lgkmcnt(0)
	;;#ASMEND
	ds_read_b32 v37, v56 offset:12300
	s_waitcnt lgkmcnt(2)
	v_mfma_f32_16x16x32_fp8_fp8 v[12:15], v[32:33], v[38:39], v[12:15]
	ds_write_b32 v56, v58 offset:12296
	s_waitcnt lgkmcnt(1)
	v_cmp_ne_u32_e32 vcc, v37, v40
	v_mfma_f32_16x16x32_fp8_fp8 v[12:15], v[30:31], v[60:61], v[12:15]
	s_and_saveexec_b64 s[10:11], vcc
	s_cbranch_execz .LBB114_25
; %bb.23:                               ;   in Loop: Header=BB114_13 Depth=2
	s_mov_b64 s[12:13], 0
.LBB114_24:                             ;   Parent Loop BB114_7 Depth=1
                                        ;     Parent Loop BB114_13 Depth=2
                                        ; =>    This Inner Loop Header: Depth=3
	;;#ASMSTART
	s_sleep 0
	;;#ASMEND
	ds_read_b32 v37, v56 offset:12300
	s_waitcnt lgkmcnt(0)
	v_cmp_eq_u32_e32 vcc, v37, v40
	s_or_b64 s[12:13], vcc, s[12:13]
	s_andn2_b64 exec, exec, s[12:13]
	s_cbranch_execnz .LBB114_24
.LBB114_25:                             ;   in Loop: Header=BB114_13 Depth=2
	s_or_b64 exec, exec, s[10:11]
	v_add_u32_e32 v37, 0x1000, v36
	ds_read2_b32 v[38:39], v37 offset1:32
	s_waitcnt lgkmcnt(0)
	v_mfma_f32_16x16x32_fp8_fp8 v[8:11], v[28:29], v[38:39], v[8:11]
	ds_read2_b32 v[38:39], v37 offset0:128 offset1:160
	v_add_u32_e32 v37, 0x1400, v36
	s_waitcnt lgkmcnt(0)
	v_mfma_f32_16x16x32_fp8_fp8 v[8:11], v[34:35], v[38:39], v[8:11]
	ds_read2_b32 v[38:39], v37 offset1:32
	ds_read2_b32 v[60:61], v37 offset0:128 offset1:160
	;;#ASMSTART
	s_waitcnt lgkmcnt(0)
	;;#ASMEND
	ds_read_b32 v37, v56 offset:12304
	s_waitcnt lgkmcnt(2)
	v_mfma_f32_16x16x32_fp8_fp8 v[8:11], v[32:33], v[38:39], v[8:11]
	ds_write_b32 v56, v58 offset:12300
	s_waitcnt lgkmcnt(1)
	v_cmp_ne_u32_e32 vcc, v37, v40
	v_mfma_f32_16x16x32_fp8_fp8 v[8:11], v[30:31], v[60:61], v[8:11]
	s_and_saveexec_b64 s[10:11], vcc
	s_cbranch_execz .LBB114_28
; %bb.26:                               ;   in Loop: Header=BB114_13 Depth=2
	s_mov_b64 s[12:13], 0
.LBB114_27:                             ;   Parent Loop BB114_7 Depth=1
                                        ;     Parent Loop BB114_13 Depth=2
                                        ; =>    This Inner Loop Header: Depth=3
	;;#ASMSTART
	s_sleep 0
	;;#ASMEND
	ds_read_b32 v37, v56 offset:12304
	s_waitcnt lgkmcnt(0)
	v_cmp_eq_u32_e32 vcc, v37, v40
	s_or_b64 s[12:13], vcc, s[12:13]
	s_andn2_b64 exec, exec, s[12:13]
	s_cbranch_execnz .LBB114_27
.LBB114_28:                             ;   in Loop: Header=BB114_13 Depth=2
	s_or_b64 exec, exec, s[10:11]
	v_add_u32_e32 v37, 0x1800, v36
	ds_read2_b32 v[38:39], v37 offset1:32
	s_waitcnt lgkmcnt(0)
	v_mfma_f32_16x16x32_fp8_fp8 v[4:7], v[28:29], v[38:39], v[4:7]
	ds_read2_b32 v[38:39], v37 offset0:128 offset1:160
	v_add_u32_e32 v37, 0x1c00, v36
	s_waitcnt lgkmcnt(0)
	v_mfma_f32_16x16x32_fp8_fp8 v[4:7], v[34:35], v[38:39], v[4:7]
	ds_read2_b32 v[38:39], v37 offset1:32
	ds_read2_b32 v[60:61], v37 offset0:128 offset1:160
	;;#ASMSTART
	s_waitcnt lgkmcnt(0)
	;;#ASMEND
	ds_read_b32 v37, v56 offset:12308
	s_waitcnt lgkmcnt(2)
	v_mfma_f32_16x16x32_fp8_fp8 v[4:7], v[32:33], v[38:39], v[4:7]
	ds_write_b32 v56, v58 offset:12304
	s_waitcnt lgkmcnt(1)
	v_cmp_ne_u32_e32 vcc, v37, v40
	v_mfma_f32_16x16x32_fp8_fp8 v[4:7], v[30:31], v[60:61], v[4:7]
	s_and_saveexec_b64 s[10:11], vcc
	s_cbranch_execz .LBB114_12
; %bb.29:                               ;   in Loop: Header=BB114_13 Depth=2
	s_mov_b64 s[12:13], 0
.LBB114_30:                             ;   Parent Loop BB114_7 Depth=1
                                        ;     Parent Loop BB114_13 Depth=2
                                        ; =>    This Inner Loop Header: Depth=3
	;;#ASMSTART
	s_sleep 0
	;;#ASMEND
	ds_read_b32 v37, v56 offset:12308
	s_waitcnt lgkmcnt(0)
	v_cmp_eq_u32_e32 vcc, v37, v40
	s_or_b64 s[12:13], vcc, s[12:13]
	s_andn2_b64 exec, exec, s[12:13]
	s_cbranch_execnz .LBB114_30
	s_branch .LBB114_12
.LBB114_31:                             ;   in Loop: Header=BB114_7 Depth=1
	s_or_b64 exec, exec, s[8:9]
.LBB114_32:                             ;   in Loop: Header=BB114_7 Depth=1
	s_or_b64 exec, exec, s[6:7]
	v_cmp_le_i32_e32 vcc, s47, v20
	v_cmp_eq_u32_e64 s[12:13], 1, v43
	v_cmp_eq_u32_e64 s[6:7], 3, v43
	s_waitcnt vmcnt(0)
	v_cndmask_b32_e32 v30, 0, v55, vcc
	v_pk_mul_f32 v[18:19], v[30:31], v[18:19] op_sel_hi:[0,1]
	v_pk_mul_f32 v[30:31], v[30:31], v[16:17] op_sel_hi:[0,1]
	v_cndmask_b32_e64 v16, v30, v31, s[12:13]
	v_cmp_eq_u32_e32 vcc, 2, v43
	v_cmp_eq_u32_e64 s[8:9], 0, v43
	v_cmp_le_i32_e64 s[14:15], s47, v45
	v_cndmask_b32_e32 v16, v16, v18, vcc
	v_cndmask_b32_e64 v16, v16, v19, s[6:7]
	ds_bpermute_b32 v29, v53, v16
	v_cmp_eq_u32_e64 s[10:11], 1, v44
	v_cmp_le_i32_e64 s[18:19], s47, v46
	v_cmp_eq_u32_e64 s[16:17], 3, v44
	s_waitcnt lgkmcnt(0)
	v_cndmask_b32_e64 v16, v19, v29, s[6:7]
	v_cndmask_b32_e64 v19, v30, v29, s[8:9]
	;; [unrolled: 1-line block ×3, first 2 shown]
	v_cndmask_b32_e32 v17, v18, v29, vcc
	v_cndmask_b32_e64 v18, v31, v29, s[12:13]
	v_pk_mul_f32 v[14:15], v[30:31], v[14:15] op_sel_hi:[0,1]
	v_pk_mul_f32 v[30:31], v[30:31], v[12:13] op_sel_hi:[0,1]
	v_cndmask_b32_e64 v12, v30, v31, s[12:13]
	v_cndmask_b32_e32 v12, v12, v14, vcc
	v_cndmask_b32_e64 v12, v12, v15, s[6:7]
	ds_bpermute_b32 v32, v53, v12
	v_cndmask_b32_e64 v29, v19, v18, s[10:11]
	v_cmp_eq_u32_e64 s[14:15], 2, v44
	s_waitcnt lgkmcnt(0)
	v_cndmask_b32_e64 v13, v15, v32, s[6:7]
	v_cndmask_b32_e64 v12, v29, v17, s[14:15]
	;; [unrolled: 1-line block ×4, first 2 shown]
	v_cndmask_b32_e32 v14, v14, v32, vcc
	v_cndmask_b32_e64 v15, v31, v32, s[12:13]
	v_pk_mul_f32 v[32:33], v[30:31], v[8:9] op_sel_hi:[0,1]
	v_pk_mul_f32 v[10:11], v[30:31], v[10:11] op_sel_hi:[0,1]
	v_cndmask_b32_e64 v8, v32, v33, s[12:13]
	v_cndmask_b32_e32 v8, v8, v10, vcc
	v_cndmask_b32_e64 v8, v8, v11, s[6:7]
	ds_bpermute_b32 v31, v53, v8
	v_cmp_le_i32_e64 s[18:19], s47, v47
	v_cndmask_b32_e64 v8, v29, v15, s[10:11]
	v_cndmask_b32_e64 v8, v8, v14, s[14:15]
	;; [unrolled: 1-line block ×3, first 2 shown]
	s_waitcnt lgkmcnt(0)
	v_cndmask_b32_e64 v9, v11, v31, s[6:7]
	v_cndmask_b32_e32 v10, v10, v31, vcc
	v_cndmask_b32_e64 v30, v33, v31, s[12:13]
	v_cndmask_b32_e64 v31, v32, v31, s[8:9]
	;; [unrolled: 1-line block ×3, first 2 shown]
	v_pk_mul_f32 v[6:7], v[32:33], v[6:7] op_sel_hi:[0,1]
	v_pk_mul_f32 v[32:33], v[32:33], v[4:5] op_sel_hi:[0,1]
	v_cndmask_b32_e64 v4, v32, v33, s[12:13]
	v_cndmask_b32_e32 v4, v4, v6, vcc
	v_cndmask_b32_e64 v4, v4, v7, s[6:7]
	ds_bpermute_b32 v11, v53, v4
	v_cmp_le_i32_e64 s[18:19], s47, v48
	v_cndmask_b32_e64 v4, v31, v30, s[10:11]
	v_cndmask_b32_e64 v4, v4, v10, s[14:15]
	;; [unrolled: 1-line block ×3, first 2 shown]
	s_waitcnt lgkmcnt(0)
	v_cndmask_b32_e64 v33, v33, v11, s[12:13]
	v_cndmask_b32_e64 v34, v32, v11, s[8:9]
	v_cndmask_b32_e64 v32, 0, v55, s[18:19]
	v_pk_mul_f32 v[38:39], v[32:33], v[0:1] op_sel_hi:[0,1]
	v_pk_mul_f32 v[36:37], v[32:33], v[2:3] op_sel_hi:[0,1]
	v_cndmask_b32_e64 v0, v38, v39, s[12:13]
	v_cndmask_b32_e32 v0, v0, v36, vcc
	v_cndmask_b32_e64 v0, v0, v37, s[6:7]
	ds_bpermute_b32 v1, v53, v0
	v_cndmask_b32_e32 v6, v6, v11, vcc
	v_cndmask_b32_e64 v0, v34, v33, s[10:11]
	v_cndmask_b32_e64 v5, v7, v11, s[6:7]
	;; [unrolled: 1-line block ×4, first 2 shown]
	s_waitcnt lgkmcnt(0)
	v_cndmask_b32_e32 v3, v36, v1, vcc
	v_cmp_ne_u32_e32 vcc, 0, v43
	ds_bpermute_b32 v7, v53, v0
	v_cndmask_b32_e64 v2, v37, v1, s[6:7]
	v_cndmask_b32_e32 v0, v39, v1, vcc
	v_cndmask_b32_e64 v1, v38, v1, s[8:9]
	v_cndmask_b32_e64 v11, v1, v0, s[10:11]
	;; [unrolled: 1-line block ×5, first 2 shown]
	ds_bpermute_b32 v12, v53, v12
	ds_bpermute_b32 v8, v53, v8
	;; [unrolled: 1-line block ×4, first 2 shown]
	s_max_i32 s6, s68, 0
	v_add_u32_e32 v32, s6, v42
	v_cmp_gt_u32_e32 vcc, 16, v32
	s_and_saveexec_b64 s[12:13], vcc
	s_cbranch_execz .LBB114_35
; %bb.33:                               ;   in Loop: Header=BB114_7 Depth=1
	v_cmp_eq_u32_e64 s[8:9], 1, v44
	v_cmp_eq_u32_e64 s[10:11], 0, v44
	v_cmp_eq_u32_e32 vcc, 3, v44
	s_waitcnt lgkmcnt(3)
	v_cndmask_b32_e64 v18, v18, v12, s[8:9]
	s_waitcnt lgkmcnt(2)
	v_cndmask_b32_e64 v15, v15, v8, s[8:9]
	;; [unrolled: 2-line block ×3, first 2 shown]
	v_cndmask_b32_e64 v33, v33, v7, s[8:9]
	s_waitcnt lgkmcnt(0)
	v_cndmask_b32_e64 v35, v0, v11, s[8:9]
	s_mul_i32 s8, s66, s21
	s_ashr_i32 s9, s8, 31
	s_lshl_b64 s[8:9], s[8:9], 1
	v_cndmask_b32_e64 v19, v19, v12, s[10:11]
	v_cndmask_b32_e64 v29, v29, v8, s[10:11]
	;; [unrolled: 1-line block ×5, first 2 shown]
	s_add_u32 s10, s40, s8
	s_addc_u32 s11, s41, s9
	s_ashr_i32 s47, s46, 31
	v_cvt_f16_f32_e32 v19, v19
	v_cvt_f16_f32_sdwa v18, v18 dst_sel:WORD_1 dst_unused:UNUSED_PAD src0_sel:DWORD
	v_cvt_f16_f32_e32 v29, v29
	v_cvt_f16_f32_sdwa v15, v15 dst_sel:WORD_1 dst_unused:UNUSED_PAD src0_sel:DWORD
	s_lshl_b64 s[8:9], s[46:47], 1
	v_cvt_f16_f32_e32 v31, v31
	v_cvt_f16_f32_sdwa v30, v30 dst_sel:WORD_1 dst_unused:UNUSED_PAD src0_sel:DWORD
	s_add_u32 s8, s10, s8
	s_addc_u32 s9, s11, s9
	v_lshl_add_u64 v[0:1], v[22:23], 1, s[8:9]
	v_or_b32_e32 v18, v18, v19
	v_or_b32_e32 v15, v15, v29
	;;#ASMSTART
	global_atomic_pk_add_f16 v[0:1], v18, off
	
	;;#ASMEND
	v_lshl_add_u64 v[18:19], v[0:1], 0, 32
	;;#ASMSTART
	global_atomic_pk_add_f16 v[18:19], v15, off
	
	;;#ASMEND
	v_or_b32_e32 v15, v30, v31
	v_lshl_add_u64 v[18:19], v[0:1], 0, 64
	;;#ASMSTART
	global_atomic_pk_add_f16 v[18:19], v15, off
	
	;;#ASMEND
	v_cvt_f16_f32_e32 v15, v34
	v_cvt_f16_f32_sdwa v29, v33 dst_sel:WORD_1 dst_unused:UNUSED_PAD src0_sel:DWORD
	v_cvt_f16_f32_e32 v30, v36
	v_cvt_f16_f32_sdwa v31, v35 dst_sel:WORD_1 dst_unused:UNUSED_PAD src0_sel:DWORD
	v_cmp_eq_u32_e64 s[6:7], 2, v44
	v_lshl_add_u64 v[18:19], v[0:1], 0, s[30:31]
	v_or_b32_e32 v15, v29, v15
	v_cmp_gt_u32_e64 s[8:9], 14, v32
	;;#ASMSTART
	global_atomic_pk_add_f16 v[18:19], v15, off
	
	;;#ASMEND
	v_lshl_add_u64 v[18:19], v[0:1], 0, s[34:35]
	v_or_b32_e32 v15, v31, v30
	;;#ASMSTART
	global_atomic_pk_add_f16 v[18:19], v15, off
	
	;;#ASMEND
	s_and_b64 exec, exec, s[8:9]
	s_cbranch_execz .LBB114_35
; %bb.34:                               ;   in Loop: Header=BB114_7 Depth=1
	v_cndmask_b32_e32 v15, v16, v12, vcc
	v_cndmask_b32_e64 v12, v17, v12, s[6:7]
	v_cndmask_b32_e32 v9, v9, v4, vcc
	v_cndmask_b32_e64 v4, v10, v4, s[6:7]
	;; [unrolled: 2-line block ×3, first 2 shown]
	v_cvt_f16_f32_e32 v7, v12
	v_cvt_f16_f32_sdwa v10, v15 dst_sel:WORD_1 dst_unused:UNUSED_PAD src0_sel:DWORD
	v_cndmask_b32_e32 v13, v13, v8, vcc
	v_cndmask_b32_e64 v8, v14, v8, s[6:7]
	v_cndmask_b32_e32 v12, v2, v11, vcc
	v_or_b32_e32 v2, v10, v7
	v_cvt_f16_f32_e32 v7, v8
	v_cvt_f16_f32_sdwa v8, v13 dst_sel:WORD_1 dst_unused:UNUSED_PAD src0_sel:DWORD
	v_cvt_f16_f32_e32 v4, v4
	v_cvt_f16_f32_sdwa v9, v9 dst_sel:WORD_1 dst_unused:UNUSED_PAD src0_sel:DWORD
	v_lshl_add_u64 v[0:1], s[28:29], 2, v[0:1]
	v_cndmask_b32_e64 v11, v3, v11, s[6:7]
	;;#ASMSTART
	global_atomic_pk_add_f16 v[0:1], v2, off
	
	;;#ASMEND
	v_lshl_add_u64 v[2:3], v[0:1], 0, 32
	v_or_b32_e32 v7, v8, v7
	v_or_b32_e32 v4, v9, v4
	;;#ASMSTART
	global_atomic_pk_add_f16 v[2:3], v7, off
	
	;;#ASMEND
	v_lshl_add_u64 v[2:3], v[0:1], 0, 64
	;;#ASMSTART
	global_atomic_pk_add_f16 v[2:3], v4, off
	
	;;#ASMEND
	v_cvt_f16_f32_e32 v4, v6
	v_cvt_f16_f32_sdwa v5, v5 dst_sel:WORD_1 dst_unused:UNUSED_PAD src0_sel:DWORD
	v_cvt_f16_f32_e32 v6, v11
	v_cvt_f16_f32_sdwa v7, v12 dst_sel:WORD_1 dst_unused:UNUSED_PAD src0_sel:DWORD
	v_lshl_add_u64 v[2:3], v[0:1], 0, s[30:31]
	v_or_b32_e32 v4, v5, v4
	;;#ASMSTART
	global_atomic_pk_add_f16 v[2:3], v4, off
	
	;;#ASMEND
	v_lshl_add_u64 v[0:1], v[0:1], 0, s[34:35]
	v_or_b32_e32 v2, v7, v6
	;;#ASMSTART
	global_atomic_pk_add_f16 v[0:1], v2, off
	
	;;#ASMEND
.LBB114_35:                             ;   in Loop: Header=BB114_7 Depth=1
	s_or_b64 exec, exec, s[12:13]
	v_subrev_u32_e32 v54, s65, v54
.LBB114_36:                             ;   in Loop: Header=BB114_7 Depth=1
	s_or_b64 exec, exec, s[50:51]
.LBB114_37:                             ;   in Loop: Header=BB114_7 Depth=1
	s_andn2_saveexec_b64 s[6:7], s[48:49]
	s_cbranch_execz .LBB114_46
; %bb.38:                               ;   in Loop: Header=BB114_7 Depth=1
	s_mul_i32 s16, s65, 5
	v_cmp_gt_i32_e32 vcc, s16, v54
	s_and_saveexec_b64 s[8:9], vcc
	s_cbranch_execz .LBB114_45
; %bb.39:                               ;   in Loop: Header=BB114_7 Depth=1
	s_mul_i32 s10, s46, s23
	s_ashr_i32 s11, s10, 31
	s_waitcnt lgkmcnt(0)
	s_add_u32 s10, s38, s10
	s_addc_u32 s11, s39, s11
	s_ashr_i32 s12, s67, 31
	s_add_u32 s10, s10, s67
	s_addc_u32 s11, s11, s12
	v_lshl_add_u64 v[0:1], s[10:11], 0, v[26:27]
	v_lshl_add_u64 v[8:9], v[0:1], 0, v[24:25]
	s_mov_b64 s[10:11], 0
	s_branch .LBB114_41
.LBB114_40:                             ;   in Loop: Header=BB114_41 Depth=2
	s_or_b64 exec, exec, s[12:13]
	v_lshl_or_b32 v12, v10, 11, v49
	;;#ASMSTART
	s_waitcnt vmcnt(1)
	;;#ASMEND
	ds_write2_b32 v12, v4, v5 offset1:32
	ds_write2_b32 v12, v6, v7 offset0:64 offset1:96
	v_add_u32_e32 v4, 0x400, v12
	v_add_u32_e32 v54, s26, v54
	;;#ASMSTART
	s_waitcnt vmcnt(0)
	;;#ASMEND
	ds_write2_b32 v4, v0, v1 offset1:32
	ds_write2_b32 v4, v2, v3 offset0:64 offset1:96
	v_add_u32_e32 v0, 1, v40
	v_add_u32_e32 v28, s26, v10
	v_cmp_le_i32_e32 vcc, s16, v54
	ds_write_b32 v11, v0 offset:4
	v_add_u32_e32 v0, 2, v40
	s_or_b64 s[10:11], vcc, s[10:11]
	v_cmp_lt_i32_e32 vcc, 4, v28
	s_nop 1
	v_cndmask_b32_e32 v40, v40, v0, vcc
	s_andn2_b64 exec, exec, s[10:11]
	s_cbranch_execz .LBB114_44
.LBB114_41:                             ;   Parent Loop BB114_7 Depth=1
                                        ; =>  This Loop Header: Depth=2
                                        ;       Child Loop BB114_43 Depth 3
	v_cmp_gt_i32_e32 vcc, 5, v28
	s_nop 1
	v_cndmask_b32_e64 v0, -5, 0, vcc
	v_add_u32_e32 v10, v0, v28
	v_mul_hi_i32 v0, v54, s54
	v_lshrrev_b32_e32 v1, 31, v0
	v_ashrrev_i32_e32 v0, 1, v0
	v_add_u32_e32 v0, v0, v1
	v_lshl_add_u32 v1, v0, 2, v0
	v_sub_u32_e32 v2, v54, v1
	v_lshlrev_b32_e32 v0, 7, v0
	v_ashrrev_i32_e32 v1, 31, v0
	v_mul_lo_u32 v2, s59, v2
	v_lshl_add_u64 v[0:1], v[8:9], 0, v[0:1]
	v_ashrrev_i32_e32 v3, 31, v2
	v_lshl_add_u64 v[0:1], v[0:1], 0, v[2:3]
	v_lshlrev_b32_e32 v11, 2, v10
	;;#ASMSTART
	global_load_dwordx4 v[4:7], v[0:1], off offset:0   sc0 sc1 nt  
	global_load_dwordx4 v[0:3], v[0:1], off offset:64  sc0 sc1 nt  
	
	;;#ASMEND
	ds_read_b32 v12, v11 offset:12292
	v_add_u32_e32 v11, 0x3000, v11
	s_waitcnt lgkmcnt(0)
	v_cmp_ne_u32_e32 vcc, v12, v40
	s_and_saveexec_b64 s[12:13], vcc
	s_cbranch_execz .LBB114_40
; %bb.42:                               ;   in Loop: Header=BB114_41 Depth=2
	s_mov_b64 s[14:15], 0
.LBB114_43:                             ;   Parent Loop BB114_7 Depth=1
                                        ;     Parent Loop BB114_41 Depth=2
                                        ; =>    This Inner Loop Header: Depth=3
	;;#ASMSTART
	s_sleep 0
	;;#ASMEND
	ds_read_b32 v12, v11 offset:4
	s_waitcnt lgkmcnt(0)
	v_cmp_eq_u32_e32 vcc, v12, v40
	s_or_b64 s[14:15], vcc, s[14:15]
	s_andn2_b64 exec, exec, s[14:15]
	s_cbranch_execnz .LBB114_43
	s_branch .LBB114_40
.LBB114_44:                             ;   in Loop: Header=BB114_7 Depth=1
	s_or_b64 exec, exec, s[10:11]
.LBB114_45:                             ;   in Loop: Header=BB114_7 Depth=1
	s_or_b64 exec, exec, s[8:9]
	v_subrev_u32_e32 v54, s16, v54
.LBB114_46:                             ;   in Loop: Header=BB114_7 Depth=1
	s_or_b64 exec, exec, s[6:7]
.LBB114_47:                             ;   in Loop: Header=BB114_7 Depth=1
	s_andn2_saveexec_b64 s[6:7], s[44:45]
	s_cbranch_execz .LBB114_6
; %bb.48:                               ;   in Loop: Header=BB114_7 Depth=1
	v_cmp_gt_i32_e32 vcc, s65, v54
	s_and_saveexec_b64 s[8:9], vcc
	s_cbranch_execz .LBB114_5
; %bb.49:                               ;   in Loop: Header=BB114_7 Depth=1
	s_mul_i32 s66, s66, s22
	s_ashr_i32 s10, s66, 31
	s_waitcnt lgkmcnt(0)
	s_add_u32 s11, s36, s66
	s_addc_u32 s12, s37, s10
	s_ashr_i32 s13, s67, 31
	v_cmp_le_i32_e32 vcc, s68, v50
	s_add_u32 s10, s11, s67
	s_addc_u32 s11, s12, s13
	v_cndmask_b32_e32 v0, 0, v51, vcc
	v_ashrrev_i32_e32 v1, 31, v0
	v_lshl_add_u64 v[0:1], s[10:11], 0, v[0:1]
	v_lshl_add_u64 v[8:9], v[0:1], 0, v[24:25]
	s_mov_b64 s[10:11], 0
	s_branch .LBB114_51
.LBB114_50:                             ;   in Loop: Header=BB114_51 Depth=2
	s_or_b64 exec, exec, s[12:13]
	v_lshl_add_u32 v12, v10, 11, v52
	;;#ASMSTART
	s_waitcnt vmcnt(1)
	;;#ASMEND
	ds_write2_b32 v12, v4, v5 offset1:32
	ds_write2_b32 v12, v6, v7 offset0:64 offset1:96
	v_add_u32_e32 v4, 0x400, v12
	v_add_u32_e32 v54, s25, v54
	;;#ASMSTART
	s_waitcnt vmcnt(0)
	;;#ASMEND
	ds_write2_b32 v4, v0, v1 offset1:32
	ds_write2_b32 v4, v2, v3 offset0:64 offset1:96
	v_add_u32_e32 v0, 1, v40
	v_add_u32_e32 v28, s25, v10
	v_cmp_le_i32_e32 vcc, s65, v54
	ds_write_b32 v11, v0
	v_add_u32_e32 v0, 2, v40
	s_or_b64 s[10:11], vcc, s[10:11]
	v_cmp_lt_i32_e32 vcc, 0, v28
	s_nop 1
	v_cndmask_b32_e32 v40, v40, v0, vcc
	s_andn2_b64 exec, exec, s[10:11]
	s_cbranch_execz .LBB114_4
.LBB114_51:                             ;   Parent Loop BB114_7 Depth=1
                                        ; =>  This Loop Header: Depth=2
                                        ;       Child Loop BB114_53 Depth 3
	v_cmp_lt_i32_e32 vcc, 0, v28
	v_lshlrev_b32_e32 v0, 7, v54
	v_ashrrev_i32_e32 v1, 31, v0
	v_subbrev_co_u32_e32 v10, vcc, 0, v28, vcc
	v_lshl_add_u64 v[0:1], v[8:9], 0, v[0:1]
	v_lshlrev_b32_e32 v11, 2, v10
	;;#ASMSTART
	global_load_dwordx4 v[4:7], v[0:1], off offset:0   
	global_load_dwordx4 v[0:3], v[0:1], off offset:64  
	
	;;#ASMEND
	ds_read_b32 v12, v11 offset:12288
	v_add_u32_e32 v11, 0x3000, v11
	s_waitcnt lgkmcnt(0)
	v_cmp_ne_u32_e32 vcc, v12, v40
	s_and_saveexec_b64 s[12:13], vcc
	s_cbranch_execz .LBB114_50
; %bb.52:                               ;   in Loop: Header=BB114_51 Depth=2
	s_mov_b64 s[14:15], 0
.LBB114_53:                             ;   Parent Loop BB114_7 Depth=1
                                        ;     Parent Loop BB114_51 Depth=2
                                        ; =>    This Inner Loop Header: Depth=3
	;;#ASMSTART
	s_sleep 0
	;;#ASMEND
	ds_read_b32 v12, v11
	s_waitcnt lgkmcnt(0)
	v_cmp_eq_u32_e32 vcc, v12, v40
	s_or_b64 s[14:15], vcc, s[14:15]
	s_andn2_b64 exec, exec, s[14:15]
	s_cbranch_execnz .LBB114_53
	s_branch .LBB114_50
.LBB114_54:
	s_endpgm
	.section	.rodata,"a",@progbits
	.p2align	6, 0x0
	.amdhsa_kernel _Z19_skinny_gemm_kernelILi1ELi5ELi1ELi16ELi4EEvPKhS1_P6__halfPKfiiiiiiii
		.amdhsa_group_segment_fixed_size 12312
		.amdhsa_private_segment_fixed_size 0
		.amdhsa_kernarg_size 64
		.amdhsa_user_sgpr_count 2
		.amdhsa_user_sgpr_dispatch_ptr 0
		.amdhsa_user_sgpr_queue_ptr 0
		.amdhsa_user_sgpr_kernarg_segment_ptr 1
		.amdhsa_user_sgpr_dispatch_id 0
		.amdhsa_user_sgpr_kernarg_preload_length 0
		.amdhsa_user_sgpr_kernarg_preload_offset 0
		.amdhsa_user_sgpr_private_segment_size 0
		.amdhsa_uses_dynamic_stack 0
		.amdhsa_enable_private_segment 0
		.amdhsa_system_sgpr_workgroup_id_x 1
		.amdhsa_system_sgpr_workgroup_id_y 0
		.amdhsa_system_sgpr_workgroup_id_z 0
		.amdhsa_system_sgpr_workgroup_info 0
		.amdhsa_system_vgpr_workitem_id 0
		.amdhsa_next_free_vgpr 62
		.amdhsa_next_free_sgpr 69
		.amdhsa_accum_offset 64
		.amdhsa_reserve_vcc 1
		.amdhsa_float_round_mode_32 0
		.amdhsa_float_round_mode_16_64 0
		.amdhsa_float_denorm_mode_32 3
		.amdhsa_float_denorm_mode_16_64 3
		.amdhsa_dx10_clamp 1
		.amdhsa_ieee_mode 1
		.amdhsa_fp16_overflow 0
		.amdhsa_tg_split 0
		.amdhsa_exception_fp_ieee_invalid_op 0
		.amdhsa_exception_fp_denorm_src 0
		.amdhsa_exception_fp_ieee_div_zero 0
		.amdhsa_exception_fp_ieee_overflow 0
		.amdhsa_exception_fp_ieee_underflow 0
		.amdhsa_exception_fp_ieee_inexact 0
		.amdhsa_exception_int_div_zero 0
	.end_amdhsa_kernel
	.section	.text._Z19_skinny_gemm_kernelILi1ELi5ELi1ELi16ELi4EEvPKhS1_P6__halfPKfiiiiiiii,"axG",@progbits,_Z19_skinny_gemm_kernelILi1ELi5ELi1ELi16ELi4EEvPKhS1_P6__halfPKfiiiiiiii,comdat
.Lfunc_end114:
	.size	_Z19_skinny_gemm_kernelILi1ELi5ELi1ELi16ELi4EEvPKhS1_P6__halfPKfiiiiiiii, .Lfunc_end114-_Z19_skinny_gemm_kernelILi1ELi5ELi1ELi16ELi4EEvPKhS1_P6__halfPKfiiiiiiii
                                        ; -- End function
	.set _Z19_skinny_gemm_kernelILi1ELi5ELi1ELi16ELi4EEvPKhS1_P6__halfPKfiiiiiiii.num_vgpr, 62
	.set _Z19_skinny_gemm_kernelILi1ELi5ELi1ELi16ELi4EEvPKhS1_P6__halfPKfiiiiiiii.num_agpr, 0
	.set _Z19_skinny_gemm_kernelILi1ELi5ELi1ELi16ELi4EEvPKhS1_P6__halfPKfiiiiiiii.numbered_sgpr, 69
	.set _Z19_skinny_gemm_kernelILi1ELi5ELi1ELi16ELi4EEvPKhS1_P6__halfPKfiiiiiiii.num_named_barrier, 0
	.set _Z19_skinny_gemm_kernelILi1ELi5ELi1ELi16ELi4EEvPKhS1_P6__halfPKfiiiiiiii.private_seg_size, 0
	.set _Z19_skinny_gemm_kernelILi1ELi5ELi1ELi16ELi4EEvPKhS1_P6__halfPKfiiiiiiii.uses_vcc, 1
	.set _Z19_skinny_gemm_kernelILi1ELi5ELi1ELi16ELi4EEvPKhS1_P6__halfPKfiiiiiiii.uses_flat_scratch, 0
	.set _Z19_skinny_gemm_kernelILi1ELi5ELi1ELi16ELi4EEvPKhS1_P6__halfPKfiiiiiiii.has_dyn_sized_stack, 0
	.set _Z19_skinny_gemm_kernelILi1ELi5ELi1ELi16ELi4EEvPKhS1_P6__halfPKfiiiiiiii.has_recursion, 0
	.set _Z19_skinny_gemm_kernelILi1ELi5ELi1ELi16ELi4EEvPKhS1_P6__halfPKfiiiiiiii.has_indirect_call, 0
	.section	.AMDGPU.csdata,"",@progbits
; Kernel info:
; codeLenInByte = 4544
; TotalNumSgprs: 75
; NumVgprs: 62
; NumAgprs: 0
; TotalNumVgprs: 62
; ScratchSize: 0
; MemoryBound: 0
; FloatMode: 240
; IeeeMode: 1
; LDSByteSize: 12312 bytes/workgroup (compile time only)
; SGPRBlocks: 9
; VGPRBlocks: 7
; NumSGPRsForWavesPerEU: 75
; NumVGPRsForWavesPerEU: 62
; AccumOffset: 64
; Occupancy: 8
; WaveLimiterHint : 0
; COMPUTE_PGM_RSRC2:SCRATCH_EN: 0
; COMPUTE_PGM_RSRC2:USER_SGPR: 2
; COMPUTE_PGM_RSRC2:TRAP_HANDLER: 0
; COMPUTE_PGM_RSRC2:TGID_X_EN: 1
; COMPUTE_PGM_RSRC2:TGID_Y_EN: 0
; COMPUTE_PGM_RSRC2:TGID_Z_EN: 0
; COMPUTE_PGM_RSRC2:TIDIG_COMP_CNT: 0
; COMPUTE_PGM_RSRC3_GFX90A:ACCUM_OFFSET: 15
; COMPUTE_PGM_RSRC3_GFX90A:TG_SPLIT: 0
	.section	.text._Z19_skinny_gemm_kernelILi1ELi5ELi1ELi16ELi8EEvPKhS1_P6__halfPKfiiiiiiii,"axG",@progbits,_Z19_skinny_gemm_kernelILi1ELi5ELi1ELi16ELi8EEvPKhS1_P6__halfPKfiiiiiiii,comdat
	.protected	_Z19_skinny_gemm_kernelILi1ELi5ELi1ELi16ELi8EEvPKhS1_P6__halfPKfiiiiiiii ; -- Begin function _Z19_skinny_gemm_kernelILi1ELi5ELi1ELi16ELi8EEvPKhS1_P6__halfPKfiiiiiiii
	.globl	_Z19_skinny_gemm_kernelILi1ELi5ELi1ELi16ELi8EEvPKhS1_P6__halfPKfiiiiiiii
	.p2align	8
	.type	_Z19_skinny_gemm_kernelILi1ELi5ELi1ELi16ELi8EEvPKhS1_P6__halfPKfiiiiiiii,@function
_Z19_skinny_gemm_kernelILi1ELi5ELi1ELi16ELi8EEvPKhS1_P6__halfPKfiiiiiiii: ; @_Z19_skinny_gemm_kernelILi1ELi5ELi1ELi16ELi8EEvPKhS1_P6__halfPKfiiiiiiii
; %bb.0:
	v_cmp_gt_u32_e32 vcc, 6, v0
	v_lshlrev_b32_e32 v1, 2, v0
	s_and_saveexec_b64 s[4:5], vcc
; %bb.1:
	v_mov_b32_e32 v2, 0
	ds_write_b32 v1, v2 offset:24576
; %bb.2:
	s_or_b64 exec, exec, s[4:5]
	s_load_dwordx8 s[20:27], s[0:1], 0x20
	s_mov_b32 s54, 0x66666667
	s_waitcnt lgkmcnt(0)
	s_barrier
	s_add_i32 s3, s20, 15
	s_ashr_i32 s5, s3, 31
	s_lshr_b32 s5, s5, 28
	s_add_i32 s4, s21, 0x4f
	s_add_i32 s3, s3, s5
	s_ashr_i32 s33, s3, 4
	s_mul_hi_i32 s3, s4, 0x66666667
	s_lshr_b32 s4, s3, 31
	s_ashr_i32 s52, s3, 5
	s_add_i32 s52, s52, s4
	s_mul_i32 s3, s52, s33
	s_mul_i32 s3, s3, s24
	s_add_i32 s4, s3, 0x12f
	s_mul_hi_i32 s4, s4, 0x6bca1af3
	s_lshr_b32 s5, s4, 31
	s_ashr_i32 s4, s4, 7
	s_add_i32 s4, s4, s5
	s_add_i32 s5, s2, 1
	s_mul_i32 s5, s4, s5
	v_cvt_f64_i32_e32 v[2:3], s3
	v_cvt_f64_u32_e32 v[4:5], s5
	v_min_f64 v[2:3], v[2:3], v[4:5]
	v_cvt_i32_f64_e32 v21, v[2:3]
	s_mul_i32 s53, s4, s2
	v_cmp_ge_i32_e32 vcc, s53, v21
	s_cbranch_vccnz .LBB115_54
; %bb.3:
	v_lshrrev_b32_e32 v2, 6, v0
	s_add_i32 s4, s26, s25
	s_load_dwordx8 s[36:43], s[0:1], 0x0
	v_cmp_le_i32_e64 s[0:1], s4, v2
	v_mov_b32_e32 v3, s25
	v_cmp_le_i32_e64 s[2:3], s25, v2
	v_mov_b32_e32 v4, s26
	v_cndmask_b32_e64 v4, 0, v4, s[0:1]
	v_cndmask_b32_e64 v3, 0, v3, s[2:3]
	s_abs_i32 s5, s24
	v_add_u32_e32 v3, v3, v4
	v_cvt_f32_u32_e32 v4, s5
	v_sub_u32_e32 v28, v2, v3
	s_ashr_i32 s6, s22, 31
	s_lshr_b32 s6, s6, 24
	v_rcp_iflag_f32_e32 v3, v4
	s_sub_i32 s9, 0, s5
	s_add_i32 s6, s22, s6
	s_ashr_i32 s6, s6, 8
	v_mul_f32_e32 v3, 0x4f7ffffe, v3
	v_cvt_u32_f32_e32 v3, v3
	s_abs_i32 s8, s6
	s_xor_b32 s7, s6, s24
	s_ashr_i32 s7, s7, 31
	v_readfirstlane_b32 s10, v3
	s_mul_i32 s9, s9, s10
	s_mul_hi_u32 s9, s10, s9
	s_add_i32 s10, s10, s9
	s_mul_hi_u32 s9, s8, s10
	s_mul_i32 s10, s9, s5
	s_sub_i32 s8, s8, s10
	s_add_i32 s10, s9, 1
	s_sub_i32 s11, s8, s5
	s_cmp_ge_u32 s8, s5
	s_cselect_b32 s9, s10, s9
	s_cselect_b32 s8, s11, s8
	s_add_i32 s10, s9, 1
	s_cmp_ge_u32 s8, s5
	s_cselect_b32 s5, s10, s9
	s_xor_b32 s5, s5, s7
	s_sub_i32 s55, s5, s7
	s_add_i32 s24, s24, -1
	s_mul_i32 s5, s55, s24
	s_add_i32 s4, s4, s27
	s_sub_i32 s56, s6, s5
	v_cmp_gt_i32_e64 s[4:5], s4, v2
	v_lshlrev_b32_e32 v2, 1, v0
	v_lshlrev_b32_e32 v3, 4, v0
	v_and_b32_e32 v1, 60, v1
	v_and_b32_e32 v2, 64, v2
	;; [unrolled: 1-line block ×3, first 2 shown]
	s_abs_i32 s58, s33
	v_or3_b32 v53, v1, v2, v4
	v_and_b32_e32 v1, 1, v0
	v_cvt_f32_u32_e32 v6, s58
	v_lshlrev_b32_e32 v2, 1, v1
	v_lshrrev_b32_e32 v4, 2, v0
	v_and_b32_e32 v20, 14, v0
	v_sub_u32_e32 v2, v0, v2
	v_and_or_b32 v54, v4, 12, v1
	v_bitop3_b32 v55, v0, 1, v0 bitop3:0xc
	v_bitop3_b32 v56, v0, 3, 1 bitop3:0x6c
	v_and_b32_e32 v24, 48, v3
	v_bfe_u32 v1, v0, 2, 4
	v_and_b32_e32 v3, 60, v0
	v_lshlrev_b32_e32 v5, 8, v0
	v_lshlrev_b32_e32 v0, 6, v0
	v_and_b32_e32 v5, 0x200, v5
	v_and_b32_e32 v0, 64, v0
	v_or3_b32 v60, v3, v5, v0
	v_rcp_iflag_f32_e32 v0, v6
	s_abs_i32 s60, s52
	v_mul_lo_u32 v26, s23, v1
	v_mul_lo_u32 v62, s22, v1
	v_cvt_f32_u32_e32 v1, s60
	v_mul_f32_e32 v0, 0x4f7ffffe, v0
	v_cvt_u32_f32_e32 v0, v0
	v_mad_u64_u32 v[22:23], s[6:7], s21, v54, v[20:21]
	v_rcp_iflag_f32_e32 v1, v1
	v_readfirstlane_b32 s7, v0
	s_sub_i32 s6, 0, s58
	s_mul_i32 s6, s6, s7
	v_mul_f32_e32 v0, 0x4f7ffffe, v1
	v_cvt_u32_f32_e32 v0, v0
	s_mul_hi_u32 s6, s7, s6
	v_add_u32_e32 v2, 1, v2
	s_add_i32 s62, s7, s6
	s_sub_i32 s6, 0, s60
	v_readfirstlane_b32 s7, v0
	v_mbcnt_lo_u32_b32 v0, -1, 0
	v_and_b32_e32 v2, 63, v2
	s_mul_i32 s6, s6, s7
	v_mbcnt_hi_u32_b32 v0, -1, v0
	s_mul_hi_u32 s6, s7, s6
	v_and_or_b32 v0, v0, 64, v2
	v_cndmask_b32_e64 v52, 0, 1, s[0:1]
	s_movk_i32 s57, 0x5000
	v_or_b32_e32 v57, 32, v20
	v_or_b32_e32 v58, 48, v20
	v_or_b32_e32 v59, 64, v20
	v_ashrrev_i32_e32 v23, 31, v22
	s_ashr_i32 s29, s21, 31
	s_mov_b32 s28, s21
	v_ashrrev_i32_e32 v27, 31, v26
	v_mov_b32_e32 v25, 0
	s_lshl_b32 s59, s23, 4
	v_bitop3_b32 v61, v4, 15, v4 bitop3:0xc
	v_or_b32_e32 v63, 0x5000, v60
	s_ashr_i32 s61, s33, 31
	s_ashr_i32 s63, s52, 31
	s_add_i32 s64, s7, s6
	s_mov_b64 s[30:31], 0x60
	s_mov_b64 s[34:35], 0x80
	v_lshlrev_b32_e32 v64, 2, v0
	v_mov_b32_e32 v65, v28
	s_branch .LBB115_7
.LBB115_4:                              ;   in Loop: Header=BB115_7 Depth=1
	s_or_b64 exec, exec, s[10:11]
.LBB115_5:                              ;   in Loop: Header=BB115_7 Depth=1
	s_or_b64 exec, exec, s[8:9]
	v_subrev_u32_e32 v65, s65, v65
.LBB115_6:                              ;   in Loop: Header=BB115_7 Depth=1
	s_or_b64 exec, exec, s[6:7]
	s_add_i32 s53, s53, 1
	v_cmp_ge_i32_e32 vcc, s53, v21
	s_cbranch_vccnz .LBB115_54
.LBB115_7:                              ; =>This Loop Header: Depth=1
                                        ;     Child Loop BB115_13 Depth 2
                                        ;       Child Loop BB115_15 Depth 3
                                        ;       Child Loop BB115_18 Depth 3
	;; [unrolled: 1-line block ×6, first 2 shown]
                                        ;     Child Loop BB115_41 Depth 2
                                        ;       Child Loop BB115_43 Depth 3
                                        ;     Child Loop BB115_51 Depth 2
                                        ;       Child Loop BB115_53 Depth 3
	s_abs_i32 s7, s53
	s_mul_hi_u32 s8, s7, s62
	s_mul_i32 s9, s8, s58
	s_ashr_i32 s6, s53, 31
	s_sub_i32 s7, s7, s9
	s_xor_b32 s6, s6, s61
	s_add_i32 s9, s8, 1
	s_sub_i32 s10, s7, s58
	s_cmp_ge_u32 s7, s58
	s_cselect_b32 s8, s9, s8
	s_cselect_b32 s7, s10, s7
	s_add_i32 s9, s8, 1
	s_cmp_ge_u32 s7, s58
	s_cselect_b32 s7, s9, s8
	s_xor_b32 s7, s7, s6
	s_sub_i32 s6, s7, s6
	s_abs_i32 s8, s6
	s_mul_i32 s7, s6, s33
	s_mul_hi_u32 s9, s8, s64
	s_sub_i32 s7, s53, s7
	s_mul_i32 s10, s9, s60
	s_lshl_b32 s66, s7, 4
	s_ashr_i32 s7, s6, 31
	s_sub_i32 s8, s8, s10
	s_xor_b32 s7, s7, s63
	s_add_i32 s10, s9, 1
	s_sub_i32 s11, s8, s60
	s_cmp_ge_u32 s8, s60
	s_cselect_b32 s9, s10, s9
	s_cselect_b32 s8, s11, s8
	s_add_i32 s10, s9, 1
	s_cmp_ge_u32 s8, s60
	s_cselect_b32 s8, s10, s9
	s_xor_b32 s8, s8, s7
	s_sub_i32 s7, s8, s7
	s_mul_i32 s8, s7, s55
	s_lshl_b32 s67, s8, 8
	s_cmp_eq_u32 s7, s24
	s_cselect_b32 s65, s56, s55
	s_sub_i32 s68, s66, s20
	s_add_i32 s68, s68, 16
	s_and_saveexec_b64 s[8:9], s[2:3]
	s_xor_b64 s[44:45], exec, s[8:9]
	s_cbranch_execz .LBB115_47
; %bb.8:                                ;   in Loop: Header=BB115_7 Depth=1
	s_mul_i32 s7, s7, s52
	s_sub_i32 s6, s6, s7
	s_mulk_i32 s6, 0x50
	s_sub_i32 s47, s6, s21
	s_addk_i32 s47, 0x50
	s_max_i32 s7, s47, 0
	s_sub_i32 s46, s6, s7
	s_and_saveexec_b64 s[6:7], s[0:1]
	s_xor_b64 s[48:49], exec, s[6:7]
	s_cbranch_execz .LBB115_37
; %bb.9:                                ;   in Loop: Header=BB115_7 Depth=1
	s_and_saveexec_b64 s[50:51], s[4:5]
	s_cbranch_execz .LBB115_36
; %bb.10:                               ;   in Loop: Header=BB115_7 Depth=1
	s_waitcnt lgkmcnt(0)
	global_load_dword v66, v25, s[42:43]
	v_mov_b32_e32 v19, 0
	v_cmp_gt_i32_e32 vcc, s65, v65
	v_mov_b32_e32 v18, v19
	v_mov_b32_e32 v17, v19
	;; [unrolled: 1-line block ×19, first 2 shown]
	s_and_saveexec_b64 s[6:7], vcc
	s_cbranch_execz .LBB115_32
; %bb.11:                               ;   in Loop: Header=BB115_7 Depth=1
	v_mov_b32_e32 v0, 0
	s_mov_b64 s[8:9], 0
	v_mov_b32_e32 v1, v0
	v_mov_b32_e32 v2, v0
	v_mov_b32_e32 v3, v0
	v_mov_b32_e32 v4, v0
	v_mov_b32_e32 v5, v0
	v_mov_b32_e32 v6, v0
	v_mov_b32_e32 v7, v0
	v_mov_b32_e32 v8, v0
	v_mov_b32_e32 v9, v0
	v_mov_b32_e32 v10, v0
	v_mov_b32_e32 v11, v0
	v_mov_b32_e32 v12, v0
	v_mov_b32_e32 v13, v0
	v_mov_b32_e32 v14, v0
	v_mov_b32_e32 v15, v0
	v_mov_b32_e32 v16, v0
	v_mov_b32_e32 v17, v0
	v_mov_b32_e32 v18, v0
	v_mov_b32_e32 v19, v0
	s_branch .LBB115_13
.LBB115_12:                             ;   in Loop: Header=BB115_13 Depth=2
	s_or_b64 exec, exec, s[10:11]
	v_add_u32_e32 v46, 0x4000, v69
	ds_read2_b32 v[44:45], v46 offset1:32
	v_add_u32_e32 v65, s27, v65
	v_cmp_le_i32_e32 vcc, s65, v65
	s_or_b64 s[8:9], vcc, s[8:9]
	s_waitcnt lgkmcnt(0)
	v_mfma_f32_16x16x32_fp8_fp8 v[0:3], v[28:29], v[44:45], v[0:3]
	ds_read2_b32 v[28:29], v46 offset0:128 offset1:160
	v_add_u32_e32 v44, 0x4400, v69
	s_waitcnt lgkmcnt(0)
	v_mfma_f32_16x16x32_fp8_fp8 v[0:3], v[36:37], v[28:29], v[0:3]
	ds_read2_b32 v[28:29], v44 offset1:32
	v_add_u32_e32 v36, 0x4800, v69
	s_waitcnt lgkmcnt(0)
	v_mfma_f32_16x16x32_fp8_fp8 v[0:3], v[40:41], v[28:29], v[0:3]
	ds_read2_b32 v[28:29], v44 offset0:128 offset1:160
	s_waitcnt lgkmcnt(0)
	v_mfma_f32_16x16x32_fp8_fp8 v[0:3], v[38:39], v[28:29], v[0:3]
	ds_read2_b32 v[28:29], v36 offset1:32
	v_add_u32_e32 v38, 0x4c00, v69
	s_waitcnt lgkmcnt(0)
	v_mfma_f32_16x16x32_fp8_fp8 v[0:3], v[42:43], v[28:29], v[0:3]
	ds_read2_b32 v[28:29], v36 offset0:128 offset1:160
	ds_read2_b32 v[36:37], v38 offset1:32
	s_waitcnt lgkmcnt(1)
	v_mfma_f32_16x16x32_fp8_fp8 v[0:3], v[34:35], v[28:29], v[0:3]
	ds_read2_b32 v[34:35], v38 offset0:128 offset1:160
	v_add_u32_e32 v28, s27, v68
	v_add_u32_e32 v29, 2, v52
	s_waitcnt lgkmcnt(1)
	v_mfma_f32_16x16x32_fp8_fp8 v[0:3], v[32:33], v[36:37], v[0:3]
	v_cmp_lt_i32_e32 vcc, 0, v28
	;;#ASMSTART
	s_waitcnt lgkmcnt(0)
	;;#ASMEND
	ds_write_b32 v67, v70 offset:24596
	s_waitcnt lgkmcnt(1)
	v_mfma_f32_16x16x32_fp8_fp8 v[0:3], v[30:31], v[34:35], v[0:3]
	v_cndmask_b32_e32 v52, v52, v29, vcc
	s_andn2_b64 exec, exec, s[8:9]
	s_cbranch_execz .LBB115_31
.LBB115_13:                             ;   Parent Loop BB115_7 Depth=1
                                        ; =>  This Loop Header: Depth=2
                                        ;       Child Loop BB115_15 Depth 3
                                        ;       Child Loop BB115_18 Depth 3
	;; [unrolled: 1-line block ×6, first 2 shown]
	v_cmp_lt_i32_e32 vcc, 0, v28
	s_nop 1
	v_subbrev_co_u32_e32 v68, vcc, 0, v28, vcc
	v_mul_lo_u32 v67, v68, 20
	ds_read_b32 v28, v67 offset:24580
	s_waitcnt lgkmcnt(0)
	v_cmp_ne_u32_e32 vcc, v28, v52
	s_and_saveexec_b64 s[10:11], vcc
	s_cbranch_execz .LBB115_16
; %bb.14:                               ;   in Loop: Header=BB115_13 Depth=2
	s_mov_b64 s[12:13], 0
.LBB115_15:                             ;   Parent Loop BB115_7 Depth=1
                                        ;     Parent Loop BB115_13 Depth=2
                                        ; =>    This Inner Loop Header: Depth=3
	;;#ASMSTART
	s_sleep 0
	;;#ASMEND
	ds_read_b32 v28, v67 offset:24580
	s_waitcnt lgkmcnt(0)
	v_cmp_eq_u32_e32 vcc, v28, v52
	s_or_b64 s[12:13], vcc, s[12:13]
	s_andn2_b64 exec, exec, s[12:13]
	s_cbranch_execnz .LBB115_15
.LBB115_16:                             ;   in Loop: Header=BB115_13 Depth=2
	s_or_b64 exec, exec, s[10:11]
	v_mul_lo_u32 v28, v68, s57
	v_or_b32_e32 v69, v53, v28
	v_add_u32_e32 v28, 0x400, v69
	ds_read2_b32 v[32:33], v69 offset1:32
	ds_read2_b32 v[30:31], v69 offset0:128 offset1:160
	ds_read2_b32 v[38:39], v28 offset1:32
	ds_read2_b32 v[34:35], v28 offset0:128 offset1:160
	v_add_u32_e32 v28, 0x800, v69
	ds_read2_b32 v[48:49], v28 offset1:32
	ds_read2_b32 v[46:47], v28 offset0:128 offset1:160
	v_add_u32_e32 v28, 0xc00, v69
	ds_read2_b32 v[50:51], v28 offset1:32
	ds_read2_b32 v[44:45], v28 offset0:128 offset1:160
	v_lshlrev_b32_e32 v28, 2, v68
	;;#ASMSTART
	s_waitcnt lgkmcnt(0)
	;;#ASMEND
	ds_read_b32 v29, v28 offset:24576
	v_add_u32_e32 v70, 1, v52
	v_add_u32_e32 v71, 0x6000, v28
	ds_write_b32 v67, v70 offset:24580
	s_waitcnt lgkmcnt(1)
	v_cmp_ne_u32_e32 vcc, v29, v52
	s_and_saveexec_b64 s[10:11], vcc
	s_cbranch_execz .LBB115_19
; %bb.17:                               ;   in Loop: Header=BB115_13 Depth=2
	s_mov_b64 s[12:13], 0
.LBB115_18:                             ;   Parent Loop BB115_7 Depth=1
                                        ;     Parent Loop BB115_13 Depth=2
                                        ; =>    This Inner Loop Header: Depth=3
	;;#ASMSTART
	s_sleep 0
	;;#ASMEND
	ds_read_b32 v28, v71
	s_waitcnt lgkmcnt(0)
	v_cmp_eq_u32_e32 vcc, v28, v52
	s_or_b64 s[12:13], vcc, s[12:13]
	s_andn2_b64 exec, exec, s[12:13]
	s_cbranch_execnz .LBB115_18
.LBB115_19:                             ;   in Loop: Header=BB115_13 Depth=2
	s_or_b64 exec, exec, s[10:11]
	v_or_b32_e32 v28, 0x5000, v53
	v_lshl_add_u32 v72, v68, 12, v28
	ds_read2_b32 v[28:29], v72 offset1:32
	ds_read2_b32 v[36:37], v72 offset0:128 offset1:160
	s_waitcnt lgkmcnt(1)
	v_mfma_f32_16x16x32_fp8_fp8 v[16:19], v[28:29], v[32:33], v[16:19]
	v_add_u32_e32 v32, 0x400, v72
	ds_read2_b32 v[40:41], v32 offset1:32
	s_waitcnt lgkmcnt(1)
	v_mfma_f32_16x16x32_fp8_fp8 v[16:19], v[36:37], v[30:31], v[16:19]
	v_add_u32_e32 v30, 0x800, v72
	ds_read2_b32 v[42:43], v30 offset1:32
	s_waitcnt lgkmcnt(1)
	v_mfma_f32_16x16x32_fp8_fp8 v[16:19], v[40:41], v[38:39], v[16:19]
	ds_read2_b32 v[38:39], v32 offset0:128 offset1:160
	s_waitcnt lgkmcnt(0)
	v_mfma_f32_16x16x32_fp8_fp8 v[16:19], v[38:39], v[34:35], v[16:19]
	ds_read2_b32 v[34:35], v30 offset0:128 offset1:160
	v_add_u32_e32 v30, 0xc00, v72
	ds_read2_b32 v[32:33], v30 offset1:32
	v_mfma_f32_16x16x32_fp8_fp8 v[16:19], v[42:43], v[48:49], v[16:19]
	s_waitcnt lgkmcnt(1)
	v_mfma_f32_16x16x32_fp8_fp8 v[16:19], v[34:35], v[46:47], v[16:19]
	ds_read2_b32 v[30:31], v30 offset0:128 offset1:160
	ds_read_b32 v46, v67 offset:24584
	ds_write_b32 v71, v70
	s_waitcnt lgkmcnt(1)
	v_cmp_ne_u32_e32 vcc, v46, v52
	v_mfma_f32_16x16x32_fp8_fp8 v[16:19], v[32:33], v[50:51], v[16:19]
	v_mfma_f32_16x16x32_fp8_fp8 v[16:19], v[30:31], v[44:45], v[16:19]
	s_and_saveexec_b64 s[10:11], vcc
	s_cbranch_execz .LBB115_22
; %bb.20:                               ;   in Loop: Header=BB115_13 Depth=2
	s_mov_b64 s[12:13], 0
.LBB115_21:                             ;   Parent Loop BB115_7 Depth=1
                                        ;     Parent Loop BB115_13 Depth=2
                                        ; =>    This Inner Loop Header: Depth=3
	;;#ASMSTART
	s_sleep 0
	;;#ASMEND
	ds_read_b32 v44, v67 offset:24584
	s_waitcnt lgkmcnt(0)
	v_cmp_eq_u32_e32 vcc, v44, v52
	s_or_b64 s[12:13], vcc, s[12:13]
	s_andn2_b64 exec, exec, s[12:13]
	s_cbranch_execnz .LBB115_21
.LBB115_22:                             ;   in Loop: Header=BB115_13 Depth=2
	s_or_b64 exec, exec, s[10:11]
	v_add_u32_e32 v46, 0x1000, v69
	ds_read2_b32 v[44:45], v46 offset1:32
	s_waitcnt lgkmcnt(0)
	v_mfma_f32_16x16x32_fp8_fp8 v[12:15], v[28:29], v[44:45], v[12:15]
	ds_read2_b32 v[44:45], v46 offset0:128 offset1:160
	v_add_u32_e32 v46, 0x1400, v69
	s_waitcnt lgkmcnt(0)
	v_mfma_f32_16x16x32_fp8_fp8 v[12:15], v[36:37], v[44:45], v[12:15]
	ds_read2_b32 v[44:45], v46 offset1:32
	s_waitcnt lgkmcnt(0)
	v_mfma_f32_16x16x32_fp8_fp8 v[12:15], v[40:41], v[44:45], v[12:15]
	ds_read2_b32 v[44:45], v46 offset0:128 offset1:160
	v_add_u32_e32 v46, 0x1800, v69
	s_waitcnt lgkmcnt(0)
	v_mfma_f32_16x16x32_fp8_fp8 v[12:15], v[38:39], v[44:45], v[12:15]
	ds_read2_b32 v[44:45], v46 offset1:32
	s_waitcnt lgkmcnt(0)
	v_mfma_f32_16x16x32_fp8_fp8 v[12:15], v[42:43], v[44:45], v[12:15]
	ds_read2_b32 v[44:45], v46 offset0:128 offset1:160
	v_add_u32_e32 v46, 0x1c00, v69
	s_waitcnt lgkmcnt(0)
	v_mfma_f32_16x16x32_fp8_fp8 v[12:15], v[34:35], v[44:45], v[12:15]
	ds_read2_b32 v[44:45], v46 offset1:32
	ds_read2_b32 v[46:47], v46 offset0:128 offset1:160
	;;#ASMSTART
	s_waitcnt lgkmcnt(0)
	;;#ASMEND
	ds_write_b32 v67, v70 offset:24584
	s_waitcnt lgkmcnt(2)
	v_mfma_f32_16x16x32_fp8_fp8 v[12:15], v[32:33], v[44:45], v[12:15]
	ds_read_b32 v44, v67 offset:24588
	s_waitcnt lgkmcnt(0)
	v_cmp_ne_u32_e32 vcc, v44, v52
	v_mfma_f32_16x16x32_fp8_fp8 v[12:15], v[30:31], v[46:47], v[12:15]
	s_and_saveexec_b64 s[10:11], vcc
	s_cbranch_execz .LBB115_25
; %bb.23:                               ;   in Loop: Header=BB115_13 Depth=2
	s_mov_b64 s[12:13], 0
.LBB115_24:                             ;   Parent Loop BB115_7 Depth=1
                                        ;     Parent Loop BB115_13 Depth=2
                                        ; =>    This Inner Loop Header: Depth=3
	;;#ASMSTART
	s_sleep 0
	;;#ASMEND
	ds_read_b32 v44, v67 offset:24588
	s_waitcnt lgkmcnt(0)
	v_cmp_eq_u32_e32 vcc, v44, v52
	s_or_b64 s[12:13], vcc, s[12:13]
	s_andn2_b64 exec, exec, s[12:13]
	s_cbranch_execnz .LBB115_24
.LBB115_25:                             ;   in Loop: Header=BB115_13 Depth=2
	s_or_b64 exec, exec, s[10:11]
	v_add_u32_e32 v46, 0x2000, v69
	ds_read2_b32 v[44:45], v46 offset1:32
	s_waitcnt lgkmcnt(0)
	v_mfma_f32_16x16x32_fp8_fp8 v[8:11], v[28:29], v[44:45], v[8:11]
	ds_read2_b32 v[44:45], v46 offset0:128 offset1:160
	v_add_u32_e32 v46, 0x2400, v69
	s_waitcnt lgkmcnt(0)
	v_mfma_f32_16x16x32_fp8_fp8 v[8:11], v[36:37], v[44:45], v[8:11]
	ds_read2_b32 v[44:45], v46 offset1:32
	s_waitcnt lgkmcnt(0)
	v_mfma_f32_16x16x32_fp8_fp8 v[8:11], v[40:41], v[44:45], v[8:11]
	ds_read2_b32 v[44:45], v46 offset0:128 offset1:160
	v_add_u32_e32 v46, 0x2800, v69
	s_waitcnt lgkmcnt(0)
	v_mfma_f32_16x16x32_fp8_fp8 v[8:11], v[38:39], v[44:45], v[8:11]
	ds_read2_b32 v[44:45], v46 offset1:32
	s_waitcnt lgkmcnt(0)
	v_mfma_f32_16x16x32_fp8_fp8 v[8:11], v[42:43], v[44:45], v[8:11]
	ds_read2_b32 v[44:45], v46 offset0:128 offset1:160
	v_add_u32_e32 v46, 0x2c00, v69
	s_waitcnt lgkmcnt(0)
	v_mfma_f32_16x16x32_fp8_fp8 v[8:11], v[34:35], v[44:45], v[8:11]
	ds_read2_b32 v[44:45], v46 offset1:32
	ds_read2_b32 v[46:47], v46 offset0:128 offset1:160
	;;#ASMSTART
	s_waitcnt lgkmcnt(0)
	;;#ASMEND
	ds_write_b32 v67, v70 offset:24588
	s_waitcnt lgkmcnt(2)
	v_mfma_f32_16x16x32_fp8_fp8 v[8:11], v[32:33], v[44:45], v[8:11]
	ds_read_b32 v44, v67 offset:24592
	s_waitcnt lgkmcnt(0)
	v_cmp_ne_u32_e32 vcc, v44, v52
	;; [unrolled: 52-line block ×3, first 2 shown]
	v_mfma_f32_16x16x32_fp8_fp8 v[4:7], v[30:31], v[46:47], v[4:7]
	s_and_saveexec_b64 s[10:11], vcc
	s_cbranch_execz .LBB115_12
; %bb.29:                               ;   in Loop: Header=BB115_13 Depth=2
	s_mov_b64 s[12:13], 0
.LBB115_30:                             ;   Parent Loop BB115_7 Depth=1
                                        ;     Parent Loop BB115_13 Depth=2
                                        ; =>    This Inner Loop Header: Depth=3
	;;#ASMSTART
	s_sleep 0
	;;#ASMEND
	ds_read_b32 v44, v67 offset:24596
	s_waitcnt lgkmcnt(0)
	v_cmp_eq_u32_e32 vcc, v44, v52
	s_or_b64 s[12:13], vcc, s[12:13]
	s_andn2_b64 exec, exec, s[12:13]
	s_cbranch_execnz .LBB115_30
	s_branch .LBB115_12
.LBB115_31:                             ;   in Loop: Header=BB115_7 Depth=1
	s_or_b64 exec, exec, s[8:9]
.LBB115_32:                             ;   in Loop: Header=BB115_7 Depth=1
	s_or_b64 exec, exec, s[6:7]
	v_cmp_le_i32_e32 vcc, s47, v20
	v_cmp_eq_u32_e64 s[12:13], 1, v55
	v_cmp_eq_u32_e64 s[6:7], 3, v55
	s_waitcnt vmcnt(0)
	v_cndmask_b32_e32 v30, 0, v66, vcc
	v_pk_mul_f32 v[18:19], v[30:31], v[18:19] op_sel_hi:[0,1]
	v_pk_mul_f32 v[30:31], v[30:31], v[16:17] op_sel_hi:[0,1]
	v_cndmask_b32_e64 v16, v30, v31, s[12:13]
	v_cmp_eq_u32_e32 vcc, 2, v55
	v_cmp_eq_u32_e64 s[8:9], 0, v55
	v_cmp_eq_u32_e64 s[10:11], 1, v56
	v_cndmask_b32_e32 v16, v16, v18, vcc
	v_cndmask_b32_e64 v16, v16, v19, s[6:7]
	ds_bpermute_b32 v29, v64, v16
	v_cmp_le_i32_e64 s[18:19], s47, v57
	v_cmp_eq_u32_e64 s[16:17], 3, v56
	s_waitcnt lgkmcnt(0)
	v_cndmask_b32_e64 v16, v19, v29, s[6:7]
	v_cndmask_b32_e64 v19, v30, v29, s[8:9]
	v_or_b32_e32 v30, 16, v20
	v_cmp_le_i32_e64 s[14:15], s47, v30
	v_cndmask_b32_e32 v17, v18, v29, vcc
	v_cndmask_b32_e64 v18, v31, v29, s[12:13]
	v_cndmask_b32_e64 v30, 0, v66, s[14:15]
	v_pk_mul_f32 v[14:15], v[30:31], v[14:15] op_sel_hi:[0,1]
	v_pk_mul_f32 v[30:31], v[30:31], v[12:13] op_sel_hi:[0,1]
	v_cndmask_b32_e64 v12, v30, v31, s[12:13]
	v_cndmask_b32_e32 v12, v12, v14, vcc
	v_cndmask_b32_e64 v12, v12, v15, s[6:7]
	ds_bpermute_b32 v32, v64, v12
	v_cndmask_b32_e64 v29, v19, v18, s[10:11]
	v_cmp_eq_u32_e64 s[14:15], 2, v56
	s_waitcnt lgkmcnt(0)
	v_cndmask_b32_e64 v13, v15, v32, s[6:7]
	v_cndmask_b32_e64 v12, v29, v17, s[14:15]
	;; [unrolled: 1-line block ×4, first 2 shown]
	v_cndmask_b32_e32 v14, v14, v32, vcc
	v_cndmask_b32_e64 v15, v31, v32, s[12:13]
	v_pk_mul_f32 v[32:33], v[30:31], v[8:9] op_sel_hi:[0,1]
	v_pk_mul_f32 v[10:11], v[30:31], v[10:11] op_sel_hi:[0,1]
	v_cndmask_b32_e64 v8, v32, v33, s[12:13]
	v_cndmask_b32_e32 v8, v8, v10, vcc
	v_cndmask_b32_e64 v8, v8, v11, s[6:7]
	ds_bpermute_b32 v31, v64, v8
	v_cmp_le_i32_e64 s[18:19], s47, v58
	v_cndmask_b32_e64 v8, v29, v15, s[10:11]
	v_cndmask_b32_e64 v8, v8, v14, s[14:15]
	;; [unrolled: 1-line block ×3, first 2 shown]
	s_waitcnt lgkmcnt(0)
	v_cndmask_b32_e64 v9, v11, v31, s[6:7]
	v_cndmask_b32_e32 v10, v10, v31, vcc
	v_cndmask_b32_e64 v30, v33, v31, s[12:13]
	v_cndmask_b32_e64 v31, v32, v31, s[8:9]
	;; [unrolled: 1-line block ×3, first 2 shown]
	v_pk_mul_f32 v[6:7], v[32:33], v[6:7] op_sel_hi:[0,1]
	v_pk_mul_f32 v[32:33], v[32:33], v[4:5] op_sel_hi:[0,1]
	v_cndmask_b32_e64 v4, v32, v33, s[12:13]
	v_cndmask_b32_e32 v4, v4, v6, vcc
	v_cndmask_b32_e64 v4, v4, v7, s[6:7]
	ds_bpermute_b32 v11, v64, v4
	v_cmp_le_i32_e64 s[18:19], s47, v59
	v_cndmask_b32_e64 v4, v31, v30, s[10:11]
	v_cndmask_b32_e64 v4, v4, v10, s[14:15]
	;; [unrolled: 1-line block ×3, first 2 shown]
	s_waitcnt lgkmcnt(0)
	v_cndmask_b32_e64 v33, v33, v11, s[12:13]
	v_cndmask_b32_e64 v34, v32, v11, s[8:9]
	;; [unrolled: 1-line block ×3, first 2 shown]
	v_pk_mul_f32 v[38:39], v[32:33], v[0:1] op_sel_hi:[0,1]
	v_pk_mul_f32 v[36:37], v[32:33], v[2:3] op_sel_hi:[0,1]
	v_cndmask_b32_e64 v0, v38, v39, s[12:13]
	v_cndmask_b32_e32 v0, v0, v36, vcc
	v_cndmask_b32_e64 v0, v0, v37, s[6:7]
	ds_bpermute_b32 v1, v64, v0
	v_cndmask_b32_e32 v6, v6, v11, vcc
	v_cndmask_b32_e64 v0, v34, v33, s[10:11]
	v_cndmask_b32_e64 v5, v7, v11, s[6:7]
	;; [unrolled: 1-line block ×4, first 2 shown]
	s_waitcnt lgkmcnt(0)
	v_cndmask_b32_e32 v3, v36, v1, vcc
	v_cmp_ne_u32_e32 vcc, 0, v55
	ds_bpermute_b32 v7, v64, v0
	v_cndmask_b32_e64 v2, v37, v1, s[6:7]
	v_cndmask_b32_e32 v0, v39, v1, vcc
	v_cndmask_b32_e64 v1, v38, v1, s[8:9]
	v_cndmask_b32_e64 v11, v1, v0, s[10:11]
	;; [unrolled: 1-line block ×5, first 2 shown]
	ds_bpermute_b32 v12, v64, v12
	ds_bpermute_b32 v8, v64, v8
	;; [unrolled: 1-line block ×4, first 2 shown]
	s_max_i32 s6, s68, 0
	v_add_u32_e32 v32, s6, v54
	v_cmp_gt_u32_e32 vcc, 16, v32
	s_and_saveexec_b64 s[12:13], vcc
	s_cbranch_execz .LBB115_35
; %bb.33:                               ;   in Loop: Header=BB115_7 Depth=1
	v_cmp_eq_u32_e64 s[8:9], 1, v56
	v_cmp_eq_u32_e64 s[10:11], 0, v56
	v_cmp_eq_u32_e32 vcc, 3, v56
	s_waitcnt lgkmcnt(3)
	v_cndmask_b32_e64 v18, v18, v12, s[8:9]
	s_waitcnt lgkmcnt(2)
	v_cndmask_b32_e64 v15, v15, v8, s[8:9]
	;; [unrolled: 2-line block ×3, first 2 shown]
	v_cndmask_b32_e64 v33, v33, v7, s[8:9]
	s_waitcnt lgkmcnt(0)
	v_cndmask_b32_e64 v35, v0, v11, s[8:9]
	s_mul_i32 s8, s66, s21
	s_ashr_i32 s9, s8, 31
	s_lshl_b64 s[8:9], s[8:9], 1
	v_cndmask_b32_e64 v19, v19, v12, s[10:11]
	v_cndmask_b32_e64 v29, v29, v8, s[10:11]
	;; [unrolled: 1-line block ×5, first 2 shown]
	s_add_u32 s10, s40, s8
	s_addc_u32 s11, s41, s9
	s_ashr_i32 s47, s46, 31
	v_cvt_f16_f32_e32 v19, v19
	v_cvt_f16_f32_sdwa v18, v18 dst_sel:WORD_1 dst_unused:UNUSED_PAD src0_sel:DWORD
	v_cvt_f16_f32_e32 v29, v29
	v_cvt_f16_f32_sdwa v15, v15 dst_sel:WORD_1 dst_unused:UNUSED_PAD src0_sel:DWORD
	s_lshl_b64 s[8:9], s[46:47], 1
	v_cvt_f16_f32_e32 v31, v31
	v_cvt_f16_f32_sdwa v30, v30 dst_sel:WORD_1 dst_unused:UNUSED_PAD src0_sel:DWORD
	s_add_u32 s8, s10, s8
	s_addc_u32 s9, s11, s9
	v_lshl_add_u64 v[0:1], v[22:23], 1, s[8:9]
	v_or_b32_e32 v18, v18, v19
	v_or_b32_e32 v15, v15, v29
	;;#ASMSTART
	global_atomic_pk_add_f16 v[0:1], v18, off
	
	;;#ASMEND
	v_lshl_add_u64 v[18:19], v[0:1], 0, 32
	;;#ASMSTART
	global_atomic_pk_add_f16 v[18:19], v15, off
	
	;;#ASMEND
	v_or_b32_e32 v15, v30, v31
	v_lshl_add_u64 v[18:19], v[0:1], 0, 64
	;;#ASMSTART
	global_atomic_pk_add_f16 v[18:19], v15, off
	
	;;#ASMEND
	v_cvt_f16_f32_e32 v15, v34
	v_cvt_f16_f32_sdwa v29, v33 dst_sel:WORD_1 dst_unused:UNUSED_PAD src0_sel:DWORD
	v_cvt_f16_f32_e32 v30, v36
	v_cvt_f16_f32_sdwa v31, v35 dst_sel:WORD_1 dst_unused:UNUSED_PAD src0_sel:DWORD
	v_cmp_eq_u32_e64 s[6:7], 2, v56
	v_lshl_add_u64 v[18:19], v[0:1], 0, s[30:31]
	v_or_b32_e32 v15, v29, v15
	v_cmp_gt_u32_e64 s[8:9], 14, v32
	;;#ASMSTART
	global_atomic_pk_add_f16 v[18:19], v15, off
	
	;;#ASMEND
	v_lshl_add_u64 v[18:19], v[0:1], 0, s[34:35]
	v_or_b32_e32 v15, v31, v30
	;;#ASMSTART
	global_atomic_pk_add_f16 v[18:19], v15, off
	
	;;#ASMEND
	s_and_b64 exec, exec, s[8:9]
	s_cbranch_execz .LBB115_35
; %bb.34:                               ;   in Loop: Header=BB115_7 Depth=1
	v_cndmask_b32_e32 v15, v16, v12, vcc
	v_cndmask_b32_e64 v12, v17, v12, s[6:7]
	v_cndmask_b32_e32 v9, v9, v4, vcc
	v_cndmask_b32_e64 v4, v10, v4, s[6:7]
	;; [unrolled: 2-line block ×3, first 2 shown]
	v_cvt_f16_f32_e32 v7, v12
	v_cvt_f16_f32_sdwa v10, v15 dst_sel:WORD_1 dst_unused:UNUSED_PAD src0_sel:DWORD
	v_cndmask_b32_e32 v13, v13, v8, vcc
	v_cndmask_b32_e64 v8, v14, v8, s[6:7]
	v_cndmask_b32_e32 v12, v2, v11, vcc
	v_or_b32_e32 v2, v10, v7
	v_cvt_f16_f32_e32 v7, v8
	v_cvt_f16_f32_sdwa v8, v13 dst_sel:WORD_1 dst_unused:UNUSED_PAD src0_sel:DWORD
	v_cvt_f16_f32_e32 v4, v4
	v_cvt_f16_f32_sdwa v9, v9 dst_sel:WORD_1 dst_unused:UNUSED_PAD src0_sel:DWORD
	v_lshl_add_u64 v[0:1], s[28:29], 2, v[0:1]
	v_cndmask_b32_e64 v11, v3, v11, s[6:7]
	;;#ASMSTART
	global_atomic_pk_add_f16 v[0:1], v2, off
	
	;;#ASMEND
	v_lshl_add_u64 v[2:3], v[0:1], 0, 32
	v_or_b32_e32 v7, v8, v7
	v_or_b32_e32 v4, v9, v4
	;;#ASMSTART
	global_atomic_pk_add_f16 v[2:3], v7, off
	
	;;#ASMEND
	v_lshl_add_u64 v[2:3], v[0:1], 0, 64
	;;#ASMSTART
	global_atomic_pk_add_f16 v[2:3], v4, off
	
	;;#ASMEND
	v_cvt_f16_f32_e32 v4, v6
	v_cvt_f16_f32_sdwa v5, v5 dst_sel:WORD_1 dst_unused:UNUSED_PAD src0_sel:DWORD
	v_cvt_f16_f32_e32 v6, v11
	v_cvt_f16_f32_sdwa v7, v12 dst_sel:WORD_1 dst_unused:UNUSED_PAD src0_sel:DWORD
	v_lshl_add_u64 v[2:3], v[0:1], 0, s[30:31]
	v_or_b32_e32 v4, v5, v4
	;;#ASMSTART
	global_atomic_pk_add_f16 v[2:3], v4, off
	
	;;#ASMEND
	v_lshl_add_u64 v[0:1], v[0:1], 0, s[34:35]
	v_or_b32_e32 v2, v7, v6
	;;#ASMSTART
	global_atomic_pk_add_f16 v[0:1], v2, off
	
	;;#ASMEND
.LBB115_35:                             ;   in Loop: Header=BB115_7 Depth=1
	s_or_b64 exec, exec, s[12:13]
	v_subrev_u32_e32 v65, s65, v65
.LBB115_36:                             ;   in Loop: Header=BB115_7 Depth=1
	s_or_b64 exec, exec, s[50:51]
.LBB115_37:                             ;   in Loop: Header=BB115_7 Depth=1
	s_andn2_saveexec_b64 s[6:7], s[48:49]
	s_cbranch_execz .LBB115_46
; %bb.38:                               ;   in Loop: Header=BB115_7 Depth=1
	s_mul_i32 s16, s65, 5
	v_cmp_gt_i32_e32 vcc, s16, v65
	s_and_saveexec_b64 s[8:9], vcc
	s_cbranch_execz .LBB115_45
; %bb.39:                               ;   in Loop: Header=BB115_7 Depth=1
	s_mul_i32 s10, s46, s23
	s_ashr_i32 s11, s10, 31
	s_waitcnt lgkmcnt(0)
	s_add_u32 s10, s38, s10
	s_addc_u32 s11, s39, s11
	s_ashr_i32 s12, s67, 31
	s_add_u32 s10, s10, s67
	s_addc_u32 s11, s11, s12
	v_lshl_add_u64 v[0:1], s[10:11], 0, v[26:27]
	v_lshl_add_u64 v[16:17], v[0:1], 0, v[24:25]
	s_mov_b64 s[10:11], 0
	s_branch .LBB115_41
.LBB115_40:                             ;   in Loop: Header=BB115_41 Depth=2
	s_or_b64 exec, exec, s[12:13]
	v_lshl_or_b32 v28, v18, 12, v60
	;;#ASMSTART
	s_waitcnt vmcnt(3)
	;;#ASMEND
	ds_write2_b32 v28, v12, v13 offset1:32
	ds_write2_b32 v28, v14, v15 offset0:64 offset1:96
	v_add_u32_e32 v12, 0x400, v28
	;;#ASMSTART
	s_waitcnt vmcnt(2)
	;;#ASMEND
	ds_write2_b32 v12, v8, v9 offset1:32
	ds_write2_b32 v12, v10, v11 offset0:64 offset1:96
	v_add_u32_e32 v8, 0x800, v28
	;; [unrolled: 6-line block ×3, first 2 shown]
	v_add_u32_e32 v65, s26, v65
	;;#ASMSTART
	s_waitcnt vmcnt(0)
	;;#ASMEND
	ds_write2_b32 v4, v0, v1 offset1:32
	ds_write2_b32 v4, v2, v3 offset0:64 offset1:96
	v_add_u32_e32 v0, 1, v52
	v_add_u32_e32 v28, s26, v18
	v_cmp_le_i32_e32 vcc, s16, v65
	ds_write_b32 v19, v0 offset:4
	v_add_u32_e32 v0, 2, v52
	s_or_b64 s[10:11], vcc, s[10:11]
	v_cmp_lt_i32_e32 vcc, 4, v28
	s_nop 1
	v_cndmask_b32_e32 v52, v52, v0, vcc
	s_andn2_b64 exec, exec, s[10:11]
	s_cbranch_execz .LBB115_44
.LBB115_41:                             ;   Parent Loop BB115_7 Depth=1
                                        ; =>  This Loop Header: Depth=2
                                        ;       Child Loop BB115_43 Depth 3
	v_cmp_gt_i32_e32 vcc, 5, v28
	s_nop 1
	v_cndmask_b32_e64 v0, -5, 0, vcc
	v_add_u32_e32 v18, v0, v28
	v_mul_hi_i32 v0, v65, s54
	v_lshrrev_b32_e32 v1, 31, v0
	v_ashrrev_i32_e32 v0, 1, v0
	v_add_u32_e32 v0, v0, v1
	v_lshl_add_u32 v1, v0, 2, v0
	v_sub_u32_e32 v2, v65, v1
	v_lshlrev_b32_e32 v0, 8, v0
	v_ashrrev_i32_e32 v1, 31, v0
	v_mul_lo_u32 v2, s59, v2
	v_lshl_add_u64 v[0:1], v[16:17], 0, v[0:1]
	v_ashrrev_i32_e32 v3, 31, v2
	v_lshl_add_u64 v[0:1], v[0:1], 0, v[2:3]
	v_lshlrev_b32_e32 v19, 2, v18
	;;#ASMSTART
	global_load_dwordx4 v[12:15], v[0:1], off offset:0    sc0 sc1 nt  
	global_load_dwordx4 v[8:11], v[0:1], off offset:64   sc0 sc1 nt  
	global_load_dwordx4 v[4:7], v[0:1], off offset:128  sc0 sc1 nt  
	global_load_dwordx4 v[0:3], v[0:1], off offset:192  sc0 sc1 nt  
	
	;;#ASMEND
	ds_read_b32 v28, v19 offset:24580
	v_add_u32_e32 v19, 0x6000, v19
	s_waitcnt lgkmcnt(0)
	v_cmp_ne_u32_e32 vcc, v28, v52
	s_and_saveexec_b64 s[12:13], vcc
	s_cbranch_execz .LBB115_40
; %bb.42:                               ;   in Loop: Header=BB115_41 Depth=2
	s_mov_b64 s[14:15], 0
.LBB115_43:                             ;   Parent Loop BB115_7 Depth=1
                                        ;     Parent Loop BB115_41 Depth=2
                                        ; =>    This Inner Loop Header: Depth=3
	;;#ASMSTART
	s_sleep 0
	;;#ASMEND
	ds_read_b32 v28, v19 offset:4
	s_waitcnt lgkmcnt(0)
	v_cmp_eq_u32_e32 vcc, v28, v52
	s_or_b64 s[14:15], vcc, s[14:15]
	s_andn2_b64 exec, exec, s[14:15]
	s_cbranch_execnz .LBB115_43
	s_branch .LBB115_40
.LBB115_44:                             ;   in Loop: Header=BB115_7 Depth=1
	s_or_b64 exec, exec, s[10:11]
.LBB115_45:                             ;   in Loop: Header=BB115_7 Depth=1
	s_or_b64 exec, exec, s[8:9]
	v_subrev_u32_e32 v65, s16, v65
.LBB115_46:                             ;   in Loop: Header=BB115_7 Depth=1
	s_or_b64 exec, exec, s[6:7]
.LBB115_47:                             ;   in Loop: Header=BB115_7 Depth=1
	s_andn2_saveexec_b64 s[6:7], s[44:45]
	s_cbranch_execz .LBB115_6
; %bb.48:                               ;   in Loop: Header=BB115_7 Depth=1
	v_cmp_gt_i32_e32 vcc, s65, v65
	s_and_saveexec_b64 s[8:9], vcc
	s_cbranch_execz .LBB115_5
; %bb.49:                               ;   in Loop: Header=BB115_7 Depth=1
	s_mul_i32 s66, s66, s22
	s_ashr_i32 s10, s66, 31
	s_waitcnt lgkmcnt(0)
	s_add_u32 s11, s36, s66
	s_addc_u32 s12, s37, s10
	s_ashr_i32 s13, s67, 31
	v_cmp_le_i32_e32 vcc, s68, v61
	s_add_u32 s10, s11, s67
	s_addc_u32 s11, s12, s13
	v_cndmask_b32_e32 v0, 0, v62, vcc
	v_ashrrev_i32_e32 v1, 31, v0
	v_lshl_add_u64 v[0:1], s[10:11], 0, v[0:1]
	v_lshl_add_u64 v[16:17], v[0:1], 0, v[24:25]
	s_mov_b64 s[10:11], 0
	s_branch .LBB115_51
.LBB115_50:                             ;   in Loop: Header=BB115_51 Depth=2
	s_or_b64 exec, exec, s[12:13]
	v_lshl_add_u32 v28, v18, 12, v63
	;;#ASMSTART
	s_waitcnt vmcnt(3)
	;;#ASMEND
	ds_write2_b32 v28, v12, v13 offset1:32
	ds_write2_b32 v28, v14, v15 offset0:64 offset1:96
	v_add_u32_e32 v12, 0x400, v28
	;;#ASMSTART
	s_waitcnt vmcnt(2)
	;;#ASMEND
	ds_write2_b32 v12, v8, v9 offset1:32
	ds_write2_b32 v12, v10, v11 offset0:64 offset1:96
	v_add_u32_e32 v8, 0x800, v28
	;; [unrolled: 6-line block ×3, first 2 shown]
	v_add_u32_e32 v65, s25, v65
	;;#ASMSTART
	s_waitcnt vmcnt(0)
	;;#ASMEND
	ds_write2_b32 v4, v0, v1 offset1:32
	ds_write2_b32 v4, v2, v3 offset0:64 offset1:96
	v_add_u32_e32 v0, 1, v52
	v_add_u32_e32 v28, s25, v18
	v_cmp_le_i32_e32 vcc, s65, v65
	ds_write_b32 v19, v0
	v_add_u32_e32 v0, 2, v52
	s_or_b64 s[10:11], vcc, s[10:11]
	v_cmp_lt_i32_e32 vcc, 0, v28
	s_nop 1
	v_cndmask_b32_e32 v52, v52, v0, vcc
	s_andn2_b64 exec, exec, s[10:11]
	s_cbranch_execz .LBB115_4
.LBB115_51:                             ;   Parent Loop BB115_7 Depth=1
                                        ; =>  This Loop Header: Depth=2
                                        ;       Child Loop BB115_53 Depth 3
	v_cmp_lt_i32_e32 vcc, 0, v28
	v_lshlrev_b32_e32 v0, 8, v65
	v_ashrrev_i32_e32 v1, 31, v0
	v_subbrev_co_u32_e32 v18, vcc, 0, v28, vcc
	v_lshl_add_u64 v[0:1], v[16:17], 0, v[0:1]
	v_lshlrev_b32_e32 v19, 2, v18
	;;#ASMSTART
	global_load_dwordx4 v[12:15], v[0:1], off offset:0    
	global_load_dwordx4 v[8:11], v[0:1], off offset:64   
	;; [unrolled: 1-line block ×4, first 2 shown]
	
	;;#ASMEND
	ds_read_b32 v28, v19 offset:24576
	v_add_u32_e32 v19, 0x6000, v19
	s_waitcnt lgkmcnt(0)
	v_cmp_ne_u32_e32 vcc, v28, v52
	s_and_saveexec_b64 s[12:13], vcc
	s_cbranch_execz .LBB115_50
; %bb.52:                               ;   in Loop: Header=BB115_51 Depth=2
	s_mov_b64 s[14:15], 0
.LBB115_53:                             ;   Parent Loop BB115_7 Depth=1
                                        ;     Parent Loop BB115_51 Depth=2
                                        ; =>    This Inner Loop Header: Depth=3
	;;#ASMSTART
	s_sleep 0
	;;#ASMEND
	ds_read_b32 v28, v19
	s_waitcnt lgkmcnt(0)
	v_cmp_eq_u32_e32 vcc, v28, v52
	s_or_b64 s[14:15], vcc, s[14:15]
	s_andn2_b64 exec, exec, s[14:15]
	s_cbranch_execnz .LBB115_53
	s_branch .LBB115_50
.LBB115_54:
	s_endpgm
	.section	.rodata,"a",@progbits
	.p2align	6, 0x0
	.amdhsa_kernel _Z19_skinny_gemm_kernelILi1ELi5ELi1ELi16ELi8EEvPKhS1_P6__halfPKfiiiiiiii
		.amdhsa_group_segment_fixed_size 24600
		.amdhsa_private_segment_fixed_size 0
		.amdhsa_kernarg_size 64
		.amdhsa_user_sgpr_count 2
		.amdhsa_user_sgpr_dispatch_ptr 0
		.amdhsa_user_sgpr_queue_ptr 0
		.amdhsa_user_sgpr_kernarg_segment_ptr 1
		.amdhsa_user_sgpr_dispatch_id 0
		.amdhsa_user_sgpr_kernarg_preload_length 0
		.amdhsa_user_sgpr_kernarg_preload_offset 0
		.amdhsa_user_sgpr_private_segment_size 0
		.amdhsa_uses_dynamic_stack 0
		.amdhsa_enable_private_segment 0
		.amdhsa_system_sgpr_workgroup_id_x 1
		.amdhsa_system_sgpr_workgroup_id_y 0
		.amdhsa_system_sgpr_workgroup_id_z 0
		.amdhsa_system_sgpr_workgroup_info 0
		.amdhsa_system_vgpr_workitem_id 0
		.amdhsa_next_free_vgpr 73
		.amdhsa_next_free_sgpr 69
		.amdhsa_accum_offset 76
		.amdhsa_reserve_vcc 1
		.amdhsa_float_round_mode_32 0
		.amdhsa_float_round_mode_16_64 0
		.amdhsa_float_denorm_mode_32 3
		.amdhsa_float_denorm_mode_16_64 3
		.amdhsa_dx10_clamp 1
		.amdhsa_ieee_mode 1
		.amdhsa_fp16_overflow 0
		.amdhsa_tg_split 0
		.amdhsa_exception_fp_ieee_invalid_op 0
		.amdhsa_exception_fp_denorm_src 0
		.amdhsa_exception_fp_ieee_div_zero 0
		.amdhsa_exception_fp_ieee_overflow 0
		.amdhsa_exception_fp_ieee_underflow 0
		.amdhsa_exception_fp_ieee_inexact 0
		.amdhsa_exception_int_div_zero 0
	.end_amdhsa_kernel
	.section	.text._Z19_skinny_gemm_kernelILi1ELi5ELi1ELi16ELi8EEvPKhS1_P6__halfPKfiiiiiiii,"axG",@progbits,_Z19_skinny_gemm_kernelILi1ELi5ELi1ELi16ELi8EEvPKhS1_P6__halfPKfiiiiiiii,comdat
.Lfunc_end115:
	.size	_Z19_skinny_gemm_kernelILi1ELi5ELi1ELi16ELi8EEvPKhS1_P6__halfPKfiiiiiiii, .Lfunc_end115-_Z19_skinny_gemm_kernelILi1ELi5ELi1ELi16ELi8EEvPKhS1_P6__halfPKfiiiiiiii
                                        ; -- End function
	.set _Z19_skinny_gemm_kernelILi1ELi5ELi1ELi16ELi8EEvPKhS1_P6__halfPKfiiiiiiii.num_vgpr, 73
	.set _Z19_skinny_gemm_kernelILi1ELi5ELi1ELi16ELi8EEvPKhS1_P6__halfPKfiiiiiiii.num_agpr, 0
	.set _Z19_skinny_gemm_kernelILi1ELi5ELi1ELi16ELi8EEvPKhS1_P6__halfPKfiiiiiiii.numbered_sgpr, 69
	.set _Z19_skinny_gemm_kernelILi1ELi5ELi1ELi16ELi8EEvPKhS1_P6__halfPKfiiiiiiii.num_named_barrier, 0
	.set _Z19_skinny_gemm_kernelILi1ELi5ELi1ELi16ELi8EEvPKhS1_P6__halfPKfiiiiiiii.private_seg_size, 0
	.set _Z19_skinny_gemm_kernelILi1ELi5ELi1ELi16ELi8EEvPKhS1_P6__halfPKfiiiiiiii.uses_vcc, 1
	.set _Z19_skinny_gemm_kernelILi1ELi5ELi1ELi16ELi8EEvPKhS1_P6__halfPKfiiiiiiii.uses_flat_scratch, 0
	.set _Z19_skinny_gemm_kernelILi1ELi5ELi1ELi16ELi8EEvPKhS1_P6__halfPKfiiiiiiii.has_dyn_sized_stack, 0
	.set _Z19_skinny_gemm_kernelILi1ELi5ELi1ELi16ELi8EEvPKhS1_P6__halfPKfiiiiiiii.has_recursion, 0
	.set _Z19_skinny_gemm_kernelILi1ELi5ELi1ELi16ELi8EEvPKhS1_P6__halfPKfiiiiiiii.has_indirect_call, 0
	.section	.AMDGPU.csdata,"",@progbits
; Kernel info:
; codeLenInByte = 5284
; TotalNumSgprs: 75
; NumVgprs: 73
; NumAgprs: 0
; TotalNumVgprs: 73
; ScratchSize: 0
; MemoryBound: 0
; FloatMode: 240
; IeeeMode: 1
; LDSByteSize: 24600 bytes/workgroup (compile time only)
; SGPRBlocks: 9
; VGPRBlocks: 9
; NumSGPRsForWavesPerEU: 75
; NumVGPRsForWavesPerEU: 73
; AccumOffset: 76
; Occupancy: 6
; WaveLimiterHint : 0
; COMPUTE_PGM_RSRC2:SCRATCH_EN: 0
; COMPUTE_PGM_RSRC2:USER_SGPR: 2
; COMPUTE_PGM_RSRC2:TRAP_HANDLER: 0
; COMPUTE_PGM_RSRC2:TGID_X_EN: 1
; COMPUTE_PGM_RSRC2:TGID_Y_EN: 0
; COMPUTE_PGM_RSRC2:TGID_Z_EN: 0
; COMPUTE_PGM_RSRC2:TIDIG_COMP_CNT: 0
; COMPUTE_PGM_RSRC3_GFX90A:ACCUM_OFFSET: 18
; COMPUTE_PGM_RSRC3_GFX90A:TG_SPLIT: 0
	.section	.text._Z19_skinny_gemm_kernelILi1ELi5ELi1ELi32ELi4EEvPKhS1_P6__halfPKfiiiiiiii,"axG",@progbits,_Z19_skinny_gemm_kernelILi1ELi5ELi1ELi32ELi4EEvPKhS1_P6__halfPKfiiiiiiii,comdat
	.protected	_Z19_skinny_gemm_kernelILi1ELi5ELi1ELi32ELi4EEvPKhS1_P6__halfPKfiiiiiiii ; -- Begin function _Z19_skinny_gemm_kernelILi1ELi5ELi1ELi32ELi4EEvPKhS1_P6__halfPKfiiiiiiii
	.globl	_Z19_skinny_gemm_kernelILi1ELi5ELi1ELi32ELi4EEvPKhS1_P6__halfPKfiiiiiiii
	.p2align	8
	.type	_Z19_skinny_gemm_kernelILi1ELi5ELi1ELi32ELi4EEvPKhS1_P6__halfPKfiiiiiiii,@function
_Z19_skinny_gemm_kernelILi1ELi5ELi1ELi32ELi4EEvPKhS1_P6__halfPKfiiiiiiii: ; @_Z19_skinny_gemm_kernelILi1ELi5ELi1ELi32ELi4EEvPKhS1_P6__halfPKfiiiiiiii
; %bb.0:
	v_cmp_gt_u32_e32 vcc, 6, v0
	s_and_saveexec_b64 s[4:5], vcc
; %bb.1:
	v_lshlrev_b32_e32 v1, 2, v0
	v_mov_b32_e32 v2, 0
	ds_write_b32 v1, v2 offset:12288
; %bb.2:
	s_or_b64 exec, exec, s[4:5]
	s_load_dwordx8 s[24:31], s[0:1], 0x20
	s_waitcnt lgkmcnt(0)
	s_barrier
	s_add_i32 s3, s24, 31
	s_ashr_i32 s5, s3, 31
	s_add_i32 s4, s25, 0x9f
	s_lshr_b32 s5, s5, 27
	s_mul_hi_i32 s4, s4, 0x66666667
	s_add_i32 s3, s3, s5
	s_ashr_i32 s14, s3, 5
	s_lshr_b32 s3, s4, 31
	s_ashr_i32 s4, s4, 6
	s_add_i32 s15, s4, s3
	s_mul_i32 s3, s15, s14
	s_mul_i32 s3, s3, s28
	s_add_i32 s4, s3, 0x12f
	s_mul_hi_i32 s4, s4, 0x6bca1af3
	s_lshr_b32 s5, s4, 31
	s_ashr_i32 s4, s4, 7
	s_add_i32 s4, s4, s5
	s_add_i32 s5, s2, 1
	s_mul_i32 s5, s4, s5
	v_cvt_f64_i32_e32 v[2:3], s3
	v_cvt_f64_u32_e32 v[4:5], s5
	v_min_f64 v[2:3], v[2:3], v[4:5]
	v_cvt_i32_f64_e32 v13, v[2:3]
	s_mul_i32 s2, s4, s2
	v_cmp_ge_i32_e32 vcc, s2, v13
	s_cbranch_vccnz .LBB116_55
; %bb.3:
	s_load_dwordx8 s[16:23], s[0:1], 0x0
	v_lshrrev_b32_e32 v1, 6, v0
	s_add_i32 s0, s30, s29
	v_cmp_le_i32_e64 s[34:35], s0, v1
	v_mov_b32_e32 v2, s29
	v_cmp_le_i32_e64 s[36:37], s29, v1
	v_mov_b32_e32 v3, s30
	v_cndmask_b32_e64 v3, 0, v3, s[34:35]
	v_cndmask_b32_e64 v2, 0, v2, s[36:37]
	s_abs_i32 s1, s28
	v_add_u32_e32 v2, v2, v3
	v_cvt_f32_u32_e32 v3, s1
	v_sub_u32_e32 v88, v1, v2
	s_ashr_i32 s3, s26, 31
	s_lshr_b32 s3, s3, 26
	v_rcp_iflag_f32_e32 v2, v3
	s_sub_i32 s6, 0, s1
	s_add_i32 s3, s26, s3
	s_ashr_i32 s3, s3, 6
	v_mul_f32_e32 v2, 0x4f7ffffe, v2
	v_cvt_u32_f32_e32 v2, v2
	s_abs_i32 s5, s3
	s_xor_b32 s4, s3, s28
	s_ashr_i32 s4, s4, 31
	v_readfirstlane_b32 s7, v2
	s_mul_i32 s6, s6, s7
	s_mul_hi_u32 s6, s7, s6
	s_add_i32 s7, s7, s6
	s_mul_hi_u32 s6, s5, s7
	s_mul_i32 s7, s6, s1
	s_sub_i32 s5, s5, s7
	s_add_i32 s7, s6, 1
	s_sub_i32 s8, s5, s1
	s_cmp_ge_u32 s5, s1
	s_cselect_b32 s6, s7, s6
	s_cselect_b32 s5, s8, s5
	s_add_i32 s7, s6, 1
	s_cmp_ge_u32 s5, s1
	s_cselect_b32 s1, s7, s6
	s_add_i32 s0, s0, s31
	v_and_b32_e32 v9, 31, v0
	v_lshrrev_b32_e32 v2, 3, v0
	v_cmp_gt_i32_e64 s[42:43], s0, v1
	v_lshlrev_b32_e32 v1, 2, v9
	v_and_b32_e32 v3, 4, v2
	v_lshlrev_b32_e32 v2, 6, v3
	v_or_b32_e32 v4, 0x2800, v1
	v_and_b32_e32 v5, 1, v0
	v_or_b32_e32 v94, v4, v2
	v_or_b32_e32 v96, v1, v2
	v_lshlrev_b32_e32 v2, 1, v5
	v_sub_u32_e32 v2, v0, v2
	v_add_u32_e32 v2, 1, v2
	v_and_b32_e32 v6, 63, v2
	v_bitop3_b32 v2, v0, 1, v0 bitop3:0xc
	scratch_store_dword off, v2, off offset:24 ; 4-byte Folded Spill
	v_bitop3_b32 v2, v0, 3, 1 bitop3:0x6c
	scratch_store_dword off, v2, off offset:28 ; 4-byte Folded Spill
	;; [unrolled: 2-line block ×6, first 2 shown]
	v_bitop3_b32 v2, v0, 13, 1 bitop3:0x6c
	s_add_i32 s39, s28, -1
	scratch_store_dword off, v2, off offset:48 ; 4-byte Folded Spill
	v_bitop3_b32 v2, v0, 15, 1 bitop3:0x6c
	s_abs_i32 s28, s14
                                        ; implicit-def: $vgpr127 : SGPR spill to VGPR lane
	scratch_store_dword off, v2, off offset:52 ; 4-byte Folded Spill
	v_or_b32_e32 v2, 32, v9
	v_cvt_f32_u32_e32 v8, s28
	v_writelane_b32 v127, s14, 0
	scratch_store_dword off, v2, off offset:56 ; 4-byte Folded Spill
	v_or_b32_e32 v2, 64, v9
	v_writelane_b32 v127, s15, 1
	scratch_store_dword off, v2, off offset:60 ; 4-byte Folded Spill
	v_or_b32_e32 v2, 0x60, v9
	v_lshrrev_b32_e32 v7, 1, v0
	s_waitcnt lgkmcnt(0)
	v_writelane_b32 v127, s16, 2
	scratch_store_dword off, v2, off offset:64 ; 4-byte Folded Spill
	v_or_b32_e32 v2, 0x80, v9
	v_and_b32_e32 v14, 16, v7
	v_lshlrev_b32_e32 v7, 4, v0
	v_writelane_b32 v127, s17, 3
	scratch_store_dword off, v2, off offset:68 ; 4-byte Folded Spill
	v_and_b32_e32 v2, 30, v0
	v_and_b32_e32 v7, 0x200, v7
	v_bitop3_b32 v17, v0, 31, v0 bitop3:0xc
	v_rcp_iflag_f32_e32 v0, v8
	s_abs_i32 s99, s15
	v_writelane_b32 v127, s18, 4
	v_or_b32_e32 v16, v1, v7
	v_cvt_f32_u32_e32 v1, s99
	v_writelane_b32 v127, s19, 5
	v_writelane_b32 v127, s20, 6
	;; [unrolled: 1-line block ×3, first 2 shown]
	v_mul_f32_e32 v0, 0x4f7ffffe, v0
	v_writelane_b32 v127, s22, 8
	v_cvt_u32_f32_e32 v0, v0
	v_rcp_iflag_f32_e32 v1, v1
	v_writelane_b32 v127, s23, 9
	v_cndmask_b32_e64 v95, 0, 1, s[34:35]
	s_xor_b32 s1, s1, s4
	v_writelane_b32 v127, s34, 10
	s_sub_i32 s38, s1, s4
	s_mul_i32 s1, s38, s39
	v_writelane_b32 v127, s35, 11
	v_writelane_b32 v127, s36, 12
	s_sub_i32 s40, s3, s1
	v_readfirstlane_b32 s1, v0
	v_mul_f32_e32 v0, 0x4f7ffffe, v1
	v_writelane_b32 v127, s37, 13
	v_cvt_u32_f32_e32 v0, v0
	v_writelane_b32 v127, s38, 14
	s_sub_i32 s0, 0, s28
	v_writelane_b32 v127, s39, 15
	s_mul_i32 s0, s0, s1
	v_writelane_b32 v127, s40, 16
	s_mul_hi_u32 s0, s1, s0
	v_writelane_b32 v127, s42, 17
	s_ashr_i32 s41, s14, 31
	s_add_i32 s44, s1, s0
	s_sub_i32 s0, 0, s99
	v_readfirstlane_b32 s1, v0
	v_writelane_b32 v127, s43, 18
	s_mul_i32 s0, s0, s1
	v_mbcnt_lo_u32_b32 v0, -1, 0
	v_writelane_b32 v127, s41, 19
	s_ashr_i32 s45, s15, 31
	s_mul_hi_u32 s0, s1, s0
	v_mbcnt_hi_u32_b32 v0, -1, v0
	v_writelane_b32 v127, s44, 20
	v_mov_b32_e32 v99, 0
	v_mul_lo_u32 v10, s27, v9
	s_add_i32 s46, s1, s0
	v_and_or_b32 v0, v0, 64, v6
	v_writelane_b32 v127, s45, 21
	v_ashrrev_i32_e32 v11, 31, v10
	v_mov_b32_e32 v15, v99
	s_lshl_b32 s98, s27, 5
	v_mul_lo_u32 v18, s26, v9
	v_or_b32_e32 v114, v4, v7
	v_lshlrev_b32_e32 v98, 1, v2
	v_lshlrev_b32_e32 v116, 2, v0
	v_mov_b32_e32 v117, v88
	v_writelane_b32 v127, s46, 22
	scratch_store_dwordx2 off, v[10:11], off offset:80 ; 8-byte Folded Spill
	scratch_store_dword off, v9, off offset:12 ; 4-byte Folded Spill
	v_or_b32_e32 v97, v5, v3
	scratch_store_dword off, v13, off offset:8 ; 4-byte Folded Spill
	scratch_store_dword off, v94, off offset:16 ; 4-byte Folded Spill
	;; [unrolled: 1-line block ×3, first 2 shown]
	scratch_store_dwordx2 off, v[14:15], off offset:72 ; 8-byte Folded Spill
	scratch_store_dword off, v16, off offset:88 ; 4-byte Folded Spill
	scratch_store_dword off, v17, off offset:92 ; 4-byte Folded Spill
	;; [unrolled: 1-line block ×4, first 2 shown]
	s_branch .LBB116_7
.LBB116_4:                              ;   in Loop: Header=BB116_7 Depth=1
	s_or_b64 exec, exec, s[6:7]
.LBB116_5:                              ;   in Loop: Header=BB116_7 Depth=1
	s_or_b64 exec, exec, s[4:5]
	v_subrev_u32_e32 v117, s33, v117
.LBB116_6:                              ;   in Loop: Header=BB116_7 Depth=1
	s_or_b64 exec, exec, s[0:1]
	s_add_i32 s2, s2, 1
	s_waitcnt vmcnt(4)
	v_cmp_ge_i32_e32 vcc, s2, v13
	s_cbranch_vccnz .LBB116_55
.LBB116_7:                              ; =>This Loop Header: Depth=1
                                        ;     Child Loop BB116_13 Depth 2
                                        ;       Child Loop BB116_15 Depth 3
                                        ;       Child Loop BB116_18 Depth 3
	;; [unrolled: 1-line block ×6, first 2 shown]
                                        ;     Child Loop BB116_34 Depth 2
                                        ;     Child Loop BB116_42 Depth 2
                                        ;       Child Loop BB116_44 Depth 3
                                        ;     Child Loop BB116_52 Depth 2
                                        ;       Child Loop BB116_54 Depth 3
	s_abs_i32 s1, s2
	s_mul_hi_u32 s3, s1, s44
	s_mul_i32 s4, s3, s28
	s_ashr_i32 s0, s2, 31
	s_sub_i32 s1, s1, s4
	s_xor_b32 s0, s0, s41
	s_add_i32 s4, s3, 1
	s_sub_i32 s5, s1, s28
	s_cmp_ge_u32 s1, s28
	s_cselect_b32 s3, s4, s3
	s_cselect_b32 s1, s5, s1
	s_add_i32 s4, s3, 1
	s_cmp_ge_u32 s1, s28
	s_cselect_b32 s1, s4, s3
	s_xor_b32 s1, s1, s0
	s_sub_i32 s0, s1, s0
	s_abs_i32 s4, s0
	s_mul_i32 s1, s0, s14
	s_mul_hi_u32 s5, s4, s46
	s_sub_i32 s1, s2, s1
	s_mul_i32 s6, s5, s99
	s_lshl_b32 s3, s1, 5
	s_ashr_i32 s1, s0, 31
	s_sub_i32 s4, s4, s6
	s_xor_b32 s1, s1, s45
	s_add_i32 s6, s5, 1
	s_sub_i32 s7, s4, s99
	s_cmp_ge_u32 s4, s99
	s_cselect_b32 s5, s6, s5
	s_cselect_b32 s4, s7, s4
	s_add_i32 s6, s5, 1
	s_cmp_ge_u32 s4, s99
	s_cselect_b32 s4, s6, s5
	s_xor_b32 s4, s4, s1
	s_sub_i32 s1, s4, s1
	s_mul_i32 s4, s1, s38
	s_lshl_b32 s47, s4, 6
	s_cmp_eq_u32 s1, s39
	s_cselect_b32 s33, s40, s38
	s_sub_i32 s4, s3, s24
	s_add_i32 s80, s4, 32
	s_and_saveexec_b64 s[4:5], s[36:37]
	s_xor_b64 s[96:97], exec, s[4:5]
	s_cbranch_execz .LBB116_48
; %bb.8:                                ;   in Loop: Header=BB116_7 Depth=1
	s_mul_i32 s1, s1, s15
	s_sub_i32 s0, s0, s1
	s_mulk_i32 s0, 0xa0
	s_sub_i32 s70, s0, s25
	s_addk_i32 s70, 0xa0
	s_max_i32 s1, s70, 0
	s_sub_i32 s72, s0, s1
	s_and_saveexec_b64 s[0:1], s[34:35]
	s_xor_b64 s[4:5], exec, s[0:1]
	s_cbranch_execz .LBB116_38
; %bb.9:                                ;   in Loop: Header=BB116_7 Depth=1
	s_and_saveexec_b64 s[0:1], s[42:43]
	s_cbranch_execz .LBB116_37
; %bb.10:                               ;   in Loop: Header=BB116_7 Depth=1
	global_load_dword v118, v99, s[22:23]
	v_mov_b32_e32 v79, 0
	v_cmp_gt_i32_e32 vcc, s33, v117
	v_mov_b32_e32 v78, v79
	v_mov_b32_e32 v77, v79
	;; [unrolled: 1-line block ×60, first 2 shown]
	s_waitcnt vmcnt(1)
	v_mov_b32_e32 v18, v79
	v_mov_b32_e32 v17, v79
	;; [unrolled: 1-line block ×19, first 2 shown]
	s_and_saveexec_b64 s[6:7], vcc
	s_cbranch_execz .LBB116_32
; %bb.11:                               ;   in Loop: Header=BB116_7 Depth=1
	v_mov_b32_e32 v0, 0
	s_mov_b64 s[8:9], 0
	v_mov_b32_e32 v1, v0
	v_mov_b32_e32 v2, v0
	;; [unrolled: 1-line block ×79, first 2 shown]
	s_branch .LBB116_13
.LBB116_12:                             ;   in Loop: Header=BB116_13 Depth=2
	s_or_b64 exec, exec, s[10:11]
	v_add_u32_e32 v81, 0x2000, v80
	ds_read2_b32 v[82:83], v81 offset1:32
	v_add_u32_e32 v117, s31, v117
	s_waitcnt lgkmcnt(0)
	v_mfma_f32_32x32x16_fp8_fp8 v[0:15], v[92:93], v[82:83], v[0:15]
	ds_read2_b32 v[82:83], v81 offset0:128 offset1:160
	s_waitcnt lgkmcnt(0)
	v_mfma_f32_32x32x16_fp8_fp8 v[0:15], v[90:91], v[82:83], v[0:15]
	v_add_u32_e32 v82, 0x2400, v80
	ds_read2_b32 v[80:81], v82 offset1:32
	ds_read2_b32 v[82:83], v82 offset0:128 offset1:160
	ds_write_b32 v120, v121 offset:12324
	s_waitcnt lgkmcnt(2)
	v_mfma_f32_32x32x16_fp8_fp8 v[0:15], v[88:89], v[80:81], v[0:15]
	v_add_u32_e32 v88, s31, v119
	v_add_u32_e32 v80, 2, v95
	v_cmp_lt_i32_e32 vcc, 0, v88
	s_nop 1
	v_cndmask_b32_e32 v95, v95, v80, vcc
	v_cmp_le_i32_e32 vcc, s33, v117
	s_waitcnt lgkmcnt(1)
	v_mfma_f32_32x32x16_fp8_fp8 v[0:15], v[86:87], v[82:83], v[0:15]
	s_or_b64 s[8:9], vcc, s[8:9]
	s_andn2_b64 exec, exec, s[8:9]
	s_cbranch_execz .LBB116_31
.LBB116_13:                             ;   Parent Loop BB116_7 Depth=1
                                        ; =>  This Loop Header: Depth=2
                                        ;       Child Loop BB116_15 Depth 3
                                        ;       Child Loop BB116_18 Depth 3
	;; [unrolled: 1-line block ×6, first 2 shown]
	v_cmp_lt_i32_e32 vcc, 0, v88
	s_nop 1
	v_subbrev_co_u32_e32 v119, vcc, 0, v88, vcc
	v_mul_lo_u32 v120, v119, 40
	ds_read_b32 v80, v120 offset:12288
	s_waitcnt lgkmcnt(0)
	v_cmp_ne_u32_e32 vcc, v80, v95
	s_and_saveexec_b64 s[10:11], vcc
	s_cbranch_execz .LBB116_16
; %bb.14:                               ;   in Loop: Header=BB116_13 Depth=2
	s_mov_b64 s[12:13], 0
.LBB116_15:                             ;   Parent Loop BB116_7 Depth=1
                                        ;     Parent Loop BB116_13 Depth=2
                                        ; =>    This Inner Loop Header: Depth=3
	;;#ASMSTART
	s_sleep 0
	;;#ASMEND
	ds_read_b32 v80, v120 offset:12288
	s_waitcnt lgkmcnt(0)
	v_cmp_eq_u32_e32 vcc, v80, v95
	s_or_b64 s[12:13], vcc, s[12:13]
	s_andn2_b64 exec, exec, s[12:13]
	s_cbranch_execnz .LBB116_15
.LBB116_16:                             ;   in Loop: Header=BB116_13 Depth=2
	s_or_b64 exec, exec, s[10:11]
	v_lshl_add_u32 v80, v119, 11, v94
	ds_read2_b32 v[92:93], v80 offset1:32
	ds_read2_b32 v[90:91], v80 offset0:128 offset1:160
	v_add_u32_e32 v80, 0x400, v80
	ds_read2_b32 v[88:89], v80 offset1:32
	ds_read_b32 v81, v120 offset:12292
	ds_read2_b32 v[86:87], v80 offset0:128 offset1:160
	v_add_u32_e32 v121, 1, v95
	ds_write_b32 v120, v121 offset:12288
	s_waitcnt lgkmcnt(2)
	v_cmp_ne_u32_e32 vcc, v81, v95
	s_and_saveexec_b64 s[10:11], vcc
	s_cbranch_execz .LBB116_19
; %bb.17:                               ;   in Loop: Header=BB116_13 Depth=2
	s_mov_b64 s[12:13], 0
.LBB116_18:                             ;   Parent Loop BB116_7 Depth=1
                                        ;     Parent Loop BB116_13 Depth=2
                                        ; =>    This Inner Loop Header: Depth=3
	;;#ASMSTART
	s_sleep 0
	;;#ASMEND
	ds_read_b32 v80, v120 offset:12292
	s_waitcnt lgkmcnt(0)
	v_cmp_eq_u32_e32 vcc, v80, v95
	s_or_b64 s[12:13], vcc, s[12:13]
	s_andn2_b64 exec, exec, s[12:13]
	s_cbranch_execnz .LBB116_18
.LBB116_19:                             ;   in Loop: Header=BB116_13 Depth=2
	s_or_b64 exec, exec, s[10:11]
	s_movk_i32 s10, 0x2800
	v_mul_lo_u32 v80, v119, s10
	v_or_b32_e32 v81, v96, v80
	ds_read2_b32 v[82:83], v81 offset1:32
	ds_write_b32 v120, v121 offset:12292
	s_waitcnt lgkmcnt(1)
	v_mfma_f32_32x32x16_fp8_fp8 v[64:79], v[92:93], v[82:83], v[64:79]
	ds_read2_b32 v[82:83], v81 offset0:128 offset1:160
	v_add_u32_e32 v81, 0x400, v81
	s_waitcnt lgkmcnt(0)
	v_mfma_f32_32x32x16_fp8_fp8 v[64:79], v[90:91], v[82:83], v[64:79]
	ds_read2_b32 v[82:83], v81 offset1:32
	s_waitcnt lgkmcnt(0)
	v_mfma_f32_32x32x16_fp8_fp8 v[64:79], v[88:89], v[82:83], v[64:79]
	ds_read2_b32 v[82:83], v81 offset0:128 offset1:160
	ds_read_b32 v81, v120 offset:12300
	s_waitcnt lgkmcnt(0)
	v_cmp_ne_u32_e32 vcc, v81, v95
	v_mfma_f32_32x32x16_fp8_fp8 v[64:79], v[86:87], v[82:83], v[64:79]
	s_and_saveexec_b64 s[10:11], vcc
	s_cbranch_execz .LBB116_22
; %bb.20:                               ;   in Loop: Header=BB116_13 Depth=2
	s_mov_b64 s[12:13], 0
.LBB116_21:                             ;   Parent Loop BB116_7 Depth=1
                                        ;     Parent Loop BB116_13 Depth=2
                                        ; =>    This Inner Loop Header: Depth=3
	;;#ASMSTART
	s_sleep 0
	;;#ASMEND
	ds_read_b32 v81, v120 offset:12300
	s_waitcnt lgkmcnt(0)
	v_cmp_eq_u32_e32 vcc, v81, v95
	s_or_b64 s[12:13], vcc, s[12:13]
	s_andn2_b64 exec, exec, s[12:13]
	s_cbranch_execnz .LBB116_21
.LBB116_22:                             ;   in Loop: Header=BB116_13 Depth=2
	s_or_b64 exec, exec, s[10:11]
	v_add_u32_e32 v80, v96, v80
	v_add_u32_e32 v81, 0x800, v80
	ds_read2_b32 v[82:83], v81 offset1:32
	ds_write_b32 v120, v121 offset:12300
	s_waitcnt lgkmcnt(1)
	v_mfma_f32_32x32x16_fp8_fp8 v[48:63], v[92:93], v[82:83], v[48:63]
	ds_read2_b32 v[82:83], v81 offset0:128 offset1:160
	v_add_u32_e32 v81, 0xc00, v80
	s_waitcnt lgkmcnt(0)
	v_mfma_f32_32x32x16_fp8_fp8 v[48:63], v[90:91], v[82:83], v[48:63]
	ds_read2_b32 v[82:83], v81 offset1:32
	s_waitcnt lgkmcnt(0)
	v_mfma_f32_32x32x16_fp8_fp8 v[48:63], v[88:89], v[82:83], v[48:63]
	ds_read2_b32 v[82:83], v81 offset0:128 offset1:160
	ds_read_b32 v81, v120 offset:12308
	s_waitcnt lgkmcnt(0)
	v_cmp_ne_u32_e32 vcc, v81, v95
	v_mfma_f32_32x32x16_fp8_fp8 v[48:63], v[86:87], v[82:83], v[48:63]
	s_and_saveexec_b64 s[10:11], vcc
	s_cbranch_execz .LBB116_25
; %bb.23:                               ;   in Loop: Header=BB116_13 Depth=2
	s_mov_b64 s[12:13], 0
.LBB116_24:                             ;   Parent Loop BB116_7 Depth=1
                                        ;     Parent Loop BB116_13 Depth=2
                                        ; =>    This Inner Loop Header: Depth=3
	;;#ASMSTART
	s_sleep 0
	;;#ASMEND
	ds_read_b32 v81, v120 offset:12308
	s_waitcnt lgkmcnt(0)
	v_cmp_eq_u32_e32 vcc, v81, v95
	s_or_b64 s[12:13], vcc, s[12:13]
	s_andn2_b64 exec, exec, s[12:13]
	s_cbranch_execnz .LBB116_24
.LBB116_25:                             ;   in Loop: Header=BB116_13 Depth=2
	s_or_b64 exec, exec, s[10:11]
	v_add_u32_e32 v81, 0x1000, v80
	ds_read2_b32 v[82:83], v81 offset1:32
	s_waitcnt lgkmcnt(0)
	v_mfma_f32_32x32x16_fp8_fp8 v[32:47], v[92:93], v[82:83], v[32:47]
	ds_read2_b32 v[82:83], v81 offset0:128 offset1:160
	v_add_u32_e32 v81, 0x1400, v80
	s_waitcnt lgkmcnt(0)
	v_mfma_f32_32x32x16_fp8_fp8 v[32:47], v[90:91], v[82:83], v[32:47]
	ds_read2_b32 v[82:83], v81 offset1:32
	s_waitcnt lgkmcnt(0)
	v_mfma_f32_32x32x16_fp8_fp8 v[32:47], v[88:89], v[82:83], v[32:47]
	ds_read_b32 v84, v120 offset:12316
	ds_read2_b32 v[82:83], v81 offset0:128 offset1:160
	ds_write_b32 v120, v121 offset:12308
	s_waitcnt lgkmcnt(2)
	v_cmp_ne_u32_e32 vcc, v84, v95
	s_waitcnt lgkmcnt(1)
	v_mfma_f32_32x32x16_fp8_fp8 v[32:47], v[86:87], v[82:83], v[32:47]
	s_and_saveexec_b64 s[10:11], vcc
	s_cbranch_execz .LBB116_28
; %bb.26:                               ;   in Loop: Header=BB116_13 Depth=2
	s_mov_b64 s[12:13], 0
.LBB116_27:                             ;   Parent Loop BB116_7 Depth=1
                                        ;     Parent Loop BB116_13 Depth=2
                                        ; =>    This Inner Loop Header: Depth=3
	;;#ASMSTART
	s_sleep 0
	;;#ASMEND
	ds_read_b32 v81, v120 offset:12316
	s_waitcnt lgkmcnt(0)
	v_cmp_eq_u32_e32 vcc, v81, v95
	s_or_b64 s[12:13], vcc, s[12:13]
	s_andn2_b64 exec, exec, s[12:13]
	s_cbranch_execnz .LBB116_27
.LBB116_28:                             ;   in Loop: Header=BB116_13 Depth=2
	s_or_b64 exec, exec, s[10:11]
	v_add_u32_e32 v81, 0x1800, v80
	ds_read2_b32 v[82:83], v81 offset1:32
	s_waitcnt lgkmcnt(0)
	v_mfma_f32_32x32x16_fp8_fp8 v[16:31], v[92:93], v[82:83], v[16:31]
	ds_read2_b32 v[82:83], v81 offset0:128 offset1:160
	v_add_u32_e32 v81, 0x1c00, v80
	s_waitcnt lgkmcnt(0)
	v_mfma_f32_32x32x16_fp8_fp8 v[16:31], v[90:91], v[82:83], v[16:31]
	ds_read2_b32 v[82:83], v81 offset1:32
	s_waitcnt lgkmcnt(0)
	v_mfma_f32_32x32x16_fp8_fp8 v[16:31], v[88:89], v[82:83], v[16:31]
	ds_read_b32 v84, v120 offset:12324
	ds_read2_b32 v[82:83], v81 offset0:128 offset1:160
	ds_write_b32 v120, v121 offset:12316
	s_waitcnt lgkmcnt(2)
	v_cmp_ne_u32_e32 vcc, v84, v95
	s_waitcnt lgkmcnt(1)
	v_mfma_f32_32x32x16_fp8_fp8 v[16:31], v[86:87], v[82:83], v[16:31]
	s_and_saveexec_b64 s[10:11], vcc
	s_cbranch_execz .LBB116_12
; %bb.29:                               ;   in Loop: Header=BB116_13 Depth=2
	s_mov_b64 s[12:13], 0
.LBB116_30:                             ;   Parent Loop BB116_7 Depth=1
                                        ;     Parent Loop BB116_13 Depth=2
                                        ; =>    This Inner Loop Header: Depth=3
	;;#ASMSTART
	s_sleep 0
	;;#ASMEND
	ds_read_b32 v81, v120 offset:12324
	s_waitcnt lgkmcnt(0)
	v_cmp_eq_u32_e32 vcc, v81, v95
	s_or_b64 s[12:13], vcc, s[12:13]
	s_andn2_b64 exec, exec, s[12:13]
	s_cbranch_execnz .LBB116_30
	s_branch .LBB116_12
.LBB116_31:                             ;   in Loop: Header=BB116_7 Depth=1
	s_or_b64 exec, exec, s[8:9]
.LBB116_32:                             ;   in Loop: Header=BB116_7 Depth=1
	v_writelane_b32 v127, s80, 23
	v_writelane_b32 v127, s47, 24
	s_or_b64 exec, exec, s[6:7]
	scratch_load_dword v80, off, off offset:12 ; 4-byte Folded Reload
	scratch_load_dword v111, off, off offset:24 ; 4-byte Folded Reload
	;; [unrolled: 1-line block ×4, first 2 shown]
	s_mul_i32 s6, s3, s25
	s_ashr_i32 s7, s6, 31
	s_lshl_b64 s[6:7], s[6:7], 1
	s_add_u32 s68, s20, s6
	s_addc_u32 s69, s21, s7
	s_mov_b32 s34, s72
	s_ashr_i32 s73, s72, 31
	v_writelane_b32 v127, s34, 25
	scratch_store_dwordx2 off, v[98:99], off ; 8-byte Folded Spill
	v_subrev_u32_e32 v117, s33, v117
	v_writelane_b32 v127, s35, 26
	s_lshl_b64 s[34:35], s[72:73], 1
	s_add_u32 s34, s68, s34
	s_addc_u32 s35, s69, s35
	v_writelane_b32 v127, s34, 27
	s_waitcnt vmcnt(4)
	v_cmp_le_i32_e32 vcc, s70, v80
	s_nop 1
	v_cndmask_b32_e32 v80, 0, v118, vcc
	v_pk_mul_f32 v[64:65], v[80:81], v[64:65] op_sel_hi:[0,1]
	s_waitcnt vmcnt(3)
	v_cmp_eq_u32_e64 s[64:65], 1, v111
	v_pk_mul_f32 v[78:79], v[80:81], v[78:79] op_sel_hi:[0,1]
	v_pk_mul_f32 v[76:77], v[80:81], v[76:77] op_sel_hi:[0,1]
	;; [unrolled: 1-line block ×7, first 2 shown]
	v_cndmask_b32_e64 v80, v64, v65, s[64:65]
	v_cmp_eq_u32_e64 s[38:39], 2, v111
	v_cmp_eq_u32_e64 s[40:41], 3, v111
	v_cmp_eq_u32_e64 s[42:43], 4, v111
	v_cndmask_b32_e64 v80, v80, v66, s[38:39]
	v_cndmask_b32_e64 v80, v80, v67, s[40:41]
	v_cndmask_b32_e64 v80, v80, v68, s[42:43]
	v_cmp_eq_u32_e64 s[44:45], 5, v111
	v_cmp_eq_u32_e64 s[46:47], 6, v111
	v_cmp_eq_u32_e64 s[48:49], 7, v111
	v_cndmask_b32_e64 v80, v80, v69, s[44:45]
	v_cndmask_b32_e64 v80, v80, v70, s[46:47]
	;; [unrolled: 6-line block ×5, first 2 shown]
	ds_bpermute_b32 v80, v116, v80
	s_waitcnt vmcnt(2)
	v_cmp_eq_u32_e32 vcc, 1, v91
	v_cmp_eq_u32_e64 s[6:7], 2, v91
	v_cmp_eq_u32_e64 s[8:9], 3, v91
	;; [unrolled: 1-line block ×3, first 2 shown]
	s_waitcnt lgkmcnt(0)
	v_cndmask_b32_e64 v90, v65, v80, s[64:65]
	v_cndmask_b32_e64 v87, v64, v80, s[36:37]
	;; [unrolled: 1-line block ×3, first 2 shown]
	v_cndmask_b32_e32 v64, v87, v90, vcc
	v_cndmask_b32_e64 v86, v67, v80, s[40:41]
	v_cndmask_b32_e64 v64, v64, v66, s[6:7]
	;; [unrolled: 1-line block ×6, first 2 shown]
	v_cmp_eq_u32_e64 s[12:13], 5, v91
	v_cndmask_b32_e64 v83, v70, v80, s[46:47]
	v_cmp_eq_u32_e64 s[14:15], 6, v91
	v_cndmask_b32_e64 v64, v64, v84, s[12:13]
	v_cndmask_b32_e64 v82, v71, v80, s[48:49]
	v_cndmask_b32_e64 v64, v64, v83, s[14:15]
	v_cmp_eq_u32_e64 s[16:17], 7, v91
	v_cndmask_b32_e64 v81, v72, v80, s[50:51]
	v_cmp_eq_u32_e64 s[18:19], 8, v91
	v_cndmask_b32_e64 v64, v64, v82, s[16:17]
	v_cndmask_b32_e64 v73, v73, v80, s[52:53]
	v_cndmask_b32_e64 v64, v64, v81, s[18:19]
	;; [unrolled: 6-line block ×5, first 2 shown]
	v_writelane_b32 v127, s35, 28
	v_cmp_eq_u32_e64 s[34:35], 15, v91
	scratch_load_dword v80, off, off offset:64 ; 4-byte Folded Reload
	s_waitcnt vmcnt(2)
	v_cmp_eq_u32_e64 s[72:73], 9, v115
	v_cndmask_b32_e64 v64, v64, v79, s[34:35]
	ds_bpermute_b32 v89, v116, v64
	scratch_load_dword v64, off, off offset:56 ; 4-byte Folded Reload
	s_waitcnt lgkmcnt(0)
	v_cndmask_b32_e64 v65, v79, v89, s[34:35]
	v_cndmask_b32_e64 v79, v66, v89, s[6:7]
	;; [unrolled: 1-line block ×8, first 2 shown]
	v_cndmask_b32_e32 v86, v90, v89, vcc
	v_cndmask_b32_e64 v68, v77, v89, s[78:79]
	v_cndmask_b32_e64 v77, v85, v89, s[10:11]
	v_cndmask_b32_e64 v69, v76, v89, s[76:77]
	v_cndmask_b32_e64 v72, v73, v89, s[20:21]
	v_cndmask_b32_e64 v73, v81, v89, s[18:19]
	v_cndmask_b32_e64 v76, v84, v89, s[12:13]
	s_waitcnt vmcnt(0)
	v_cmp_le_i32_e64 s[68:69], s70, v64
	scratch_load_dword v64, off, off offset:60 ; 4-byte Folded Reload
	s_nop 0
	v_cndmask_b32_e64 v66, 0, v118, s[68:69]
	v_pk_mul_f32 v[62:63], v[66:67], v[62:63] op_sel_hi:[0,1]
	v_pk_mul_f32 v[60:61], v[66:67], v[60:61] op_sel_hi:[0,1]
	;; [unrolled: 1-line block ×8, first 2 shown]
	s_waitcnt vmcnt(0)
	v_cmp_le_i32_e64 s[68:69], s70, v64
	s_nop 1
	v_cndmask_b32_e64 v64, 0, v118, s[68:69]
	v_cmp_le_i32_e64 s[68:69], s70, v80
	scratch_load_dword v80, off, off offset:68 ; 4-byte Folded Reload
	v_pk_mul_f32 v[46:47], v[64:65], v[46:47] op_sel_hi:[0,1]
	v_cndmask_b32_e64 v66, 0, v118, s[68:69]
	v_pk_mul_f32 v[16:17], v[66:67], v[16:17] op_sel_hi:[0,1]
	v_pk_mul_f32 v[96:97], v[66:67], v[26:27] op_sel_hi:[0,1]
	;; [unrolled: 1-line block ×3, first 2 shown]
	v_cndmask_b32_e64 v26, v16, v17, s[64:65]
	v_cndmask_b32_e64 v26, v26, v18, s[38:39]
	v_pk_mul_f32 v[20:21], v[66:67], v[20:21] op_sel_hi:[0,1]
	v_cndmask_b32_e64 v26, v26, v19, s[40:41]
	v_cndmask_b32_e64 v26, v26, v20, s[42:43]
	v_pk_mul_f32 v[44:45], v[64:65], v[44:45] op_sel_hi:[0,1]
	v_pk_mul_f32 v[42:43], v[64:65], v[42:43] op_sel_hi:[0,1]
	;; [unrolled: 1-line block ×7, first 2 shown]
	v_cndmask_b32_e64 v64, v48, v49, s[64:65]
	v_pk_mul_f32 v[22:23], v[66:67], v[22:23] op_sel_hi:[0,1]
	v_cndmask_b32_e64 v26, v26, v21, s[44:45]
	v_cndmask_b32_e64 v64, v64, v50, s[38:39]
	;; [unrolled: 1-line block ×4, first 2 shown]
	v_pk_mul_f32 v[24:25], v[66:67], v[24:25] op_sel_hi:[0,1]
	v_cndmask_b32_e64 v26, v26, v23, s[48:49]
	v_cndmask_b32_e64 v64, v64, v52, s[42:43]
	;; [unrolled: 1-line block ×8, first 2 shown]
	v_pk_mul_f32 v[82:83], v[66:67], v[28:29] op_sel_hi:[0,1]
	v_cndmask_b32_e64 v26, v26, v97, s[56:57]
	v_cndmask_b32_e64 v64, v64, v56, s[50:51]
	;; [unrolled: 1-line block ×4, first 2 shown]
	v_pk_mul_f32 v[30:31], v[66:67], v[30:31] op_sel_hi:[0,1]
	v_cndmask_b32_e64 v26, v26, v83, s[60:61]
	v_cndmask_b32_e64 v64, v64, v58, s[54:55]
	v_cndmask_b32_e64 v26, v26, v30, s[62:63]
	v_cndmask_b32_e64 v64, v64, v59, s[56:57]
	v_cndmask_b32_e64 v26, v26, v31, s[66:67]
	v_cndmask_b32_e64 v64, v64, v60, s[58:59]
	ds_bpermute_b32 v99, v116, v26
	v_cndmask_b32_e64 v64, v64, v61, s[60:61]
	v_cndmask_b32_e64 v64, v64, v62, s[62:63]
	;; [unrolled: 1-line block ×3, first 2 shown]
	ds_bpermute_b32 v106, v116, v64
	v_cndmask_b32_e64 v64, v32, v33, s[64:65]
	v_cndmask_b32_e64 v64, v64, v34, s[38:39]
	;; [unrolled: 1-line block ×15, first 2 shown]
	ds_bpermute_b32 v105, v116, v64
	s_waitcnt lgkmcnt(1)
	v_cndmask_b32_e64 v26, v49, v106, s[64:65]
	v_cndmask_b32_e64 v27, v63, v106, s[66:67]
	;; [unrolled: 1-line block ×4, first 2 shown]
	s_waitcnt lgkmcnt(0)
	v_cndmask_b32_e64 v63, v47, v105, s[66:67]
	v_cndmask_b32_e64 v62, v46, v105, s[62:63]
	v_cndmask_b32_e64 v29, v61, v106, s[60:61]
	v_cndmask_b32_e64 v61, v45, v105, s[60:61]
	v_cndmask_b32_e64 v90, v83, v99, s[60:61]
	v_cndmask_b32_e64 v31, v59, v106, s[56:57]
	v_cndmask_b32_e64 v59, v43, v105, s[56:57]
	v_cndmask_b32_e64 v92, v97, v99, s[56:57]
	v_cndmask_b32_e64 v41, v41, v105, s[52:53]
	v_cndmask_b32_e64 v107, v23, v99, s[48:49]
	s_waitcnt vmcnt(0)
	v_cmp_le_i32_e64 s[68:69], s70, v80
	v_cmp_eq_u32_e64 s[70:71], 7, v115
	v_cndmask_b32_e64 v93, v96, v99, s[54:55]
	v_cndmask_b32_e64 v80, 0, v118, s[68:69]
	v_pk_mul_f32 v[0:1], v[80:81], v[0:1] op_sel_hi:[0,1]
	v_pk_mul_f32 v[100:101], v[80:81], v[6:7] op_sel_hi:[0,1]
	;; [unrolled: 1-line block ×3, first 2 shown]
	v_cndmask_b32_e64 v7, v17, v99, s[64:65]
	v_cndmask_b32_e64 v17, v0, v1, s[64:65]
	;; [unrolled: 1-line block ×3, first 2 shown]
	v_pk_mul_f32 v[4:5], v[80:81], v[4:5] op_sel_hi:[0,1]
	v_cndmask_b32_e64 v17, v17, v3, s[40:41]
	v_cndmask_b32_e64 v17, v17, v4, s[42:43]
	;; [unrolled: 1-line block ×4, first 2 shown]
	v_pk_mul_f32 v[8:9], v[80:81], v[8:9] op_sel_hi:[0,1]
	v_cndmask_b32_e64 v17, v17, v101, s[48:49]
	v_cndmask_b32_e64 v17, v17, v8, s[50:51]
	v_pk_mul_f32 v[10:11], v[80:81], v[10:11] op_sel_hi:[0,1]
	v_cndmask_b32_e64 v17, v17, v9, s[52:53]
	v_cndmask_b32_e64 v17, v17, v10, s[54:55]
	;; [unrolled: 3-line block ×4, first 2 shown]
	v_cndmask_b32_e64 v17, v17, v15, s[66:67]
	ds_bpermute_b32 v98, v116, v17
	v_cmp_eq_u32_e64 s[68:69], 0, v91
	v_cndmask_b32_e64 v6, v33, v105, s[64:65]
	v_cmp_eq_u32_e64 s[64:65], 1, v115
	v_cndmask_b32_e64 v87, v87, v89, s[68:69]
	s_waitcnt lgkmcnt(0)
	v_cndmask_b32_e64 v113, v15, v98, s[66:67]
	v_cndmask_b32_e64 v17, v87, v86, s[64:65]
	v_cmp_eq_u32_e64 s[66:67], 2, v115
	v_cndmask_b32_e64 v89, v30, v99, s[62:63]
	v_cndmask_b32_e64 v118, v14, v98, s[62:63]
	;; [unrolled: 1-line block ×3, first 2 shown]
	v_cmp_eq_u32_e64 s[62:63], 3, v115
	v_cndmask_b32_e64 v119, v13, v98, s[60:61]
	v_cmp_eq_u32_e64 s[60:61], 4, v115
	v_cndmask_b32_e64 v14, v15, v78, s[62:63]
	v_cndmask_b32_e64 v30, v60, v106, s[58:59]
	;; [unrolled: 1-line block ×6, first 2 shown]
	v_cmp_eq_u32_e64 s[58:59], 5, v115
	v_cndmask_b32_e64 v121, v11, v98, s[56:57]
	v_cmp_eq_u32_e64 s[56:57], 6, v115
	v_cndmask_b32_e64 v12, v13, v76, s[58:59]
	v_cndmask_b32_e64 v33, v58, v106, s[54:55]
	;; [unrolled: 1-line block ×9, first 2 shown]
	v_cmp_eq_u32_e64 s[52:53], 8, v115
	v_cndmask_b32_e64 v124, v8, v98, s[50:51]
	v_cndmask_b32_e64 v44, v55, v106, s[48:49]
	;; [unrolled: 1-line block ×6, first 2 shown]
	v_cmp_eq_u32_e64 s[48:49], 10, v115
	v_cndmask_b32_e64 v43, v56, v106, s[50:51]
	v_cndmask_b32_e64 v64, v40, v105, s[50:51]
	;; [unrolled: 1-line block ×4, first 2 shown]
	v_cmp_eq_u32_e64 s[50:51], 11, v115
	v_cndmask_b32_e64 v45, v54, v106, s[46:47]
	v_cndmask_b32_e64 v81, v38, v105, s[46:47]
	;; [unrolled: 1-line block ×5, first 2 shown]
	v_cmp_eq_u32_e64 s[46:47], 12, v115
	v_cndmask_b32_e64 v104, v5, v98, s[44:45]
	v_cndmask_b32_e64 v46, v52, v106, s[42:43]
	;; [unrolled: 1-line block ×6, first 2 shown]
	v_cmp_eq_u32_e64 s[42:43], 13, v115
	v_cndmask_b32_e64 v101, v53, v106, s[44:45]
	v_cndmask_b32_e64 v102, v37, v105, s[44:45]
	;; [unrolled: 1-line block ×4, first 2 shown]
	v_cmp_eq_u32_e64 s[44:45], 14, v115
	v_cndmask_b32_e64 v49, v50, v106, s[38:39]
	v_cndmask_b32_e64 v84, v34, v105, s[38:39]
	;; [unrolled: 1-line block ×4, first 2 shown]
	v_cmp_ne_u32_e64 s[38:39], 0, v111
	v_cndmask_b32_e64 v97, v3, v98, s[40:41]
	v_cndmask_b32_e64 v3, v4, v67, s[44:45]
	;; [unrolled: 1-line block ×3, first 2 shown]
	v_cmp_eq_u32_e64 s[38:39], 15, v115
	v_cndmask_b32_e64 v110, v19, v99, s[40:41]
	v_cndmask_b32_e64 v19, v48, v106, s[36:37]
	;; [unrolled: 1-line block ×3, first 2 shown]
	ds_bpermute_b32 v20, v116, v1
	v_cndmask_b32_e64 v47, v51, v106, s[40:41]
	v_cndmask_b32_e64 v34, v32, v105, s[36:37]
	;; [unrolled: 1-line block ×4, first 2 shown]
	s_waitcnt lgkmcnt(0)
	v_cndmask_b32_e64 v2, v67, v20, s[44:45]
	v_cndmask_b32_e64 v67, v0, v98, s[36:37]
	v_cndmask_b32_e32 v0, v19, v26, vcc
	v_cndmask_b32_e64 v0, v0, v49, s[6:7]
	v_cndmask_b32_e64 v0, v0, v47, s[8:9]
	v_cndmask_b32_e64 v0, v0, v46, s[10:11]
	v_cndmask_b32_e64 v0, v0, v101, s[12:13]
	v_cndmask_b32_e64 v0, v0, v45, s[14:15]
	v_cndmask_b32_e64 v0, v0, v44, s[16:17]
	v_cndmask_b32_e64 v0, v0, v43, s[18:19]
	v_cndmask_b32_e64 v0, v0, v42, s[20:21]
	v_cndmask_b32_e64 v0, v0, v33, s[22:23]
	v_cndmask_b32_e64 v0, v0, v31, s[74:75]
	v_cndmask_b32_e64 v0, v0, v30, s[76:77]
	v_cndmask_b32_e64 v0, v0, v29, s[78:79]
	v_cndmask_b32_e64 v0, v0, v28, s[80:81]
	v_cndmask_b32_e64 v0, v0, v27, s[34:35]
	ds_bpermute_b32 v98, v116, v0
	v_cndmask_b32_e32 v0, v34, v6, vcc
	v_cndmask_b32_e64 v0, v0, v84, s[6:7]
	v_cndmask_b32_e64 v0, v0, v83, s[8:9]
	v_cndmask_b32_e64 v0, v0, v82, s[10:11]
	v_cndmask_b32_e64 v0, v0, v102, s[12:13]
	v_cndmask_b32_e64 v0, v0, v81, s[14:15]
	v_cndmask_b32_e64 v0, v0, v80, s[16:17]
	v_cndmask_b32_e64 v0, v0, v64, s[18:19]
	v_cndmask_b32_e64 v0, v0, v41, s[20:21]
	v_cndmask_b32_e64 v0, v0, v58, s[22:23]
	v_cndmask_b32_e64 v0, v0, v59, s[74:75]
	v_cndmask_b32_e64 v0, v0, v60, s[76:77]
	v_cndmask_b32_e64 v0, v0, v61, s[78:79]
	v_cndmask_b32_e64 v0, v0, v62, s[80:81]
	v_cndmask_b32_e64 v0, v0, v63, s[34:35]
	ds_bpermute_b32 v99, v116, v0
	v_cndmask_b32_e32 v0, v50, v7, vcc
	v_cndmask_b32_e64 v0, v0, v112, s[6:7]
	v_cndmask_b32_e64 v0, v0, v110, s[8:9]
	v_cndmask_b32_e64 v0, v0, v109, s[10:11]
	v_cndmask_b32_e64 v0, v0, v103, s[12:13]
	v_cndmask_b32_e64 v0, v0, v108, s[14:15]
	v_cndmask_b32_e64 v0, v0, v107, s[16:17]
	v_cndmask_b32_e64 v0, v0, v96, s[18:19]
	v_cndmask_b32_e64 v0, v0, v57, s[20:21]
	v_cndmask_b32_e64 v0, v0, v93, s[22:23]
	v_cndmask_b32_e64 v0, v0, v92, s[74:75]
	v_cndmask_b32_e64 v0, v0, v91, s[76:77]
	v_cndmask_b32_e64 v0, v0, v90, s[78:79]
	v_cndmask_b32_e64 v0, v0, v89, s[80:81]
	v_cndmask_b32_e64 v0, v0, v85, s[34:35]
	ds_bpermute_b32 v105, v116, v0
	v_cndmask_b32_e32 v0, v67, v66, vcc
	v_cndmask_b32_e64 v0, v0, v100, s[6:7]
	v_cndmask_b32_e64 v0, v0, v97, s[8:9]
	;; [unrolled: 1-line block ×3, first 2 shown]
	s_waitcnt lgkmcnt(0)
	v_cndmask_b32_e64 v51, v85, v105, s[34:35]
	scratch_load_dword v85, off, off offset:36 ; 4-byte Folded Reload
	v_cndmask_b32_e64 v0, v0, v104, s[12:13]
	v_cndmask_b32_e64 v0, v0, v126, s[14:15]
	;; [unrolled: 1-line block ×11, first 2 shown]
	ds_bpermute_b32 v106, v116, v0
	v_cmp_eq_u32_e64 s[36:37], 0, v115
	v_cndmask_b32_e64 v3, v68, v20, s[42:43]
	v_cndmask_b32_e64 v18, v86, v20, s[64:65]
	;; [unrolled: 1-line block ×5, first 2 shown]
	s_waitcnt lgkmcnt(0)
	v_cndmask_b32_e64 v68, v113, v106, s[34:35]
	v_cndmask_b32_e64 v48, v84, v99, s[6:7]
	scratch_load_dword v84, off, off offset:44 ; 4-byte Folded Reload
	v_cndmask_b32_e64 v17, v79, v20, s[66:67]
	v_cndmask_b32_e64 v15, v78, v20, s[62:63]
	;; [unrolled: 1-line block ×37, first 2 shown]
	v_cndmask_b32_e32 v26, v26, v98, vcc
	v_cndmask_b32_e32 v89, v66, v106, vcc
	v_cndmask_b32_e64 v34, v34, v99, s[68:69]
	v_cndmask_b32_e64 v66, v50, v105, s[68:69]
	;; [unrolled: 1-line block ×10, first 2 shown]
	scratch_load_dword v104, off, off offset:48 ; 4-byte Folded Reload
	s_waitcnt vmcnt(2)
	v_cmp_eq_u32_e64 s[34:35], 1, v85
	s_nop 1
	v_cndmask_b32_e64 v21, v0, v18, s[34:35]
	v_cmp_eq_u32_e64 s[90:91], 2, v85
	v_cmp_eq_u32_e64 s[86:87], 3, v85
	;; [unrolled: 1-line block ×3, first 2 shown]
	v_cndmask_b32_e64 v22, v21, v17, s[90:91]
	v_cndmask_b32_e64 v23, v22, v15, s[86:87]
	;; [unrolled: 1-line block ×3, first 2 shown]
	v_cmp_eq_u32_e64 s[94:95], 5, v85
	v_cndmask_b32_e64 v21, v29, v98, s[78:79]
	v_cndmask_b32_e64 v22, v30, v98, s[76:77]
	;; [unrolled: 1-line block ×4, first 2 shown]
	v_cmp_eq_u32_e64 s[22:23], 6, v85
	v_cndmask_b32_e64 v23, v31, v98, s[74:75]
	v_cmp_eq_u32_e64 s[76:77], 13, v85
	v_cndmask_b32_e64 v27, v25, v12, s[22:23]
	v_cndmask_b32_e64 v25, v42, v98, s[20:21]
	v_cmp_eq_u32_e64 s[20:21], 7, v85
	v_cndmask_b32_e64 v42, v64, v99, s[18:19]
	v_cndmask_b32_e64 v64, v112, v105, s[6:7]
	;; [unrolled: 1-line block ×4, first 2 shown]
	v_cmp_eq_u32_e64 s[18:19], 8, v85
	v_cndmask_b32_e64 v43, v80, v99, s[16:17]
	s_nop 0
	v_cndmask_b32_e64 v29, v28, v10, s[18:19]
	v_cndmask_b32_e64 v28, v44, v98, s[16:17]
	v_cmp_eq_u32_e64 s[16:17], 9, v85
	v_cndmask_b32_e64 v44, v81, v99, s[14:15]
	s_nop 0
	v_cndmask_b32_e64 v30, v29, v9, s[16:17]
	v_cndmask_b32_e64 v29, v45, v98, s[14:15]
	;; [unrolled: 5-line block ×3, first 2 shown]
	v_cmp_eq_u32_e64 s[12:13], 11, v85
	s_nop 1
	v_cndmask_b32_e64 v32, v31, v5, s[12:13]
	v_cndmask_b32_e64 v31, v46, v98, s[10:11]
	;; [unrolled: 1-line block ×3, first 2 shown]
	v_cmp_eq_u32_e64 s[10:11], 12, v85
	s_nop 1
	v_cndmask_b32_e64 v33, v32, v4, s[10:11]
	v_cndmask_b32_e64 v65, v33, v3, s[76:77]
	;; [unrolled: 1-line block ×3, first 2 shown]
	v_cmp_eq_u32_e64 s[6:7], 14, v85
	v_cndmask_b32_e32 v49, v6, v99, vcc
	v_cndmask_b32_e64 v32, v47, v98, s[8:9]
	v_cndmask_b32_e64 v80, v65, v2, s[6:7]
	v_cndmask_b32_e32 v65, v7, v105, vcc
	v_cmp_eq_u32_e32 vcc, 15, v85
	v_cndmask_b32_e64 v47, v83, v99, s[8:9]
	v_cmp_eq_u32_e64 s[8:9], 0, v85
	v_cndmask_b32_e32 v6, v80, v1, vcc
	ds_bpermute_b32 v80, v116, v6
	s_waitcnt lgkmcnt(0)
	v_cndmask_b32_e64 v6, v8, v80, s[14:15]
	v_cndmask_b32_e64 v8, v10, v80, s[18:19]
	v_cndmask_b32_e64 v10, v12, v80, s[22:23]
	v_cndmask_b32_e64 v12, v14, v80, s[82:83]
	v_cndmask_b32_e64 v14, v17, v80, s[90:91]
	v_cndmask_b32_e64 v17, v19, v98, s[68:69]
	v_cndmask_b32_e64 v7, v9, v80, s[16:17]
	v_cndmask_b32_e64 v9, v11, v80, s[20:21]
	v_cndmask_b32_e64 v11, v13, v80, s[94:95]
	v_cndmask_b32_e64 v13, v15, v80, s[86:87]
	v_cndmask_b32_e64 v15, v18, v80, s[34:35]
	v_cndmask_b32_e64 v18, v17, v26, s[64:65]
	v_cndmask_b32_e64 v18, v18, v33, s[66:67]
	v_cndmask_b32_e64 v18, v18, v32, s[62:63]
	v_cndmask_b32_e64 v18, v18, v31, s[60:61]
	v_cndmask_b32_e64 v18, v18, v30, s[58:59]
	v_cndmask_b32_e64 v18, v18, v29, s[56:57]
	v_cndmask_b32_e64 v18, v18, v28, s[70:71]
	v_cndmask_b32_e64 v18, v18, v27, s[52:53]
	v_cndmask_b32_e64 v18, v18, v25, s[72:73]
	v_cndmask_b32_e64 v18, v18, v24, s[48:49]
	v_cndmask_b32_e64 v18, v18, v23, s[50:51]
	v_cndmask_b32_e64 v18, v18, v22, s[46:47]
	v_cndmask_b32_e64 v18, v18, v21, s[42:43]
	v_cndmask_b32_e64 v18, v18, v20, s[44:45]
	v_cndmask_b32_e64 v18, v18, v16, s[38:39]
	ds_bpermute_b32 v50, v116, v18
	v_cndmask_b32_e64 v18, v34, v49, s[64:65]
	v_cndmask_b32_e64 v18, v18, v48, s[66:67]
	;; [unrolled: 1-line block ×15, first 2 shown]
	ds_bpermute_b32 v81, v116, v18
	v_cndmask_b32_e64 v18, v66, v65, s[64:65]
	v_cndmask_b32_e64 v18, v18, v64, s[66:67]
	;; [unrolled: 1-line block ×15, first 2 shown]
	ds_bpermute_b32 v82, v116, v18
	v_cndmask_b32_e64 v18, v90, v89, s[64:65]
	v_cndmask_b32_e64 v18, v18, v87, s[66:67]
	;; [unrolled: 1-line block ×4, first 2 shown]
	s_waitcnt lgkmcnt(0)
	v_cndmask_b32_e64 v67, v51, v82, s[38:39]
	scratch_load_dword v51, off, off offset:40 ; 4-byte Folded Reload
	v_cndmask_b32_e64 v18, v18, v78, s[58:59]
	v_cndmask_b32_e64 v18, v18, v77, s[56:57]
	;; [unrolled: 1-line block ×11, first 2 shown]
	ds_bpermute_b32 v83, v116, v18
	v_cndmask_b32_e64 v0, v0, v80, s[8:9]
	v_cndmask_b32_e64 v16, v16, v50, s[38:39]
	;; [unrolled: 1-line block ×4, first 2 shown]
	s_waitcnt lgkmcnt(0)
	v_cndmask_b32_e64 v91, v68, v83, s[38:39]
	v_cndmask_b32_e64 v36, v36, v81, s[44:45]
	;; [unrolled: 1-line block ×23, first 2 shown]
	v_cndmask_b32_e32 v1, v1, v80, vcc
	v_cndmask_b32_e64 v26, v26, v50, s[64:65]
	v_cndmask_b32_e64 v49, v49, v81, s[64:65]
	;; [unrolled: 1-line block ×27, first 2 shown]
	s_waitcnt vmcnt(2)
	v_cmp_eq_u32_e64 s[64:65], 9, v84
	s_waitcnt vmcnt(0)
	v_cmp_eq_u32_e64 s[40:41], 1, v51
	s_nop 1
	v_cndmask_b32_e64 v19, v0, v15, s[40:41]
	v_cmp_eq_u32_e64 s[38:39], 2, v51
	v_cmp_eq_u32_e64 s[44:45], 3, v51
	;; [unrolled: 1-line block ×3, first 2 shown]
	v_cndmask_b32_e64 v20, v19, v14, s[38:39]
	v_cndmask_b32_e64 v19, v21, v50, s[42:43]
	;; [unrolled: 1-line block ×4, first 2 shown]
	v_cmp_eq_u32_e64 s[46:47], 4, v51
	v_cmp_eq_u32_e64 s[68:69], 7, v51
	;; [unrolled: 1-line block ×3, first 2 shown]
	v_cndmask_b32_e64 v22, v21, v12, s[46:47]
	v_cndmask_b32_e64 v21, v23, v50, s[50:51]
	v_cmp_eq_u32_e64 s[50:51], 5, v51
	v_cmp_eq_u32_e64 s[78:79], 11, v51
	v_cmp_eq_u32_e64 s[80:81], 12, v51
	v_cndmask_b32_e64 v23, v22, v11, s[50:51]
	v_cndmask_b32_e64 v22, v24, v50, s[48:49]
	v_cndmask_b32_e64 v24, v23, v10, s[54:55]
	v_cndmask_b32_e64 v23, v25, v50, s[72:73]
	v_cndmask_b32_e64 v25, v24, v9, s[68:69]
	v_cmp_eq_u32_e64 s[72:73], 8, v51
	v_cndmask_b32_e64 v24, v27, v50, s[52:53]
	v_cmp_eq_u32_e64 s[84:85], 13, v51
	v_cndmask_b32_e64 v27, v25, v8, s[72:73]
	v_cndmask_b32_e64 v25, v28, v50, s[70:71]
	v_cmp_eq_u32_e64 s[70:71], 9, v51
	v_cmp_eq_u32_e64 s[88:89], 14, v51
	;; [unrolled: 1-line block ×3, first 2 shown]
	v_cndmask_b32_e64 v28, v27, v7, s[70:71]
	v_cndmask_b32_e64 v27, v29, v50, s[56:57]
	;; [unrolled: 1-line block ×12, first 2 shown]
	ds_bpermute_b32 v33, v116, v32
	v_cndmask_b32_e64 v32, v17, v50, s[36:37]
	v_cndmask_b32_e64 v17, v32, v26, s[34:35]
	;; [unrolled: 1-line block ×16, first 2 shown]
	v_cndmask_b32_e32 v17, v17, v16, vcc
	ds_bpermute_b32 v80, v116, v17
	v_cndmask_b32_e64 v17, v50, v49, s[34:35]
	v_cndmask_b32_e64 v17, v17, v48, s[90:91]
	v_cndmask_b32_e64 v17, v17, v47, s[86:87]
	v_cndmask_b32_e64 v17, v17, v46, s[82:83]
	v_cndmask_b32_e64 v17, v17, v45, s[94:95]
	v_cndmask_b32_e64 v17, v17, v44, s[22:23]
	v_cndmask_b32_e64 v17, v17, v43, s[20:21]
	v_cndmask_b32_e64 v17, v17, v42, s[18:19]
	v_cndmask_b32_e64 v17, v17, v41, s[16:17]
	v_cndmask_b32_e64 v17, v17, v40, s[14:15]
	v_cndmask_b32_e64 v17, v17, v39, s[12:13]
	v_cndmask_b32_e64 v17, v17, v38, s[10:11]
	v_cndmask_b32_e64 v17, v17, v37, s[76:77]
	v_cndmask_b32_e64 v17, v17, v36, s[6:7]
	v_cndmask_b32_e32 v17, v17, v35, vcc
	ds_bpermute_b32 v81, v116, v17
	v_cndmask_b32_e64 v17, v66, v65, s[34:35]
	v_cndmask_b32_e64 v17, v17, v64, s[90:91]
	v_cndmask_b32_e64 v17, v17, v63, s[86:87]
	v_cndmask_b32_e64 v17, v17, v78, s[82:83]
	v_cndmask_b32_e64 v17, v17, v77, s[94:95]
	v_cndmask_b32_e64 v17, v17, v76, s[22:23]
	v_cndmask_b32_e64 v17, v17, v75, s[20:21]
	v_cndmask_b32_e64 v17, v17, v74, s[18:19]
	v_cndmask_b32_e64 v17, v17, v73, s[16:17]
	v_cndmask_b32_e64 v17, v17, v72, s[14:15]
	v_cndmask_b32_e64 v17, v17, v71, s[12:13]
	v_cndmask_b32_e64 v17, v17, v70, s[10:11]
	v_cndmask_b32_e64 v17, v17, v69, s[76:77]
	v_cndmask_b32_e64 v17, v17, v68, s[6:7]
	;; [unrolled: 16-line block ×3, first 2 shown]
	v_cndmask_b32_e32 v17, v17, v91, vcc
	ds_bpermute_b32 v83, v116, v17
	v_cmp_eq_u32_e64 s[60:61], 0, v51
	s_waitcnt lgkmcnt(4)
	v_cndmask_b32_e64 v1, v1, v33, s[92:93]
	v_cndmask_b32_e64 v2, v2, v33, s[88:89]
	;; [unrolled: 1-line block ×16, first 2 shown]
	s_waitcnt lgkmcnt(3)
	v_cndmask_b32_e32 v33, v16, v80, vcc
	s_waitcnt lgkmcnt(2)
	v_cndmask_b32_e32 v51, v35, v81, vcc
	;; [unrolled: 2-line block ×4, first 2 shown]
	v_cmp_eq_u32_e32 vcc, 1, v84
	v_cndmask_b32_e64 v34, v18, v80, s[6:7]
	v_cndmask_b32_e64 v52, v36, v81, s[6:7]
	v_cndmask_b32_e32 v16, v0, v15, vcc
	v_cndmask_b32_e64 v68, v68, v82, s[6:7]
	v_cndmask_b32_e64 v92, v92, v83, s[6:7]
	v_cmp_eq_u32_e64 s[6:7], 2, v84
	v_cmp_eq_u32_e64 s[36:37], 3, v84
	;; [unrolled: 1-line block ×3, first 2 shown]
	v_cndmask_b32_e64 v16, v16, v14, s[6:7]
	v_cndmask_b32_e64 v16, v16, v13, s[36:37]
	;; [unrolled: 1-line block ×3, first 2 shown]
	v_cmp_eq_u32_e64 s[52:53], 5, v84
	v_cmp_eq_u32_e64 s[56:57], 6, v84
	;; [unrolled: 1-line block ×3, first 2 shown]
	v_cndmask_b32_e64 v16, v16, v11, s[52:53]
	v_cndmask_b32_e64 v16, v16, v10, s[56:57]
	;; [unrolled: 1-line block ×3, first 2 shown]
	v_cmp_eq_u32_e64 s[62:63], 8, v84
	v_cndmask_b32_e64 v35, v19, v80, s[76:77]
	v_cndmask_b32_e64 v53, v37, v81, s[76:77]
	;; [unrolled: 1-line block ×6, first 2 shown]
	v_cmp_eq_u32_e64 s[76:77], 10, v84
	v_cmp_eq_u32_e64 s[66:67], 11, v84
	v_cndmask_b32_e64 v29, v29, v80, s[82:83]
	v_cndmask_b32_e64 v16, v16, v6, s[76:77]
	;; [unrolled: 1-line block ×6, first 2 shown]
	v_cmp_eq_u32_e64 s[82:83], 12, v84
	v_cndmask_b32_e64 v30, v30, v80, s[86:87]
	v_cndmask_b32_e64 v47, v47, v81, s[86:87]
	v_cndmask_b32_e64 v16, v16, v4, s[82:83]
	v_cndmask_b32_e64 v63, v63, v82, s[86:87]
	v_cndmask_b32_e64 v107, v86, v83, s[86:87]
	v_cmp_eq_u32_e64 s[86:87], 13, v84
	v_cndmask_b32_e64 v31, v31, v80, s[90:91]
	v_cndmask_b32_e64 v48, v48, v81, s[90:91]
	v_cndmask_b32_e64 v16, v16, v3, s[86:87]
	v_cndmask_b32_e64 v79, v64, v82, s[90:91]
	v_cndmask_b32_e64 v108, v87, v83, s[90:91]
	;; [unrolled: 6-line block ×3, first 2 shown]
	v_cmp_eq_u32_e64 s[94:95], 15, v84
	v_cndmask_b32_e64 v58, v42, v81, s[18:19]
	v_cndmask_b32_e64 v42, v26, v80, s[34:35]
	;; [unrolled: 1-line block ×3, first 2 shown]
	ds_bpermute_b32 v26, v116, v16
	v_cndmask_b32_e64 v32, v32, v80, s[8:9]
	v_cndmask_b32_e64 v27, v27, v80, s[22:23]
	;; [unrolled: 1-line block ×4, first 2 shown]
	s_waitcnt lgkmcnt(0)
	v_cndmask_b32_e64 v16, v3, v26, s[86:87]
	v_cndmask_b32_e64 v3, v32, v42, s[40:41]
	;; [unrolled: 1-line block ×26, first 2 shown]
	ds_bpermute_b32 v98, v116, v3
	v_cndmask_b32_e64 v3, v50, v49, s[40:41]
	v_cndmask_b32_e64 v3, v3, v48, s[38:39]
	;; [unrolled: 1-line block ×19, first 2 shown]
	ds_bpermute_b32 v99, v116, v3
	v_cndmask_b32_e64 v3, v87, v86, s[40:41]
	v_cndmask_b32_e64 v3, v3, v79, s[38:39]
	;; [unrolled: 1-line block ×24, first 2 shown]
	ds_bpermute_b32 v102, v116, v3
	v_cndmask_b32_e64 v3, v110, v109, s[40:41]
	v_cndmask_b32_e64 v3, v3, v108, s[38:39]
	;; [unrolled: 1-line block ×18, first 2 shown]
	v_cmp_eq_u32_e64 s[42:43], 0, v84
	v_cndmask_b32_e64 v3, v3, v118, s[80:81]
	v_cndmask_b32_e64 v1, v1, v26, s[94:95]
	;; [unrolled: 1-line block ×14, first 2 shown]
	v_cndmask_b32_e32 v15, v15, v26, vcc
	v_cndmask_b32_e64 v3, v3, v93, s[84:85]
	v_cndmask_b32_e64 v26, v0, v26, s[42:43]
	v_cmp_eq_u32_e64 s[8:9], 1, v104
	v_cndmask_b32_e64 v3, v3, v92, s[88:89]
	v_cmp_eq_u32_e64 s[10:11], 2, v104
	v_cndmask_b32_e64 v0, v26, v15, s[8:9]
	v_cndmask_b32_e64 v3, v3, v91, s[92:93]
	;; [unrolled: 1-line block ×3, first 2 shown]
	v_cmp_eq_u32_e64 s[12:13], 3, v104
	ds_bpermute_b32 v103, v116, v3
	v_cmp_eq_u32_e64 s[14:15], 4, v104
	v_cndmask_b32_e64 v0, v0, v13, s[12:13]
	v_cmp_eq_u32_e64 s[16:17], 5, v104
	v_cndmask_b32_e64 v0, v0, v12, s[14:15]
	v_cmp_eq_u32_e64 s[18:19], 6, v104
	v_cndmask_b32_e64 v0, v0, v24, s[16:17]
	v_cmp_eq_u32_e64 s[20:21], 7, v104
	v_cndmask_b32_e64 v0, v0, v23, s[18:19]
	v_cmp_eq_u32_e64 s[22:23], 8, v104
	v_cndmask_b32_e64 v0, v0, v22, s[20:21]
	s_waitcnt lgkmcnt(1)
	v_cndmask_b32_e64 v89, v67, v102, s[92:93]
	s_waitcnt lgkmcnt(0)
	v_cndmask_b32_e64 v96, v119, v103, s[78:79]
	v_cndmask_b32_e64 v46, v39, v98, s[70:71]
	;; [unrolled: 1-line block ×6, first 2 shown]
	v_cmp_eq_u32_e64 s[70:71], 9, v104
	v_cndmask_b32_e64 v64, v54, v99, s[80:81]
	v_cndmask_b32_e64 v80, v120, v103, s[74:75]
	;; [unrolled: 1-line block ×7, first 2 shown]
	v_cmp_eq_u32_e64 s[72:73], 10, v104
	v_cndmask_b32_e64 v113, v118, v103, s[80:81]
	v_cndmask_b32_e64 v45, v38, v98, s[74:75]
	;; [unrolled: 1-line block ×5, first 2 shown]
	v_cmp_eq_u32_e64 s[74:75], 11, v104
	v_cndmask_b32_e64 v112, v93, v103, s[84:85]
	v_cndmask_b32_e64 v44, v37, v98, s[78:79]
	;; [unrolled: 1-line block ×5, first 2 shown]
	v_cmp_eq_u32_e64 s[78:79], 12, v104
	v_cmp_eq_u32_e64 s[34:35], 13, v104
	v_cndmask_b32_e64 v84, v91, v103, s[92:93]
	v_cndmask_b32_e64 v0, v0, v17, s[78:79]
	;; [unrolled: 1-line block ×9, first 2 shown]
	v_cmp_eq_u32_e64 s[38:39], 14, v104
	v_cndmask_b32_e64 v94, v29, v98, s[46:47]
	v_cndmask_b32_e64 v97, v62, v99, s[46:47]
	;; [unrolled: 1-line block ×5, first 2 shown]
	v_cmp_eq_u32_e64 s[46:47], 15, v104
	v_cndmask_b32_e64 v56, v27, v98, s[54:55]
	v_cndmask_b32_e64 v33, v33, v98, s[92:93]
	;; [unrolled: 1-line block ×3, first 2 shown]
	ds_bpermute_b32 v27, v116, v0
	v_cndmask_b32_e64 v34, v34, v98, s[88:89]
	v_cndmask_b32_e64 v35, v35, v98, s[84:85]
	;; [unrolled: 1-line block ×7, first 2 shown]
	s_waitcnt lgkmcnt(0)
	v_cndmask_b32_e64 v0, v12, v27, s[14:15]
	v_cndmask_b32_e64 v12, v32, v98, s[60:61]
	scratch_load_dword v98, off, off offset:52 ; 4-byte Folded Reload
	v_cndmask_b32_e64 v11, v17, v27, s[78:79]
	v_cndmask_b32_e64 v17, v18, v27, s[74:75]
	;; [unrolled: 1-line block ×8, first 2 shown]
	v_cndmask_b32_e32 v24, v12, v3, vcc
	v_cndmask_b32_e64 v24, v24, v73, s[6:7]
	v_cndmask_b32_e64 v24, v24, v126, s[36:37]
	v_cndmask_b32_e64 v24, v24, v94, s[48:49]
	v_cndmask_b32_e64 v24, v24, v57, s[52:53]
	v_cndmask_b32_e64 v24, v24, v56, s[56:57]
	v_cndmask_b32_e64 v24, v24, v55, s[58:59]
	v_cndmask_b32_e64 v24, v24, v54, s[62:63]
	v_cndmask_b32_e64 v24, v24, v46, s[64:65]
	v_cndmask_b32_e64 v24, v24, v45, s[76:77]
	v_cndmask_b32_e64 v24, v24, v44, s[66:67]
	v_cndmask_b32_e64 v24, v24, v43, s[82:83]
	v_cndmask_b32_e64 v24, v24, v35, s[86:87]
	v_cndmask_b32_e64 v24, v24, v34, s[90:91]
	v_cndmask_b32_e64 v4, v49, v99, s[40:41]
	v_cndmask_b32_e64 v8, v1, v27, s[46:47]
	v_cndmask_b32_e64 v1, v13, v27, s[12:13]
	v_cndmask_b32_e64 v13, v50, v99, s[60:61]
	v_cndmask_b32_e64 v24, v24, v33, s[94:95]
	ds_bpermute_b32 v29, v116, v24
	v_cndmask_b32_e32 v24, v13, v4, vcc
	v_cndmask_b32_e64 v90, v68, v102, s[88:89]
	v_cndmask_b32_e64 v68, v59, v99, s[68:69]
	;; [unrolled: 1-line block ×27, first 2 shown]
	ds_bpermute_b32 v30, v116, v24
	v_cndmask_b32_e32 v24, v15, v5, vcc
	v_cndmask_b32_e64 v63, v63, v102, s[44:45]
	v_cndmask_b32_e64 v24, v24, v14, s[6:7]
	;; [unrolled: 1-line block ×21, first 2 shown]
	ds_bpermute_b32 v62, v116, v24
	v_cndmask_b32_e32 v24, v28, v7, vcc
	v_cndmask_b32_e64 v71, v107, v103, s[44:45]
	v_cndmask_b32_e64 v24, v24, v6, s[6:7]
	;; [unrolled: 1-line block ×17, first 2 shown]
	v_cmp_eq_u32_e64 s[40:41], 0, v104
	ds_bpermute_b32 v75, v116, v24
	s_waitcnt vmcnt(0)
	v_cmp_eq_u32_e64 s[44:45], 1, v98
	v_cndmask_b32_e64 v24, v26, v27, s[40:41]
	v_cndmask_b32_e64 v9, v2, v27, s[38:39]
	;; [unrolled: 1-line block ×3, first 2 shown]
	s_waitcnt lgkmcnt(3)
	v_cndmask_b32_e64 v31, v33, v29, s[94:95]
	v_cndmask_b32_e64 v33, v24, v16, s[44:45]
	v_cmp_eq_u32_e64 s[50:51], 2, v98
	v_cndmask_b32_e64 v47, v34, v29, s[90:91]
	v_cmp_eq_u32_e64 s[54:55], 3, v98
	v_cndmask_b32_e64 v34, v33, v2, s[50:51]
	v_cndmask_b32_e64 v61, v35, v29, s[86:87]
	;; [unrolled: 1-line block ×3, first 2 shown]
	v_cmp_eq_u32_e64 s[60:61], 4, v98
	s_waitcnt lgkmcnt(2)
	v_cndmask_b32_e64 v26, v51, v30, s[94:95]
	v_cndmask_b32_e64 v74, v44, v29, s[66:67]
	;; [unrolled: 1-line block ×4, first 2 shown]
	s_waitcnt lgkmcnt(1)
	v_cndmask_b32_e64 v35, v93, v62, s[66:67]
	s_waitcnt lgkmcnt(0)
	v_cndmask_b32_e64 v51, v96, v75, s[66:67]
	v_cmp_eq_u32_e64 s[66:67], 5, v98
	v_cmp_eq_u32_e64 s[68:69], 6, v98
	v_cndmask_b32_e64 v37, v53, v30, s[86:87]
	v_cndmask_b32_e64 v41, v40, v23, s[66:67]
	;; [unrolled: 1-line block ×7, first 2 shown]
	v_cmp_eq_u32_e64 s[64:65], 7, v98
	v_cndmask_b32_e64 v72, v43, v29, s[82:83]
	v_cndmask_b32_e64 v40, v66, v30, s[76:77]
	;; [unrolled: 1-line block ×7, first 2 shown]
	v_cmp_eq_u32_e64 s[62:63], 8, v98
	v_cndmask_b32_e64 v86, v55, v29, s[58:59]
	v_cndmask_b32_e64 v55, v121, v62, s[58:59]
	v_cndmask_b32_e64 v44, v43, v20, s[62:63]
	v_cndmask_b32_e64 v43, v68, v30, s[58:59]
	v_cndmask_b32_e64 v67, v83, v75, s[58:59]
	v_cmp_eq_u32_e64 s[58:59], 9, v98
	v_cndmask_b32_e64 v76, v45, v29, s[76:77]
	v_cndmask_b32_e64 v87, v56, v29, s[56:57]
	v_cndmask_b32_e64 v45, v44, v19, s[58:59]
	v_cndmask_b32_e64 v44, v69, v30, s[56:57]
	v_cndmask_b32_e64 v56, v122, v62, s[56:57]
	v_cndmask_b32_e64 v68, v124, v75, s[56:57]
	v_cmp_eq_u32_e64 s[56:57], 10, v98
	v_cndmask_b32_e64 v27, v89, v62, s[94:95]
	;; [unrolled: 7-line block ×3, first 2 shown]
	v_cndmask_b32_e64 v64, v80, v75, s[76:77]
	v_cndmask_b32_e64 v79, v46, v17, s[52:53]
	;; [unrolled: 1-line block ×6, first 2 shown]
	v_cmp_eq_u32_e64 s[48:49], 12, v98
	v_cndmask_b32_e64 v81, v126, v29, s[36:37]
	v_cndmask_b32_e64 v71, v71, v75, s[36:37]
	v_cndmask_b32_e64 v82, v79, v11, s[48:49]
	v_cndmask_b32_e64 v79, v59, v30, s[36:37]
	v_cndmask_b32_e64 v59, v63, v62, s[36:37]
	v_cmp_eq_u32_e64 s[36:37], 13, v98
	v_cndmask_b32_e64 v83, v73, v29, s[6:7]
	v_cndmask_b32_e64 v60, v60, v30, s[6:7]
	;; [unrolled: 1-line block ×5, first 2 shown]
	v_cmp_eq_u32_e64 s[6:7], 14, v98
	v_cndmask_b32_e64 v25, v84, v75, s[94:95]
	v_cndmask_b32_e64 v32, v90, v62, s[90:91]
	;; [unrolled: 1-line block ×4, first 2 shown]
	v_cndmask_b32_e32 v82, v3, v29, vcc
	v_cndmask_b32_e32 v84, v4, v30, vcc
	;; [unrolled: 1-line block ×4, first 2 shown]
	v_cmp_eq_u32_e32 vcc, 15, v98
	v_cndmask_b32_e64 v29, v12, v29, s[42:43]
	v_cndmask_b32_e64 v33, v91, v62, s[86:87]
	v_cndmask_b32_e32 v3, v6, v8, vcc
	ds_bpermute_b32 v91, v116, v3
	v_cndmask_b32_e64 v3, v29, v82, s[8:9]
	v_cndmask_b32_e64 v3, v3, v83, s[10:11]
	;; [unrolled: 1-line block ×25, first 2 shown]
	s_waitcnt lgkmcnt(0)
	v_cndmask_b32_e64 v12, v11, v91, s[48:49]
	v_cndmask_b32_e64 v11, v17, v91, s[52:53]
	ds_bpermute_b32 v17, v116, v3
	v_cndmask_b32_e64 v28, v28, v58, s[14:15]
	v_cndmask_b32_e64 v28, v28, v57, s[16:17]
	;; [unrolled: 1-line block ×6, first 2 shown]
	v_cndmask_b32_e32 v15, v8, v91, vcc
	v_cndmask_b32_e64 v14, v9, v91, s[6:7]
	v_cndmask_b32_e64 v13, v10, v91, s[36:37]
	;; [unrolled: 1-line block ×10, first 2 shown]
	s_waitcnt lgkmcnt(0)
	v_cndmask_b32_e64 v16, v31, v17, s[46:47]
	v_cndmask_b32_e64 v18, v47, v17, s[38:39]
	;; [unrolled: 1-line block ×39, first 2 shown]
	ds_bpermute_b32 v82, v116, v28
	v_cndmask_b32_e64 v28, v75, v90, s[8:9]
	v_cndmask_b32_e64 v0, v0, v47, s[62:63]
	;; [unrolled: 1-line block ×22, first 2 shown]
	ds_bpermute_b32 v17, v116, v17
	v_cndmask_b32_e64 v28, v28, v65, s[70:71]
	v_cndmask_b32_e32 v0, v0, v16, vcc
	v_cndmask_b32_e64 v28, v28, v64, s[72:73]
	ds_bpermute_b32 v86, v116, v0
	v_cndmask_b32_e64 v28, v28, v51, s[74:75]
	v_cndmask_b32_e64 v28, v28, v50, s[78:79]
	;; [unrolled: 1-line block ×4, first 2 shown]
	s_waitcnt lgkmcnt(1)
	v_cndmask_b32_e64 v84, v84, v17, s[8:9]
	v_cndmask_b32_e64 v92, v92, v17, s[40:41]
	;; [unrolled: 1-line block ×3, first 2 shown]
	s_waitcnt lgkmcnt(0)
	v_cndmask_b32_e32 v31, v16, v86, vcc
	v_cndmask_b32_e64 v60, v60, v17, s[10:11]
	v_cndmask_b32_e64 v16, v92, v84, s[44:45]
	ds_bpermute_b32 v83, v116, v28
	v_cmp_eq_u32_e64 s[42:43], 0, v98
	v_cndmask_b32_e64 v79, v79, v17, s[12:13]
	v_cndmask_b32_e64 v16, v16, v60, s[50:51]
	;; [unrolled: 1-line block ×20, first 2 shown]
	s_waitcnt lgkmcnt(0)
	v_cndmask_b32_e64 v93, v25, v83, s[46:47]
	v_cndmask_b32_e64 v25, v23, v86, s[58:59]
	;; [unrolled: 1-line block ×18, first 2 shown]
	v_cndmask_b32_e32 v16, v16, v87, vcc
	ds_bpermute_b32 v94, v116, v16
	v_cndmask_b32_e64 v30, v18, v86, s[6:7]
	v_cndmask_b32_e64 v29, v19, v86, s[36:37]
	;; [unrolled: 1-line block ×7, first 2 shown]
	s_waitcnt lgkmcnt(0)
	v_cndmask_b32_e64 v45, v37, v94, s[36:37]
	v_cndmask_b32_e64 v44, v38, v94, s[48:49]
	;; [unrolled: 1-line block ×37, first 2 shown]
	v_cndmask_b32_e32 v32, v32, v89, vcc
	v_cndmask_b32_e32 v47, v87, v94, vcc
	v_cndmask_b32_e64 v46, v36, v94, s[6:7]
	v_cndmask_b32_e64 v41, v41, v94, s[58:59]
	;; [unrolled: 1-line block ×3, first 2 shown]
	ds_bpermute_b32 v87, v116, v32
	v_cndmask_b32_e64 v35, v79, v94, s[54:55]
	v_cndmask_b32_e64 v34, v60, v94, s[50:51]
	;; [unrolled: 1-line block ×4, first 2 shown]
	scratch_load_dwordx2 v[98:99], off, off ; 8-byte Folded Reload
	scratch_load_dword v94, off, off offset:16 ; 4-byte Folded Reload
	scratch_load_dword v96, off, off offset:20 ; 4-byte Folded Reload
	;; [unrolled: 1-line block ×3, first 2 shown]
	s_waitcnt lgkmcnt(0)
	v_cndmask_b32_e32 v63, v89, v87, vcc
	v_cndmask_b32_e64 v62, v61, v87, s[6:7]
	v_cndmask_b32_e64 v61, v72, v87, s[36:37]
	;; [unrolled: 1-line block ×35, first 2 shown]
	v_cndmask_b32_e32 v48, v48, v93, vcc
	ds_bpermute_b32 v92, v116, v48
	v_cndmask_b32_e64 v57, v53, v87, s[58:59]
	v_cndmask_b32_e64 v53, v78, v87, s[66:67]
	v_readlane_b32 s80, v127, 23
	v_cndmask_b32_e64 v56, v54, v87, s[62:63]
	s_waitcnt lgkmcnt(0)
	v_cndmask_b32_e64 v78, v72, v92, s[6:7]
	v_readlane_b32 s6, v127, 27
	v_cndmask_b32_e64 v54, v77, v87, s[68:69]
	v_cndmask_b32_e64 v48, v82, v87, s[42:43]
	;; [unrolled: 1-line block ×5, first 2 shown]
	v_readlane_b32 s7, v127, 28
	v_readlane_b32 s34, v127, 10
	;; [unrolled: 1-line block ×4, first 2 shown]
	s_mov_b32 s76, 0
	s_max_i32 s77, s80, 0
	v_cndmask_b32_e64 v55, v55, v87, s[64:65]
	v_cndmask_b32_e64 v51, v81, v87, s[54:55]
	v_cndmask_b32_e64 v50, v86, v87, s[50:51]
	v_cndmask_b32_e64 v49, v85, v87, s[44:45]
	v_cndmask_b32_e32 v79, v93, v92, vcc
	v_cndmask_b32_e64 v76, v76, v92, s[48:49]
	v_cndmask_b32_e64 v75, v80, v92, s[52:53]
	v_cndmask_b32_e64 v73, v65, v92, s[58:59]
	v_cndmask_b32_e64 v72, v66, v92, s[62:63]
	v_cndmask_b32_e64 v71, v67, v92, s[64:65]
	v_cndmask_b32_e64 v70, v68, v92, s[68:69]
	v_cndmask_b32_e64 v69, v69, v92, s[66:67]
	v_cndmask_b32_e64 v68, v84, v92, s[60:61]
	v_cndmask_b32_e64 v67, v89, v92, s[54:55]
	v_cndmask_b32_e64 v66, v91, v92, s[50:51]
	v_cndmask_b32_e64 v65, v90, v92, s[44:45]
	s_mov_b32 s12, 0
	v_readlane_b32 s35, v127, 11
	v_readlane_b32 s37, v127, 13
	;; [unrolled: 1-line block ×6, first 2 shown]
	s_waitcnt vmcnt(3)
	v_lshl_add_u64 v[86:87], s[6:7], 0, v[98:99]
	s_mov_b64 s[6:7], 0
	v_readlane_b32 s41, v127, 19
	v_readlane_b32 s44, v127, 20
	;; [unrolled: 1-line block ×5, first 2 shown]
                                        ; implicit-def: $sgpr8_sgpr9
	s_branch .LBB116_34
.LBB116_33:                             ;   in Loop: Header=BB116_34 Depth=2
	s_or_b64 exec, exec, s[10:11]
	s_and_b64 s[10:11], exec, s[8:9]
	s_or_b64 s[6:7], s[10:11], s[6:7]
	s_andn2_b64 exec, exec, s[6:7]
	s_cbranch_execz .LBB116_36
.LBB116_34:                             ;   Parent Loop BB116_7 Depth=1
                                        ; =>  This Inner Loop Header: Depth=2
	s_and_b32 s10, s12, 2
	s_and_b32 s11, s76, 24
	s_or_b32 s10, s11, s10
	s_waitcnt vmcnt(0)
	v_or_b32_e32 v80, s10, v97
	v_add_u32_e32 v81, s77, v80
	v_cmp_gt_u32_e32 vcc, 32, v81
	s_or_b64 s[8:9], s[8:9], exec
	s_and_saveexec_b64 s[10:11], vcc
	s_cbranch_execz .LBB116_33
; %bb.35:                               ;   in Loop: Header=BB116_34 Depth=2
	s_add_i32 s13, s12, 1
	s_set_gpr_idx_on s12, gpr_idx(SRC0)
	v_mov_b32_e32 v81, v0
	s_set_gpr_idx_off
	v_cvt_f16_f32_e32 v82, v81
	s_set_gpr_idx_on s13, gpr_idx(SRC0)
	v_mov_b32_e32 v81, v0
	s_set_gpr_idx_off
	v_cvt_f16_f32_sdwa v83, v81 dst_sel:WORD_1 dst_unused:UNUSED_PAD src0_sel:DWORD
	v_mul_lo_u32 v80, v80, s25
	v_ashrrev_i32_e32 v81, 31, v80
	v_lshl_add_u64 v[80:81], v[80:81], 1, v[86:87]
	v_or_b32_e32 v82, v83, v82
	;;#ASMSTART
	global_atomic_pk_add_f16 v[80:81], v82, off
	
	;;#ASMEND
	s_set_gpr_idx_on s12, gpr_idx(SRC0)
	v_mov_b32_e32 v82, v16
	s_set_gpr_idx_off
	v_cvt_f16_f32_e32 v84, v82
	s_set_gpr_idx_on s13, gpr_idx(SRC0)
	v_mov_b32_e32 v82, v16
	s_set_gpr_idx_off
	v_cvt_f16_f32_sdwa v85, v82 dst_sel:WORD_1 dst_unused:UNUSED_PAD src0_sel:DWORD
	v_lshl_add_u64 v[82:83], v[80:81], 0, 64
	s_mov_b64 s[14:15], 0x80
	s_add_i32 s76, s76, 4
	v_or_b32_e32 v84, v85, v84
	;;#ASMSTART
	global_atomic_pk_add_f16 v[82:83], v84, off
	
	;;#ASMEND
	s_set_gpr_idx_on s12, gpr_idx(SRC0)
	v_mov_b32_e32 v82, v32
	s_set_gpr_idx_off
	v_cvt_f16_f32_e32 v84, v82
	s_set_gpr_idx_on s13, gpr_idx(SRC0)
	v_mov_b32_e32 v82, v32
	s_set_gpr_idx_off
	v_cvt_f16_f32_sdwa v85, v82 dst_sel:WORD_1 dst_unused:UNUSED_PAD src0_sel:DWORD
	v_lshl_add_u64 v[82:83], v[80:81], 0, s[14:15]
	s_mov_b64 s[14:15], 0xc0
	v_or_b32_e32 v84, v85, v84
	;;#ASMSTART
	global_atomic_pk_add_f16 v[82:83], v84, off
	
	;;#ASMEND
	s_set_gpr_idx_on s12, gpr_idx(SRC0)
	v_mov_b32_e32 v82, v48
	s_set_gpr_idx_off
	v_cvt_f16_f32_e32 v84, v82
	s_set_gpr_idx_on s13, gpr_idx(SRC0)
	v_mov_b32_e32 v82, v48
	s_set_gpr_idx_off
	v_cvt_f16_f32_sdwa v85, v82 dst_sel:WORD_1 dst_unused:UNUSED_PAD src0_sel:DWORD
	v_lshl_add_u64 v[82:83], v[80:81], 0, s[14:15]
	s_mov_b64 s[14:15], 0x100
	v_lshl_add_u64 v[80:81], v[80:81], 0, s[14:15]
	v_or_b32_e32 v84, v85, v84
	;;#ASMSTART
	global_atomic_pk_add_f16 v[82:83], v84, off
	
	;;#ASMEND
	s_set_gpr_idx_on s12, gpr_idx(SRC0)
	v_mov_b32_e32 v82, v64
	s_set_gpr_idx_off
	v_cvt_f16_f32_e32 v82, v82
	s_set_gpr_idx_on s13, gpr_idx(SRC0)
	v_mov_b32_e32 v83, v64
	s_set_gpr_idx_off
	s_add_i32 s12, s12, 2
	v_cvt_f16_f32_sdwa v83, v83 dst_sel:WORD_1 dst_unused:UNUSED_PAD src0_sel:DWORD
	s_cmp_eq_u32 s12, 16
	s_cselect_b64 s[14:15], -1, 0
	s_andn2_b64 s[8:9], s[8:9], exec
	s_and_b64 s[14:15], s[14:15], exec
	s_or_b64 s[8:9], s[8:9], s[14:15]
	v_or_b32_e32 v82, v83, v82
	;;#ASMSTART
	global_atomic_pk_add_f16 v[80:81], v82, off
	
	;;#ASMEND
	s_branch .LBB116_33
.LBB116_36:                             ;   in Loop: Header=BB116_7 Depth=1
	s_or_b64 exec, exec, s[6:7]
	scratch_load_dword v13, off, off offset:8 ; 4-byte Folded Reload
	scratch_load_dwordx2 v[14:15], off, off offset:72 ; 8-byte Folded Reload
	scratch_load_dword v16, off, off offset:88 ; 4-byte Folded Reload
	scratch_load_dword v17, off, off offset:92 ; 4-byte Folded Reload
	;; [unrolled: 1-line block ×3, first 2 shown]
	v_readlane_b32 s16, v127, 2
	v_readlane_b32 s14, v127, 0
	;; [unrolled: 1-line block ×12, first 2 shown]
.LBB116_37:                             ;   in Loop: Header=BB116_7 Depth=1
	s_or_b64 exec, exec, s[0:1]
.LBB116_38:                             ;   in Loop: Header=BB116_7 Depth=1
	s_andn2_saveexec_b64 s[0:1], s[4:5]
	s_cbranch_execz .LBB116_47
; %bb.39:                               ;   in Loop: Header=BB116_7 Depth=1
	s_mul_i32 s12, s33, 5
	v_cmp_gt_i32_e32 vcc, s12, v117
	s_and_saveexec_b64 s[4:5], vcc
	s_cbranch_execz .LBB116_46
; %bb.40:                               ;   in Loop: Header=BB116_7 Depth=1
	scratch_load_dwordx2 v[0:1], off, off offset:80 ; 8-byte Folded Reload
	s_mul_i32 s6, s72, s27
	s_ashr_i32 s7, s6, 31
	s_add_u32 s6, s18, s6
	s_addc_u32 s7, s19, s7
	s_ashr_i32 s8, s47, 31
	s_add_u32 s6, s6, s47
	s_addc_u32 s7, s7, s8
	s_waitcnt vmcnt(0)
	v_lshl_add_u64 v[0:1], s[6:7], 0, v[0:1]
	v_lshl_add_u64 v[8:9], v[0:1], 0, v[14:15]
	s_mov_b64 s[6:7], 0
	s_branch .LBB116_42
.LBB116_41:                             ;   in Loop: Header=BB116_42 Depth=2
	s_or_b64 exec, exec, s[8:9]
	v_lshl_or_b32 v12, v10, 11, v16
	;;#ASMSTART
	s_waitcnt vmcnt(1)
	;;#ASMEND
	ds_write2_b32 v12, v4, v5 offset1:32
	ds_write2_b32 v12, v6, v7 offset0:64 offset1:96
	v_add_u32_e32 v4, 0x400, v12
	v_add_u32_e32 v117, s30, v117
	;;#ASMSTART
	s_waitcnt vmcnt(0)
	;;#ASMEND
	ds_write2_b32 v4, v0, v1 offset1:32
	ds_write2_b32 v4, v2, v3 offset0:64 offset1:96
	v_add_u32_e32 v0, 1, v95
	v_add_u32_e32 v88, s30, v10
	v_cmp_le_i32_e32 vcc, s12, v117
	ds_write_b32 v11, v0 offset:4
	v_add_u32_e32 v0, 2, v95
	s_or_b64 s[6:7], vcc, s[6:7]
	v_cmp_lt_i32_e32 vcc, 4, v88
	s_nop 1
	v_cndmask_b32_e32 v95, v95, v0, vcc
	s_andn2_b64 exec, exec, s[6:7]
	s_cbranch_execz .LBB116_45
.LBB116_42:                             ;   Parent Loop BB116_7 Depth=1
                                        ; =>  This Loop Header: Depth=2
                                        ;       Child Loop BB116_44 Depth 3
	v_cmp_gt_i32_e32 vcc, 5, v88
	s_mov_b32 s8, 0x66666667
	s_nop 0
	v_cndmask_b32_e64 v0, -5, 0, vcc
	v_add_u32_e32 v10, v0, v88
	v_mul_hi_i32 v0, v117, s8
	v_lshrrev_b32_e32 v1, 31, v0
	v_ashrrev_i32_e32 v0, 1, v0
	v_add_u32_e32 v0, v0, v1
	v_lshl_add_u32 v1, v0, 2, v0
	v_sub_u32_e32 v2, v117, v1
	v_lshlrev_b32_e32 v0, 6, v0
	v_ashrrev_i32_e32 v1, 31, v0
	v_mul_lo_u32 v2, s98, v2
	v_lshl_add_u64 v[0:1], v[8:9], 0, v[0:1]
	v_ashrrev_i32_e32 v3, 31, v2
	v_lshl_add_u64 v[0:1], v[0:1], 0, v[2:3]
	v_lshlrev_b32_e32 v11, 2, v10
	;;#ASMSTART
	global_load_dwordx4 v[4:7], v[0:1], off offset:0   sc0 sc1 nt  
	global_load_dwordx4 v[0:3], v[0:1], off offset:32  sc0 sc1 nt  
	
	;;#ASMEND
	ds_read_b32 v12, v11 offset:12292
	v_add_u32_e32 v11, 0x3000, v11
	s_waitcnt lgkmcnt(0)
	v_cmp_ne_u32_e32 vcc, v12, v95
	s_and_saveexec_b64 s[8:9], vcc
	s_cbranch_execz .LBB116_41
; %bb.43:                               ;   in Loop: Header=BB116_42 Depth=2
	s_mov_b64 s[10:11], 0
.LBB116_44:                             ;   Parent Loop BB116_7 Depth=1
                                        ;     Parent Loop BB116_42 Depth=2
                                        ; =>    This Inner Loop Header: Depth=3
	;;#ASMSTART
	s_sleep 0
	;;#ASMEND
	ds_read_b32 v12, v11 offset:4
	s_waitcnt lgkmcnt(0)
	v_cmp_eq_u32_e32 vcc, v12, v95
	s_or_b64 s[10:11], vcc, s[10:11]
	s_andn2_b64 exec, exec, s[10:11]
	s_cbranch_execnz .LBB116_44
	s_branch .LBB116_41
.LBB116_45:                             ;   in Loop: Header=BB116_7 Depth=1
	s_or_b64 exec, exec, s[6:7]
.LBB116_46:                             ;   in Loop: Header=BB116_7 Depth=1
	s_or_b64 exec, exec, s[4:5]
	v_subrev_u32_e32 v117, s12, v117
.LBB116_47:                             ;   in Loop: Header=BB116_7 Depth=1
	s_or_b64 exec, exec, s[0:1]
.LBB116_48:                             ;   in Loop: Header=BB116_7 Depth=1
	s_andn2_saveexec_b64 s[0:1], s[96:97]
	s_cbranch_execz .LBB116_6
; %bb.49:                               ;   in Loop: Header=BB116_7 Depth=1
	v_cmp_gt_i32_e32 vcc, s33, v117
	s_and_saveexec_b64 s[4:5], vcc
	s_cbranch_execz .LBB116_5
; %bb.50:                               ;   in Loop: Header=BB116_7 Depth=1
	s_mul_i32 s3, s3, s26
	s_ashr_i32 s6, s3, 31
	s_add_u32 s3, s16, s3
	s_addc_u32 s7, s17, s6
	s_ashr_i32 s8, s47, 31
	s_waitcnt vmcnt(1)
	v_cmp_le_i32_e32 vcc, s80, v17
	s_add_u32 s6, s3, s47
	s_addc_u32 s7, s7, s8
	s_waitcnt vmcnt(0)
	v_cndmask_b32_e32 v0, 0, v18, vcc
	v_ashrrev_i32_e32 v1, 31, v0
	v_lshl_add_u64 v[0:1], s[6:7], 0, v[0:1]
	v_lshl_add_u64 v[8:9], v[0:1], 0, v[14:15]
	s_mov_b64 s[6:7], 0
	s_branch .LBB116_52
.LBB116_51:                             ;   in Loop: Header=BB116_52 Depth=2
	s_or_b64 exec, exec, s[8:9]
	v_lshl_add_u32 v12, v10, 11, v114
	;;#ASMSTART
	s_waitcnt vmcnt(1)
	;;#ASMEND
	ds_write2_b32 v12, v4, v5 offset1:32
	ds_write2_b32 v12, v6, v7 offset0:64 offset1:96
	v_add_u32_e32 v4, 0x400, v12
	v_add_u32_e32 v117, s29, v117
	;;#ASMSTART
	s_waitcnt vmcnt(0)
	;;#ASMEND
	ds_write2_b32 v4, v0, v1 offset1:32
	ds_write2_b32 v4, v2, v3 offset0:64 offset1:96
	v_add_u32_e32 v0, 1, v95
	v_add_u32_e32 v88, s29, v10
	v_cmp_le_i32_e32 vcc, s33, v117
	ds_write_b32 v11, v0
	v_add_u32_e32 v0, 2, v95
	s_or_b64 s[6:7], vcc, s[6:7]
	v_cmp_lt_i32_e32 vcc, 0, v88
	s_nop 1
	v_cndmask_b32_e32 v95, v95, v0, vcc
	s_andn2_b64 exec, exec, s[6:7]
	s_cbranch_execz .LBB116_4
.LBB116_52:                             ;   Parent Loop BB116_7 Depth=1
                                        ; =>  This Loop Header: Depth=2
                                        ;       Child Loop BB116_54 Depth 3
	v_cmp_lt_i32_e32 vcc, 0, v88
	v_lshlrev_b32_e32 v0, 6, v117
	v_ashrrev_i32_e32 v1, 31, v0
	v_subbrev_co_u32_e32 v10, vcc, 0, v88, vcc
	v_lshl_add_u64 v[0:1], v[8:9], 0, v[0:1]
	v_lshlrev_b32_e32 v11, 2, v10
	;;#ASMSTART
	global_load_dwordx4 v[4:7], v[0:1], off offset:0   
	global_load_dwordx4 v[0:3], v[0:1], off offset:32  
	
	;;#ASMEND
	ds_read_b32 v12, v11 offset:12288
	v_add_u32_e32 v11, 0x3000, v11
	s_waitcnt lgkmcnt(0)
	v_cmp_ne_u32_e32 vcc, v12, v95
	s_and_saveexec_b64 s[8:9], vcc
	s_cbranch_execz .LBB116_51
; %bb.53:                               ;   in Loop: Header=BB116_52 Depth=2
	s_mov_b64 s[10:11], 0
.LBB116_54:                             ;   Parent Loop BB116_7 Depth=1
                                        ;     Parent Loop BB116_52 Depth=2
                                        ; =>    This Inner Loop Header: Depth=3
	;;#ASMSTART
	s_sleep 0
	;;#ASMEND
	ds_read_b32 v12, v11
	s_waitcnt lgkmcnt(0)
	v_cmp_eq_u32_e32 vcc, v12, v95
	s_or_b64 s[10:11], vcc, s[10:11]
	s_andn2_b64 exec, exec, s[10:11]
	s_cbranch_execnz .LBB116_54
	s_branch .LBB116_51
.LBB116_55:
	s_endpgm
	.section	.rodata,"a",@progbits
	.p2align	6, 0x0
	.amdhsa_kernel _Z19_skinny_gemm_kernelILi1ELi5ELi1ELi32ELi4EEvPKhS1_P6__halfPKfiiiiiiii
		.amdhsa_group_segment_fixed_size 12312
		.amdhsa_private_segment_fixed_size 108
		.amdhsa_kernarg_size 64
		.amdhsa_user_sgpr_count 2
		.amdhsa_user_sgpr_dispatch_ptr 0
		.amdhsa_user_sgpr_queue_ptr 0
		.amdhsa_user_sgpr_kernarg_segment_ptr 1
		.amdhsa_user_sgpr_dispatch_id 0
		.amdhsa_user_sgpr_kernarg_preload_length 0
		.amdhsa_user_sgpr_kernarg_preload_offset 0
		.amdhsa_user_sgpr_private_segment_size 0
		.amdhsa_uses_dynamic_stack 0
		.amdhsa_enable_private_segment 1
		.amdhsa_system_sgpr_workgroup_id_x 1
		.amdhsa_system_sgpr_workgroup_id_y 0
		.amdhsa_system_sgpr_workgroup_id_z 0
		.amdhsa_system_sgpr_workgroup_info 0
		.amdhsa_system_vgpr_workitem_id 0
		.amdhsa_next_free_vgpr 128
		.amdhsa_next_free_sgpr 100
		.amdhsa_accum_offset 128
		.amdhsa_reserve_vcc 1
		.amdhsa_float_round_mode_32 0
		.amdhsa_float_round_mode_16_64 0
		.amdhsa_float_denorm_mode_32 3
		.amdhsa_float_denorm_mode_16_64 3
		.amdhsa_dx10_clamp 1
		.amdhsa_ieee_mode 1
		.amdhsa_fp16_overflow 0
		.amdhsa_tg_split 0
		.amdhsa_exception_fp_ieee_invalid_op 0
		.amdhsa_exception_fp_denorm_src 0
		.amdhsa_exception_fp_ieee_div_zero 0
		.amdhsa_exception_fp_ieee_overflow 0
		.amdhsa_exception_fp_ieee_underflow 0
		.amdhsa_exception_fp_ieee_inexact 0
		.amdhsa_exception_int_div_zero 0
	.end_amdhsa_kernel
	.section	.text._Z19_skinny_gemm_kernelILi1ELi5ELi1ELi32ELi4EEvPKhS1_P6__halfPKfiiiiiiii,"axG",@progbits,_Z19_skinny_gemm_kernelILi1ELi5ELi1ELi32ELi4EEvPKhS1_P6__halfPKfiiiiiiii,comdat
.Lfunc_end116:
	.size	_Z19_skinny_gemm_kernelILi1ELi5ELi1ELi32ELi4EEvPKhS1_P6__halfPKfiiiiiiii, .Lfunc_end116-_Z19_skinny_gemm_kernelILi1ELi5ELi1ELi32ELi4EEvPKhS1_P6__halfPKfiiiiiiii
                                        ; -- End function
	.set _Z19_skinny_gemm_kernelILi1ELi5ELi1ELi32ELi4EEvPKhS1_P6__halfPKfiiiiiiii.num_vgpr, 128
	.set _Z19_skinny_gemm_kernelILi1ELi5ELi1ELi32ELi4EEvPKhS1_P6__halfPKfiiiiiiii.num_agpr, 0
	.set _Z19_skinny_gemm_kernelILi1ELi5ELi1ELi32ELi4EEvPKhS1_P6__halfPKfiiiiiiii.numbered_sgpr, 100
	.set _Z19_skinny_gemm_kernelILi1ELi5ELi1ELi32ELi4EEvPKhS1_P6__halfPKfiiiiiiii.num_named_barrier, 0
	.set _Z19_skinny_gemm_kernelILi1ELi5ELi1ELi32ELi4EEvPKhS1_P6__halfPKfiiiiiiii.private_seg_size, 108
	.set _Z19_skinny_gemm_kernelILi1ELi5ELi1ELi32ELi4EEvPKhS1_P6__halfPKfiiiiiiii.uses_vcc, 1
	.set _Z19_skinny_gemm_kernelILi1ELi5ELi1ELi32ELi4EEvPKhS1_P6__halfPKfiiiiiiii.uses_flat_scratch, 0
	.set _Z19_skinny_gemm_kernelILi1ELi5ELi1ELi32ELi4EEvPKhS1_P6__halfPKfiiiiiiii.has_dyn_sized_stack, 0
	.set _Z19_skinny_gemm_kernelILi1ELi5ELi1ELi32ELi4EEvPKhS1_P6__halfPKfiiiiiiii.has_recursion, 0
	.set _Z19_skinny_gemm_kernelILi1ELi5ELi1ELi32ELi4EEvPKhS1_P6__halfPKfiiiiiiii.has_indirect_call, 0
	.section	.AMDGPU.csdata,"",@progbits
; Kernel info:
; codeLenInByte = 16680
; TotalNumSgprs: 106
; NumVgprs: 128
; NumAgprs: 0
; TotalNumVgprs: 128
; ScratchSize: 108
; MemoryBound: 0
; FloatMode: 240
; IeeeMode: 1
; LDSByteSize: 12312 bytes/workgroup (compile time only)
; SGPRBlocks: 13
; VGPRBlocks: 15
; NumSGPRsForWavesPerEU: 106
; NumVGPRsForWavesPerEU: 128
; AccumOffset: 128
; Occupancy: 4
; WaveLimiterHint : 0
; COMPUTE_PGM_RSRC2:SCRATCH_EN: 1
; COMPUTE_PGM_RSRC2:USER_SGPR: 2
; COMPUTE_PGM_RSRC2:TRAP_HANDLER: 0
; COMPUTE_PGM_RSRC2:TGID_X_EN: 1
; COMPUTE_PGM_RSRC2:TGID_Y_EN: 0
; COMPUTE_PGM_RSRC2:TGID_Z_EN: 0
; COMPUTE_PGM_RSRC2:TIDIG_COMP_CNT: 0
; COMPUTE_PGM_RSRC3_GFX90A:ACCUM_OFFSET: 31
; COMPUTE_PGM_RSRC3_GFX90A:TG_SPLIT: 0
	.section	.text._Z19_skinny_gemm_kernelILi1ELi5ELi1ELi32ELi8EEvPKhS1_P6__halfPKfiiiiiiii,"axG",@progbits,_Z19_skinny_gemm_kernelILi1ELi5ELi1ELi32ELi8EEvPKhS1_P6__halfPKfiiiiiiii,comdat
	.protected	_Z19_skinny_gemm_kernelILi1ELi5ELi1ELi32ELi8EEvPKhS1_P6__halfPKfiiiiiiii ; -- Begin function _Z19_skinny_gemm_kernelILi1ELi5ELi1ELi32ELi8EEvPKhS1_P6__halfPKfiiiiiiii
	.globl	_Z19_skinny_gemm_kernelILi1ELi5ELi1ELi32ELi8EEvPKhS1_P6__halfPKfiiiiiiii
	.p2align	8
	.type	_Z19_skinny_gemm_kernelILi1ELi5ELi1ELi32ELi8EEvPKhS1_P6__halfPKfiiiiiiii,@function
_Z19_skinny_gemm_kernelILi1ELi5ELi1ELi32ELi8EEvPKhS1_P6__halfPKfiiiiiiii: ; @_Z19_skinny_gemm_kernelILi1ELi5ELi1ELi32ELi8EEvPKhS1_P6__halfPKfiiiiiiii
; %bb.0:
	v_cmp_gt_u32_e32 vcc, 6, v0
	s_and_saveexec_b64 s[4:5], vcc
; %bb.1:
	v_lshlrev_b32_e32 v1, 2, v0
	v_mov_b32_e32 v2, 0
	ds_write_b32 v1, v2 offset:24576
; %bb.2:
	s_or_b64 exec, exec, s[4:5]
	s_load_dwordx8 s[24:31], s[0:1], 0x20
	s_waitcnt lgkmcnt(0)
	s_barrier
	s_add_i32 s3, s24, 31
	s_ashr_i32 s5, s3, 31
	s_add_i32 s4, s25, 0x9f
	s_lshr_b32 s5, s5, 27
	s_mul_hi_i32 s4, s4, 0x66666667
	s_add_i32 s3, s3, s5
	s_ashr_i32 s14, s3, 5
	s_lshr_b32 s3, s4, 31
	s_ashr_i32 s4, s4, 6
	s_add_i32 s15, s4, s3
	s_mul_i32 s3, s15, s14
	s_mul_i32 s3, s3, s28
	s_add_i32 s4, s3, 0x12f
	s_mul_hi_i32 s4, s4, 0x6bca1af3
	s_lshr_b32 s5, s4, 31
	s_ashr_i32 s4, s4, 7
	s_add_i32 s4, s4, s5
	s_add_i32 s5, s2, 1
	s_mul_i32 s5, s4, s5
	v_cvt_f64_i32_e32 v[2:3], s3
	v_cvt_f64_u32_e32 v[4:5], s5
	v_min_f64 v[2:3], v[2:3], v[4:5]
	v_cvt_i32_f64_e32 v21, v[2:3]
	s_mul_i32 s2, s4, s2
	v_cmp_ge_i32_e32 vcc, s2, v21
	s_cbranch_vccnz .LBB117_55
; %bb.3:
	s_load_dwordx8 s[16:23], s[0:1], 0x0
	v_lshrrev_b32_e32 v1, 6, v0
	s_add_i32 s0, s30, s29
	v_cmp_le_i32_e64 s[34:35], s0, v1
	v_mov_b32_e32 v2, s29
	v_cmp_le_i32_e64 s[36:37], s29, v1
	v_mov_b32_e32 v3, s30
	v_cndmask_b32_e64 v3, 0, v3, s[34:35]
	v_cndmask_b32_e64 v2, 0, v2, s[36:37]
	s_abs_i32 s1, s28
	v_add_u32_e32 v2, v2, v3
	v_cvt_f32_u32_e32 v3, s1
	v_sub_u32_e32 v88, v1, v2
	s_ashr_i32 s3, s26, 31
	s_lshr_b32 s3, s3, 25
	v_rcp_iflag_f32_e32 v2, v3
	s_sub_i32 s6, 0, s1
	s_add_i32 s3, s26, s3
	s_ashr_i32 s3, s3, 7
	v_mul_f32_e32 v2, 0x4f7ffffe, v2
	v_cvt_u32_f32_e32 v2, v2
	s_abs_i32 s5, s3
	s_xor_b32 s4, s3, s28
	s_ashr_i32 s4, s4, 31
	v_readfirstlane_b32 s7, v2
	s_mul_i32 s6, s6, s7
	s_mul_hi_u32 s6, s7, s6
	s_add_i32 s7, s7, s6
	s_mul_hi_u32 s6, s5, s7
	s_mul_i32 s7, s6, s1
	s_sub_i32 s5, s5, s7
	s_add_i32 s7, s6, 1
	s_sub_i32 s8, s5, s1
	s_cmp_ge_u32 s5, s1
	s_cselect_b32 s6, s7, s6
	s_cselect_b32 s5, s8, s5
	s_add_i32 s7, s6, 1
	s_cmp_ge_u32 s5, s1
	s_cselect_b32 s1, s7, s6
	s_add_i32 s0, s0, s31
	v_and_b32_e32 v102, 31, v0
	v_lshrrev_b32_e32 v2, 3, v0
	v_cmp_gt_i32_e64 s[42:43], s0, v1
	v_lshlrev_b32_e32 v1, 2, v102
	v_and_b32_e32 v3, 4, v2
	v_lshlrev_b32_e32 v2, 6, v3
	v_or_b32_e32 v4, 0x5000, v1
	v_and_b32_e32 v5, 1, v0
	v_or_b32_e32 v104, v4, v2
	v_or_b32_e32 v105, v1, v2
	v_lshlrev_b32_e32 v2, 1, v5
	v_sub_u32_e32 v2, v0, v2
	v_mul_lo_u32 v8, s27, v102
	s_add_i32 s39, s28, -1
	v_add_u32_e32 v2, 1, v2
	v_ashrrev_i32_e32 v9, 31, v8
	s_abs_i32 s28, s14
	v_and_b32_e32 v6, 63, v2
	v_bitop3_b32 v2, v0, 1, v0 bitop3:0xc
	scratch_store_dwordx2 off, v[8:9], off offset:64 ; 8-byte Folded Spill
	v_cvt_f32_u32_e32 v8, s28
	scratch_store_dword off, v2, off offset:24 ; 4-byte Folded Spill
	v_bitop3_b32 v2, v0, 3, 1 bitop3:0x6c
	v_lshrrev_b32_e32 v7, 1, v0
	scratch_store_dword off, v2, off offset:28 ; 4-byte Folded Spill
	v_bitop3_b32 v2, v0, 5, 1 bitop3:0x6c
	v_and_b32_e32 v22, 16, v7
	v_lshlrev_b32_e32 v7, 4, v0
                                        ; implicit-def: $vgpr127 : SGPR spill to VGPR lane
	scratch_store_dword off, v2, off offset:32 ; 4-byte Folded Spill
	v_bitop3_b32 v2, v0, 7, 1 bitop3:0x6c
	v_and_b32_e32 v7, 0x200, v7
	v_writelane_b32 v127, s14, 0
	scratch_store_dword off, v2, off offset:36 ; 4-byte Folded Spill
	v_bitop3_b32 v2, v0, 9, 1 bitop3:0x6c
	v_or_b32_e32 v24, v1, v7
	v_rcp_iflag_f32_e32 v1, v8
	v_writelane_b32 v127, s15, 1
	scratch_store_dword off, v2, off offset:40 ; 4-byte Folded Spill
	v_bitop3_b32 v2, v0, 11, 1 bitop3:0x6c
	s_waitcnt lgkmcnt(0)
	v_writelane_b32 v127, s16, 2
	scratch_store_dword off, v2, off offset:44 ; 4-byte Folded Spill
	v_bitop3_b32 v2, v0, 13, 1 bitop3:0x6c
	v_writelane_b32 v127, s17, 3
	scratch_store_dword off, v2, off offset:48 ; 4-byte Folded Spill
	v_bitop3_b32 v2, v0, 15, 1 bitop3:0x6c
	s_abs_i32 s99, s15
	v_writelane_b32 v127, s18, 4
	scratch_store_dword off, v2, off offset:52 ; 4-byte Folded Spill
	v_and_b32_e32 v2, 30, v0
	v_bitop3_b32 v25, v0, 31, v0 bitop3:0xc
	v_mul_f32_e32 v0, 0x4f7ffffe, v1
	v_cvt_f32_u32_e32 v1, s99
	v_writelane_b32 v127, s19, 5
	v_writelane_b32 v127, s20, 6
	;; [unrolled: 1-line block ×4, first 2 shown]
	v_cvt_u32_f32_e32 v0, v0
	v_rcp_iflag_f32_e32 v1, v1
	v_writelane_b32 v127, s23, 9
	v_cndmask_b32_e64 v103, 0, 1, s[34:35]
	s_xor_b32 s1, s1, s4
	v_writelane_b32 v127, s34, 10
	s_sub_i32 s38, s1, s4
	s_mul_i32 s1, s38, s39
	v_writelane_b32 v127, s35, 11
	v_writelane_b32 v127, s36, 12
	s_sub_i32 s40, s3, s1
	v_readfirstlane_b32 s1, v0
	v_mul_f32_e32 v0, 0x4f7ffffe, v1
	v_writelane_b32 v127, s37, 13
	v_cvt_u32_f32_e32 v0, v0
	v_writelane_b32 v127, s38, 14
	s_sub_i32 s0, 0, s28
	v_writelane_b32 v127, s39, 15
	s_mul_i32 s0, s0, s1
	v_writelane_b32 v127, s40, 16
	s_mul_hi_u32 s0, s1, s0
	v_writelane_b32 v127, s42, 17
	s_ashr_i32 s41, s14, 31
	s_add_i32 s44, s1, s0
	s_sub_i32 s0, 0, s99
	v_readfirstlane_b32 s1, v0
	v_writelane_b32 v127, s43, 18
	s_mul_i32 s0, s0, s1
	v_mbcnt_lo_u32_b32 v0, -1, 0
	v_writelane_b32 v127, s41, 19
	s_ashr_i32 s45, s15, 31
	s_mul_hi_u32 s0, s1, s0
	v_mbcnt_hi_u32_b32 v0, -1, v0
	v_writelane_b32 v127, s44, 20
	v_mov_b32_e32 v107, 0
	s_add_i32 s46, s1, s0
	v_and_or_b32 v0, v0, 64, v6
	v_writelane_b32 v127, s45, 21
	v_mov_b32_e32 v23, v107
	s_lshl_b32 s98, s27, 5
	v_or_b32_e32 v117, v4, v7
	v_lshlrev_b32_e32 v106, 1, v2
	v_lshlrev_b32_e32 v119, 2, v0
	v_mov_b32_e32 v120, v88
	v_writelane_b32 v127, s46, 22
	v_or_b32_e32 v108, v5, v3
	scratch_store_dword off, v21, off offset:8 ; 4-byte Folded Spill
	scratch_store_dword off, v102, off offset:12 ; 4-byte Folded Spill
	;; [unrolled: 1-line block ×4, first 2 shown]
	scratch_store_dwordx2 off, v[22:23], off offset:56 ; 8-byte Folded Spill
	scratch_store_dword off, v24, off offset:72 ; 4-byte Folded Spill
	scratch_store_dword off, v25, off offset:76 ; 4-byte Folded Spill
	;; [unrolled: 1-line block ×3, first 2 shown]
	s_branch .LBB117_7
.LBB117_4:                              ;   in Loop: Header=BB117_7 Depth=1
	s_or_b64 exec, exec, s[6:7]
.LBB117_5:                              ;   in Loop: Header=BB117_7 Depth=1
	s_or_b64 exec, exec, s[4:5]
	v_subrev_u32_e32 v120, s33, v120
.LBB117_6:                              ;   in Loop: Header=BB117_7 Depth=1
	s_or_b64 exec, exec, s[0:1]
	s_add_i32 s2, s2, 1
	s_waitcnt vmcnt(4)
	v_cmp_ge_i32_e32 vcc, s2, v21
	s_cbranch_vccnz .LBB117_55
.LBB117_7:                              ; =>This Loop Header: Depth=1
                                        ;     Child Loop BB117_13 Depth 2
                                        ;       Child Loop BB117_15 Depth 3
                                        ;       Child Loop BB117_18 Depth 3
	;; [unrolled: 1-line block ×6, first 2 shown]
                                        ;     Child Loop BB117_34 Depth 2
                                        ;     Child Loop BB117_42 Depth 2
                                        ;       Child Loop BB117_44 Depth 3
                                        ;     Child Loop BB117_52 Depth 2
                                        ;       Child Loop BB117_54 Depth 3
	s_abs_i32 s1, s2
	s_mul_hi_u32 s3, s1, s44
	s_mul_i32 s4, s3, s28
	s_ashr_i32 s0, s2, 31
	s_sub_i32 s1, s1, s4
	s_xor_b32 s0, s0, s41
	s_add_i32 s4, s3, 1
	s_sub_i32 s5, s1, s28
	s_cmp_ge_u32 s1, s28
	s_cselect_b32 s3, s4, s3
	s_cselect_b32 s1, s5, s1
	s_add_i32 s4, s3, 1
	s_cmp_ge_u32 s1, s28
	s_cselect_b32 s1, s4, s3
	s_xor_b32 s1, s1, s0
	s_sub_i32 s0, s1, s0
	s_abs_i32 s4, s0
	s_mul_i32 s1, s0, s14
	s_mul_hi_u32 s5, s4, s46
	s_sub_i32 s1, s2, s1
	s_mul_i32 s6, s5, s99
	s_lshl_b32 s3, s1, 5
	s_ashr_i32 s1, s0, 31
	s_sub_i32 s4, s4, s6
	s_xor_b32 s1, s1, s45
	s_add_i32 s6, s5, 1
	s_sub_i32 s7, s4, s99
	s_cmp_ge_u32 s4, s99
	s_cselect_b32 s5, s6, s5
	s_cselect_b32 s4, s7, s4
	s_add_i32 s6, s5, 1
	s_cmp_ge_u32 s4, s99
	s_cselect_b32 s4, s6, s5
	s_xor_b32 s4, s4, s1
	s_sub_i32 s1, s4, s1
	s_mul_i32 s4, s1, s38
	s_lshl_b32 s47, s4, 7
	s_cmp_eq_u32 s1, s39
	s_cselect_b32 s33, s40, s38
	s_sub_i32 s4, s3, s24
	s_add_i32 s80, s4, 32
	s_and_saveexec_b64 s[4:5], s[36:37]
	s_xor_b64 s[96:97], exec, s[4:5]
	s_cbranch_execz .LBB117_48
; %bb.8:                                ;   in Loop: Header=BB117_7 Depth=1
	s_mul_i32 s1, s1, s15
	s_sub_i32 s0, s0, s1
	s_mulk_i32 s0, 0xa0
	s_sub_i32 s70, s0, s25
	s_addk_i32 s70, 0xa0
	s_max_i32 s1, s70, 0
	s_sub_i32 s72, s0, s1
	s_and_saveexec_b64 s[0:1], s[34:35]
	s_xor_b64 s[4:5], exec, s[0:1]
	s_cbranch_execz .LBB117_38
; %bb.9:                                ;   in Loop: Header=BB117_7 Depth=1
	s_and_saveexec_b64 s[0:1], s[42:43]
	s_cbranch_execz .LBB117_37
; %bb.10:                               ;   in Loop: Header=BB117_7 Depth=1
	global_load_dword v121, v107, s[22:23]
	v_mov_b32_e32 v79, 0
	v_cmp_gt_i32_e32 vcc, s33, v120
	v_mov_b32_e32 v78, v79
	v_mov_b32_e32 v77, v79
	;; [unrolled: 1-line block ×53, first 2 shown]
	s_waitcnt vmcnt(1)
	v_mov_b32_e32 v25, v79
	v_mov_b32_e32 v24, v79
	;; [unrolled: 1-line block ×26, first 2 shown]
	s_and_saveexec_b64 s[6:7], vcc
	s_cbranch_execz .LBB117_32
; %bb.11:                               ;   in Loop: Header=BB117_7 Depth=1
	v_mov_b32_e32 v0, 0
	s_mov_b64 s[8:9], 0
	v_mov_b32_e32 v1, v0
	v_mov_b32_e32 v2, v0
	;; [unrolled: 1-line block ×79, first 2 shown]
	s_branch .LBB117_13
.LBB117_12:                             ;   in Loop: Header=BB117_13 Depth=2
	s_or_b64 exec, exec, s[10:11]
	v_add_u32_e32 v82, 0x4000, v125
	ds_read2_b32 v[80:81], v82 offset1:32
	v_add_u32_e32 v120, s31, v120
	s_waitcnt lgkmcnt(0)
	v_mfma_f32_32x32x16_fp8_fp8 v[0:15], v[100:101], v[80:81], v[0:15]
	ds_read2_b32 v[80:81], v82 offset0:128 offset1:160
	v_add_u32_e32 v82, 0x4400, v125
	s_waitcnt lgkmcnt(0)
	v_mfma_f32_32x32x16_fp8_fp8 v[0:15], v[98:99], v[80:81], v[0:15]
	ds_read2_b32 v[80:81], v82 offset1:32
	s_waitcnt lgkmcnt(0)
	v_mfma_f32_32x32x16_fp8_fp8 v[0:15], v[96:97], v[80:81], v[0:15]
	ds_read2_b32 v[80:81], v82 offset0:128 offset1:160
	v_add_u32_e32 v82, 0x4800, v125
	s_waitcnt lgkmcnt(0)
	v_mfma_f32_32x32x16_fp8_fp8 v[0:15], v[94:95], v[80:81], v[0:15]
	ds_read2_b32 v[80:81], v82 offset1:32
	;; [unrolled: 7-line block ×3, first 2 shown]
	ds_read2_b32 v[82:83], v82 offset0:128 offset1:160
	ds_write_b32 v123, v124 offset:24612
	s_waitcnt lgkmcnt(2)
	v_mfma_f32_32x32x16_fp8_fp8 v[0:15], v[88:89], v[80:81], v[0:15]
	v_add_u32_e32 v88, s31, v122
	v_add_u32_e32 v80, 2, v103
	v_cmp_lt_i32_e32 vcc, 0, v88
	s_nop 1
	v_cndmask_b32_e32 v103, v103, v80, vcc
	v_cmp_le_i32_e32 vcc, s33, v120
	s_waitcnt lgkmcnt(1)
	v_mfma_f32_32x32x16_fp8_fp8 v[0:15], v[86:87], v[82:83], v[0:15]
	s_or_b64 s[8:9], vcc, s[8:9]
	s_andn2_b64 exec, exec, s[8:9]
	s_cbranch_execz .LBB117_31
.LBB117_13:                             ;   Parent Loop BB117_7 Depth=1
                                        ; =>  This Loop Header: Depth=2
                                        ;       Child Loop BB117_15 Depth 3
                                        ;       Child Loop BB117_18 Depth 3
	;; [unrolled: 1-line block ×6, first 2 shown]
	v_cmp_lt_i32_e32 vcc, 0, v88
	s_nop 1
	v_subbrev_co_u32_e32 v122, vcc, 0, v88, vcc
	v_mul_lo_u32 v123, v122, 40
	ds_read_b32 v80, v123 offset:24576
	s_waitcnt lgkmcnt(0)
	v_cmp_ne_u32_e32 vcc, v80, v103
	s_and_saveexec_b64 s[10:11], vcc
	s_cbranch_execz .LBB117_16
; %bb.14:                               ;   in Loop: Header=BB117_13 Depth=2
	s_mov_b64 s[12:13], 0
.LBB117_15:                             ;   Parent Loop BB117_7 Depth=1
                                        ;     Parent Loop BB117_13 Depth=2
                                        ; =>    This Inner Loop Header: Depth=3
	;;#ASMSTART
	s_sleep 0
	;;#ASMEND
	ds_read_b32 v80, v123 offset:24576
	s_waitcnt lgkmcnt(0)
	v_cmp_eq_u32_e32 vcc, v80, v103
	s_or_b64 s[12:13], vcc, s[12:13]
	s_andn2_b64 exec, exec, s[12:13]
	s_cbranch_execnz .LBB117_15
.LBB117_16:                             ;   in Loop: Header=BB117_13 Depth=2
	s_or_b64 exec, exec, s[10:11]
	v_lshl_add_u32 v80, v122, 12, v104
	v_add_u32_e32 v81, 0x400, v80
	ds_read2_b32 v[100:101], v80 offset1:32
	ds_read2_b32 v[98:99], v80 offset0:128 offset1:160
	ds_read2_b32 v[96:97], v81 offset1:32
	ds_read2_b32 v[94:95], v81 offset0:128 offset1:160
	v_add_u32_e32 v81, 0x800, v80
	v_add_u32_e32 v80, 0xc00, v80
	ds_read2_b32 v[92:93], v81 offset1:32
	ds_read2_b32 v[90:91], v81 offset0:128 offset1:160
	ds_read2_b32 v[88:89], v80 offset1:32
	ds_read_b32 v81, v123 offset:24580
	ds_read2_b32 v[86:87], v80 offset0:128 offset1:160
	v_add_u32_e32 v124, 1, v103
	ds_write_b32 v123, v124 offset:24576
	s_waitcnt lgkmcnt(2)
	v_cmp_ne_u32_e32 vcc, v81, v103
	s_and_saveexec_b64 s[10:11], vcc
	s_cbranch_execz .LBB117_19
; %bb.17:                               ;   in Loop: Header=BB117_13 Depth=2
	s_mov_b64 s[12:13], 0
.LBB117_18:                             ;   Parent Loop BB117_7 Depth=1
                                        ;     Parent Loop BB117_13 Depth=2
                                        ; =>    This Inner Loop Header: Depth=3
	;;#ASMSTART
	s_sleep 0
	;;#ASMEND
	ds_read_b32 v80, v123 offset:24580
	s_waitcnt lgkmcnt(0)
	v_cmp_eq_u32_e32 vcc, v80, v103
	s_or_b64 s[12:13], vcc, s[12:13]
	s_andn2_b64 exec, exec, s[12:13]
	s_cbranch_execnz .LBB117_18
.LBB117_19:                             ;   in Loop: Header=BB117_13 Depth=2
	s_or_b64 exec, exec, s[10:11]
	s_movk_i32 s10, 0x5000
	v_mul_lo_u32 v80, v122, s10
	v_or_b32_e32 v125, v105, v80
	ds_read2_b32 v[80:81], v125 offset1:32
	v_add_u32_e32 v82, 0x400, v125
	ds_write_b32 v123, v124 offset:24580
	s_waitcnt lgkmcnt(1)
	v_mfma_f32_32x32x16_fp8_fp8 v[64:79], v[100:101], v[80:81], v[64:79]
	ds_read2_b32 v[80:81], v125 offset0:128 offset1:160
	s_waitcnt lgkmcnt(0)
	v_mfma_f32_32x32x16_fp8_fp8 v[64:79], v[98:99], v[80:81], v[64:79]
	ds_read2_b32 v[80:81], v82 offset1:32
	s_waitcnt lgkmcnt(0)
	v_mfma_f32_32x32x16_fp8_fp8 v[64:79], v[96:97], v[80:81], v[64:79]
	ds_read2_b32 v[80:81], v82 offset0:128 offset1:160
	v_add_u32_e32 v82, 0x800, v125
	s_waitcnt lgkmcnt(0)
	v_mfma_f32_32x32x16_fp8_fp8 v[64:79], v[94:95], v[80:81], v[64:79]
	ds_read2_b32 v[80:81], v82 offset1:32
	s_waitcnt lgkmcnt(0)
	v_mfma_f32_32x32x16_fp8_fp8 v[64:79], v[92:93], v[80:81], v[64:79]
	ds_read2_b32 v[80:81], v82 offset0:128 offset1:160
	v_add_u32_e32 v82, 0xc00, v125
	s_waitcnt lgkmcnt(0)
	v_mfma_f32_32x32x16_fp8_fp8 v[64:79], v[90:91], v[80:81], v[64:79]
	ds_read2_b32 v[80:81], v82 offset1:32
	s_waitcnt lgkmcnt(0)
	v_mfma_f32_32x32x16_fp8_fp8 v[64:79], v[88:89], v[80:81], v[64:79]
	ds_read2_b32 v[80:81], v82 offset0:128 offset1:160
	ds_read_b32 v82, v123 offset:24588
	s_waitcnt lgkmcnt(0)
	v_cmp_ne_u32_e32 vcc, v82, v103
	v_mfma_f32_32x32x16_fp8_fp8 v[64:79], v[86:87], v[80:81], v[64:79]
	s_and_saveexec_b64 s[10:11], vcc
	s_cbranch_execz .LBB117_22
; %bb.20:                               ;   in Loop: Header=BB117_13 Depth=2
	s_mov_b64 s[12:13], 0
.LBB117_21:                             ;   Parent Loop BB117_7 Depth=1
                                        ;     Parent Loop BB117_13 Depth=2
                                        ; =>    This Inner Loop Header: Depth=3
	;;#ASMSTART
	s_sleep 0
	;;#ASMEND
	ds_read_b32 v80, v123 offset:24588
	s_waitcnt lgkmcnt(0)
	v_cmp_eq_u32_e32 vcc, v80, v103
	s_or_b64 s[12:13], vcc, s[12:13]
	s_andn2_b64 exec, exec, s[12:13]
	s_cbranch_execnz .LBB117_21
.LBB117_22:                             ;   in Loop: Header=BB117_13 Depth=2
	s_or_b64 exec, exec, s[10:11]
	v_add_u32_e32 v82, 0x1000, v125
	ds_read2_b32 v[80:81], v82 offset1:32
	s_waitcnt lgkmcnt(0)
	v_mfma_f32_32x32x16_fp8_fp8 v[48:63], v[100:101], v[80:81], v[48:63]
	ds_read2_b32 v[80:81], v82 offset0:128 offset1:160
	v_add_u32_e32 v82, 0x1400, v125
	s_waitcnt lgkmcnt(0)
	v_mfma_f32_32x32x16_fp8_fp8 v[48:63], v[98:99], v[80:81], v[48:63]
	ds_read2_b32 v[80:81], v82 offset1:32
	s_waitcnt lgkmcnt(0)
	v_mfma_f32_32x32x16_fp8_fp8 v[48:63], v[96:97], v[80:81], v[48:63]
	ds_read2_b32 v[80:81], v82 offset0:128 offset1:160
	v_add_u32_e32 v82, 0x1800, v125
	s_waitcnt lgkmcnt(0)
	v_mfma_f32_32x32x16_fp8_fp8 v[48:63], v[94:95], v[80:81], v[48:63]
	ds_read2_b32 v[80:81], v82 offset1:32
	s_waitcnt lgkmcnt(0)
	v_mfma_f32_32x32x16_fp8_fp8 v[48:63], v[92:93], v[80:81], v[48:63]
	ds_read2_b32 v[80:81], v82 offset0:128 offset1:160
	v_add_u32_e32 v82, 0x1c00, v125
	s_waitcnt lgkmcnt(0)
	v_mfma_f32_32x32x16_fp8_fp8 v[48:63], v[90:91], v[80:81], v[48:63]
	ds_read2_b32 v[80:81], v82 offset1:32
	s_waitcnt lgkmcnt(0)
	v_mfma_f32_32x32x16_fp8_fp8 v[48:63], v[88:89], v[80:81], v[48:63]
	ds_read_b32 v83, v123 offset:24596
	ds_read2_b32 v[80:81], v82 offset0:128 offset1:160
	ds_write_b32 v123, v124 offset:24588
	s_waitcnt lgkmcnt(2)
	v_cmp_ne_u32_e32 vcc, v83, v103
	s_waitcnt lgkmcnt(1)
	v_mfma_f32_32x32x16_fp8_fp8 v[48:63], v[86:87], v[80:81], v[48:63]
	s_and_saveexec_b64 s[10:11], vcc
	s_cbranch_execz .LBB117_25
; %bb.23:                               ;   in Loop: Header=BB117_13 Depth=2
	s_mov_b64 s[12:13], 0
.LBB117_24:                             ;   Parent Loop BB117_7 Depth=1
                                        ;     Parent Loop BB117_13 Depth=2
                                        ; =>    This Inner Loop Header: Depth=3
	;;#ASMSTART
	s_sleep 0
	;;#ASMEND
	ds_read_b32 v80, v123 offset:24596
	s_waitcnt lgkmcnt(0)
	v_cmp_eq_u32_e32 vcc, v80, v103
	s_or_b64 s[12:13], vcc, s[12:13]
	s_andn2_b64 exec, exec, s[12:13]
	s_cbranch_execnz .LBB117_24
.LBB117_25:                             ;   in Loop: Header=BB117_13 Depth=2
	s_or_b64 exec, exec, s[10:11]
	v_add_u32_e32 v82, 0x2000, v125
	ds_read2_b32 v[80:81], v82 offset1:32
	s_waitcnt lgkmcnt(0)
	v_mfma_f32_32x32x16_fp8_fp8 v[32:47], v[100:101], v[80:81], v[32:47]
	ds_read2_b32 v[80:81], v82 offset0:128 offset1:160
	v_add_u32_e32 v82, 0x2400, v125
	s_waitcnt lgkmcnt(0)
	v_mfma_f32_32x32x16_fp8_fp8 v[32:47], v[98:99], v[80:81], v[32:47]
	ds_read2_b32 v[80:81], v82 offset1:32
	s_waitcnt lgkmcnt(0)
	v_mfma_f32_32x32x16_fp8_fp8 v[32:47], v[96:97], v[80:81], v[32:47]
	ds_read2_b32 v[80:81], v82 offset0:128 offset1:160
	v_add_u32_e32 v82, 0x2800, v125
	s_waitcnt lgkmcnt(0)
	v_mfma_f32_32x32x16_fp8_fp8 v[32:47], v[94:95], v[80:81], v[32:47]
	ds_read2_b32 v[80:81], v82 offset1:32
	s_waitcnt lgkmcnt(0)
	v_mfma_f32_32x32x16_fp8_fp8 v[32:47], v[92:93], v[80:81], v[32:47]
	ds_read2_b32 v[80:81], v82 offset0:128 offset1:160
	v_add_u32_e32 v82, 0x2c00, v125
	s_waitcnt lgkmcnt(0)
	v_mfma_f32_32x32x16_fp8_fp8 v[32:47], v[90:91], v[80:81], v[32:47]
	ds_read2_b32 v[80:81], v82 offset1:32
	s_waitcnt lgkmcnt(0)
	v_mfma_f32_32x32x16_fp8_fp8 v[32:47], v[88:89], v[80:81], v[32:47]
	ds_read_b32 v83, v123 offset:24604
	ds_read2_b32 v[80:81], v82 offset0:128 offset1:160
	ds_write_b32 v123, v124 offset:24596
	s_waitcnt lgkmcnt(2)
	v_cmp_ne_u32_e32 vcc, v83, v103
	s_waitcnt lgkmcnt(1)
	;; [unrolled: 50-line block ×3, first 2 shown]
	v_mfma_f32_32x32x16_fp8_fp8 v[16:31], v[86:87], v[80:81], v[16:31]
	s_and_saveexec_b64 s[10:11], vcc
	s_cbranch_execz .LBB117_12
; %bb.29:                               ;   in Loop: Header=BB117_13 Depth=2
	s_mov_b64 s[12:13], 0
.LBB117_30:                             ;   Parent Loop BB117_7 Depth=1
                                        ;     Parent Loop BB117_13 Depth=2
                                        ; =>    This Inner Loop Header: Depth=3
	;;#ASMSTART
	s_sleep 0
	;;#ASMEND
	ds_read_b32 v80, v123 offset:24612
	s_waitcnt lgkmcnt(0)
	v_cmp_eq_u32_e32 vcc, v80, v103
	s_or_b64 s[12:13], vcc, s[12:13]
	s_andn2_b64 exec, exec, s[12:13]
	s_cbranch_execnz .LBB117_30
	s_branch .LBB117_12
.LBB117_31:                             ;   in Loop: Header=BB117_7 Depth=1
	s_or_b64 exec, exec, s[8:9]
.LBB117_32:                             ;   in Loop: Header=BB117_7 Depth=1
	v_writelane_b32 v127, s47, 23
	v_writelane_b32 v127, s80, 24
	s_or_b64 exec, exec, s[6:7]
	scratch_load_dword v115, off, off offset:24 ; 4-byte Folded Reload
	scratch_load_dword v91, off, off offset:28 ; 4-byte Folded Reload
	;; [unrolled: 1-line block ×3, first 2 shown]
	v_cmp_le_i32_e32 vcc, s70, v102
	s_mul_i32 s6, s3, s25
	s_ashr_i32 s7, s6, 31
	s_waitcnt vmcnt(3)
	v_cndmask_b32_e32 v80, 0, v121, vcc
	v_pk_mul_f32 v[64:65], v[80:81], v[64:65] op_sel_hi:[0,1]
	v_pk_mul_f32 v[78:79], v[80:81], v[78:79] op_sel_hi:[0,1]
	;; [unrolled: 1-line block ×8, first 2 shown]
	s_lshl_b64 s[6:7], s[6:7], 1
	s_add_u32 s68, s20, s6
	s_addc_u32 s69, s21, s7
	s_mov_b32 s34, s72
	s_ashr_i32 s73, s72, 31
	v_writelane_b32 v127, s34, 25
	scratch_store_dwordx2 off, v[106:107], off ; 8-byte Folded Spill
	v_subrev_u32_e32 v120, s33, v120
	v_writelane_b32 v127, s35, 26
	s_lshl_b64 s[34:35], s[72:73], 1
	s_add_u32 s34, s68, s34
	s_addc_u32 s35, s69, s35
	v_writelane_b32 v127, s34, 27
	s_waitcnt vmcnt(3)
	v_cmp_eq_u32_e64 s[64:65], 1, v115
	s_nop 1
	v_cndmask_b32_e64 v80, v64, v65, s[64:65]
	v_cmp_eq_u32_e64 s[38:39], 2, v115
	v_cmp_eq_u32_e64 s[40:41], 3, v115
	v_cmp_eq_u32_e64 s[42:43], 4, v115
	v_cndmask_b32_e64 v80, v80, v66, s[38:39]
	v_cndmask_b32_e64 v80, v80, v67, s[40:41]
	v_cndmask_b32_e64 v80, v80, v68, s[42:43]
	v_cmp_eq_u32_e64 s[44:45], 5, v115
	v_cmp_eq_u32_e64 s[46:47], 6, v115
	v_cmp_eq_u32_e64 s[48:49], 7, v115
	v_cndmask_b32_e64 v80, v80, v69, s[44:45]
	v_cndmask_b32_e64 v80, v80, v70, s[46:47]
	;; [unrolled: 6-line block ×5, first 2 shown]
	ds_bpermute_b32 v80, v119, v80
	s_waitcnt vmcnt(2)
	v_cmp_eq_u32_e32 vcc, 1, v91
	v_cmp_eq_u32_e64 s[6:7], 2, v91
	v_cmp_eq_u32_e64 s[8:9], 3, v91
	;; [unrolled: 1-line block ×3, first 2 shown]
	s_waitcnt lgkmcnt(0)
	v_cndmask_b32_e64 v90, v65, v80, s[64:65]
	v_cndmask_b32_e64 v87, v64, v80, s[36:37]
	v_cndmask_b32_e64 v66, v66, v80, s[38:39]
	v_cndmask_b32_e32 v64, v87, v90, vcc
	v_cndmask_b32_e64 v86, v67, v80, s[40:41]
	v_cndmask_b32_e64 v64, v64, v66, s[6:7]
	;; [unrolled: 1-line block ×6, first 2 shown]
	v_cmp_eq_u32_e64 s[12:13], 5, v91
	v_cndmask_b32_e64 v83, v70, v80, s[46:47]
	v_cmp_eq_u32_e64 s[14:15], 6, v91
	v_cndmask_b32_e64 v64, v64, v84, s[12:13]
	v_cndmask_b32_e64 v82, v71, v80, s[48:49]
	v_cndmask_b32_e64 v64, v64, v83, s[14:15]
	v_cmp_eq_u32_e64 s[16:17], 7, v91
	v_cndmask_b32_e64 v81, v72, v80, s[50:51]
	v_cmp_eq_u32_e64 s[18:19], 8, v91
	v_cndmask_b32_e64 v64, v64, v82, s[16:17]
	v_cndmask_b32_e64 v73, v73, v80, s[52:53]
	v_cndmask_b32_e64 v64, v64, v81, s[18:19]
	;; [unrolled: 6-line block ×5, first 2 shown]
	v_writelane_b32 v127, s35, 28
	v_cmp_eq_u32_e64 s[34:35], 15, v91
	v_or_b32_e32 v80, 0x60, v102
	s_waitcnt vmcnt(1)
	v_cmp_eq_u32_e64 s[72:73], 9, v118
	v_cndmask_b32_e64 v64, v64, v79, s[34:35]
	ds_bpermute_b32 v89, v119, v64
	v_or_b32_e32 v64, 32, v102
	v_cmp_le_i32_e64 s[68:69], s70, v64
	v_or_b32_e32 v64, 64, v102
	s_waitcnt lgkmcnt(0)
	v_cndmask_b32_e64 v65, v79, v89, s[34:35]
	v_cndmask_b32_e64 v79, v66, v89, s[6:7]
	;; [unrolled: 1-line block ×3, first 2 shown]
	v_cmp_le_i32_e64 s[68:69], s70, v64
	v_cndmask_b32_e64 v67, v78, v89, s[80:81]
	v_pk_mul_f32 v[62:63], v[66:67], v[62:63] op_sel_hi:[0,1]
	v_cndmask_b32_e64 v64, 0, v121, s[68:69]
	v_cmp_le_i32_e64 s[68:69], s70, v80
	v_pk_mul_f32 v[60:61], v[66:67], v[60:61] op_sel_hi:[0,1]
	v_pk_mul_f32 v[58:59], v[66:67], v[58:59] op_sel_hi:[0,1]
	;; [unrolled: 1-line block ×7, first 2 shown]
	v_cndmask_b32_e64 v66, 0, v121, s[68:69]
	v_pk_mul_f32 v[16:17], v[66:67], v[16:17] op_sel_hi:[0,1]
	v_pk_mul_f32 v[94:95], v[66:67], v[26:27] op_sel_hi:[0,1]
	;; [unrolled: 1-line block ×3, first 2 shown]
	v_cndmask_b32_e64 v26, v16, v17, s[64:65]
	v_cndmask_b32_e64 v26, v26, v18, s[38:39]
	v_pk_mul_f32 v[20:21], v[66:67], v[20:21] op_sel_hi:[0,1]
	v_cndmask_b32_e64 v26, v26, v19, s[40:41]
	v_cndmask_b32_e64 v26, v26, v20, s[42:43]
	v_pk_mul_f32 v[46:47], v[64:65], v[46:47] op_sel_hi:[0,1]
	v_pk_mul_f32 v[44:45], v[64:65], v[44:45] op_sel_hi:[0,1]
	;; [unrolled: 1-line block ×8, first 2 shown]
	v_cndmask_b32_e64 v64, v48, v49, s[64:65]
	v_pk_mul_f32 v[22:23], v[66:67], v[22:23] op_sel_hi:[0,1]
	v_cndmask_b32_e64 v26, v26, v21, s[44:45]
	v_cndmask_b32_e64 v64, v64, v50, s[38:39]
	;; [unrolled: 1-line block ×4, first 2 shown]
	v_pk_mul_f32 v[24:25], v[66:67], v[24:25] op_sel_hi:[0,1]
	v_cndmask_b32_e64 v26, v26, v23, s[48:49]
	v_cndmask_b32_e64 v64, v64, v52, s[42:43]
	;; [unrolled: 1-line block ×12, first 2 shown]
	v_pk_mul_f32 v[82:83], v[66:67], v[28:29] op_sel_hi:[0,1]
	v_cndmask_b32_e64 v26, v26, v95, s[56:57]
	v_cndmask_b32_e64 v64, v64, v56, s[50:51]
	v_cndmask_b32_e64 v26, v26, v82, s[58:59]
	v_cndmask_b32_e64 v64, v64, v57, s[52:53]
	v_pk_mul_f32 v[30:31], v[66:67], v[30:31] op_sel_hi:[0,1]
	v_cndmask_b32_e64 v26, v26, v83, s[60:61]
	v_cndmask_b32_e64 v64, v64, v58, s[54:55]
	;; [unrolled: 1-line block ×6, first 2 shown]
	ds_bpermute_b32 v114, v119, v26
	v_cndmask_b32_e64 v78, v86, v89, s[8:9]
	v_cndmask_b32_e32 v86, v90, v89, vcc
	v_or_b32_e32 v90, 0x80, v102
	v_cndmask_b32_e64 v64, v64, v61, s[60:61]
	v_cmp_le_i32_e64 s[68:69], s70, v90
	v_cndmask_b32_e64 v64, v64, v62, s[62:63]
	v_cndmask_b32_e64 v64, v64, v63, s[66:67]
	;; [unrolled: 1-line block ×3, first 2 shown]
	ds_bpermute_b32 v113, v119, v64
	v_cndmask_b32_e64 v64, v32, v33, s[64:65]
	v_pk_mul_f32 v[0:1], v[80:81], v[0:1] op_sel_hi:[0,1]
	v_cndmask_b32_e64 v64, v64, v34, s[38:39]
	v_pk_mul_f32 v[98:99], v[80:81], v[6:7] op_sel_hi:[0,1]
	v_pk_mul_f32 v[2:3], v[80:81], v[2:3] op_sel_hi:[0,1]
	s_waitcnt lgkmcnt(1)
	v_cndmask_b32_e64 v7, v17, v114, s[64:65]
	v_cndmask_b32_e64 v17, v0, v1, s[64:65]
	;; [unrolled: 1-line block ×5, first 2 shown]
	v_pk_mul_f32 v[4:5], v[80:81], v[4:5] op_sel_hi:[0,1]
	v_cndmask_b32_e64 v17, v17, v3, s[40:41]
	v_cndmask_b32_e64 v64, v64, v37, s[44:45]
	;; [unrolled: 1-line block ×8, first 2 shown]
	v_pk_mul_f32 v[8:9], v[80:81], v[8:9] op_sel_hi:[0,1]
	v_cndmask_b32_e64 v17, v17, v99, s[48:49]
	v_cndmask_b32_e64 v64, v64, v41, s[52:53]
	v_cndmask_b32_e64 v17, v17, v8, s[50:51]
	v_cndmask_b32_e64 v64, v64, v42, s[54:55]
	v_pk_mul_f32 v[10:11], v[80:81], v[10:11] op_sel_hi:[0,1]
	v_cndmask_b32_e64 v17, v17, v9, s[52:53]
	v_cndmask_b32_e64 v64, v64, v43, s[56:57]
	v_cndmask_b32_e64 v17, v17, v10, s[54:55]
	v_cndmask_b32_e64 v64, v64, v44, s[58:59]
	;; [unrolled: 5-line block ×3, first 2 shown]
	v_pk_mul_f32 v[14:15], v[80:81], v[14:15] op_sel_hi:[0,1]
	v_cndmask_b32_e64 v17, v17, v13, s[60:61]
	v_cndmask_b32_e64 v64, v64, v47, s[66:67]
	;; [unrolled: 1-line block ×3, first 2 shown]
	ds_bpermute_b32 v112, v119, v64
	v_cndmask_b32_e64 v17, v17, v15, s[66:67]
	ds_bpermute_b32 v107, v119, v17
	v_cmp_eq_u32_e64 s[68:69], 0, v91
	s_waitcnt lgkmcnt(2)
	v_cndmask_b32_e64 v26, v49, v113, s[64:65]
	s_waitcnt lgkmcnt(1)
	v_cndmask_b32_e64 v6, v33, v112, s[64:65]
	v_cndmask_b32_e64 v87, v87, v89, s[68:69]
	v_cmp_eq_u32_e64 s[64:65], 1, v118
	v_cndmask_b32_e64 v68, v77, v89, s[78:79]
	v_cndmask_b32_e64 v77, v85, v89, s[10:11]
	;; [unrolled: 1-line block ×6, first 2 shown]
	s_waitcnt lgkmcnt(0)
	v_cndmask_b32_e64 v100, v15, v107, s[66:67]
	v_cmp_eq_u32_e64 s[66:67], 2, v118
	v_cndmask_b32_e64 v69, v76, v89, s[76:77]
	v_cndmask_b32_e64 v72, v73, v89, s[20:21]
	;; [unrolled: 1-line block ×9, first 2 shown]
	v_cmp_eq_u32_e64 s[62:63], 3, v118
	v_cndmask_b32_e64 v29, v61, v113, s[60:61]
	v_cndmask_b32_e64 v61, v45, v112, s[60:61]
	v_cndmask_b32_e64 v14, v15, v78, s[62:63]
	v_cndmask_b32_e64 v90, v83, v114, s[60:61]
	v_cndmask_b32_e64 v104, v13, v107, s[60:61]
	v_cmp_eq_u32_e64 s[60:61], 4, v118
	v_cndmask_b32_e64 v30, v60, v113, s[58:59]
	v_cndmask_b32_e64 v60, v44, v112, s[58:59]
	v_cndmask_b32_e64 v13, v14, v77, s[60:61]
	v_cndmask_b32_e64 v91, v82, v114, s[58:59]
	v_cndmask_b32_e64 v116, v12, v107, s[58:59]
	;; [unrolled: 6-line block ×3, first 2 shown]
	v_cmp_eq_u32_e64 s[56:57], 6, v118
	v_cmp_eq_u32_e64 s[70:71], 7, v118
	v_cndmask_b32_e64 v33, v58, v113, s[54:55]
	v_cndmask_b32_e64 v11, v12, v75, s[56:57]
	;; [unrolled: 1-line block ×9, first 2 shown]
	v_cmp_eq_u32_e64 s[52:53], 8, v118
	v_cndmask_b32_e64 v124, v8, v107, s[50:51]
	v_cndmask_b32_e64 v44, v55, v113, s[48:49]
	;; [unrolled: 1-line block ×7, first 2 shown]
	v_cmp_eq_u32_e64 s[48:49], 10, v118
	v_cndmask_b32_e64 v93, v94, v114, s[54:55]
	v_cndmask_b32_e64 v43, v56, v113, s[50:51]
	v_cndmask_b32_e64 v64, v40, v112, s[50:51]
	v_cndmask_b32_e64 v94, v24, v114, s[50:51]
	v_cndmask_b32_e64 v8, v8, v71, s[48:49]
	v_cmp_eq_u32_e64 s[50:51], 11, v118
	v_cndmask_b32_e64 v45, v54, v113, s[46:47]
	v_cndmask_b32_e64 v81, v38, v112, s[46:47]
	v_cndmask_b32_e64 v96, v22, v114, s[46:47]
	v_cndmask_b32_e64 v126, v98, v107, s[46:47]
	v_cndmask_b32_e64 v8, v8, v70, s[50:51]
	v_cmp_eq_u32_e64 s[46:47], 12, v118
	v_cndmask_b32_e64 v111, v5, v107, s[44:45]
	v_cndmask_b32_e64 v46, v52, v113, s[42:43]
	v_cndmask_b32_e64 v5, v8, v69, s[46:47]
	v_cndmask_b32_e64 v82, v36, v112, s[42:43]
	v_cndmask_b32_e64 v97, v20, v114, s[42:43]
	v_cndmask_b32_e64 v102, v4, v107, s[42:43]
	v_cmp_eq_u32_e64 s[42:43], 13, v118
	v_cndmask_b32_e64 v108, v53, v113, s[44:45]
	v_cndmask_b32_e64 v109, v37, v112, s[44:45]
	;; [unrolled: 1-line block ×4, first 2 shown]
	v_cmp_eq_u32_e64 s[44:45], 14, v118
	v_cndmask_b32_e64 v49, v50, v113, s[38:39]
	v_cndmask_b32_e64 v84, v34, v112, s[38:39]
	;; [unrolled: 1-line block ×4, first 2 shown]
	v_cmp_ne_u32_e64 s[38:39], 0, v115
	v_cndmask_b32_e64 v105, v3, v107, s[40:41]
	v_cndmask_b32_e64 v3, v4, v67, s[44:45]
	;; [unrolled: 1-line block ×3, first 2 shown]
	v_cmp_eq_u32_e64 s[38:39], 15, v118
	v_cndmask_b32_e64 v98, v19, v114, s[40:41]
	v_cndmask_b32_e64 v19, v48, v113, s[36:37]
	;; [unrolled: 1-line block ×3, first 2 shown]
	ds_bpermute_b32 v20, v119, v1
	v_cndmask_b32_e64 v47, v51, v113, s[40:41]
	v_cndmask_b32_e64 v34, v32, v112, s[36:37]
	;; [unrolled: 1-line block ×4, first 2 shown]
	s_waitcnt lgkmcnt(0)
	v_cndmask_b32_e64 v2, v67, v20, s[44:45]
	v_cndmask_b32_e64 v67, v0, v107, s[36:37]
	v_cndmask_b32_e32 v0, v19, v26, vcc
	v_cndmask_b32_e64 v0, v0, v49, s[6:7]
	v_cndmask_b32_e64 v0, v0, v47, s[8:9]
	v_cndmask_b32_e64 v0, v0, v46, s[10:11]
	v_cndmask_b32_e64 v0, v0, v108, s[12:13]
	v_cndmask_b32_e64 v0, v0, v45, s[14:15]
	v_cndmask_b32_e64 v0, v0, v44, s[16:17]
	v_cndmask_b32_e64 v0, v0, v43, s[18:19]
	v_cndmask_b32_e64 v0, v0, v42, s[20:21]
	v_cndmask_b32_e64 v0, v0, v33, s[22:23]
	v_cndmask_b32_e64 v0, v0, v31, s[74:75]
	v_cndmask_b32_e64 v0, v0, v30, s[76:77]
	v_cndmask_b32_e64 v0, v0, v29, s[78:79]
	v_cndmask_b32_e64 v0, v0, v28, s[80:81]
	v_cndmask_b32_e64 v0, v0, v27, s[34:35]
	ds_bpermute_b32 v107, v119, v0
	v_cndmask_b32_e32 v0, v34, v6, vcc
	v_cndmask_b32_e64 v0, v0, v84, s[6:7]
	v_cndmask_b32_e64 v0, v0, v83, s[8:9]
	v_cndmask_b32_e64 v0, v0, v82, s[10:11]
	v_cndmask_b32_e64 v0, v0, v109, s[12:13]
	v_cndmask_b32_e64 v0, v0, v81, s[14:15]
	v_cndmask_b32_e64 v0, v0, v80, s[16:17]
	v_cndmask_b32_e64 v0, v0, v64, s[18:19]
	v_cndmask_b32_e64 v0, v0, v41, s[20:21]
	v_cndmask_b32_e64 v0, v0, v58, s[22:23]
	v_cndmask_b32_e64 v0, v0, v59, s[74:75]
	v_cndmask_b32_e64 v0, v0, v60, s[76:77]
	v_cndmask_b32_e64 v0, v0, v61, s[78:79]
	v_cndmask_b32_e64 v0, v0, v62, s[80:81]
	v_cndmask_b32_e64 v0, v0, v63, s[34:35]
	ds_bpermute_b32 v112, v119, v0
	;; [unrolled: 16-line block ×3, first 2 shown]
	v_cndmask_b32_e32 v0, v67, v66, vcc
	v_cndmask_b32_e64 v0, v0, v106, s[6:7]
	v_cndmask_b32_e64 v0, v0, v105, s[8:9]
	;; [unrolled: 1-line block ×3, first 2 shown]
	s_waitcnt lgkmcnt(0)
	v_cndmask_b32_e64 v51, v85, v113, s[34:35]
	scratch_load_dword v85, off, off offset:36 ; 4-byte Folded Reload
	v_cndmask_b32_e64 v0, v0, v111, s[12:13]
	v_cndmask_b32_e64 v0, v0, v126, s[14:15]
	;; [unrolled: 1-line block ×11, first 2 shown]
	ds_bpermute_b32 v114, v119, v0
	v_cmp_eq_u32_e64 s[36:37], 0, v118
	v_cndmask_b32_e64 v3, v68, v20, s[42:43]
	v_cndmask_b32_e64 v18, v86, v20, s[64:65]
	;; [unrolled: 1-line block ×5, first 2 shown]
	s_waitcnt lgkmcnt(0)
	v_cndmask_b32_e64 v68, v100, v114, s[34:35]
	v_cndmask_b32_e64 v48, v84, v112, s[6:7]
	scratch_load_dword v84, off, off offset:44 ; 4-byte Folded Reload
	v_cndmask_b32_e64 v17, v79, v20, s[66:67]
	v_cndmask_b32_e64 v15, v78, v20, s[62:63]
	v_cndmask_b32_e64 v14, v77, v20, s[60:61]
	v_cndmask_b32_e64 v13, v76, v20, s[58:59]
	v_cndmask_b32_e64 v10, v73, v20, s[52:53]
	v_cndmask_b32_e64 v12, v75, v20, s[56:57]
	v_cndmask_b32_e64 v40, v58, v112, s[22:23]
	v_cndmask_b32_e64 v56, v93, v113, s[22:23]
	v_cndmask_b32_e64 v73, v122, v114, s[22:23]
	v_cndmask_b32_e64 v11, v74, v20, s[70:71]
	v_cndmask_b32_e64 v41, v41, v112, s[20:21]
	v_cndmask_b32_e64 v57, v57, v113, s[20:21]
	v_cndmask_b32_e64 v74, v123, v114, s[20:21]
	v_cndmask_b32_e64 v1, v65, v20, s[38:39]
	v_cndmask_b32_e64 v4, v69, v20, s[46:47]
	v_cndmask_b32_e64 v5, v70, v20, s[50:51]
	v_cndmask_b32_e64 v8, v71, v20, s[48:49]
	v_cndmask_b32_e64 v9, v72, v20, s[72:73]
	v_cndmask_b32_e64 v20, v28, v107, s[80:81]
	v_cndmask_b32_e64 v58, v94, v113, s[18:19]
	v_cndmask_b32_e64 v75, v124, v114, s[18:19]
	v_cndmask_b32_e64 v39, v59, v112, s[74:75]
	v_cndmask_b32_e64 v59, v95, v113, s[16:17]
	v_cndmask_b32_e64 v76, v125, v114, s[16:17]
	v_cndmask_b32_e64 v38, v60, v112, s[76:77]
	v_cndmask_b32_e64 v60, v96, v113, s[14:15]
	v_cndmask_b32_e64 v77, v126, v114, s[14:15]
	v_cndmask_b32_e64 v37, v61, v112, s[78:79]
	v_cndmask_b32_e64 v61, v110, v113, s[12:13]
	v_cndmask_b32_e64 v78, v111, v114, s[12:13]
	v_cndmask_b32_e64 v36, v62, v112, s[80:81]
	v_cndmask_b32_e64 v62, v97, v113, s[10:11]
	v_cndmask_b32_e64 v79, v102, v114, s[10:11]
	v_cndmask_b32_e64 v54, v91, v113, s[76:77]
	v_cndmask_b32_e64 v71, v116, v114, s[76:77]
	v_cndmask_b32_e64 v87, v106, v114, s[6:7]
	v_cndmask_b32_e64 v52, v89, v113, s[80:81]
	v_cndmask_b32_e32 v26, v26, v107, vcc
	v_cndmask_b32_e32 v89, v66, v114, vcc
	v_cndmask_b32_e64 v34, v34, v112, s[68:69]
	v_cndmask_b32_e64 v66, v50, v113, s[68:69]
	;; [unrolled: 1-line block ×10, first 2 shown]
	s_waitcnt vmcnt(1)
	v_cmp_eq_u32_e64 s[34:35], 1, v85
	s_nop 1
	v_cndmask_b32_e64 v21, v0, v18, s[34:35]
	v_cmp_eq_u32_e64 s[90:91], 2, v85
	v_cmp_eq_u32_e64 s[86:87], 3, v85
	;; [unrolled: 1-line block ×3, first 2 shown]
	v_cndmask_b32_e64 v22, v21, v17, s[90:91]
	v_cndmask_b32_e64 v23, v22, v15, s[86:87]
	;; [unrolled: 1-line block ×3, first 2 shown]
	v_cmp_eq_u32_e64 s[94:95], 5, v85
	v_cndmask_b32_e64 v21, v29, v107, s[78:79]
	v_cndmask_b32_e64 v22, v30, v107, s[76:77]
	;; [unrolled: 1-line block ×4, first 2 shown]
	v_cmp_eq_u32_e64 s[22:23], 6, v85
	v_cndmask_b32_e64 v23, v31, v107, s[74:75]
	v_cmp_eq_u32_e64 s[76:77], 13, v85
	v_cndmask_b32_e64 v27, v25, v12, s[22:23]
	v_cndmask_b32_e64 v25, v42, v107, s[20:21]
	v_cmp_eq_u32_e64 s[20:21], 7, v85
	v_cndmask_b32_e64 v42, v64, v112, s[18:19]
	v_cndmask_b32_e64 v64, v99, v113, s[6:7]
	;; [unrolled: 1-line block ×4, first 2 shown]
	v_cmp_eq_u32_e64 s[18:19], 8, v85
	v_cndmask_b32_e64 v43, v80, v112, s[16:17]
	s_nop 0
	v_cndmask_b32_e64 v29, v28, v10, s[18:19]
	v_cndmask_b32_e64 v28, v44, v107, s[16:17]
	v_cmp_eq_u32_e64 s[16:17], 9, v85
	v_cndmask_b32_e64 v44, v81, v112, s[14:15]
	s_nop 0
	v_cndmask_b32_e64 v30, v29, v9, s[16:17]
	v_cndmask_b32_e64 v29, v45, v107, s[14:15]
	;; [unrolled: 5-line block ×3, first 2 shown]
	v_cmp_eq_u32_e64 s[12:13], 11, v85
	s_nop 1
	v_cndmask_b32_e64 v32, v31, v5, s[12:13]
	v_cndmask_b32_e64 v31, v46, v107, s[10:11]
	v_cndmask_b32_e64 v46, v82, v112, s[10:11]
	v_cmp_eq_u32_e64 s[10:11], 12, v85
	s_nop 1
	v_cndmask_b32_e64 v33, v32, v4, s[10:11]
	v_cndmask_b32_e64 v65, v33, v3, s[76:77]
	;; [unrolled: 1-line block ×3, first 2 shown]
	v_cmp_eq_u32_e64 s[6:7], 14, v85
	v_cndmask_b32_e32 v49, v6, v112, vcc
	v_cndmask_b32_e64 v32, v47, v107, s[8:9]
	v_cndmask_b32_e64 v80, v65, v2, s[6:7]
	v_cndmask_b32_e32 v65, v7, v113, vcc
	v_cmp_eq_u32_e32 vcc, 15, v85
	v_cndmask_b32_e64 v47, v83, v112, s[8:9]
	v_cmp_eq_u32_e64 s[8:9], 0, v85
	v_cndmask_b32_e32 v6, v80, v1, vcc
	ds_bpermute_b32 v80, v119, v6
	scratch_load_dword v112, off, off offset:48 ; 4-byte Folded Reload
	s_waitcnt lgkmcnt(0)
	v_cndmask_b32_e64 v6, v8, v80, s[14:15]
	v_cndmask_b32_e64 v8, v10, v80, s[18:19]
	;; [unrolled: 1-line block ×26, first 2 shown]
	ds_bpermute_b32 v50, v119, v18
	v_cndmask_b32_e64 v18, v34, v49, s[64:65]
	v_cndmask_b32_e64 v18, v18, v48, s[66:67]
	;; [unrolled: 1-line block ×15, first 2 shown]
	ds_bpermute_b32 v81, v119, v18
	v_cndmask_b32_e64 v18, v66, v65, s[64:65]
	v_cndmask_b32_e64 v18, v18, v64, s[66:67]
	;; [unrolled: 1-line block ×15, first 2 shown]
	ds_bpermute_b32 v82, v119, v18
	v_cndmask_b32_e64 v18, v90, v89, s[64:65]
	v_cndmask_b32_e64 v18, v18, v87, s[66:67]
	;; [unrolled: 1-line block ×4, first 2 shown]
	s_waitcnt lgkmcnt(0)
	v_cndmask_b32_e64 v67, v51, v82, s[38:39]
	scratch_load_dword v51, off, off offset:40 ; 4-byte Folded Reload
	v_cndmask_b32_e64 v18, v18, v78, s[58:59]
	v_cndmask_b32_e64 v18, v18, v77, s[56:57]
	;; [unrolled: 1-line block ×11, first 2 shown]
	ds_bpermute_b32 v83, v119, v18
	v_cndmask_b32_e64 v0, v0, v80, s[8:9]
	v_cndmask_b32_e64 v16, v16, v50, s[38:39]
	;; [unrolled: 1-line block ×4, first 2 shown]
	s_waitcnt lgkmcnt(0)
	v_cndmask_b32_e64 v91, v68, v83, s[38:39]
	v_cndmask_b32_e64 v36, v36, v81, s[44:45]
	;; [unrolled: 1-line block ×23, first 2 shown]
	v_cndmask_b32_e32 v1, v1, v80, vcc
	v_cndmask_b32_e64 v26, v26, v50, s[64:65]
	v_cndmask_b32_e64 v49, v49, v81, s[64:65]
	;; [unrolled: 1-line block ×27, first 2 shown]
	s_waitcnt vmcnt(2)
	v_cmp_eq_u32_e64 s[64:65], 9, v84
	s_waitcnt vmcnt(0)
	v_cmp_eq_u32_e64 s[40:41], 1, v51
	s_nop 1
	v_cndmask_b32_e64 v19, v0, v15, s[40:41]
	v_cmp_eq_u32_e64 s[38:39], 2, v51
	v_cmp_eq_u32_e64 s[44:45], 3, v51
	;; [unrolled: 1-line block ×3, first 2 shown]
	v_cndmask_b32_e64 v20, v19, v14, s[38:39]
	v_cndmask_b32_e64 v19, v21, v50, s[42:43]
	;; [unrolled: 1-line block ×4, first 2 shown]
	v_cmp_eq_u32_e64 s[46:47], 4, v51
	v_cmp_eq_u32_e64 s[68:69], 7, v51
	;; [unrolled: 1-line block ×3, first 2 shown]
	v_cndmask_b32_e64 v22, v21, v12, s[46:47]
	v_cndmask_b32_e64 v21, v23, v50, s[50:51]
	v_cmp_eq_u32_e64 s[50:51], 5, v51
	v_cmp_eq_u32_e64 s[78:79], 11, v51
	v_cmp_eq_u32_e64 s[80:81], 12, v51
	v_cndmask_b32_e64 v23, v22, v11, s[50:51]
	v_cndmask_b32_e64 v22, v24, v50, s[48:49]
	;; [unrolled: 1-line block ×5, first 2 shown]
	v_cmp_eq_u32_e64 s[72:73], 8, v51
	v_cndmask_b32_e64 v24, v27, v50, s[52:53]
	v_cmp_eq_u32_e64 s[84:85], 13, v51
	v_cndmask_b32_e64 v27, v25, v8, s[72:73]
	v_cndmask_b32_e64 v25, v28, v50, s[70:71]
	v_cmp_eq_u32_e64 s[70:71], 9, v51
	v_cmp_eq_u32_e64 s[88:89], 14, v51
	v_cmp_eq_u32_e64 s[92:93], 15, v51
	v_cndmask_b32_e64 v28, v27, v7, s[70:71]
	v_cndmask_b32_e64 v27, v29, v50, s[56:57]
	;; [unrolled: 1-line block ×12, first 2 shown]
	ds_bpermute_b32 v33, v119, v32
	v_cndmask_b32_e64 v32, v17, v50, s[36:37]
	v_cndmask_b32_e64 v17, v32, v26, s[34:35]
	;; [unrolled: 1-line block ×16, first 2 shown]
	v_cndmask_b32_e32 v17, v17, v16, vcc
	ds_bpermute_b32 v80, v119, v17
	v_cndmask_b32_e64 v17, v50, v49, s[34:35]
	v_cndmask_b32_e64 v17, v17, v48, s[90:91]
	v_cndmask_b32_e64 v17, v17, v47, s[86:87]
	v_cndmask_b32_e64 v17, v17, v46, s[82:83]
	v_cndmask_b32_e64 v17, v17, v45, s[94:95]
	v_cndmask_b32_e64 v17, v17, v44, s[22:23]
	v_cndmask_b32_e64 v17, v17, v43, s[20:21]
	v_cndmask_b32_e64 v17, v17, v42, s[18:19]
	v_cndmask_b32_e64 v17, v17, v41, s[16:17]
	v_cndmask_b32_e64 v17, v17, v40, s[14:15]
	v_cndmask_b32_e64 v17, v17, v39, s[12:13]
	v_cndmask_b32_e64 v17, v17, v38, s[10:11]
	v_cndmask_b32_e64 v17, v17, v37, s[76:77]
	v_cndmask_b32_e64 v17, v17, v36, s[6:7]
	v_cndmask_b32_e32 v17, v17, v35, vcc
	ds_bpermute_b32 v81, v119, v17
	v_cndmask_b32_e64 v17, v66, v65, s[34:35]
	v_cndmask_b32_e64 v17, v17, v64, s[90:91]
	v_cndmask_b32_e64 v17, v17, v63, s[86:87]
	v_cndmask_b32_e64 v17, v17, v78, s[82:83]
	v_cndmask_b32_e64 v17, v17, v77, s[94:95]
	v_cndmask_b32_e64 v17, v17, v76, s[22:23]
	v_cndmask_b32_e64 v17, v17, v75, s[20:21]
	v_cndmask_b32_e64 v17, v17, v74, s[18:19]
	v_cndmask_b32_e64 v17, v17, v73, s[16:17]
	v_cndmask_b32_e64 v17, v17, v72, s[14:15]
	v_cndmask_b32_e64 v17, v17, v71, s[12:13]
	v_cndmask_b32_e64 v17, v17, v70, s[10:11]
	v_cndmask_b32_e64 v17, v17, v69, s[76:77]
	v_cndmask_b32_e64 v17, v17, v68, s[6:7]
	v_cndmask_b32_e32 v17, v17, v67, vcc
	ds_bpermute_b32 v82, v119, v17
	v_cndmask_b32_e64 v17, v90, v89, s[34:35]
	v_cndmask_b32_e64 v17, v17, v87, s[90:91]
	v_cndmask_b32_e64 v17, v17, v86, s[86:87]
	v_cndmask_b32_e64 v17, v17, v79, s[82:83]
	v_cndmask_b32_e64 v17, v17, v101, s[94:95]
	v_cndmask_b32_e64 v17, v17, v100, s[22:23]
	v_cndmask_b32_e64 v17, v17, v99, s[20:21]
	v_cndmask_b32_e64 v17, v17, v98, s[18:19]
	v_cndmask_b32_e64 v17, v17, v97, s[16:17]
	v_cndmask_b32_e64 v17, v17, v96, s[14:15]
	v_cndmask_b32_e64 v17, v17, v95, s[12:13]
	v_cndmask_b32_e64 v17, v17, v94, s[10:11]
	v_cndmask_b32_e64 v17, v17, v93, s[76:77]
	v_cndmask_b32_e64 v17, v17, v92, s[6:7]
	v_cndmask_b32_e32 v17, v17, v91, vcc
	ds_bpermute_b32 v83, v119, v17
	v_cmp_eq_u32_e64 s[60:61], 0, v51
	s_waitcnt lgkmcnt(4)
	v_cndmask_b32_e64 v1, v1, v33, s[92:93]
	v_cndmask_b32_e64 v2, v2, v33, s[88:89]
	;; [unrolled: 1-line block ×16, first 2 shown]
	s_waitcnt lgkmcnt(3)
	v_cndmask_b32_e32 v33, v16, v80, vcc
	s_waitcnt lgkmcnt(2)
	v_cndmask_b32_e32 v51, v35, v81, vcc
	;; [unrolled: 2-line block ×4, first 2 shown]
	v_cmp_eq_u32_e32 vcc, 1, v84
	v_cndmask_b32_e64 v34, v18, v80, s[6:7]
	v_cndmask_b32_e64 v52, v36, v81, s[6:7]
	v_cndmask_b32_e32 v16, v0, v15, vcc
	v_cndmask_b32_e64 v68, v68, v82, s[6:7]
	v_cndmask_b32_e64 v92, v92, v83, s[6:7]
	v_cmp_eq_u32_e64 s[6:7], 2, v84
	v_cmp_eq_u32_e64 s[36:37], 3, v84
	;; [unrolled: 1-line block ×3, first 2 shown]
	v_cndmask_b32_e64 v16, v16, v14, s[6:7]
	v_cndmask_b32_e64 v16, v16, v13, s[36:37]
	;; [unrolled: 1-line block ×3, first 2 shown]
	v_cmp_eq_u32_e64 s[52:53], 5, v84
	v_cmp_eq_u32_e64 s[56:57], 6, v84
	;; [unrolled: 1-line block ×3, first 2 shown]
	v_cndmask_b32_e64 v16, v16, v11, s[52:53]
	v_cndmask_b32_e64 v16, v16, v10, s[56:57]
	;; [unrolled: 1-line block ×3, first 2 shown]
	v_cmp_eq_u32_e64 s[62:63], 8, v84
	v_cndmask_b32_e64 v35, v19, v80, s[76:77]
	v_cndmask_b32_e64 v53, v37, v81, s[76:77]
	;; [unrolled: 1-line block ×6, first 2 shown]
	v_cmp_eq_u32_e64 s[76:77], 10, v84
	v_cmp_eq_u32_e64 s[66:67], 11, v84
	v_cndmask_b32_e64 v29, v29, v80, s[82:83]
	v_cndmask_b32_e64 v16, v16, v6, s[76:77]
	;; [unrolled: 1-line block ×6, first 2 shown]
	v_cmp_eq_u32_e64 s[82:83], 12, v84
	v_cndmask_b32_e64 v30, v30, v80, s[86:87]
	v_cndmask_b32_e64 v47, v47, v81, s[86:87]
	v_cndmask_b32_e64 v16, v16, v4, s[82:83]
	v_cndmask_b32_e64 v63, v63, v82, s[86:87]
	v_cndmask_b32_e64 v122, v86, v83, s[86:87]
	v_cmp_eq_u32_e64 s[86:87], 13, v84
	v_cndmask_b32_e64 v31, v31, v80, s[90:91]
	v_cndmask_b32_e64 v48, v48, v81, s[90:91]
	v_cndmask_b32_e64 v16, v16, v3, s[86:87]
	v_cndmask_b32_e64 v79, v64, v82, s[90:91]
	v_cndmask_b32_e64 v123, v87, v83, s[90:91]
	;; [unrolled: 6-line block ×3, first 2 shown]
	v_cmp_eq_u32_e64 s[94:95], 15, v84
	v_cndmask_b32_e64 v58, v42, v81, s[18:19]
	v_cndmask_b32_e64 v42, v26, v80, s[34:35]
	;; [unrolled: 1-line block ×3, first 2 shown]
	ds_bpermute_b32 v26, v119, v16
	v_cndmask_b32_e64 v32, v32, v80, s[8:9]
	v_cndmask_b32_e64 v27, v27, v80, s[22:23]
	;; [unrolled: 1-line block ×4, first 2 shown]
	s_waitcnt lgkmcnt(0)
	v_cndmask_b32_e64 v16, v3, v26, s[86:87]
	v_cndmask_b32_e64 v3, v32, v42, s[40:41]
	;; [unrolled: 1-line block ×26, first 2 shown]
	ds_bpermute_b32 v107, v119, v3
	v_cndmask_b32_e64 v3, v50, v49, s[40:41]
	v_cndmask_b32_e64 v3, v3, v48, s[38:39]
	;; [unrolled: 1-line block ×19, first 2 shown]
	ds_bpermute_b32 v109, v119, v3
	v_cndmask_b32_e64 v3, v87, v86, s[40:41]
	v_cndmask_b32_e64 v3, v3, v79, s[38:39]
	;; [unrolled: 1-line block ×24, first 2 shown]
	ds_bpermute_b32 v110, v119, v3
	v_cndmask_b32_e64 v3, v125, v124, s[40:41]
	v_cndmask_b32_e64 v3, v3, v123, s[38:39]
	;; [unrolled: 1-line block ×18, first 2 shown]
	v_cmp_eq_u32_e64 s[42:43], 0, v84
	v_cndmask_b32_e64 v3, v3, v94, s[80:81]
	v_cndmask_b32_e64 v1, v1, v26, s[94:95]
	;; [unrolled: 1-line block ×14, first 2 shown]
	v_cndmask_b32_e32 v15, v15, v26, vcc
	v_cndmask_b32_e64 v3, v3, v93, s[84:85]
	v_cndmask_b32_e64 v26, v0, v26, s[42:43]
	v_cmp_eq_u32_e64 s[8:9], 1, v112
	v_cndmask_b32_e64 v3, v3, v92, s[88:89]
	v_cmp_eq_u32_e64 s[10:11], 2, v112
	v_cndmask_b32_e64 v0, v26, v15, s[8:9]
	v_cndmask_b32_e64 v3, v3, v91, s[92:93]
	;; [unrolled: 1-line block ×3, first 2 shown]
	v_cmp_eq_u32_e64 s[12:13], 3, v112
	ds_bpermute_b32 v111, v119, v3
	v_cmp_eq_u32_e64 s[14:15], 4, v112
	v_cndmask_b32_e64 v0, v0, v13, s[12:13]
	v_cmp_eq_u32_e64 s[16:17], 5, v112
	v_cndmask_b32_e64 v0, v0, v12, s[14:15]
	;; [unrolled: 2-line block ×5, first 2 shown]
	s_waitcnt lgkmcnt(1)
	v_cndmask_b32_e64 v89, v67, v110, s[92:93]
	s_waitcnt lgkmcnt(0)
	v_cndmask_b32_e64 v80, v95, v111, s[78:79]
	v_cndmask_b32_e64 v46, v39, v107, s[70:71]
	;; [unrolled: 1-line block ×6, first 2 shown]
	v_cmp_eq_u32_e64 s[70:71], 9, v112
	v_cndmask_b32_e64 v64, v54, v109, s[80:81]
	v_cndmask_b32_e64 v81, v96, v111, s[74:75]
	;; [unrolled: 1-line block ×7, first 2 shown]
	v_cmp_eq_u32_e64 s[72:73], 10, v112
	v_cndmask_b32_e64 v116, v94, v111, s[80:81]
	v_cndmask_b32_e64 v45, v38, v107, s[74:75]
	;; [unrolled: 1-line block ×5, first 2 shown]
	v_cmp_eq_u32_e64 s[74:75], 11, v112
	v_cndmask_b32_e64 v85, v93, v111, s[84:85]
	v_cndmask_b32_e64 v44, v37, v107, s[78:79]
	;; [unrolled: 1-line block ×5, first 2 shown]
	v_cmp_eq_u32_e64 s[78:79], 12, v112
	v_cmp_eq_u32_e64 s[34:35], 13, v112
	v_cndmask_b32_e64 v126, v91, v111, s[92:93]
	v_cndmask_b32_e64 v0, v0, v17, s[78:79]
	;; [unrolled: 1-line block ×9, first 2 shown]
	v_cmp_eq_u32_e64 s[38:39], 14, v112
	v_cndmask_b32_e64 v102, v29, v107, s[46:47]
	v_cndmask_b32_e64 v105, v62, v109, s[46:47]
	;; [unrolled: 1-line block ×5, first 2 shown]
	v_cmp_eq_u32_e64 s[46:47], 15, v112
	v_cndmask_b32_e64 v56, v27, v107, s[54:55]
	v_cndmask_b32_e64 v33, v33, v107, s[92:93]
	;; [unrolled: 1-line block ×3, first 2 shown]
	ds_bpermute_b32 v27, v119, v0
	v_cndmask_b32_e64 v34, v34, v107, s[88:89]
	v_cndmask_b32_e64 v35, v35, v107, s[84:85]
	;; [unrolled: 1-line block ×7, first 2 shown]
	s_waitcnt lgkmcnt(0)
	v_cndmask_b32_e64 v0, v12, v27, s[14:15]
	v_cndmask_b32_e64 v12, v32, v107, s[60:61]
	scratch_load_dword v107, off, off offset:52 ; 4-byte Folded Reload
	v_cndmask_b32_e64 v11, v17, v27, s[78:79]
	v_cndmask_b32_e64 v17, v18, v27, s[74:75]
	;; [unrolled: 1-line block ×8, first 2 shown]
	v_cndmask_b32_e32 v24, v12, v3, vcc
	v_cndmask_b32_e64 v24, v24, v73, s[6:7]
	v_cndmask_b32_e64 v24, v24, v121, s[36:37]
	;; [unrolled: 1-line block ×18, first 2 shown]
	ds_bpermute_b32 v29, v119, v24
	v_cndmask_b32_e32 v24, v13, v4, vcc
	v_cndmask_b32_e64 v90, v68, v110, s[88:89]
	v_cndmask_b32_e64 v68, v59, v109, s[68:69]
	;; [unrolled: 1-line block ×27, first 2 shown]
	ds_bpermute_b32 v30, v119, v24
	v_cndmask_b32_e32 v24, v15, v5, vcc
	v_cndmask_b32_e64 v63, v63, v110, s[44:45]
	v_cndmask_b32_e64 v24, v24, v14, s[6:7]
	;; [unrolled: 1-line block ×21, first 2 shown]
	ds_bpermute_b32 v62, v119, v24
	v_cndmask_b32_e32 v24, v28, v7, vcc
	v_cndmask_b32_e64 v71, v122, v111, s[44:45]
	v_cndmask_b32_e64 v24, v24, v6, s[6:7]
	;; [unrolled: 1-line block ×17, first 2 shown]
	v_cmp_eq_u32_e64 s[40:41], 0, v112
	ds_bpermute_b32 v75, v119, v24
	s_waitcnt vmcnt(0)
	v_cmp_eq_u32_e64 s[44:45], 1, v107
	v_cndmask_b32_e64 v24, v26, v27, s[40:41]
	v_cndmask_b32_e64 v9, v2, v27, s[38:39]
	;; [unrolled: 1-line block ×3, first 2 shown]
	s_waitcnt lgkmcnt(3)
	v_cndmask_b32_e64 v31, v33, v29, s[94:95]
	v_cndmask_b32_e64 v33, v24, v16, s[44:45]
	v_cmp_eq_u32_e64 s[50:51], 2, v107
	v_cndmask_b32_e64 v47, v34, v29, s[90:91]
	v_cmp_eq_u32_e64 s[54:55], 3, v107
	v_cndmask_b32_e64 v34, v33, v2, s[50:51]
	v_cndmask_b32_e64 v61, v35, v29, s[86:87]
	v_cndmask_b32_e64 v35, v34, v1, s[54:55]
	v_cmp_eq_u32_e64 s[60:61], 4, v107
	s_waitcnt lgkmcnt(2)
	v_cndmask_b32_e64 v26, v51, v30, s[94:95]
	v_cndmask_b32_e64 v74, v44, v29, s[66:67]
	;; [unrolled: 1-line block ×4, first 2 shown]
	s_waitcnt lgkmcnt(1)
	v_cndmask_b32_e64 v35, v93, v62, s[66:67]
	s_waitcnt lgkmcnt(0)
	v_cndmask_b32_e64 v51, v80, v75, s[66:67]
	v_cmp_eq_u32_e64 s[66:67], 5, v107
	v_cmp_eq_u32_e64 s[68:69], 6, v107
	v_cndmask_b32_e64 v37, v53, v30, s[86:87]
	v_cndmask_b32_e64 v41, v40, v23, s[66:67]
	;; [unrolled: 1-line block ×7, first 2 shown]
	v_cmp_eq_u32_e64 s[64:65], 7, v107
	v_cndmask_b32_e64 v72, v43, v29, s[82:83]
	v_cndmask_b32_e64 v40, v66, v30, s[76:77]
	;; [unrolled: 1-line block ×7, first 2 shown]
	v_cmp_eq_u32_e64 s[62:63], 8, v107
	v_cndmask_b32_e64 v86, v55, v29, s[58:59]
	v_cndmask_b32_e64 v55, v97, v62, s[58:59]
	v_cndmask_b32_e64 v44, v43, v20, s[62:63]
	v_cndmask_b32_e64 v43, v68, v30, s[58:59]
	v_cndmask_b32_e64 v67, v104, v75, s[58:59]
	v_cmp_eq_u32_e64 s[58:59], 9, v107
	v_cndmask_b32_e64 v76, v45, v29, s[76:77]
	v_cndmask_b32_e64 v87, v56, v29, s[56:57]
	v_cndmask_b32_e64 v45, v44, v19, s[58:59]
	v_cndmask_b32_e64 v44, v69, v30, s[56:57]
	v_cndmask_b32_e64 v56, v98, v62, s[56:57]
	v_cndmask_b32_e64 v68, v100, v75, s[56:57]
	v_cmp_eq_u32_e64 s[56:57], 10, v107
	v_cndmask_b32_e64 v27, v89, v62, s[94:95]
	;; [unrolled: 7-line block ×3, first 2 shown]
	v_cndmask_b32_e64 v58, v106, v62, s[48:49]
	v_cndmask_b32_e64 v79, v46, v17, s[52:53]
	v_cndmask_b32_e64 v46, v105, v30, s[48:49]
	v_cndmask_b32_e64 v70, v108, v75, s[48:49]
	v_cmp_eq_u32_e64 s[48:49], 12, v107
	v_cndmask_b32_e64 v38, v64, v30, s[82:83]
	v_cndmask_b32_e64 v64, v81, v75, s[76:77]
	;; [unrolled: 1-line block ×7, first 2 shown]
	v_cmp_eq_u32_e64 s[36:37], 13, v107
	v_cndmask_b32_e64 v83, v73, v29, s[6:7]
	v_cndmask_b32_e64 v60, v60, v30, s[6:7]
	;; [unrolled: 1-line block ×5, first 2 shown]
	v_cmp_eq_u32_e64 s[6:7], 14, v107
	v_cndmask_b32_e64 v32, v90, v62, s[90:91]
	v_cndmask_b32_e64 v48, v84, v75, s[90:91]
	;; [unrolled: 1-line block ×4, first 2 shown]
	v_cndmask_b32_e32 v82, v3, v29, vcc
	v_cndmask_b32_e32 v84, v4, v30, vcc
	;; [unrolled: 1-line block ×4, first 2 shown]
	v_cmp_eq_u32_e32 vcc, 15, v107
	v_cndmask_b32_e64 v29, v12, v29, s[42:43]
	v_cndmask_b32_e64 v33, v91, v62, s[86:87]
	v_cndmask_b32_e32 v3, v6, v8, vcc
	ds_bpermute_b32 v91, v119, v3
	v_cndmask_b32_e64 v3, v29, v82, s[8:9]
	v_cndmask_b32_e64 v3, v3, v83, s[10:11]
	;; [unrolled: 1-line block ×25, first 2 shown]
	s_waitcnt lgkmcnt(0)
	v_cndmask_b32_e64 v12, v11, v91, s[48:49]
	v_cndmask_b32_e64 v11, v17, v91, s[52:53]
	ds_bpermute_b32 v17, v119, v3
	v_cndmask_b32_e64 v28, v28, v58, s[14:15]
	v_cndmask_b32_e64 v28, v28, v57, s[16:17]
	v_cndmask_b32_e64 v28, v28, v56, s[18:19]
	v_cndmask_b32_e64 v28, v28, v55, s[20:21]
	v_cndmask_b32_e64 v92, v13, v30, s[42:43]
	v_cndmask_b32_e64 v28, v28, v54, s[22:23]
	v_cndmask_b32_e32 v15, v8, v91, vcc
	v_cndmask_b32_e64 v14, v9, v91, s[6:7]
	v_cndmask_b32_e64 v13, v10, v91, s[36:37]
	;; [unrolled: 1-line block ×10, first 2 shown]
	s_waitcnt lgkmcnt(0)
	v_cndmask_b32_e64 v16, v31, v17, s[46:47]
	v_cndmask_b32_e64 v18, v47, v17, s[38:39]
	;; [unrolled: 1-line block ×34, first 2 shown]
	v_cmp_eq_u32_e64 s[42:43], 0, v107
	scratch_load_dwordx2 v[106:107], off, off ; 8-byte Folded Reload
	scratch_load_dword v104, off, off offset:16 ; 4-byte Folded Reload
	scratch_load_dword v105, off, off offset:20 ; 4-byte Folded Reload
	;; [unrolled: 1-line block ×3, first 2 shown]
	v_cndmask_b32_e64 v0, v0, v72, s[68:69]
	v_cndmask_b32_e64 v17, v17, v43, s[20:21]
	;; [unrolled: 1-line block ×5, first 2 shown]
	ds_bpermute_b32 v82, v119, v28
	v_cndmask_b32_e64 v28, v75, v90, s[8:9]
	v_cndmask_b32_e64 v0, v0, v47, s[62:63]
	v_cndmask_b32_e64 v17, v17, v41, s[70:71]
	v_cndmask_b32_e64 v28, v28, v73, s[10:11]
	v_cndmask_b32_e64 v0, v0, v23, s[58:59]
	v_cndmask_b32_e64 v17, v17, v40, s[72:73]
	v_cndmask_b32_e64 v28, v28, v71, s[12:13]
	v_cndmask_b32_e64 v0, v0, v22, s[56:57]
	v_cndmask_b32_e64 v17, v17, v39, s[74:75]
	v_cndmask_b32_e64 v28, v28, v70, s[14:15]
	v_cndmask_b32_e64 v0, v0, v21, s[52:53]
	v_cndmask_b32_e64 v17, v17, v38, s[78:79]
	v_cndmask_b32_e64 v28, v28, v69, s[16:17]
	v_cndmask_b32_e64 v0, v0, v20, s[48:49]
	v_cndmask_b32_e64 v17, v17, v37, s[34:35]
	v_cndmask_b32_e64 v28, v28, v68, s[18:19]
	v_cndmask_b32_e64 v0, v0, v19, s[36:37]
	v_cndmask_b32_e64 v17, v17, v36, s[38:39]
	v_cndmask_b32_e64 v28, v28, v67, s[20:21]
	v_cndmask_b32_e64 v0, v0, v18, s[6:7]
	v_cndmask_b32_e64 v17, v17, v26, s[46:47]
	v_cndmask_b32_e64 v28, v28, v66, s[22:23]
	ds_bpermute_b32 v17, v119, v17
	v_cndmask_b32_e64 v28, v28, v65, s[70:71]
	v_cndmask_b32_e32 v0, v0, v16, vcc
	v_cndmask_b32_e64 v28, v28, v64, s[72:73]
	ds_bpermute_b32 v86, v119, v0
	v_cndmask_b32_e64 v28, v28, v51, s[74:75]
	v_cndmask_b32_e64 v28, v28, v50, s[78:79]
	;; [unrolled: 1-line block ×4, first 2 shown]
	s_waitcnt lgkmcnt(1)
	v_cndmask_b32_e64 v84, v84, v17, s[8:9]
	v_cndmask_b32_e64 v92, v92, v17, s[40:41]
	;; [unrolled: 1-line block ×3, first 2 shown]
	s_waitcnt lgkmcnt(0)
	v_cndmask_b32_e32 v31, v16, v86, vcc
	v_cndmask_b32_e64 v60, v60, v17, s[10:11]
	v_cndmask_b32_e64 v16, v92, v84, s[44:45]
	ds_bpermute_b32 v83, v119, v28
	v_cndmask_b32_e64 v79, v79, v17, s[12:13]
	v_cndmask_b32_e64 v16, v16, v60, s[50:51]
	;; [unrolled: 1-line block ×20, first 2 shown]
	s_waitcnt lgkmcnt(0)
	v_cndmask_b32_e64 v93, v25, v83, s[46:47]
	v_cndmask_b32_e64 v25, v23, v86, s[58:59]
	;; [unrolled: 1-line block ×18, first 2 shown]
	v_cndmask_b32_e32 v16, v16, v87, vcc
	ds_bpermute_b32 v94, v119, v16
	v_cndmask_b32_e64 v30, v18, v86, s[6:7]
	v_cndmask_b32_e64 v29, v19, v86, s[36:37]
	;; [unrolled: 1-line block ×7, first 2 shown]
	s_waitcnt lgkmcnt(0)
	v_cndmask_b32_e64 v45, v37, v94, s[36:37]
	v_cndmask_b32_e64 v44, v38, v94, s[48:49]
	;; [unrolled: 1-line block ×37, first 2 shown]
	v_cndmask_b32_e32 v32, v32, v89, vcc
	v_cndmask_b32_e32 v47, v87, v94, vcc
	ds_bpermute_b32 v87, v119, v32
	v_cndmask_b32_e64 v46, v36, v94, s[6:7]
	v_cndmask_b32_e64 v36, v91, v94, s[60:61]
	;; [unrolled: 1-line block ×4, first 2 shown]
	s_waitcnt lgkmcnt(0)
	v_cndmask_b32_e32 v63, v89, v87, vcc
	v_cndmask_b32_e64 v62, v61, v87, s[6:7]
	v_cndmask_b32_e64 v61, v72, v87, s[36:37]
	;; [unrolled: 1-line block ×35, first 2 shown]
	v_cndmask_b32_e32 v48, v48, v93, vcc
	v_cndmask_b32_e64 v32, v92, v94, s[42:43]
	ds_bpermute_b32 v92, v119, v48
	v_cndmask_b32_e64 v57, v53, v87, s[58:59]
	v_cndmask_b32_e64 v53, v78, v87, s[66:67]
	v_readlane_b32 s80, v127, 24
	v_cndmask_b32_e64 v56, v54, v87, s[62:63]
	s_waitcnt lgkmcnt(0)
	v_cndmask_b32_e64 v78, v72, v92, s[6:7]
	v_readlane_b32 s6, v127, 27
	v_cndmask_b32_e64 v54, v77, v87, s[68:69]
	v_cndmask_b32_e64 v48, v82, v87, s[42:43]
	;; [unrolled: 1-line block ×5, first 2 shown]
	v_readlane_b32 s7, v127, 28
	v_readlane_b32 s34, v127, 10
	;; [unrolled: 1-line block ×4, first 2 shown]
	s_mov_b32 s76, 0
	s_max_i32 s77, s80, 0
	v_cndmask_b32_e64 v41, v41, v94, s[58:59]
	v_cndmask_b32_e64 v35, v79, v94, s[54:55]
	;; [unrolled: 1-line block ×6, first 2 shown]
	v_cndmask_b32_e32 v79, v93, v92, vcc
	v_cndmask_b32_e64 v76, v76, v92, s[48:49]
	v_cndmask_b32_e64 v75, v80, v92, s[52:53]
	;; [unrolled: 1-line block ×11, first 2 shown]
	s_waitcnt vmcnt(3)
	v_lshl_add_u64 v[86:87], s[6:7], 0, v[106:107]
	s_mov_b64 s[6:7], 0
	s_mov_b32 s12, 0
	v_readlane_b32 s35, v127, 11
	v_readlane_b32 s37, v127, 13
	;; [unrolled: 1-line block ×11, first 2 shown]
                                        ; implicit-def: $sgpr8_sgpr9
	s_branch .LBB117_34
.LBB117_33:                             ;   in Loop: Header=BB117_34 Depth=2
	s_or_b64 exec, exec, s[10:11]
	s_and_b64 s[10:11], exec, s[8:9]
	s_or_b64 s[6:7], s[10:11], s[6:7]
	s_andn2_b64 exec, exec, s[6:7]
	s_cbranch_execz .LBB117_36
.LBB117_34:                             ;   Parent Loop BB117_7 Depth=1
                                        ; =>  This Inner Loop Header: Depth=2
	s_and_b32 s10, s12, 2
	s_and_b32 s11, s76, 24
	s_or_b32 s10, s11, s10
	s_waitcnt vmcnt(0)
	v_or_b32_e32 v80, s10, v108
	v_add_u32_e32 v81, s77, v80
	v_cmp_gt_u32_e32 vcc, 32, v81
	s_or_b64 s[8:9], s[8:9], exec
	s_and_saveexec_b64 s[10:11], vcc
	s_cbranch_execz .LBB117_33
; %bb.35:                               ;   in Loop: Header=BB117_34 Depth=2
	s_add_i32 s13, s12, 1
	s_set_gpr_idx_on s12, gpr_idx(SRC0)
	v_mov_b32_e32 v81, v0
	s_set_gpr_idx_off
	v_cvt_f16_f32_e32 v82, v81
	s_set_gpr_idx_on s13, gpr_idx(SRC0)
	v_mov_b32_e32 v81, v0
	s_set_gpr_idx_off
	v_cvt_f16_f32_sdwa v83, v81 dst_sel:WORD_1 dst_unused:UNUSED_PAD src0_sel:DWORD
	v_mul_lo_u32 v80, v80, s25
	v_ashrrev_i32_e32 v81, 31, v80
	v_lshl_add_u64 v[80:81], v[80:81], 1, v[86:87]
	v_or_b32_e32 v82, v83, v82
	;;#ASMSTART
	global_atomic_pk_add_f16 v[80:81], v82, off
	
	;;#ASMEND
	s_set_gpr_idx_on s12, gpr_idx(SRC0)
	v_mov_b32_e32 v82, v16
	s_set_gpr_idx_off
	v_cvt_f16_f32_e32 v84, v82
	s_set_gpr_idx_on s13, gpr_idx(SRC0)
	v_mov_b32_e32 v82, v16
	s_set_gpr_idx_off
	v_cvt_f16_f32_sdwa v85, v82 dst_sel:WORD_1 dst_unused:UNUSED_PAD src0_sel:DWORD
	v_lshl_add_u64 v[82:83], v[80:81], 0, 64
	s_mov_b64 s[14:15], 0x80
	s_add_i32 s76, s76, 4
	v_or_b32_e32 v84, v85, v84
	;;#ASMSTART
	global_atomic_pk_add_f16 v[82:83], v84, off
	
	;;#ASMEND
	s_set_gpr_idx_on s12, gpr_idx(SRC0)
	v_mov_b32_e32 v82, v32
	s_set_gpr_idx_off
	v_cvt_f16_f32_e32 v84, v82
	s_set_gpr_idx_on s13, gpr_idx(SRC0)
	v_mov_b32_e32 v82, v32
	s_set_gpr_idx_off
	v_cvt_f16_f32_sdwa v85, v82 dst_sel:WORD_1 dst_unused:UNUSED_PAD src0_sel:DWORD
	v_lshl_add_u64 v[82:83], v[80:81], 0, s[14:15]
	s_mov_b64 s[14:15], 0xc0
	v_or_b32_e32 v84, v85, v84
	;;#ASMSTART
	global_atomic_pk_add_f16 v[82:83], v84, off
	
	;;#ASMEND
	s_set_gpr_idx_on s12, gpr_idx(SRC0)
	v_mov_b32_e32 v82, v48
	s_set_gpr_idx_off
	v_cvt_f16_f32_e32 v84, v82
	s_set_gpr_idx_on s13, gpr_idx(SRC0)
	v_mov_b32_e32 v82, v48
	s_set_gpr_idx_off
	v_cvt_f16_f32_sdwa v85, v82 dst_sel:WORD_1 dst_unused:UNUSED_PAD src0_sel:DWORD
	v_lshl_add_u64 v[82:83], v[80:81], 0, s[14:15]
	s_mov_b64 s[14:15], 0x100
	v_lshl_add_u64 v[80:81], v[80:81], 0, s[14:15]
	v_or_b32_e32 v84, v85, v84
	;;#ASMSTART
	global_atomic_pk_add_f16 v[82:83], v84, off
	
	;;#ASMEND
	s_set_gpr_idx_on s12, gpr_idx(SRC0)
	v_mov_b32_e32 v82, v64
	s_set_gpr_idx_off
	v_cvt_f16_f32_e32 v82, v82
	s_set_gpr_idx_on s13, gpr_idx(SRC0)
	v_mov_b32_e32 v83, v64
	s_set_gpr_idx_off
	s_add_i32 s12, s12, 2
	v_cvt_f16_f32_sdwa v83, v83 dst_sel:WORD_1 dst_unused:UNUSED_PAD src0_sel:DWORD
	s_cmp_eq_u32 s12, 16
	s_cselect_b64 s[14:15], -1, 0
	s_andn2_b64 s[8:9], s[8:9], exec
	s_and_b64 s[14:15], s[14:15], exec
	s_or_b64 s[8:9], s[8:9], s[14:15]
	v_or_b32_e32 v82, v83, v82
	;;#ASMSTART
	global_atomic_pk_add_f16 v[80:81], v82, off
	
	;;#ASMEND
	s_branch .LBB117_33
.LBB117_36:                             ;   in Loop: Header=BB117_7 Depth=1
	s_or_b64 exec, exec, s[6:7]
	scratch_load_dword v21, off, off offset:8 ; 4-byte Folded Reload
	scratch_load_dword v102, off, off offset:12 ; 4-byte Folded Reload
	scratch_load_dwordx2 v[22:23], off, off offset:56 ; 8-byte Folded Reload
	scratch_load_dword v24, off, off offset:72 ; 4-byte Folded Reload
	scratch_load_dword v25, off, off offset:76 ; 4-byte Folded Reload
	v_readlane_b32 s16, v127, 2
	v_readlane_b32 s14, v127, 0
	;; [unrolled: 1-line block ×12, first 2 shown]
.LBB117_37:                             ;   in Loop: Header=BB117_7 Depth=1
	s_or_b64 exec, exec, s[0:1]
.LBB117_38:                             ;   in Loop: Header=BB117_7 Depth=1
	s_andn2_saveexec_b64 s[0:1], s[4:5]
	s_cbranch_execz .LBB117_47
; %bb.39:                               ;   in Loop: Header=BB117_7 Depth=1
	s_mul_i32 s12, s33, 5
	v_cmp_gt_i32_e32 vcc, s12, v120
	s_and_saveexec_b64 s[4:5], vcc
	s_cbranch_execz .LBB117_46
; %bb.40:                               ;   in Loop: Header=BB117_7 Depth=1
	scratch_load_dwordx2 v[0:1], off, off offset:64 ; 8-byte Folded Reload
	s_mul_i32 s6, s72, s27
	s_ashr_i32 s7, s6, 31
	s_add_u32 s6, s18, s6
	s_addc_u32 s7, s19, s7
	s_ashr_i32 s8, s47, 31
	s_add_u32 s6, s6, s47
	s_addc_u32 s7, s7, s8
	s_waitcnt vmcnt(0)
	v_lshl_add_u64 v[0:1], s[6:7], 0, v[0:1]
	v_lshl_add_u64 v[16:17], v[0:1], 0, v[22:23]
	s_mov_b64 s[6:7], 0
	s_branch .LBB117_42
.LBB117_41:                             ;   in Loop: Header=BB117_42 Depth=2
	s_or_b64 exec, exec, s[8:9]
	v_lshl_or_b32 v20, v18, 12, v24
	;;#ASMSTART
	s_waitcnt vmcnt(3)
	;;#ASMEND
	ds_write2_b32 v20, v12, v13 offset1:32
	ds_write2_b32 v20, v14, v15 offset0:64 offset1:96
	v_add_u32_e32 v12, 0x400, v20
	;;#ASMSTART
	s_waitcnt vmcnt(2)
	;;#ASMEND
	ds_write2_b32 v12, v8, v9 offset1:32
	ds_write2_b32 v12, v10, v11 offset0:64 offset1:96
	v_add_u32_e32 v8, 0x800, v20
	;;#ASMSTART
	s_waitcnt vmcnt(1)
	;;#ASMEND
	ds_write2_b32 v8, v4, v5 offset1:32
	ds_write2_b32 v8, v6, v7 offset0:64 offset1:96
	v_add_u32_e32 v4, 0xc00, v20
	v_add_u32_e32 v120, s30, v120
	;;#ASMSTART
	s_waitcnt vmcnt(0)
	;;#ASMEND
	ds_write2_b32 v4, v0, v1 offset1:32
	ds_write2_b32 v4, v2, v3 offset0:64 offset1:96
	v_add_u32_e32 v0, 1, v103
	v_add_u32_e32 v88, s30, v18
	v_cmp_le_i32_e32 vcc, s12, v120
	ds_write_b32 v19, v0 offset:4
	v_add_u32_e32 v0, 2, v103
	s_or_b64 s[6:7], vcc, s[6:7]
	v_cmp_lt_i32_e32 vcc, 4, v88
	s_nop 1
	v_cndmask_b32_e32 v103, v103, v0, vcc
	s_andn2_b64 exec, exec, s[6:7]
	s_cbranch_execz .LBB117_45
.LBB117_42:                             ;   Parent Loop BB117_7 Depth=1
                                        ; =>  This Loop Header: Depth=2
                                        ;       Child Loop BB117_44 Depth 3
	v_cmp_gt_i32_e32 vcc, 5, v88
	s_mov_b32 s8, 0x66666667
	s_nop 0
	v_cndmask_b32_e64 v0, -5, 0, vcc
	v_add_u32_e32 v18, v0, v88
	v_mul_hi_i32 v0, v120, s8
	v_lshrrev_b32_e32 v1, 31, v0
	v_ashrrev_i32_e32 v0, 1, v0
	v_add_u32_e32 v0, v0, v1
	v_lshl_add_u32 v1, v0, 2, v0
	v_sub_u32_e32 v2, v120, v1
	v_lshlrev_b32_e32 v0, 7, v0
	v_ashrrev_i32_e32 v1, 31, v0
	v_mul_lo_u32 v2, s98, v2
	v_lshl_add_u64 v[0:1], v[16:17], 0, v[0:1]
	v_ashrrev_i32_e32 v3, 31, v2
	v_lshl_add_u64 v[0:1], v[0:1], 0, v[2:3]
	v_lshlrev_b32_e32 v19, 2, v18
	;;#ASMSTART
	global_load_dwordx4 v[12:15], v[0:1], off offset:0   sc0 sc1 nt  
	global_load_dwordx4 v[8:11], v[0:1], off offset:32  sc0 sc1 nt  
	global_load_dwordx4 v[4:7], v[0:1], off offset:64  sc0 sc1 nt  
	;; [unrolled: 1-line block ×3, first 2 shown]
	
	;;#ASMEND
	ds_read_b32 v20, v19 offset:24580
	v_add_u32_e32 v19, 0x6000, v19
	s_waitcnt lgkmcnt(0)
	v_cmp_ne_u32_e32 vcc, v20, v103
	s_and_saveexec_b64 s[8:9], vcc
	s_cbranch_execz .LBB117_41
; %bb.43:                               ;   in Loop: Header=BB117_42 Depth=2
	s_mov_b64 s[10:11], 0
.LBB117_44:                             ;   Parent Loop BB117_7 Depth=1
                                        ;     Parent Loop BB117_42 Depth=2
                                        ; =>    This Inner Loop Header: Depth=3
	;;#ASMSTART
	s_sleep 0
	;;#ASMEND
	ds_read_b32 v20, v19 offset:4
	s_waitcnt lgkmcnt(0)
	v_cmp_eq_u32_e32 vcc, v20, v103
	s_or_b64 s[10:11], vcc, s[10:11]
	s_andn2_b64 exec, exec, s[10:11]
	s_cbranch_execnz .LBB117_44
	s_branch .LBB117_41
.LBB117_45:                             ;   in Loop: Header=BB117_7 Depth=1
	s_or_b64 exec, exec, s[6:7]
.LBB117_46:                             ;   in Loop: Header=BB117_7 Depth=1
	s_or_b64 exec, exec, s[4:5]
	v_subrev_u32_e32 v120, s12, v120
.LBB117_47:                             ;   in Loop: Header=BB117_7 Depth=1
	s_or_b64 exec, exec, s[0:1]
.LBB117_48:                             ;   in Loop: Header=BB117_7 Depth=1
	s_andn2_saveexec_b64 s[0:1], s[96:97]
	s_cbranch_execz .LBB117_6
; %bb.49:                               ;   in Loop: Header=BB117_7 Depth=1
	v_cmp_gt_i32_e32 vcc, s33, v120
	s_and_saveexec_b64 s[4:5], vcc
	s_cbranch_execz .LBB117_5
; %bb.50:                               ;   in Loop: Header=BB117_7 Depth=1
	s_mul_i32 s3, s3, s26
	s_ashr_i32 s6, s3, 31
	s_add_u32 s3, s16, s3
	s_addc_u32 s7, s17, s6
	s_ashr_i32 s8, s47, 31
	s_waitcnt vmcnt(3)
	v_mul_lo_u32 v0, s26, v102
	s_waitcnt vmcnt(0)
	v_cmp_le_i32_e32 vcc, s80, v25
	s_add_u32 s6, s3, s47
	s_addc_u32 s7, s7, s8
	v_cndmask_b32_e32 v0, 0, v0, vcc
	v_ashrrev_i32_e32 v1, 31, v0
	v_lshl_add_u64 v[0:1], s[6:7], 0, v[0:1]
	v_lshl_add_u64 v[16:17], v[0:1], 0, v[22:23]
	s_mov_b64 s[6:7], 0
	s_branch .LBB117_52
.LBB117_51:                             ;   in Loop: Header=BB117_52 Depth=2
	s_or_b64 exec, exec, s[8:9]
	v_lshl_add_u32 v20, v18, 12, v117
	;;#ASMSTART
	s_waitcnt vmcnt(3)
	;;#ASMEND
	ds_write2_b32 v20, v12, v13 offset1:32
	ds_write2_b32 v20, v14, v15 offset0:64 offset1:96
	v_add_u32_e32 v12, 0x400, v20
	;;#ASMSTART
	s_waitcnt vmcnt(2)
	;;#ASMEND
	ds_write2_b32 v12, v8, v9 offset1:32
	ds_write2_b32 v12, v10, v11 offset0:64 offset1:96
	v_add_u32_e32 v8, 0x800, v20
	;; [unrolled: 6-line block ×3, first 2 shown]
	v_add_u32_e32 v120, s29, v120
	;;#ASMSTART
	s_waitcnt vmcnt(0)
	;;#ASMEND
	ds_write2_b32 v4, v0, v1 offset1:32
	ds_write2_b32 v4, v2, v3 offset0:64 offset1:96
	v_add_u32_e32 v0, 1, v103
	v_add_u32_e32 v88, s29, v18
	v_cmp_le_i32_e32 vcc, s33, v120
	ds_write_b32 v19, v0
	v_add_u32_e32 v0, 2, v103
	s_or_b64 s[6:7], vcc, s[6:7]
	v_cmp_lt_i32_e32 vcc, 0, v88
	s_nop 1
	v_cndmask_b32_e32 v103, v103, v0, vcc
	s_andn2_b64 exec, exec, s[6:7]
	s_cbranch_execz .LBB117_4
.LBB117_52:                             ;   Parent Loop BB117_7 Depth=1
                                        ; =>  This Loop Header: Depth=2
                                        ;       Child Loop BB117_54 Depth 3
	v_cmp_lt_i32_e32 vcc, 0, v88
	v_lshlrev_b32_e32 v0, 7, v120
	v_ashrrev_i32_e32 v1, 31, v0
	v_subbrev_co_u32_e32 v18, vcc, 0, v88, vcc
	v_lshl_add_u64 v[0:1], v[16:17], 0, v[0:1]
	v_lshlrev_b32_e32 v19, 2, v18
	;;#ASMSTART
	global_load_dwordx4 v[12:15], v[0:1], off offset:0   
	global_load_dwordx4 v[8:11], v[0:1], off offset:32  
	;; [unrolled: 1-line block ×4, first 2 shown]
	
	;;#ASMEND
	ds_read_b32 v20, v19 offset:24576
	v_add_u32_e32 v19, 0x6000, v19
	s_waitcnt lgkmcnt(0)
	v_cmp_ne_u32_e32 vcc, v20, v103
	s_and_saveexec_b64 s[8:9], vcc
	s_cbranch_execz .LBB117_51
; %bb.53:                               ;   in Loop: Header=BB117_52 Depth=2
	s_mov_b64 s[10:11], 0
.LBB117_54:                             ;   Parent Loop BB117_7 Depth=1
                                        ;     Parent Loop BB117_52 Depth=2
                                        ; =>    This Inner Loop Header: Depth=3
	;;#ASMSTART
	s_sleep 0
	;;#ASMEND
	ds_read_b32 v20, v19
	s_waitcnt lgkmcnt(0)
	v_cmp_eq_u32_e32 vcc, v20, v103
	s_or_b64 s[10:11], vcc, s[10:11]
	s_andn2_b64 exec, exec, s[10:11]
	s_cbranch_execnz .LBB117_54
	s_branch .LBB117_51
.LBB117_55:
	s_endpgm
	.section	.rodata,"a",@progbits
	.p2align	6, 0x0
	.amdhsa_kernel _Z19_skinny_gemm_kernelILi1ELi5ELi1ELi32ELi8EEvPKhS1_P6__halfPKfiiiiiiii
		.amdhsa_group_segment_fixed_size 24600
		.amdhsa_private_segment_fixed_size 88
		.amdhsa_kernarg_size 64
		.amdhsa_user_sgpr_count 2
		.amdhsa_user_sgpr_dispatch_ptr 0
		.amdhsa_user_sgpr_queue_ptr 0
		.amdhsa_user_sgpr_kernarg_segment_ptr 1
		.amdhsa_user_sgpr_dispatch_id 0
		.amdhsa_user_sgpr_kernarg_preload_length 0
		.amdhsa_user_sgpr_kernarg_preload_offset 0
		.amdhsa_user_sgpr_private_segment_size 0
		.amdhsa_uses_dynamic_stack 0
		.amdhsa_enable_private_segment 1
		.amdhsa_system_sgpr_workgroup_id_x 1
		.amdhsa_system_sgpr_workgroup_id_y 0
		.amdhsa_system_sgpr_workgroup_id_z 0
		.amdhsa_system_sgpr_workgroup_info 0
		.amdhsa_system_vgpr_workitem_id 0
		.amdhsa_next_free_vgpr 128
		.amdhsa_next_free_sgpr 100
		.amdhsa_accum_offset 128
		.amdhsa_reserve_vcc 1
		.amdhsa_float_round_mode_32 0
		.amdhsa_float_round_mode_16_64 0
		.amdhsa_float_denorm_mode_32 3
		.amdhsa_float_denorm_mode_16_64 3
		.amdhsa_dx10_clamp 1
		.amdhsa_ieee_mode 1
		.amdhsa_fp16_overflow 0
		.amdhsa_tg_split 0
		.amdhsa_exception_fp_ieee_invalid_op 0
		.amdhsa_exception_fp_denorm_src 0
		.amdhsa_exception_fp_ieee_div_zero 0
		.amdhsa_exception_fp_ieee_overflow 0
		.amdhsa_exception_fp_ieee_underflow 0
		.amdhsa_exception_fp_ieee_inexact 0
		.amdhsa_exception_int_div_zero 0
	.end_amdhsa_kernel
	.section	.text._Z19_skinny_gemm_kernelILi1ELi5ELi1ELi32ELi8EEvPKhS1_P6__halfPKfiiiiiiii,"axG",@progbits,_Z19_skinny_gemm_kernelILi1ELi5ELi1ELi32ELi8EEvPKhS1_P6__halfPKfiiiiiiii,comdat
.Lfunc_end117:
	.size	_Z19_skinny_gemm_kernelILi1ELi5ELi1ELi32ELi8EEvPKhS1_P6__halfPKfiiiiiiii, .Lfunc_end117-_Z19_skinny_gemm_kernelILi1ELi5ELi1ELi32ELi8EEvPKhS1_P6__halfPKfiiiiiiii
                                        ; -- End function
	.set _Z19_skinny_gemm_kernelILi1ELi5ELi1ELi32ELi8EEvPKhS1_P6__halfPKfiiiiiiii.num_vgpr, 128
	.set _Z19_skinny_gemm_kernelILi1ELi5ELi1ELi32ELi8EEvPKhS1_P6__halfPKfiiiiiiii.num_agpr, 0
	.set _Z19_skinny_gemm_kernelILi1ELi5ELi1ELi32ELi8EEvPKhS1_P6__halfPKfiiiiiiii.numbered_sgpr, 100
	.set _Z19_skinny_gemm_kernelILi1ELi5ELi1ELi32ELi8EEvPKhS1_P6__halfPKfiiiiiiii.num_named_barrier, 0
	.set _Z19_skinny_gemm_kernelILi1ELi5ELi1ELi32ELi8EEvPKhS1_P6__halfPKfiiiiiiii.private_seg_size, 88
	.set _Z19_skinny_gemm_kernelILi1ELi5ELi1ELi32ELi8EEvPKhS1_P6__halfPKfiiiiiiii.uses_vcc, 1
	.set _Z19_skinny_gemm_kernelILi1ELi5ELi1ELi32ELi8EEvPKhS1_P6__halfPKfiiiiiiii.uses_flat_scratch, 0
	.set _Z19_skinny_gemm_kernelILi1ELi5ELi1ELi32ELi8EEvPKhS1_P6__halfPKfiiiiiiii.has_dyn_sized_stack, 0
	.set _Z19_skinny_gemm_kernelILi1ELi5ELi1ELi32ELi8EEvPKhS1_P6__halfPKfiiiiiiii.has_recursion, 0
	.set _Z19_skinny_gemm_kernelILi1ELi5ELi1ELi32ELi8EEvPKhS1_P6__halfPKfiiiiiiii.has_indirect_call, 0
	.section	.AMDGPU.csdata,"",@progbits
; Kernel info:
; codeLenInByte = 17336
; TotalNumSgprs: 106
; NumVgprs: 128
; NumAgprs: 0
; TotalNumVgprs: 128
; ScratchSize: 88
; MemoryBound: 0
; FloatMode: 240
; IeeeMode: 1
; LDSByteSize: 24600 bytes/workgroup (compile time only)
; SGPRBlocks: 13
; VGPRBlocks: 15
; NumSGPRsForWavesPerEU: 106
; NumVGPRsForWavesPerEU: 128
; AccumOffset: 128
; Occupancy: 4
; WaveLimiterHint : 0
; COMPUTE_PGM_RSRC2:SCRATCH_EN: 1
; COMPUTE_PGM_RSRC2:USER_SGPR: 2
; COMPUTE_PGM_RSRC2:TRAP_HANDLER: 0
; COMPUTE_PGM_RSRC2:TGID_X_EN: 1
; COMPUTE_PGM_RSRC2:TGID_Y_EN: 0
; COMPUTE_PGM_RSRC2:TGID_Z_EN: 0
; COMPUTE_PGM_RSRC2:TIDIG_COMP_CNT: 0
; COMPUTE_PGM_RSRC3_GFX90A:ACCUM_OFFSET: 31
; COMPUTE_PGM_RSRC3_GFX90A:TG_SPLIT: 0
	.section	.text._Z19_skinny_gemm_kernelILi1ELi5ELi2ELi8ELi4EEvPKhS1_P6__halfPKfiiiiiiii,"axG",@progbits,_Z19_skinny_gemm_kernelILi1ELi5ELi2ELi8ELi4EEvPKhS1_P6__halfPKfiiiiiiii,comdat
	.protected	_Z19_skinny_gemm_kernelILi1ELi5ELi2ELi8ELi4EEvPKhS1_P6__halfPKfiiiiiiii ; -- Begin function _Z19_skinny_gemm_kernelILi1ELi5ELi2ELi8ELi4EEvPKhS1_P6__halfPKfiiiiiiii
	.globl	_Z19_skinny_gemm_kernelILi1ELi5ELi2ELi8ELi4EEvPKhS1_P6__halfPKfiiiiiiii
	.p2align	8
	.type	_Z19_skinny_gemm_kernelILi1ELi5ELi2ELi8ELi4EEvPKhS1_P6__halfPKfiiiiiiii,@function
_Z19_skinny_gemm_kernelILi1ELi5ELi2ELi8ELi4EEvPKhS1_P6__halfPKfiiiiiiii: ; @_Z19_skinny_gemm_kernelILi1ELi5ELi2ELi8ELi4EEvPKhS1_P6__halfPKfiiiiiiii
; %bb.0:
	v_cmp_gt_u32_e32 vcc, 12, v0
	v_lshlrev_b32_e32 v1, 2, v0
	s_and_saveexec_b64 s[4:5], vcc
; %bb.1:
	v_mov_b32_e32 v2, 0
	ds_write_b32 v1, v2 offset:45056
; %bb.2:
	s_or_b64 exec, exec, s[4:5]
	s_load_dwordx8 s[12:19], s[0:1], 0x20
	s_mov_b32 s48, 0x66666667
	s_waitcnt lgkmcnt(0)
	s_barrier
	s_add_i32 s3, s12, 7
	s_ashr_i32 s5, s3, 31
	s_lshr_b32 s5, s5, 29
	s_add_i32 s4, s13, 0x4f
	s_add_i32 s3, s3, s5
	s_ashr_i32 s33, s3, 3
	s_mul_hi_i32 s3, s4, 0x66666667
	s_lshr_b32 s4, s3, 31
	s_ashr_i32 s46, s3, 5
	s_add_i32 s46, s46, s4
	s_mul_i32 s3, s46, s33
	s_mul_i32 s3, s3, s16
	s_add_i32 s4, s3, 0x12f
	s_mul_hi_i32 s4, s4, 0x6bca1af3
	s_lshr_b32 s5, s4, 31
	s_ashr_i32 s4, s4, 7
	s_add_i32 s4, s4, s5
	s_add_i32 s5, s2, 1
	s_mul_i32 s5, s4, s5
	v_cvt_f64_i32_e32 v[2:3], s3
	v_cvt_f64_u32_e32 v[4:5], s5
	v_min_f64 v[2:3], v[2:3], v[4:5]
	v_cvt_i32_f64_e32 v21, v[2:3]
	s_mul_i32 s47, s4, s2
	v_cmp_ge_i32_e32 vcc, s47, v21
	s_cbranch_vccnz .LBB118_53
; %bb.3:
	v_lshrrev_b32_e32 v2, 6, v0
	s_add_i32 s4, s18, s17
	s_load_dwordx8 s[20:27], s[0:1], 0x0
	v_cmp_le_i32_e64 s[0:1], s4, v2
	v_mov_b32_e32 v3, s17
	v_cmp_le_i32_e64 s[2:3], s17, v2
	v_mov_b32_e32 v4, s18
	v_cndmask_b32_e64 v4, 0, v4, s[0:1]
	v_cndmask_b32_e64 v3, 0, v3, s[2:3]
	s_abs_i32 s5, s16
	v_add_u32_e32 v3, v3, v4
	v_cvt_f32_u32_e32 v4, s5
	v_sub_u32_e32 v34, v2, v3
	s_ashr_i32 s6, s14, 31
	s_lshr_b32 s6, s6, 24
	v_rcp_iflag_f32_e32 v3, v4
	s_sub_i32 s9, 0, s5
	s_add_i32 s6, s14, s6
	s_ashr_i32 s6, s6, 8
	v_mul_f32_e32 v3, 0x4f7ffffe, v3
	v_cvt_u32_f32_e32 v3, v3
	s_abs_i32 s8, s6
	s_xor_b32 s7, s6, s16
	s_ashr_i32 s7, s7, 31
	v_readfirstlane_b32 s10, v3
	s_mul_i32 s9, s9, s10
	s_mul_hi_u32 s9, s10, s9
	s_add_i32 s10, s10, s9
	s_mul_hi_u32 s9, s8, s10
	s_mul_i32 s10, s9, s5
	s_sub_i32 s8, s8, s10
	s_add_i32 s10, s9, 1
	s_sub_i32 s11, s8, s5
	s_cmp_ge_u32 s8, s5
	s_cselect_b32 s9, s10, s9
	s_cselect_b32 s8, s11, s8
	s_add_i32 s10, s9, 1
	s_cmp_ge_u32 s8, s5
	s_cselect_b32 s5, s10, s9
	s_xor_b32 s5, s5, s7
	s_sub_i32 s49, s5, s7
	s_add_i32 s16, s16, -1
	s_mul_i32 s5, s49, s16
	s_add_i32 s4, s4, s19
	s_sub_i32 s50, s6, s5
	v_cmp_gt_i32_e64 s[4:5], s4, v2
	v_and_b32_e32 v2, 1, v0
	v_lshlrev_b32_e32 v3, 1, v0
	v_and_b32_e32 v3, 0x7c, v3
	v_lshlrev_b32_e32 v4, 8, v2
	v_lshlrev_b32_e32 v5, 4, v0
	s_mov_b32 s7, 0xa000
	s_movk_i32 s6, 0x7c
	v_and_b32_e32 v6, 0x200, v5
	v_or3_b32 v42, v3, v4, s7
	v_lshrrev_b32_e32 v3, 3, v0
	v_cmp_eq_u32_e32 vcc, 0, v2
	v_and_or_b32 v43, v1, s6, v6
	v_lshlrev_b32_e32 v1, 1, v2
	v_and_or_b32 v2, v3, 6, v2
	v_sub_u32_e32 v49, 8, v2
	v_mul_lo_u32 v22, s13, v2
	v_bfe_u32 v2, v0, 2, 4
	v_lshlrev_b32_e32 v4, 8, v0
	v_lshlrev_b32_e32 v6, 6, v0
	v_mul_lo_u32 v28, s15, v2
	v_and_b32_e32 v2, 60, v0
	v_and_b32_e32 v4, 0x200, v4
	;; [unrolled: 1-line block ×3, first 2 shown]
	s_abs_i32 s52, s33
	v_or3_b32 v50, v2, v4, v6
	v_cvt_f32_u32_e32 v6, s52
	v_lshlrev_b32_e32 v4, 7, v0
	v_and_b32_e32 v20, 14, v0
	v_bitop3_b32 v44, v0, 1, v0 bitop3:0xc
	v_sub_u32_e32 v1, v0, v1
	v_bfe_u32 v2, v0, 3, 3
	v_and_b32_e32 v4, 0x200, v4
	v_lshlrev_b32_e32 v0, 5, v0
	v_lshl_or_b32 v4, v2, 2, v4
	v_and_b32_e32 v0, 0x60, v0
	v_or3_b32 v51, v4, v0, s7
	v_rcp_iflag_f32_e32 v0, v6
	s_abs_i32 s53, s46
	v_mul_lo_u32 v53, s14, v2
	v_cvt_f32_u32_e32 v2, s53
	v_mul_f32_e32 v0, 0x4f7ffffe, v0
	v_cvt_u32_f32_e32 v0, v0
	s_sub_i32 s6, 0, s52
	v_rcp_iflag_f32_e32 v2, v2
	v_add_u32_e32 v1, 1, v1
	v_readfirstlane_b32 s7, v0
	s_mul_i32 s6, s6, s7
	v_mul_f32_e32 v0, 0x4f7ffffe, v2
	v_cvt_u32_f32_e32 v0, v0
	s_mul_hi_u32 s6, s7, s6
	s_add_i32 s55, s7, s6
	s_sub_i32 s6, 0, s53
	v_readfirstlane_b32 s7, v0
	v_mbcnt_lo_u32_b32 v0, -1, 0
	v_and_b32_e32 v1, 63, v1
	s_mul_i32 s6, s6, s7
	v_mbcnt_hi_u32_b32 v0, -1, v0
	v_mov_b32_e32 v7, 0xeeee
	v_mov_b32_e32 v8, 0x4444
	v_mov_b32_e32 v25, 0
	s_mul_hi_u32 s6, s7, s6
	v_and_or_b32 v0, v0, 64, v1
	v_cndmask_b32_e64 v40, 0, 1, s[0:1]
	s_mov_b32 s29, 0
	v_cndmask_b32_e32 v41, v7, v8, vcc
	v_or_b32_e32 v45, 16, v20
	v_or_b32_e32 v46, 32, v20
	v_or_b32_e32 v47, 48, v20
	v_or_b32_e32 v48, 64, v20
	v_ashrrev_i32_e32 v23, 31, v22
	v_and_b32_e32 v26, 48, v5
	v_ashrrev_i32_e32 v29, 31, v28
	v_mov_b32_e32 v27, v25
	s_lshl_b32 s51, s15, 4
	v_bitop3_b32 v52, v3, 7, v3 bitop3:0xc
	v_and_b32_e32 v30, 0x70, v5
	v_mov_b32_e32 v31, v25
	s_lshl_b32 s28, s17, 8
	s_ashr_i32 s54, s33, 31
	s_ashr_i32 s56, s46, 31
	s_add_i32 s57, s7, s6
	s_movk_i32 s58, 0x5000
	s_mov_b64 s[30:31], 0x60
	s_mov_b64 s[34:35], 0x80
	v_lshlrev_b32_e32 v54, 2, v0
	v_mov_b32_e32 v55, v34
	s_branch .LBB118_7
.LBB118_4:                              ;   in Loop: Header=BB118_7 Depth=1
	s_or_b64 exec, exec, s[10:11]
.LBB118_5:                              ;   in Loop: Header=BB118_7 Depth=1
	s_or_b64 exec, exec, s[8:9]
	v_subrev_u32_e32 v55, s59, v55
.LBB118_6:                              ;   in Loop: Header=BB118_7 Depth=1
	s_or_b64 exec, exec, s[6:7]
	s_add_i32 s47, s47, 1
	v_cmp_ge_i32_e32 vcc, s47, v21
	s_cbranch_vccnz .LBB118_53
.LBB118_7:                              ; =>This Loop Header: Depth=1
                                        ;     Child Loop BB118_13 Depth 2
                                        ;       Child Loop BB118_15 Depth 3
                                        ;       Child Loop BB118_18 Depth 3
	;; [unrolled: 1-line block ×6, first 2 shown]
                                        ;     Child Loop BB118_40 Depth 2
                                        ;       Child Loop BB118_42 Depth 3
                                        ;     Child Loop BB118_50 Depth 2
                                        ;       Child Loop BB118_52 Depth 3
	s_abs_i32 s7, s47
	s_mul_hi_u32 s8, s7, s55
	s_mul_i32 s9, s8, s52
	s_ashr_i32 s6, s47, 31
	s_sub_i32 s7, s7, s9
	s_xor_b32 s6, s6, s54
	s_add_i32 s9, s8, 1
	s_sub_i32 s10, s7, s52
	s_cmp_ge_u32 s7, s52
	s_cselect_b32 s8, s9, s8
	s_cselect_b32 s7, s10, s7
	s_add_i32 s9, s8, 1
	s_cmp_ge_u32 s7, s52
	s_cselect_b32 s7, s9, s8
	s_xor_b32 s7, s7, s6
	s_sub_i32 s6, s7, s6
	s_abs_i32 s8, s6
	s_mul_i32 s7, s6, s33
	s_mul_hi_u32 s9, s8, s57
	s_sub_i32 s7, s47, s7
	s_mul_i32 s10, s9, s53
	s_lshl_b32 s60, s7, 3
	s_ashr_i32 s7, s6, 31
	s_sub_i32 s8, s8, s10
	s_xor_b32 s7, s7, s56
	s_add_i32 s10, s9, 1
	s_sub_i32 s11, s8, s53
	s_cmp_ge_u32 s8, s53
	s_cselect_b32 s9, s10, s9
	s_cselect_b32 s8, s11, s8
	s_add_i32 s10, s9, 1
	s_cmp_ge_u32 s8, s53
	s_cselect_b32 s8, s10, s9
	s_xor_b32 s8, s8, s7
	s_sub_i32 s7, s8, s7
	s_mul_i32 s8, s7, s49
	s_lshl_b32 s61, s8, 8
	s_cmp_eq_u32 s7, s16
	s_cselect_b32 s59, s50, s49
	s_sub_i32 s62, s60, s12
	s_add_i32 s62, s62, 8
	s_and_saveexec_b64 s[8:9], s[2:3]
	s_xor_b64 s[36:37], exec, s[8:9]
	s_cbranch_execz .LBB118_46
; %bb.8:                                ;   in Loop: Header=BB118_7 Depth=1
	s_mul_i32 s7, s7, s46
	s_sub_i32 s6, s6, s7
	s_mulk_i32 s6, 0x50
	s_sub_i32 s39, s6, s13
	s_addk_i32 s39, 0x50
	s_max_i32 s7, s39, 0
	s_sub_i32 s38, s6, s7
	s_and_saveexec_b64 s[6:7], s[0:1]
	s_xor_b64 s[40:41], exec, s[6:7]
	s_cbranch_execz .LBB118_36
; %bb.9:                                ;   in Loop: Header=BB118_7 Depth=1
	s_and_saveexec_b64 s[42:43], s[4:5]
	s_cbranch_execz .LBB118_35
; %bb.10:                               ;   in Loop: Header=BB118_7 Depth=1
	s_waitcnt lgkmcnt(0)
	global_load_dword v24, v25, s[26:27]
	v_mov_b32_e32 v19, 0
	v_cmp_gt_i32_e32 vcc, s59, v55
	v_mov_b32_e32 v18, v19
	v_mov_b32_e32 v17, v19
	;; [unrolled: 1-line block ×19, first 2 shown]
	s_and_saveexec_b64 s[6:7], vcc
	s_cbranch_execz .LBB118_32
; %bb.11:                               ;   in Loop: Header=BB118_7 Depth=1
	v_mov_b32_e32 v0, 0
	s_mov_b64 s[8:9], 0
	v_mov_b32_e32 v1, v0
	v_mov_b32_e32 v2, v0
	;; [unrolled: 1-line block ×19, first 2 shown]
	s_branch .LBB118_13
.LBB118_12:                             ;   in Loop: Header=BB118_13 Depth=2
	s_or_b64 exec, exec, s[10:11]
	v_add_u32_e32 v62, 0x4000, v59
	ds_read2_b32 v[60:61], v62 offset1:32
	ds_read2_b32 v[62:63], v62 offset0:64 offset1:96
	v_add_u32_e32 v66, 0x4400, v59
	ds_read2_b32 v[64:65], v66 offset1:32
	ds_read2_b32 v[66:67], v66 offset0:64 offset1:96
	v_add_u32_e32 v55, s19, v55
	v_cmp_le_i32_e32 vcc, s59, v55
	s_waitcnt lgkmcnt(2)
	v_smfmac_f32_16x16x64_fp8_fp8 v[0:3], v[38:39], v[60:63], v41 cbsz:7 abid:1
	v_add_u32_e32 v38, 0x4800, v59
	ds_read2_b32 v[60:61], v38 offset1:32
	ds_read2_b32 v[62:63], v38 offset0:64 offset1:96
	v_add_u32_e32 v38, 0x4c00, v59
	s_waitcnt lgkmcnt(2)
	v_smfmac_f32_16x16x64_fp8_fp8 v[0:3], v[36:37], v[64:67], v41 cbsz:7 abid:1
	ds_read2_b32 v[36:37], v38 offset1:32
	ds_read2_b32 v[38:39], v38 offset0:64 offset1:96
	s_or_b64 s[8:9], vcc, s[8:9]
	ds_write_b32 v57, v58 offset:45080
	s_waitcnt lgkmcnt(3)
	v_smfmac_f32_16x16x64_fp8_fp8 v[0:3], v[34:35], v[60:63], v41 cbsz:7 abid:1
	v_add_u32_e32 v34, s19, v56
	v_add_u32_e32 v35, 2, v40
	v_cmp_lt_i32_e32 vcc, 1, v34
	s_waitcnt lgkmcnt(1)
	v_smfmac_f32_16x16x64_fp8_fp8 v[0:3], v[32:33], v[36:39], v41 cbsz:7 abid:1
	v_cndmask_b32_e32 v40, v40, v35, vcc
	s_andn2_b64 exec, exec, s[8:9]
	s_cbranch_execz .LBB118_31
.LBB118_13:                             ;   Parent Loop BB118_7 Depth=1
                                        ; =>  This Loop Header: Depth=2
                                        ;       Child Loop BB118_15 Depth 3
                                        ;       Child Loop BB118_18 Depth 3
	;; [unrolled: 1-line block ×6, first 2 shown]
	v_cmp_gt_i32_e32 vcc, 2, v34
	s_nop 1
	v_cndmask_b32_e64 v32, -2, 0, vcc
	v_add_u32_e32 v56, v32, v34
	v_lshlrev_b32_e32 v32, 2, v56
	ds_read_b32 v33, v32 offset:45056
	v_add_u32_e32 v59, 0xb000, v32
	s_waitcnt lgkmcnt(0)
	v_cmp_ne_u32_e32 vcc, v33, v40
	s_and_saveexec_b64 s[10:11], vcc
	s_cbranch_execz .LBB118_16
; %bb.14:                               ;   in Loop: Header=BB118_13 Depth=2
	s_mov_b64 s[44:45], 0
.LBB118_15:                             ;   Parent Loop BB118_7 Depth=1
                                        ;     Parent Loop BB118_13 Depth=2
                                        ; =>    This Inner Loop Header: Depth=3
	;;#ASMSTART
	s_sleep 0
	;;#ASMEND
	ds_read_b32 v32, v59
	s_waitcnt lgkmcnt(0)
	v_cmp_eq_u32_e32 vcc, v32, v40
	s_or_b64 s[44:45], vcc, s[44:45]
	s_andn2_b64 exec, exec, s[44:45]
	s_cbranch_execnz .LBB118_15
.LBB118_16:                             ;   in Loop: Header=BB118_13 Depth=2
	s_or_b64 exec, exec, s[10:11]
	v_lshl_add_u32 v32, v56, 11, v42
	ds_read2_b32 v[38:39], v32 offset1:32
	ds_read2_b32 v[36:37], v32 offset0:128 offset1:160
	v_add_u32_e32 v32, 0x400, v32
	v_mul_lo_u32 v57, v56, 20
	ds_read2_b32 v[34:35], v32 offset1:32
	ds_read2_b32 v[32:33], v32 offset0:128 offset1:160
	;;#ASMSTART
	s_waitcnt lgkmcnt(0)
	;;#ASMEND
	ds_read_b32 v60, v57 offset:45064
	v_add_u32_e32 v58, 1, v40
	ds_write_b32 v59, v58
	s_waitcnt lgkmcnt(1)
	v_cmp_ne_u32_e32 vcc, v60, v40
	s_and_saveexec_b64 s[10:11], vcc
	s_cbranch_execz .LBB118_19
; %bb.17:                               ;   in Loop: Header=BB118_13 Depth=2
	s_mov_b64 s[44:45], 0
.LBB118_18:                             ;   Parent Loop BB118_7 Depth=1
                                        ;     Parent Loop BB118_13 Depth=2
                                        ; =>    This Inner Loop Header: Depth=3
	;;#ASMSTART
	s_sleep 0
	;;#ASMEND
	ds_read_b32 v59, v57 offset:45064
	s_waitcnt lgkmcnt(0)
	v_cmp_eq_u32_e32 vcc, v59, v40
	s_or_b64 s[44:45], vcc, s[44:45]
	s_andn2_b64 exec, exec, s[44:45]
	s_cbranch_execnz .LBB118_18
.LBB118_19:                             ;   in Loop: Header=BB118_13 Depth=2
	s_or_b64 exec, exec, s[10:11]
	v_mul_lo_u32 v59, v56, s58
	v_or_b32_e32 v59, v43, v59
	ds_read2_b32 v[60:61], v59 offset1:32
	ds_read2_b32 v[62:63], v59 offset0:64 offset1:96
	v_add_u32_e32 v66, 0x400, v59
	ds_read2_b32 v[64:65], v66 offset1:32
	ds_read2_b32 v[66:67], v66 offset0:64 offset1:96
	s_waitcnt lgkmcnt(2)
	v_smfmac_f32_16x16x64_fp8_fp8 v[16:19], v[38:39], v[60:63], v41 cbsz:7 abid:1
	v_add_u32_e32 v62, 0x800, v59
	ds_read2_b32 v[60:61], v62 offset1:32
	ds_read2_b32 v[62:63], v62 offset0:64 offset1:96
	s_waitcnt lgkmcnt(2)
	v_smfmac_f32_16x16x64_fp8_fp8 v[16:19], v[36:37], v[64:67], v41 cbsz:7 abid:1
	v_add_u32_e32 v66, 0xc00, v59
	ds_read2_b32 v[64:65], v66 offset1:32
	s_waitcnt lgkmcnt(1)
	v_smfmac_f32_16x16x64_fp8_fp8 v[16:19], v[34:35], v[60:63], v41 cbsz:7 abid:1
	ds_read2_b32 v[66:67], v66 offset0:64 offset1:96
	ds_read_b32 v60, v57 offset:45068
	ds_write_b32 v57, v58 offset:45064
	s_waitcnt lgkmcnt(1)
	v_cmp_ne_u32_e32 vcc, v60, v40
	v_smfmac_f32_16x16x64_fp8_fp8 v[16:19], v[32:33], v[64:67], v41 cbsz:7 abid:1
	s_and_saveexec_b64 s[10:11], vcc
	s_cbranch_execz .LBB118_22
; %bb.20:                               ;   in Loop: Header=BB118_13 Depth=2
	s_mov_b64 s[44:45], 0
.LBB118_21:                             ;   Parent Loop BB118_7 Depth=1
                                        ;     Parent Loop BB118_13 Depth=2
                                        ; =>    This Inner Loop Header: Depth=3
	;;#ASMSTART
	s_sleep 0
	;;#ASMEND
	ds_read_b32 v60, v57 offset:45068
	s_waitcnt lgkmcnt(0)
	v_cmp_eq_u32_e32 vcc, v60, v40
	s_or_b64 s[44:45], vcc, s[44:45]
	s_andn2_b64 exec, exec, s[44:45]
	s_cbranch_execnz .LBB118_21
.LBB118_22:                             ;   in Loop: Header=BB118_13 Depth=2
	s_or_b64 exec, exec, s[10:11]
	v_add_u32_e32 v62, 0x1000, v59
	ds_read2_b32 v[60:61], v62 offset1:32
	ds_read2_b32 v[62:63], v62 offset0:64 offset1:96
	v_add_u32_e32 v66, 0x1400, v59
	ds_read2_b32 v[64:65], v66 offset1:32
	ds_read2_b32 v[66:67], v66 offset0:64 offset1:96
	s_waitcnt lgkmcnt(2)
	v_smfmac_f32_16x16x64_fp8_fp8 v[12:15], v[38:39], v[60:63], v41 cbsz:7 abid:1
	v_add_u32_e32 v62, 0x1800, v59
	ds_read2_b32 v[60:61], v62 offset1:32
	ds_read2_b32 v[62:63], v62 offset0:64 offset1:96
	s_waitcnt lgkmcnt(2)
	v_smfmac_f32_16x16x64_fp8_fp8 v[12:15], v[36:37], v[64:67], v41 cbsz:7 abid:1
	v_add_u32_e32 v66, 0x1c00, v59
	ds_read2_b32 v[64:65], v66 offset1:32
	s_waitcnt lgkmcnt(1)
	v_smfmac_f32_16x16x64_fp8_fp8 v[12:15], v[34:35], v[60:63], v41 cbsz:7 abid:1
	ds_read2_b32 v[66:67], v66 offset0:64 offset1:96
	ds_read_b32 v60, v57 offset:45072
	ds_write_b32 v57, v58 offset:45068
	s_waitcnt lgkmcnt(1)
	v_cmp_ne_u32_e32 vcc, v60, v40
	v_smfmac_f32_16x16x64_fp8_fp8 v[12:15], v[32:33], v[64:67], v41 cbsz:7 abid:1
	s_and_saveexec_b64 s[10:11], vcc
	s_cbranch_execz .LBB118_25
; %bb.23:                               ;   in Loop: Header=BB118_13 Depth=2
	s_mov_b64 s[44:45], 0
.LBB118_24:                             ;   Parent Loop BB118_7 Depth=1
                                        ;     Parent Loop BB118_13 Depth=2
                                        ; =>    This Inner Loop Header: Depth=3
	;;#ASMSTART
	s_sleep 0
	;;#ASMEND
	ds_read_b32 v60, v57 offset:45072
	s_waitcnt lgkmcnt(0)
	v_cmp_eq_u32_e32 vcc, v60, v40
	s_or_b64 s[44:45], vcc, s[44:45]
	s_andn2_b64 exec, exec, s[44:45]
	s_cbranch_execnz .LBB118_24
.LBB118_25:                             ;   in Loop: Header=BB118_13 Depth=2
	s_or_b64 exec, exec, s[10:11]
	v_add_u32_e32 v62, 0x2000, v59
	;; [unrolled: 41-line block ×3, first 2 shown]
	ds_read2_b32 v[60:61], v62 offset1:32
	ds_read2_b32 v[62:63], v62 offset0:64 offset1:96
	v_add_u32_e32 v66, 0x3400, v59
	ds_read2_b32 v[64:65], v66 offset1:32
	ds_read2_b32 v[66:67], v66 offset0:64 offset1:96
	s_waitcnt lgkmcnt(2)
	v_smfmac_f32_16x16x64_fp8_fp8 v[4:7], v[38:39], v[60:63], v41 cbsz:7 abid:1
	v_add_u32_e32 v62, 0x3800, v59
	ds_read2_b32 v[60:61], v62 offset1:32
	ds_read2_b32 v[62:63], v62 offset0:64 offset1:96
	s_waitcnt lgkmcnt(2)
	v_smfmac_f32_16x16x64_fp8_fp8 v[4:7], v[36:37], v[64:67], v41 cbsz:7 abid:1
	v_add_u32_e32 v66, 0x3c00, v59
	ds_read2_b32 v[64:65], v66 offset1:32
	s_waitcnt lgkmcnt(1)
	v_smfmac_f32_16x16x64_fp8_fp8 v[4:7], v[34:35], v[60:63], v41 cbsz:7 abid:1
	ds_read2_b32 v[66:67], v66 offset0:64 offset1:96
	ds_read_b32 v60, v57 offset:45080
	ds_write_b32 v57, v58 offset:45076
	s_waitcnt lgkmcnt(1)
	v_cmp_ne_u32_e32 vcc, v60, v40
	v_smfmac_f32_16x16x64_fp8_fp8 v[4:7], v[32:33], v[64:67], v41 cbsz:7 abid:1
	s_and_saveexec_b64 s[10:11], vcc
	s_cbranch_execz .LBB118_12
; %bb.29:                               ;   in Loop: Header=BB118_13 Depth=2
	s_mov_b64 s[44:45], 0
.LBB118_30:                             ;   Parent Loop BB118_7 Depth=1
                                        ;     Parent Loop BB118_13 Depth=2
                                        ; =>    This Inner Loop Header: Depth=3
	;;#ASMSTART
	s_sleep 0
	;;#ASMEND
	ds_read_b32 v60, v57 offset:45080
	s_waitcnt lgkmcnt(0)
	v_cmp_eq_u32_e32 vcc, v60, v40
	s_or_b64 s[44:45], vcc, s[44:45]
	s_andn2_b64 exec, exec, s[44:45]
	s_cbranch_execnz .LBB118_30
	s_branch .LBB118_12
.LBB118_31:                             ;   in Loop: Header=BB118_7 Depth=1
	s_or_b64 exec, exec, s[8:9]
.LBB118_32:                             ;   in Loop: Header=BB118_7 Depth=1
	s_or_b64 exec, exec, s[6:7]
	v_cmp_le_i32_e32 vcc, s39, v20
	v_mov_b32_e32 v36, v17
	v_mov_b32_e32 v37, v18
	;; [unrolled: 1-line block ×3, first 2 shown]
	s_waitcnt vmcnt(0)
	v_cndmask_b32_e32 v32, 0, v24, vcc
	v_pk_add_f32 v[16:17], v[36:37], v[16:17]
	v_cmp_eq_u32_e32 vcc, 1, v44
	v_pk_mul_f32 v[16:17], v[32:33], v[16:17] op_sel_hi:[0,1]
	v_cmp_eq_u32_e64 s[6:7], 2, v44
	v_cndmask_b32_e32 v32, v16, v17, vcc
	v_cmp_le_i32_e64 s[10:11], s39, v45
	v_mov_b32_e32 v36, v13
	v_mov_b32_e32 v37, v14
	v_mov_b32_e32 v13, v15
	v_cndmask_b32_e64 v18, v32, v18, s[6:7]
	v_cndmask_b32_e64 v32, 0, v24, s[10:11]
	v_pk_add_f32 v[12:13], v[36:37], v[12:13]
	v_cmp_eq_u32_e64 s[8:9], 3, v44
	v_pk_mul_f32 v[12:13], v[32:33], v[12:13] op_sel_hi:[0,1]
	v_cmp_le_i32_e64 s[10:11], s39, v46
	v_mov_b32_e32 v36, v9
	v_mov_b32_e32 v37, v10
	;; [unrolled: 1-line block ×3, first 2 shown]
	v_cndmask_b32_e64 v18, v18, v19, s[8:9]
	v_cndmask_b32_e32 v19, v12, v13, vcc
	v_cndmask_b32_e64 v32, 0, v24, s[10:11]
	v_pk_add_f32 v[8:9], v[36:37], v[8:9]
	v_cndmask_b32_e64 v14, v19, v14, s[6:7]
	v_pk_mul_f32 v[8:9], v[32:33], v[8:9] op_sel_hi:[0,1]
	v_cmp_le_i32_e64 s[10:11], s39, v47
	v_mov_b32_e32 v36, v5
	v_mov_b32_e32 v37, v6
	;; [unrolled: 1-line block ×3, first 2 shown]
	v_cndmask_b32_e64 v14, v14, v15, s[8:9]
	v_cndmask_b32_e32 v15, v8, v9, vcc
	v_cndmask_b32_e64 v32, 0, v24, s[10:11]
	v_pk_add_f32 v[4:5], v[36:37], v[4:5]
	v_cndmask_b32_e64 v10, v15, v10, s[6:7]
	v_pk_mul_f32 v[4:5], v[32:33], v[4:5] op_sel_hi:[0,1]
	v_cndmask_b32_e64 v10, v10, v11, s[8:9]
	v_cndmask_b32_e32 v11, v4, v5, vcc
	v_cmp_le_i32_e32 vcc, s39, v48
	v_mov_b32_e32 v32, v1
	v_mov_b32_e32 v33, v2
	;; [unrolled: 1-line block ×3, first 2 shown]
	v_cndmask_b32_e32 v24, 0, v24, vcc
	v_pk_add_f32 v[0:1], v[32:33], v[0:1]
	v_cndmask_b32_e64 v6, v11, v6, s[6:7]
	v_pk_mul_f32 v[0:1], v[24:25], v[0:1] op_sel_hi:[0,1]
	v_cmp_ne_u32_e32 vcc, 0, v44
	v_cndmask_b32_e64 v6, v6, v7, s[8:9]
	ds_bpermute_b32 v18, v54, v18
	v_cndmask_b32_e32 v7, v0, v1, vcc
	v_cndmask_b32_e64 v2, v7, v2, s[6:7]
	v_cndmask_b32_e64 v2, v2, v3, s[8:9]
	ds_bpermute_b32 v14, v54, v14
	ds_bpermute_b32 v10, v54, v10
	;; [unrolled: 1-line block ×4, first 2 shown]
	v_cmp_lt_i32_e32 vcc, s62, v49
	s_and_saveexec_b64 s[8:9], vcc
	s_cbranch_execz .LBB118_34
; %bb.33:                               ;   in Loop: Header=BB118_7 Depth=1
	s_mul_i32 s6, s60, s13
	s_ashr_i32 s7, s6, 31
	s_lshl_b64 s[6:7], s[6:7], 1
	s_add_u32 s10, s24, s6
	s_addc_u32 s11, s25, s7
	s_ashr_i32 s39, s38, 31
	s_lshl_b64 s[6:7], s[38:39], 1
	s_add_u32 s10, s10, s6
	s_addc_u32 s11, s11, s7
	v_cmp_ne_u32_e32 vcc, 0, v44
	v_cmp_eq_u32_e64 s[6:7], 0, v44
	v_lshlrev_b32_e32 v24, 1, v20
	s_waitcnt lgkmcnt(0)
	v_cndmask_b32_e32 v7, v1, v2, vcc
	v_cndmask_b32_e64 v11, v0, v2, s[6:7]
	v_cndmask_b32_e32 v0, v17, v18, vcc
	v_cndmask_b32_e64 v1, v16, v18, s[6:7]
	;; [unrolled: 2-line block ×4, first 2 shown]
	v_cvt_f16_f32_e32 v9, v1
	v_cvt_f16_f32_sdwa v10, v0 dst_sel:WORD_1 dst_unused:UNUSED_PAD src0_sel:DWORD
	v_cndmask_b32_e32 v2, v13, v14, vcc
	v_cndmask_b32_e64 v3, v12, v14, s[6:7]
	v_lshl_add_u64 v[0:1], v[22:23], 1, s[10:11]
	v_or_b32_e32 v9, v10, v9
	v_cvt_f16_f32_e32 v8, v8
	v_cvt_f16_f32_sdwa v6, v6 dst_sel:WORD_1 dst_unused:UNUSED_PAD src0_sel:DWORD
	v_lshl_add_u64 v[0:1], v[0:1], 0, v[24:25]
	;;#ASMSTART
	global_atomic_pk_add_f16 v[0:1], v9, off
	
	;;#ASMEND
	v_cvt_f16_f32_e32 v9, v3
	v_cvt_f16_f32_sdwa v10, v2 dst_sel:WORD_1 dst_unused:UNUSED_PAD src0_sel:DWORD
	v_lshl_add_u64 v[2:3], v[0:1], 0, 32
	v_or_b32_e32 v6, v6, v8
	v_cvt_f16_f32_e32 v4, v4
	v_or_b32_e32 v9, v10, v9
	;;#ASMSTART
	global_atomic_pk_add_f16 v[2:3], v9, off
	
	;;#ASMEND
	v_lshl_add_u64 v[2:3], v[0:1], 0, 64
	;;#ASMSTART
	global_atomic_pk_add_f16 v[2:3], v6, off
	
	;;#ASMEND
	v_cvt_f16_f32_sdwa v5, v5 dst_sel:WORD_1 dst_unused:UNUSED_PAD src0_sel:DWORD
	v_cvt_f16_f32_e32 v6, v11
	v_cvt_f16_f32_sdwa v7, v7 dst_sel:WORD_1 dst_unused:UNUSED_PAD src0_sel:DWORD
	v_lshl_add_u64 v[2:3], v[0:1], 0, s[30:31]
	v_or_b32_e32 v4, v5, v4
	;;#ASMSTART
	global_atomic_pk_add_f16 v[2:3], v4, off
	
	;;#ASMEND
	v_lshl_add_u64 v[0:1], v[0:1], 0, s[34:35]
	v_or_b32_e32 v2, v7, v6
	;;#ASMSTART
	global_atomic_pk_add_f16 v[0:1], v2, off
	
	;;#ASMEND
.LBB118_34:                             ;   in Loop: Header=BB118_7 Depth=1
	s_or_b64 exec, exec, s[8:9]
	v_subrev_u32_e32 v55, s59, v55
.LBB118_35:                             ;   in Loop: Header=BB118_7 Depth=1
	s_or_b64 exec, exec, s[42:43]
.LBB118_36:                             ;   in Loop: Header=BB118_7 Depth=1
	s_andn2_saveexec_b64 s[6:7], s[40:41]
	s_cbranch_execz .LBB118_45
; %bb.37:                               ;   in Loop: Header=BB118_7 Depth=1
	s_mul_i32 s42, s59, 5
	v_cmp_gt_i32_e32 vcc, s42, v55
	s_and_saveexec_b64 s[8:9], vcc
	s_cbranch_execz .LBB118_44
; %bb.38:                               ;   in Loop: Header=BB118_7 Depth=1
	s_mul_i32 s10, s38, s15
	s_ashr_i32 s11, s10, 31
	s_waitcnt lgkmcnt(0)
	s_add_u32 s10, s22, s10
	s_addc_u32 s11, s23, s11
	s_ashr_i32 s38, s61, 31
	s_add_u32 s10, s10, s61
	s_addc_u32 s11, s11, s38
	v_lshl_add_u64 v[0:1], s[10:11], 0, v[28:29]
	v_lshl_add_u64 v[16:17], v[0:1], 0, v[26:27]
	s_mov_b64 s[10:11], 0
	s_branch .LBB118_40
.LBB118_39:                             ;   in Loop: Header=BB118_40 Depth=2
	s_or_b64 exec, exec, s[38:39]
	v_lshl_or_b32 v24, v18, 12, v50
	;;#ASMSTART
	s_waitcnt vmcnt(3)
	;;#ASMEND
	ds_write2_b32 v24, v12, v13 offset1:32
	ds_write2_b32 v24, v14, v15 offset0:64 offset1:96
	v_add_u32_e32 v12, 0x400, v24
	;;#ASMSTART
	s_waitcnt vmcnt(2)
	;;#ASMEND
	ds_write2_b32 v12, v8, v9 offset1:32
	ds_write2_b32 v12, v10, v11 offset0:64 offset1:96
	v_add_u32_e32 v8, 0x800, v24
	;; [unrolled: 6-line block ×3, first 2 shown]
	v_add_u32_e32 v55, s18, v55
	;;#ASMSTART
	s_waitcnt vmcnt(0)
	;;#ASMEND
	ds_write2_b32 v4, v0, v1 offset1:32
	ds_write2_b32 v4, v2, v3 offset0:64 offset1:96
	v_add_u32_e32 v0, 1, v40
	v_add_u32_e32 v34, s18, v18
	v_cmp_le_i32_e32 vcc, s42, v55
	ds_write_b32 v19, v0 offset:8
	v_add_u32_e32 v0, 2, v40
	s_or_b64 s[10:11], vcc, s[10:11]
	v_cmp_lt_i32_e32 vcc, 9, v34
	s_nop 1
	v_cndmask_b32_e32 v40, v40, v0, vcc
	s_andn2_b64 exec, exec, s[10:11]
	s_cbranch_execz .LBB118_43
.LBB118_40:                             ;   Parent Loop BB118_7 Depth=1
                                        ; =>  This Loop Header: Depth=2
                                        ;       Child Loop BB118_42 Depth 3
	v_cmp_gt_i32_e32 vcc, 10, v34
	s_nop 1
	v_cndmask_b32_e64 v0, -10, 0, vcc
	v_add_u32_e32 v18, v0, v34
	v_mul_hi_i32 v0, v55, s48
	v_lshrrev_b32_e32 v1, 31, v0
	v_ashrrev_i32_e32 v0, 1, v0
	v_add_u32_e32 v0, v0, v1
	v_lshl_add_u32 v1, v0, 2, v0
	v_sub_u32_e32 v2, v55, v1
	v_lshlrev_b32_e32 v0, 8, v0
	v_ashrrev_i32_e32 v1, 31, v0
	v_mul_lo_u32 v2, s51, v2
	v_lshl_add_u64 v[0:1], v[16:17], 0, v[0:1]
	v_ashrrev_i32_e32 v3, 31, v2
	v_lshl_add_u64 v[0:1], v[0:1], 0, v[2:3]
	v_lshlrev_b32_e32 v19, 2, v18
	;;#ASMSTART
	global_load_dwordx4 v[12:15], v[0:1], off offset:0    sc0 sc1 nt  
	global_load_dwordx4 v[8:11], v[0:1], off offset:64   sc0 sc1 nt  
	global_load_dwordx4 v[4:7], v[0:1], off offset:128  sc0 sc1 nt  
	global_load_dwordx4 v[0:3], v[0:1], off offset:192  sc0 sc1 nt  
	
	;;#ASMEND
	ds_read_b32 v24, v19 offset:45064
	v_add_u32_e32 v19, 0xb000, v19
	s_waitcnt lgkmcnt(0)
	v_cmp_ne_u32_e32 vcc, v24, v40
	s_and_saveexec_b64 s[38:39], vcc
	s_cbranch_execz .LBB118_39
; %bb.41:                               ;   in Loop: Header=BB118_40 Depth=2
	s_mov_b64 s[40:41], 0
.LBB118_42:                             ;   Parent Loop BB118_7 Depth=1
                                        ;     Parent Loop BB118_40 Depth=2
                                        ; =>    This Inner Loop Header: Depth=3
	;;#ASMSTART
	s_sleep 0
	;;#ASMEND
	ds_read_b32 v24, v19 offset:8
	s_waitcnt lgkmcnt(0)
	v_cmp_eq_u32_e32 vcc, v24, v40
	s_or_b64 s[40:41], vcc, s[40:41]
	s_andn2_b64 exec, exec, s[40:41]
	s_cbranch_execnz .LBB118_42
	s_branch .LBB118_39
.LBB118_43:                             ;   in Loop: Header=BB118_7 Depth=1
	s_or_b64 exec, exec, s[10:11]
.LBB118_44:                             ;   in Loop: Header=BB118_7 Depth=1
	s_or_b64 exec, exec, s[8:9]
	v_subrev_u32_e32 v55, s42, v55
.LBB118_45:                             ;   in Loop: Header=BB118_7 Depth=1
	s_or_b64 exec, exec, s[6:7]
.LBB118_46:                             ;   in Loop: Header=BB118_7 Depth=1
	s_andn2_saveexec_b64 s[6:7], s[36:37]
	s_cbranch_execz .LBB118_6
; %bb.47:                               ;   in Loop: Header=BB118_7 Depth=1
	v_cmp_gt_i32_e32 vcc, s59, v55
	s_and_saveexec_b64 s[8:9], vcc
	s_cbranch_execz .LBB118_5
; %bb.48:                               ;   in Loop: Header=BB118_7 Depth=1
	s_mul_i32 s60, s60, s14
	s_ashr_i32 s10, s60, 31
	s_waitcnt lgkmcnt(0)
	s_add_u32 s11, s20, s60
	s_addc_u32 s36, s21, s10
	s_ashr_i32 s37, s61, 31
	v_cmp_le_i32_e32 vcc, s62, v52
	s_add_u32 s10, s11, s61
	s_addc_u32 s11, s36, s37
	v_cndmask_b32_e32 v0, 0, v53, vcc
	v_ashrrev_i32_e32 v1, 31, v0
	v_lshl_add_u64 v[0:1], s[10:11], 0, v[0:1]
	v_lshlrev_b32_e32 v2, 8, v55
	v_lshl_add_u64 v[0:1], v[0:1], 0, v[30:31]
	v_ashrrev_i32_e32 v3, 31, v2
	v_lshl_add_u64 v[8:9], v[0:1], 0, v[2:3]
	s_mov_b64 s[10:11], 0
	s_branch .LBB118_50
.LBB118_49:                             ;   in Loop: Header=BB118_50 Depth=2
	s_or_b64 exec, exec, s[36:37]
	;;#ASMSTART
	s_waitcnt vmcnt(1)
	v_pack_b32_f16 v12, v4, v5, op_sel:[0,0]
	v_pack_b32_f16 v13, v4, v5, op_sel:[1,1]
	;; [unrolled: 1-line block ×4, first 2 shown]
	v_swap_b32 v12, v4
	v_swap_b32 v13, v6
	;; [unrolled: 1-line block ×4, first 2 shown]
	;;#ASMEND
	v_add_u32_e32 v55, s17, v55
	v_lshl_add_u32 v12, v10, 11, v51
	ds_write2_b32 v12, v4, v5 offset1:32
	ds_write2_b32 v12, v6, v7 offset0:64 offset1:96
	;;#ASMSTART
	s_waitcnt vmcnt(0)
	v_pack_b32_f16 v4, v0, v1, op_sel:[0,0]
	v_pack_b32_f16 v5, v0, v1, op_sel:[1,1]
	;; [unrolled: 1-line block ×4, first 2 shown]
	v_swap_b32 v4, v0
	v_swap_b32 v5, v2
	;; [unrolled: 1-line block ×4, first 2 shown]
	;;#ASMEND
	v_add_u32_e32 v34, s17, v10
	v_add_u32_e32 v4, 0x400, v12
	ds_write2_b32 v4, v0, v1 offset1:32
	ds_write2_b32 v4, v2, v3 offset0:64 offset1:96
	v_add_u32_e32 v0, 1, v40
	v_cmp_le_i32_e32 vcc, s59, v55
	ds_write_b32 v11, v0
	v_add_u32_e32 v0, 2, v40
	s_or_b64 s[10:11], vcc, s[10:11]
	v_cmp_lt_i32_e32 vcc, 1, v34
	v_lshl_add_u64 v[8:9], v[8:9], 0, s[28:29]
	s_nop 0
	v_cndmask_b32_e32 v40, v40, v0, vcc
	s_andn2_b64 exec, exec, s[10:11]
	s_cbranch_execz .LBB118_4
.LBB118_50:                             ;   Parent Loop BB118_7 Depth=1
                                        ; =>  This Loop Header: Depth=2
                                        ;       Child Loop BB118_52 Depth 3
	v_cmp_gt_i32_e32 vcc, 2, v34
	s_nop 1
	v_cndmask_b32_e64 v0, -2, 0, vcc
	v_add_u32_e32 v10, v0, v34
	v_lshlrev_b32_e32 v11, 2, v10
	;;#ASMSTART
	global_load_dwordx4 v[4:7], v[8:9], off offset:0  
	global_load_dwordx4 v[0:3], v[8:9], off offset:128
	
	;;#ASMEND
	ds_read_b32 v12, v11 offset:45056
	v_add_u32_e32 v11, 0xb000, v11
	s_waitcnt lgkmcnt(0)
	v_cmp_ne_u32_e32 vcc, v12, v40
	s_and_saveexec_b64 s[36:37], vcc
	s_cbranch_execz .LBB118_49
; %bb.51:                               ;   in Loop: Header=BB118_50 Depth=2
	s_mov_b64 s[38:39], 0
.LBB118_52:                             ;   Parent Loop BB118_7 Depth=1
                                        ;     Parent Loop BB118_50 Depth=2
                                        ; =>    This Inner Loop Header: Depth=3
	;;#ASMSTART
	s_sleep 0
	;;#ASMEND
	ds_read_b32 v12, v11
	s_waitcnt lgkmcnt(0)
	v_cmp_eq_u32_e32 vcc, v12, v40
	s_or_b64 s[38:39], vcc, s[38:39]
	s_andn2_b64 exec, exec, s[38:39]
	s_cbranch_execnz .LBB118_52
	s_branch .LBB118_49
.LBB118_53:
	s_endpgm
	.section	.rodata,"a",@progbits
	.p2align	6, 0x0
	.amdhsa_kernel _Z19_skinny_gemm_kernelILi1ELi5ELi2ELi8ELi4EEvPKhS1_P6__halfPKfiiiiiiii
		.amdhsa_group_segment_fixed_size 45104
		.amdhsa_private_segment_fixed_size 0
		.amdhsa_kernarg_size 64
		.amdhsa_user_sgpr_count 2
		.amdhsa_user_sgpr_dispatch_ptr 0
		.amdhsa_user_sgpr_queue_ptr 0
		.amdhsa_user_sgpr_kernarg_segment_ptr 1
		.amdhsa_user_sgpr_dispatch_id 0
		.amdhsa_user_sgpr_kernarg_preload_length 0
		.amdhsa_user_sgpr_kernarg_preload_offset 0
		.amdhsa_user_sgpr_private_segment_size 0
		.amdhsa_uses_dynamic_stack 0
		.amdhsa_enable_private_segment 0
		.amdhsa_system_sgpr_workgroup_id_x 1
		.amdhsa_system_sgpr_workgroup_id_y 0
		.amdhsa_system_sgpr_workgroup_id_z 0
		.amdhsa_system_sgpr_workgroup_info 0
		.amdhsa_system_vgpr_workitem_id 0
		.amdhsa_next_free_vgpr 68
		.amdhsa_next_free_sgpr 63
		.amdhsa_accum_offset 68
		.amdhsa_reserve_vcc 1
		.amdhsa_float_round_mode_32 0
		.amdhsa_float_round_mode_16_64 0
		.amdhsa_float_denorm_mode_32 3
		.amdhsa_float_denorm_mode_16_64 3
		.amdhsa_dx10_clamp 1
		.amdhsa_ieee_mode 1
		.amdhsa_fp16_overflow 0
		.amdhsa_tg_split 0
		.amdhsa_exception_fp_ieee_invalid_op 0
		.amdhsa_exception_fp_denorm_src 0
		.amdhsa_exception_fp_ieee_div_zero 0
		.amdhsa_exception_fp_ieee_overflow 0
		.amdhsa_exception_fp_ieee_underflow 0
		.amdhsa_exception_fp_ieee_inexact 0
		.amdhsa_exception_int_div_zero 0
	.end_amdhsa_kernel
	.section	.text._Z19_skinny_gemm_kernelILi1ELi5ELi2ELi8ELi4EEvPKhS1_P6__halfPKfiiiiiiii,"axG",@progbits,_Z19_skinny_gemm_kernelILi1ELi5ELi2ELi8ELi4EEvPKhS1_P6__halfPKfiiiiiiii,comdat
.Lfunc_end118:
	.size	_Z19_skinny_gemm_kernelILi1ELi5ELi2ELi8ELi4EEvPKhS1_P6__halfPKfiiiiiiii, .Lfunc_end118-_Z19_skinny_gemm_kernelILi1ELi5ELi2ELi8ELi4EEvPKhS1_P6__halfPKfiiiiiiii
                                        ; -- End function
	.set _Z19_skinny_gemm_kernelILi1ELi5ELi2ELi8ELi4EEvPKhS1_P6__halfPKfiiiiiiii.num_vgpr, 68
	.set _Z19_skinny_gemm_kernelILi1ELi5ELi2ELi8ELi4EEvPKhS1_P6__halfPKfiiiiiiii.num_agpr, 0
	.set _Z19_skinny_gemm_kernelILi1ELi5ELi2ELi8ELi4EEvPKhS1_P6__halfPKfiiiiiiii.numbered_sgpr, 63
	.set _Z19_skinny_gemm_kernelILi1ELi5ELi2ELi8ELi4EEvPKhS1_P6__halfPKfiiiiiiii.num_named_barrier, 0
	.set _Z19_skinny_gemm_kernelILi1ELi5ELi2ELi8ELi4EEvPKhS1_P6__halfPKfiiiiiiii.private_seg_size, 0
	.set _Z19_skinny_gemm_kernelILi1ELi5ELi2ELi8ELi4EEvPKhS1_P6__halfPKfiiiiiiii.uses_vcc, 1
	.set _Z19_skinny_gemm_kernelILi1ELi5ELi2ELi8ELi4EEvPKhS1_P6__halfPKfiiiiiiii.uses_flat_scratch, 0
	.set _Z19_skinny_gemm_kernelILi1ELi5ELi2ELi8ELi4EEvPKhS1_P6__halfPKfiiiiiiii.has_dyn_sized_stack, 0
	.set _Z19_skinny_gemm_kernelILi1ELi5ELi2ELi8ELi4EEvPKhS1_P6__halfPKfiiiiiiii.has_recursion, 0
	.set _Z19_skinny_gemm_kernelILi1ELi5ELi2ELi8ELi4EEvPKhS1_P6__halfPKfiiiiiiii.has_indirect_call, 0
	.section	.AMDGPU.csdata,"",@progbits
; Kernel info:
; codeLenInByte = 4588
; TotalNumSgprs: 69
; NumVgprs: 68
; NumAgprs: 0
; TotalNumVgprs: 68
; ScratchSize: 0
; MemoryBound: 0
; FloatMode: 240
; IeeeMode: 1
; LDSByteSize: 45104 bytes/workgroup (compile time only)
; SGPRBlocks: 8
; VGPRBlocks: 8
; NumSGPRsForWavesPerEU: 69
; NumVGPRsForWavesPerEU: 68
; AccumOffset: 68
; Occupancy: 7
; WaveLimiterHint : 0
; COMPUTE_PGM_RSRC2:SCRATCH_EN: 0
; COMPUTE_PGM_RSRC2:USER_SGPR: 2
; COMPUTE_PGM_RSRC2:TRAP_HANDLER: 0
; COMPUTE_PGM_RSRC2:TGID_X_EN: 1
; COMPUTE_PGM_RSRC2:TGID_Y_EN: 0
; COMPUTE_PGM_RSRC2:TGID_Z_EN: 0
; COMPUTE_PGM_RSRC2:TIDIG_COMP_CNT: 0
; COMPUTE_PGM_RSRC3_GFX90A:ACCUM_OFFSET: 16
; COMPUTE_PGM_RSRC3_GFX90A:TG_SPLIT: 0
	.section	.text._Z19_skinny_gemm_kernelILi1ELi5ELi2ELi16ELi4EEvPKhS1_P6__halfPKfiiiiiiii,"axG",@progbits,_Z19_skinny_gemm_kernelILi1ELi5ELi2ELi16ELi4EEvPKhS1_P6__halfPKfiiiiiiii,comdat
	.protected	_Z19_skinny_gemm_kernelILi1ELi5ELi2ELi16ELi4EEvPKhS1_P6__halfPKfiiiiiiii ; -- Begin function _Z19_skinny_gemm_kernelILi1ELi5ELi2ELi16ELi4EEvPKhS1_P6__halfPKfiiiiiiii
	.globl	_Z19_skinny_gemm_kernelILi1ELi5ELi2ELi16ELi4EEvPKhS1_P6__halfPKfiiiiiiii
	.p2align	8
	.type	_Z19_skinny_gemm_kernelILi1ELi5ELi2ELi16ELi4EEvPKhS1_P6__halfPKfiiiiiiii,@function
_Z19_skinny_gemm_kernelILi1ELi5ELi2ELi16ELi4EEvPKhS1_P6__halfPKfiiiiiiii: ; @_Z19_skinny_gemm_kernelILi1ELi5ELi2ELi16ELi4EEvPKhS1_P6__halfPKfiiiiiiii
; %bb.0:
	v_cmp_gt_u32_e32 vcc, 12, v0
	v_lshlrev_b32_e32 v1, 2, v0
	s_and_saveexec_b64 s[4:5], vcc
; %bb.1:
	v_mov_b32_e32 v2, 0
	ds_write_b32 v1, v2 offset:24576
; %bb.2:
	s_or_b64 exec, exec, s[4:5]
	s_load_dwordx8 s[20:27], s[0:1], 0x20
	s_mov_b32 s54, 0x66666667
	s_waitcnt lgkmcnt(0)
	s_barrier
	s_add_i32 s3, s20, 15
	s_ashr_i32 s5, s3, 31
	s_lshr_b32 s5, s5, 28
	s_add_i32 s4, s21, 0x4f
	s_add_i32 s3, s3, s5
	s_ashr_i32 s33, s3, 4
	s_mul_hi_i32 s3, s4, 0x66666667
	s_lshr_b32 s4, s3, 31
	s_ashr_i32 s52, s3, 5
	s_add_i32 s52, s52, s4
	s_mul_i32 s3, s52, s33
	s_mul_i32 s3, s3, s24
	s_add_i32 s4, s3, 0x12f
	s_mul_hi_i32 s4, s4, 0x6bca1af3
	s_lshr_b32 s5, s4, 31
	s_ashr_i32 s4, s4, 7
	s_add_i32 s4, s4, s5
	s_add_i32 s5, s2, 1
	s_mul_i32 s5, s4, s5
	v_cvt_f64_i32_e32 v[2:3], s3
	v_cvt_f64_u32_e32 v[4:5], s5
	v_min_f64 v[2:3], v[2:3], v[4:5]
	v_cvt_i32_f64_e32 v21, v[2:3]
	s_mul_i32 s53, s4, s2
	v_cmp_ge_i32_e32 vcc, s53, v21
	s_cbranch_vccnz .LBB119_54
; %bb.3:
	v_lshrrev_b32_e32 v2, 6, v0
	s_add_i32 s4, s26, s25
	s_load_dwordx8 s[36:43], s[0:1], 0x0
	v_cmp_le_i32_e64 s[0:1], s4, v2
	v_mov_b32_e32 v3, s25
	v_cmp_le_i32_e64 s[2:3], s25, v2
	v_mov_b32_e32 v4, s26
	v_cndmask_b32_e64 v4, 0, v4, s[0:1]
	v_cndmask_b32_e64 v3, 0, v3, s[2:3]
	s_abs_i32 s5, s24
	v_add_u32_e32 v3, v3, v4
	v_cvt_f32_u32_e32 v4, s5
	v_sub_u32_e32 v28, v2, v3
	s_ashr_i32 s6, s22, 31
	s_lshr_b32 s6, s6, 25
	v_rcp_iflag_f32_e32 v3, v4
	s_sub_i32 s9, 0, s5
	s_add_i32 s6, s22, s6
	s_ashr_i32 s6, s6, 7
	v_mul_f32_e32 v3, 0x4f7ffffe, v3
	v_cvt_u32_f32_e32 v3, v3
	s_abs_i32 s8, s6
	s_xor_b32 s7, s6, s24
	s_ashr_i32 s7, s7, 31
	v_readfirstlane_b32 s10, v3
	s_mul_i32 s9, s9, s10
	s_mul_hi_u32 s9, s10, s9
	s_add_i32 s10, s10, s9
	s_mul_hi_u32 s9, s8, s10
	s_mul_i32 s10, s9, s5
	s_sub_i32 s8, s8, s10
	s_add_i32 s10, s9, 1
	s_sub_i32 s11, s8, s5
	s_cmp_ge_u32 s8, s5
	s_cselect_b32 s9, s10, s9
	s_cselect_b32 s8, s11, s8
	s_add_i32 s10, s9, 1
	s_cmp_ge_u32 s8, s5
	s_cselect_b32 s5, s10, s9
	s_xor_b32 s5, s5, s7
	s_sub_i32 s55, s5, s7
	s_add_i32 s24, s24, -1
	s_mul_i32 s5, s55, s24
	s_add_i32 s4, s4, s27
	s_sub_i32 s56, s6, s5
	v_cmp_gt_i32_e64 s[4:5], s4, v2
	v_lshlrev_b32_e32 v2, 1, v0
	v_lshlrev_b32_e32 v3, 4, v0
	v_and_b32_e32 v1, 60, v1
	v_and_b32_e32 v2, 64, v2
	;; [unrolled: 1-line block ×3, first 2 shown]
	s_abs_i32 s57, s33
	v_or3_b32 v41, v1, v2, v4
	v_and_b32_e32 v1, 1, v0
	v_cvt_f32_u32_e32 v6, s57
	v_lshlrev_b32_e32 v2, 1, v1
	v_lshrrev_b32_e32 v4, 2, v0
	v_and_b32_e32 v20, 14, v0
	v_sub_u32_e32 v2, v0, v2
	v_and_or_b32 v42, v4, 12, v1
	v_bitop3_b32 v43, v0, 1, v0 bitop3:0xc
	v_bitop3_b32 v44, v0, 3, 1 bitop3:0x6c
	v_and_b32_e32 v24, 48, v3
	v_bfe_u32 v1, v0, 2, 4
	v_and_b32_e32 v3, 60, v0
	v_lshlrev_b32_e32 v5, 8, v0
	v_lshlrev_b32_e32 v0, 6, v0
	v_and_b32_e32 v5, 0x200, v5
	v_and_b32_e32 v0, 64, v0
	v_or3_b32 v49, v3, v5, v0
	v_rcp_iflag_f32_e32 v0, v6
	s_abs_i32 s59, s52
	v_mul_lo_u32 v26, s23, v1
	v_mul_lo_u32 v51, s22, v1
	v_cvt_f32_u32_e32 v1, s59
	v_mul_f32_e32 v0, 0x4f7ffffe, v0
	v_cvt_u32_f32_e32 v0, v0
	v_mad_u64_u32 v[22:23], s[6:7], s21, v42, v[20:21]
	v_rcp_iflag_f32_e32 v1, v1
	v_readfirstlane_b32 s7, v0
	s_sub_i32 s6, 0, s57
	s_mul_i32 s6, s6, s7
	v_mul_f32_e32 v0, 0x4f7ffffe, v1
	v_cvt_u32_f32_e32 v0, v0
	s_mul_hi_u32 s6, s7, s6
	v_add_u32_e32 v2, 1, v2
	s_add_i32 s61, s7, s6
	s_sub_i32 s6, 0, s59
	v_readfirstlane_b32 s7, v0
	v_mbcnt_lo_u32_b32 v0, -1, 0
	v_and_b32_e32 v2, 63, v2
	s_mul_i32 s6, s6, s7
	v_mbcnt_hi_u32_b32 v0, -1, v0
	s_mul_hi_u32 s6, s7, s6
	v_and_or_b32 v0, v0, 64, v2
	v_cndmask_b32_e64 v40, 0, 1, s[0:1]
	v_or_b32_e32 v45, 16, v20
	v_or_b32_e32 v46, 32, v20
	;; [unrolled: 1-line block ×4, first 2 shown]
	v_ashrrev_i32_e32 v23, 31, v22
	s_ashr_i32 s29, s21, 31
	s_mov_b32 s28, s21
	v_ashrrev_i32_e32 v27, 31, v26
	v_mov_b32_e32 v25, 0
	s_lshl_b32 s58, s23, 4
	v_bitop3_b32 v50, v4, 15, v4 bitop3:0xc
	v_or_b32_e32 v52, 0x5000, v49
	s_ashr_i32 s60, s33, 31
	s_ashr_i32 s62, s52, 31
	s_add_i32 s63, s7, s6
	s_movk_i32 s64, 0x2800
	s_mov_b64 s[30:31], 0x60
	s_mov_b64 s[34:35], 0x80
	v_lshlrev_b32_e32 v53, 2, v0
	v_mov_b32_e32 v54, v28
	s_branch .LBB119_7
.LBB119_4:                              ;   in Loop: Header=BB119_7 Depth=1
	s_or_b64 exec, exec, s[10:11]
.LBB119_5:                              ;   in Loop: Header=BB119_7 Depth=1
	s_or_b64 exec, exec, s[8:9]
	v_subrev_u32_e32 v54, s65, v54
.LBB119_6:                              ;   in Loop: Header=BB119_7 Depth=1
	s_or_b64 exec, exec, s[6:7]
	s_add_i32 s53, s53, 1
	v_cmp_ge_i32_e32 vcc, s53, v21
	s_cbranch_vccnz .LBB119_54
.LBB119_7:                              ; =>This Loop Header: Depth=1
                                        ;     Child Loop BB119_13 Depth 2
                                        ;       Child Loop BB119_15 Depth 3
                                        ;       Child Loop BB119_18 Depth 3
                                        ;       Child Loop BB119_21 Depth 3
                                        ;       Child Loop BB119_24 Depth 3
                                        ;       Child Loop BB119_27 Depth 3
                                        ;       Child Loop BB119_30 Depth 3
                                        ;     Child Loop BB119_41 Depth 2
                                        ;       Child Loop BB119_43 Depth 3
                                        ;     Child Loop BB119_51 Depth 2
                                        ;       Child Loop BB119_53 Depth 3
	s_abs_i32 s7, s53
	s_mul_hi_u32 s8, s7, s61
	s_mul_i32 s9, s8, s57
	s_ashr_i32 s6, s53, 31
	s_sub_i32 s7, s7, s9
	s_xor_b32 s6, s6, s60
	s_add_i32 s9, s8, 1
	s_sub_i32 s10, s7, s57
	s_cmp_ge_u32 s7, s57
	s_cselect_b32 s8, s9, s8
	s_cselect_b32 s7, s10, s7
	s_add_i32 s9, s8, 1
	s_cmp_ge_u32 s7, s57
	s_cselect_b32 s7, s9, s8
	s_xor_b32 s7, s7, s6
	s_sub_i32 s6, s7, s6
	s_abs_i32 s8, s6
	s_mul_i32 s7, s6, s33
	s_mul_hi_u32 s9, s8, s63
	s_sub_i32 s7, s53, s7
	s_mul_i32 s10, s9, s59
	s_lshl_b32 s66, s7, 4
	s_ashr_i32 s7, s6, 31
	s_sub_i32 s8, s8, s10
	s_xor_b32 s7, s7, s62
	s_add_i32 s10, s9, 1
	s_sub_i32 s11, s8, s59
	s_cmp_ge_u32 s8, s59
	s_cselect_b32 s9, s10, s9
	s_cselect_b32 s8, s11, s8
	s_add_i32 s10, s9, 1
	s_cmp_ge_u32 s8, s59
	s_cselect_b32 s8, s10, s9
	s_xor_b32 s8, s8, s7
	s_sub_i32 s7, s8, s7
	s_mul_i32 s8, s7, s55
	s_lshl_b32 s67, s8, 7
	s_cmp_eq_u32 s7, s24
	s_cselect_b32 s65, s56, s55
	s_sub_i32 s68, s66, s20
	s_add_i32 s68, s68, 16
	s_and_saveexec_b64 s[8:9], s[2:3]
	s_xor_b64 s[44:45], exec, s[8:9]
	s_cbranch_execz .LBB119_47
; %bb.8:                                ;   in Loop: Header=BB119_7 Depth=1
	s_mul_i32 s7, s7, s52
	s_sub_i32 s6, s6, s7
	s_mulk_i32 s6, 0x50
	s_sub_i32 s47, s6, s21
	s_addk_i32 s47, 0x50
	s_max_i32 s7, s47, 0
	s_sub_i32 s46, s6, s7
	s_and_saveexec_b64 s[6:7], s[0:1]
	s_xor_b64 s[48:49], exec, s[6:7]
	s_cbranch_execz .LBB119_37
; %bb.9:                                ;   in Loop: Header=BB119_7 Depth=1
	s_and_saveexec_b64 s[50:51], s[4:5]
	s_cbranch_execz .LBB119_36
; %bb.10:                               ;   in Loop: Header=BB119_7 Depth=1
	s_waitcnt lgkmcnt(0)
	global_load_dword v55, v25, s[42:43]
	v_mov_b32_e32 v19, 0
	v_cmp_gt_i32_e32 vcc, s65, v54
	v_mov_b32_e32 v18, v19
	v_mov_b32_e32 v17, v19
	;; [unrolled: 1-line block ×19, first 2 shown]
	s_and_saveexec_b64 s[6:7], vcc
	s_cbranch_execz .LBB119_32
; %bb.11:                               ;   in Loop: Header=BB119_7 Depth=1
	v_mov_b32_e32 v0, 0
	s_mov_b64 s[8:9], 0
	v_mov_b32_e32 v1, v0
	v_mov_b32_e32 v2, v0
	;; [unrolled: 1-line block ×19, first 2 shown]
	s_branch .LBB119_13
.LBB119_12:                             ;   in Loop: Header=BB119_13 Depth=2
	s_or_b64 exec, exec, s[10:11]
	v_add_u32_e32 v37, 0x2000, v36
	ds_read2_b32 v[38:39], v37 offset1:32
	v_add_u32_e32 v54, s27, v54
	v_cmp_le_i32_e32 vcc, s65, v54
	s_or_b64 s[8:9], vcc, s[8:9]
	s_waitcnt lgkmcnt(0)
	v_mfma_f32_16x16x32_fp8_fp8 v[0:3], v[28:29], v[38:39], v[0:3]
	ds_read2_b32 v[28:29], v37 offset0:128 offset1:160
	v_add_u32_e32 v38, 0x2400, v36
	ds_read2_b32 v[36:37], v38 offset1:32
	s_waitcnt lgkmcnt(1)
	v_mfma_f32_16x16x32_fp8_fp8 v[0:3], v[34:35], v[28:29], v[0:3]
	ds_read2_b32 v[34:35], v38 offset0:128 offset1:160
	v_add_u32_e32 v28, s27, v57
	v_add_u32_e32 v29, 2, v40
	s_waitcnt lgkmcnt(1)
	v_mfma_f32_16x16x32_fp8_fp8 v[0:3], v[32:33], v[36:37], v[0:3]
	v_cmp_lt_i32_e32 vcc, 1, v28
	;;#ASMSTART
	s_waitcnt lgkmcnt(0)
	;;#ASMEND
	ds_write_b32 v56, v58 offset:24600
	s_waitcnt lgkmcnt(1)
	v_mfma_f32_16x16x32_fp8_fp8 v[0:3], v[30:31], v[34:35], v[0:3]
	v_cndmask_b32_e32 v40, v40, v29, vcc
	s_andn2_b64 exec, exec, s[8:9]
	s_cbranch_execz .LBB119_31
.LBB119_13:                             ;   Parent Loop BB119_7 Depth=1
                                        ; =>  This Loop Header: Depth=2
                                        ;       Child Loop BB119_15 Depth 3
                                        ;       Child Loop BB119_18 Depth 3
	;; [unrolled: 1-line block ×6, first 2 shown]
	v_cmp_gt_i32_e32 vcc, 2, v28
	s_nop 1
	v_cndmask_b32_e64 v29, -2, 0, vcc
	v_add_u32_e32 v57, v29, v28
	v_mul_lo_u32 v56, v57, 20
	ds_read_b32 v28, v56 offset:24584
	s_waitcnt lgkmcnt(0)
	v_cmp_ne_u32_e32 vcc, v28, v40
	s_and_saveexec_b64 s[10:11], vcc
	s_cbranch_execz .LBB119_16
; %bb.14:                               ;   in Loop: Header=BB119_13 Depth=2
	s_mov_b64 s[12:13], 0
.LBB119_15:                             ;   Parent Loop BB119_7 Depth=1
                                        ;     Parent Loop BB119_13 Depth=2
                                        ; =>    This Inner Loop Header: Depth=3
	;;#ASMSTART
	s_sleep 0
	;;#ASMEND
	ds_read_b32 v28, v56 offset:24584
	s_waitcnt lgkmcnt(0)
	v_cmp_eq_u32_e32 vcc, v28, v40
	s_or_b64 s[12:13], vcc, s[12:13]
	s_andn2_b64 exec, exec, s[12:13]
	s_cbranch_execnz .LBB119_15
.LBB119_16:                             ;   in Loop: Header=BB119_13 Depth=2
	s_or_b64 exec, exec, s[10:11]
	v_mul_lo_u32 v59, v57, s64
	v_or_b32_e32 v28, v41, v59
	ds_read2_b32 v[32:33], v28 offset1:32
	ds_read2_b32 v[30:31], v28 offset0:128 offset1:160
	v_add_u32_e32 v28, 0x400, v28
	ds_read2_b32 v[38:39], v28 offset1:32
	ds_read2_b32 v[36:37], v28 offset0:128 offset1:160
	v_lshlrev_b32_e32 v28, 2, v57
	;;#ASMSTART
	s_waitcnt lgkmcnt(0)
	;;#ASMEND
	ds_read_b32 v29, v28 offset:24576
	v_add_u32_e32 v58, 1, v40
	v_add_u32_e32 v60, 0x6000, v28
	ds_write_b32 v56, v58 offset:24584
	s_waitcnt lgkmcnt(1)
	v_cmp_ne_u32_e32 vcc, v29, v40
	s_and_saveexec_b64 s[10:11], vcc
	s_cbranch_execz .LBB119_19
; %bb.17:                               ;   in Loop: Header=BB119_13 Depth=2
	s_mov_b64 s[12:13], 0
.LBB119_18:                             ;   Parent Loop BB119_7 Depth=1
                                        ;     Parent Loop BB119_13 Depth=2
                                        ; =>    This Inner Loop Header: Depth=3
	;;#ASMSTART
	s_sleep 0
	;;#ASMEND
	ds_read_b32 v28, v60
	s_waitcnt lgkmcnt(0)
	v_cmp_eq_u32_e32 vcc, v28, v40
	s_or_b64 s[12:13], vcc, s[12:13]
	s_andn2_b64 exec, exec, s[12:13]
	s_cbranch_execnz .LBB119_18
.LBB119_19:                             ;   in Loop: Header=BB119_13 Depth=2
	s_or_b64 exec, exec, s[10:11]
	v_or_b32_e32 v28, 0x5000, v41
	v_lshl_add_u32 v61, v57, 11, v28
	ds_read2_b32 v[28:29], v61 offset1:32
	ds_read2_b32 v[34:35], v61 offset0:128 offset1:160
	v_add_u32_e32 v61, 0x400, v61
	s_waitcnt lgkmcnt(1)
	v_mfma_f32_16x16x32_fp8_fp8 v[16:19], v[28:29], v[32:33], v[16:19]
	ds_read2_b32 v[32:33], v61 offset1:32
	s_waitcnt lgkmcnt(1)
	v_mfma_f32_16x16x32_fp8_fp8 v[16:19], v[34:35], v[30:31], v[16:19]
	s_waitcnt lgkmcnt(0)
	v_mfma_f32_16x16x32_fp8_fp8 v[16:19], v[32:33], v[38:39], v[16:19]
	ds_read2_b32 v[30:31], v61 offset0:128 offset1:160
	ds_read_b32 v38, v56 offset:24588
	ds_write_b32 v60, v58
	s_waitcnt lgkmcnt(1)
	v_cmp_ne_u32_e32 vcc, v38, v40
	v_mfma_f32_16x16x32_fp8_fp8 v[16:19], v[30:31], v[36:37], v[16:19]
	s_and_saveexec_b64 s[10:11], vcc
	s_cbranch_execz .LBB119_22
; %bb.20:                               ;   in Loop: Header=BB119_13 Depth=2
	s_mov_b64 s[12:13], 0
.LBB119_21:                             ;   Parent Loop BB119_7 Depth=1
                                        ;     Parent Loop BB119_13 Depth=2
                                        ; =>    This Inner Loop Header: Depth=3
	;;#ASMSTART
	s_sleep 0
	;;#ASMEND
	ds_read_b32 v36, v56 offset:24588
	s_waitcnt lgkmcnt(0)
	v_cmp_eq_u32_e32 vcc, v36, v40
	s_or_b64 s[12:13], vcc, s[12:13]
	s_andn2_b64 exec, exec, s[12:13]
	s_cbranch_execnz .LBB119_21
.LBB119_22:                             ;   in Loop: Header=BB119_13 Depth=2
	s_or_b64 exec, exec, s[10:11]
	v_add_u32_e32 v36, v41, v59
	v_add_u32_e32 v37, 0x800, v36
	ds_read2_b32 v[38:39], v37 offset1:32
	s_waitcnt lgkmcnt(0)
	v_mfma_f32_16x16x32_fp8_fp8 v[12:15], v[28:29], v[38:39], v[12:15]
	ds_read2_b32 v[38:39], v37 offset0:128 offset1:160
	v_add_u32_e32 v37, 0xc00, v36
	s_waitcnt lgkmcnt(0)
	v_mfma_f32_16x16x32_fp8_fp8 v[12:15], v[34:35], v[38:39], v[12:15]
	ds_read2_b32 v[38:39], v37 offset1:32
	ds_read2_b32 v[60:61], v37 offset0:128 offset1:160
	;;#ASMSTART
	s_waitcnt lgkmcnt(0)
	;;#ASMEND
	ds_read_b32 v37, v56 offset:24592
	s_waitcnt lgkmcnt(2)
	v_mfma_f32_16x16x32_fp8_fp8 v[12:15], v[32:33], v[38:39], v[12:15]
	ds_write_b32 v56, v58 offset:24588
	s_waitcnt lgkmcnt(1)
	v_cmp_ne_u32_e32 vcc, v37, v40
	v_mfma_f32_16x16x32_fp8_fp8 v[12:15], v[30:31], v[60:61], v[12:15]
	s_and_saveexec_b64 s[10:11], vcc
	s_cbranch_execz .LBB119_25
; %bb.23:                               ;   in Loop: Header=BB119_13 Depth=2
	s_mov_b64 s[12:13], 0
.LBB119_24:                             ;   Parent Loop BB119_7 Depth=1
                                        ;     Parent Loop BB119_13 Depth=2
                                        ; =>    This Inner Loop Header: Depth=3
	;;#ASMSTART
	s_sleep 0
	;;#ASMEND
	ds_read_b32 v37, v56 offset:24592
	s_waitcnt lgkmcnt(0)
	v_cmp_eq_u32_e32 vcc, v37, v40
	s_or_b64 s[12:13], vcc, s[12:13]
	s_andn2_b64 exec, exec, s[12:13]
	s_cbranch_execnz .LBB119_24
.LBB119_25:                             ;   in Loop: Header=BB119_13 Depth=2
	s_or_b64 exec, exec, s[10:11]
	v_add_u32_e32 v37, 0x1000, v36
	ds_read2_b32 v[38:39], v37 offset1:32
	s_waitcnt lgkmcnt(0)
	v_mfma_f32_16x16x32_fp8_fp8 v[8:11], v[28:29], v[38:39], v[8:11]
	ds_read2_b32 v[38:39], v37 offset0:128 offset1:160
	v_add_u32_e32 v37, 0x1400, v36
	s_waitcnt lgkmcnt(0)
	v_mfma_f32_16x16x32_fp8_fp8 v[8:11], v[34:35], v[38:39], v[8:11]
	ds_read2_b32 v[38:39], v37 offset1:32
	ds_read2_b32 v[60:61], v37 offset0:128 offset1:160
	;;#ASMSTART
	s_waitcnt lgkmcnt(0)
	;;#ASMEND
	ds_read_b32 v37, v56 offset:24596
	s_waitcnt lgkmcnt(2)
	v_mfma_f32_16x16x32_fp8_fp8 v[8:11], v[32:33], v[38:39], v[8:11]
	ds_write_b32 v56, v58 offset:24592
	s_waitcnt lgkmcnt(1)
	v_cmp_ne_u32_e32 vcc, v37, v40
	v_mfma_f32_16x16x32_fp8_fp8 v[8:11], v[30:31], v[60:61], v[8:11]
	s_and_saveexec_b64 s[10:11], vcc
	s_cbranch_execz .LBB119_28
; %bb.26:                               ;   in Loop: Header=BB119_13 Depth=2
	s_mov_b64 s[12:13], 0
.LBB119_27:                             ;   Parent Loop BB119_7 Depth=1
                                        ;     Parent Loop BB119_13 Depth=2
                                        ; =>    This Inner Loop Header: Depth=3
	;;#ASMSTART
	s_sleep 0
	;;#ASMEND
	ds_read_b32 v37, v56 offset:24596
	s_waitcnt lgkmcnt(0)
	v_cmp_eq_u32_e32 vcc, v37, v40
	s_or_b64 s[12:13], vcc, s[12:13]
	s_andn2_b64 exec, exec, s[12:13]
	s_cbranch_execnz .LBB119_27
.LBB119_28:                             ;   in Loop: Header=BB119_13 Depth=2
	s_or_b64 exec, exec, s[10:11]
	v_add_u32_e32 v37, 0x1800, v36
	ds_read2_b32 v[38:39], v37 offset1:32
	s_waitcnt lgkmcnt(0)
	v_mfma_f32_16x16x32_fp8_fp8 v[4:7], v[28:29], v[38:39], v[4:7]
	ds_read2_b32 v[38:39], v37 offset0:128 offset1:160
	v_add_u32_e32 v37, 0x1c00, v36
	s_waitcnt lgkmcnt(0)
	v_mfma_f32_16x16x32_fp8_fp8 v[4:7], v[34:35], v[38:39], v[4:7]
	ds_read2_b32 v[38:39], v37 offset1:32
	ds_read2_b32 v[60:61], v37 offset0:128 offset1:160
	;;#ASMSTART
	s_waitcnt lgkmcnt(0)
	;;#ASMEND
	ds_read_b32 v37, v56 offset:24600
	s_waitcnt lgkmcnt(2)
	v_mfma_f32_16x16x32_fp8_fp8 v[4:7], v[32:33], v[38:39], v[4:7]
	ds_write_b32 v56, v58 offset:24596
	s_waitcnt lgkmcnt(1)
	v_cmp_ne_u32_e32 vcc, v37, v40
	v_mfma_f32_16x16x32_fp8_fp8 v[4:7], v[30:31], v[60:61], v[4:7]
	s_and_saveexec_b64 s[10:11], vcc
	s_cbranch_execz .LBB119_12
; %bb.29:                               ;   in Loop: Header=BB119_13 Depth=2
	s_mov_b64 s[12:13], 0
.LBB119_30:                             ;   Parent Loop BB119_7 Depth=1
                                        ;     Parent Loop BB119_13 Depth=2
                                        ; =>    This Inner Loop Header: Depth=3
	;;#ASMSTART
	s_sleep 0
	;;#ASMEND
	ds_read_b32 v37, v56 offset:24600
	s_waitcnt lgkmcnt(0)
	v_cmp_eq_u32_e32 vcc, v37, v40
	s_or_b64 s[12:13], vcc, s[12:13]
	s_andn2_b64 exec, exec, s[12:13]
	s_cbranch_execnz .LBB119_30
	s_branch .LBB119_12
.LBB119_31:                             ;   in Loop: Header=BB119_7 Depth=1
	s_or_b64 exec, exec, s[8:9]
.LBB119_32:                             ;   in Loop: Header=BB119_7 Depth=1
	s_or_b64 exec, exec, s[6:7]
	v_cmp_le_i32_e32 vcc, s47, v20
	v_cmp_eq_u32_e64 s[12:13], 1, v43
	v_cmp_eq_u32_e64 s[6:7], 3, v43
	s_waitcnt vmcnt(0)
	v_cndmask_b32_e32 v30, 0, v55, vcc
	v_pk_mul_f32 v[18:19], v[30:31], v[18:19] op_sel_hi:[0,1]
	v_pk_mul_f32 v[30:31], v[30:31], v[16:17] op_sel_hi:[0,1]
	v_cndmask_b32_e64 v16, v30, v31, s[12:13]
	v_cmp_eq_u32_e32 vcc, 2, v43
	v_cmp_eq_u32_e64 s[8:9], 0, v43
	v_cmp_le_i32_e64 s[14:15], s47, v45
	v_cndmask_b32_e32 v16, v16, v18, vcc
	v_cndmask_b32_e64 v16, v16, v19, s[6:7]
	ds_bpermute_b32 v29, v53, v16
	v_cmp_eq_u32_e64 s[10:11], 1, v44
	v_cmp_le_i32_e64 s[18:19], s47, v46
	v_cmp_eq_u32_e64 s[16:17], 3, v44
	s_waitcnt lgkmcnt(0)
	v_cndmask_b32_e64 v16, v19, v29, s[6:7]
	v_cndmask_b32_e64 v19, v30, v29, s[8:9]
	v_cndmask_b32_e64 v30, 0, v55, s[14:15]
	v_cndmask_b32_e32 v17, v18, v29, vcc
	v_cndmask_b32_e64 v18, v31, v29, s[12:13]
	v_pk_mul_f32 v[14:15], v[30:31], v[14:15] op_sel_hi:[0,1]
	v_pk_mul_f32 v[30:31], v[30:31], v[12:13] op_sel_hi:[0,1]
	v_cndmask_b32_e64 v12, v30, v31, s[12:13]
	v_cndmask_b32_e32 v12, v12, v14, vcc
	v_cndmask_b32_e64 v12, v12, v15, s[6:7]
	ds_bpermute_b32 v32, v53, v12
	v_cndmask_b32_e64 v29, v19, v18, s[10:11]
	v_cmp_eq_u32_e64 s[14:15], 2, v44
	s_waitcnt lgkmcnt(0)
	v_cndmask_b32_e64 v13, v15, v32, s[6:7]
	v_cndmask_b32_e64 v12, v29, v17, s[14:15]
	;; [unrolled: 1-line block ×4, first 2 shown]
	v_cndmask_b32_e32 v14, v14, v32, vcc
	v_cndmask_b32_e64 v15, v31, v32, s[12:13]
	v_pk_mul_f32 v[32:33], v[30:31], v[8:9] op_sel_hi:[0,1]
	v_pk_mul_f32 v[10:11], v[30:31], v[10:11] op_sel_hi:[0,1]
	v_cndmask_b32_e64 v8, v32, v33, s[12:13]
	v_cndmask_b32_e32 v8, v8, v10, vcc
	v_cndmask_b32_e64 v8, v8, v11, s[6:7]
	ds_bpermute_b32 v31, v53, v8
	v_cmp_le_i32_e64 s[18:19], s47, v47
	v_cndmask_b32_e64 v8, v29, v15, s[10:11]
	v_cndmask_b32_e64 v8, v8, v14, s[14:15]
	;; [unrolled: 1-line block ×3, first 2 shown]
	s_waitcnt lgkmcnt(0)
	v_cndmask_b32_e64 v9, v11, v31, s[6:7]
	v_cndmask_b32_e32 v10, v10, v31, vcc
	v_cndmask_b32_e64 v30, v33, v31, s[12:13]
	v_cndmask_b32_e64 v31, v32, v31, s[8:9]
	;; [unrolled: 1-line block ×3, first 2 shown]
	v_pk_mul_f32 v[6:7], v[32:33], v[6:7] op_sel_hi:[0,1]
	v_pk_mul_f32 v[32:33], v[32:33], v[4:5] op_sel_hi:[0,1]
	v_cndmask_b32_e64 v4, v32, v33, s[12:13]
	v_cndmask_b32_e32 v4, v4, v6, vcc
	v_cndmask_b32_e64 v4, v4, v7, s[6:7]
	ds_bpermute_b32 v11, v53, v4
	v_cmp_le_i32_e64 s[18:19], s47, v48
	v_cndmask_b32_e64 v4, v31, v30, s[10:11]
	v_cndmask_b32_e64 v4, v4, v10, s[14:15]
	v_cndmask_b32_e64 v8, v8, v13, s[16:17]
	s_waitcnt lgkmcnt(0)
	v_cndmask_b32_e64 v33, v33, v11, s[12:13]
	v_cndmask_b32_e64 v34, v32, v11, s[8:9]
	;; [unrolled: 1-line block ×3, first 2 shown]
	v_pk_mul_f32 v[38:39], v[32:33], v[0:1] op_sel_hi:[0,1]
	v_pk_mul_f32 v[36:37], v[32:33], v[2:3] op_sel_hi:[0,1]
	v_cndmask_b32_e64 v0, v38, v39, s[12:13]
	v_cndmask_b32_e32 v0, v0, v36, vcc
	v_cndmask_b32_e64 v0, v0, v37, s[6:7]
	ds_bpermute_b32 v1, v53, v0
	v_cndmask_b32_e32 v6, v6, v11, vcc
	v_cndmask_b32_e64 v0, v34, v33, s[10:11]
	v_cndmask_b32_e64 v5, v7, v11, s[6:7]
	;; [unrolled: 1-line block ×4, first 2 shown]
	s_waitcnt lgkmcnt(0)
	v_cndmask_b32_e32 v3, v36, v1, vcc
	v_cmp_ne_u32_e32 vcc, 0, v43
	ds_bpermute_b32 v7, v53, v0
	v_cndmask_b32_e64 v2, v37, v1, s[6:7]
	v_cndmask_b32_e32 v0, v39, v1, vcc
	v_cndmask_b32_e64 v1, v38, v1, s[8:9]
	v_cndmask_b32_e64 v11, v1, v0, s[10:11]
	;; [unrolled: 1-line block ×5, first 2 shown]
	ds_bpermute_b32 v12, v53, v12
	ds_bpermute_b32 v8, v53, v8
	;; [unrolled: 1-line block ×4, first 2 shown]
	s_max_i32 s6, s68, 0
	v_add_u32_e32 v32, s6, v42
	v_cmp_gt_u32_e32 vcc, 16, v32
	s_and_saveexec_b64 s[12:13], vcc
	s_cbranch_execz .LBB119_35
; %bb.33:                               ;   in Loop: Header=BB119_7 Depth=1
	v_cmp_eq_u32_e64 s[8:9], 1, v44
	v_cmp_eq_u32_e64 s[10:11], 0, v44
	v_cmp_eq_u32_e32 vcc, 3, v44
	s_waitcnt lgkmcnt(3)
	v_cndmask_b32_e64 v18, v18, v12, s[8:9]
	s_waitcnt lgkmcnt(2)
	v_cndmask_b32_e64 v15, v15, v8, s[8:9]
	;; [unrolled: 2-line block ×3, first 2 shown]
	v_cndmask_b32_e64 v33, v33, v7, s[8:9]
	s_waitcnt lgkmcnt(0)
	v_cndmask_b32_e64 v35, v0, v11, s[8:9]
	s_mul_i32 s8, s66, s21
	s_ashr_i32 s9, s8, 31
	s_lshl_b64 s[8:9], s[8:9], 1
	v_cndmask_b32_e64 v19, v19, v12, s[10:11]
	v_cndmask_b32_e64 v29, v29, v8, s[10:11]
	v_cndmask_b32_e64 v31, v31, v4, s[10:11]
	v_cndmask_b32_e64 v34, v34, v7, s[10:11]
	v_cndmask_b32_e64 v36, v1, v11, s[10:11]
	s_add_u32 s10, s40, s8
	s_addc_u32 s11, s41, s9
	s_ashr_i32 s47, s46, 31
	v_cvt_f16_f32_e32 v19, v19
	v_cvt_f16_f32_sdwa v18, v18 dst_sel:WORD_1 dst_unused:UNUSED_PAD src0_sel:DWORD
	v_cvt_f16_f32_e32 v29, v29
	v_cvt_f16_f32_sdwa v15, v15 dst_sel:WORD_1 dst_unused:UNUSED_PAD src0_sel:DWORD
	s_lshl_b64 s[8:9], s[46:47], 1
	v_cvt_f16_f32_e32 v31, v31
	v_cvt_f16_f32_sdwa v30, v30 dst_sel:WORD_1 dst_unused:UNUSED_PAD src0_sel:DWORD
	s_add_u32 s8, s10, s8
	s_addc_u32 s9, s11, s9
	v_lshl_add_u64 v[0:1], v[22:23], 1, s[8:9]
	v_or_b32_e32 v18, v18, v19
	v_or_b32_e32 v15, v15, v29
	;;#ASMSTART
	global_atomic_pk_add_f16 v[0:1], v18, off
	
	;;#ASMEND
	v_lshl_add_u64 v[18:19], v[0:1], 0, 32
	;;#ASMSTART
	global_atomic_pk_add_f16 v[18:19], v15, off
	
	;;#ASMEND
	v_or_b32_e32 v15, v30, v31
	v_lshl_add_u64 v[18:19], v[0:1], 0, 64
	;;#ASMSTART
	global_atomic_pk_add_f16 v[18:19], v15, off
	
	;;#ASMEND
	v_cvt_f16_f32_e32 v15, v34
	v_cvt_f16_f32_sdwa v29, v33 dst_sel:WORD_1 dst_unused:UNUSED_PAD src0_sel:DWORD
	v_cvt_f16_f32_e32 v30, v36
	v_cvt_f16_f32_sdwa v31, v35 dst_sel:WORD_1 dst_unused:UNUSED_PAD src0_sel:DWORD
	v_cmp_eq_u32_e64 s[6:7], 2, v44
	v_lshl_add_u64 v[18:19], v[0:1], 0, s[30:31]
	v_or_b32_e32 v15, v29, v15
	v_cmp_gt_u32_e64 s[8:9], 14, v32
	;;#ASMSTART
	global_atomic_pk_add_f16 v[18:19], v15, off
	
	;;#ASMEND
	v_lshl_add_u64 v[18:19], v[0:1], 0, s[34:35]
	v_or_b32_e32 v15, v31, v30
	;;#ASMSTART
	global_atomic_pk_add_f16 v[18:19], v15, off
	
	;;#ASMEND
	s_and_b64 exec, exec, s[8:9]
	s_cbranch_execz .LBB119_35
; %bb.34:                               ;   in Loop: Header=BB119_7 Depth=1
	v_cndmask_b32_e32 v15, v16, v12, vcc
	v_cndmask_b32_e64 v12, v17, v12, s[6:7]
	v_cndmask_b32_e32 v9, v9, v4, vcc
	v_cndmask_b32_e64 v4, v10, v4, s[6:7]
	;; [unrolled: 2-line block ×3, first 2 shown]
	v_cvt_f16_f32_e32 v7, v12
	v_cvt_f16_f32_sdwa v10, v15 dst_sel:WORD_1 dst_unused:UNUSED_PAD src0_sel:DWORD
	v_cndmask_b32_e32 v13, v13, v8, vcc
	v_cndmask_b32_e64 v8, v14, v8, s[6:7]
	v_cndmask_b32_e32 v12, v2, v11, vcc
	v_or_b32_e32 v2, v10, v7
	v_cvt_f16_f32_e32 v7, v8
	v_cvt_f16_f32_sdwa v8, v13 dst_sel:WORD_1 dst_unused:UNUSED_PAD src0_sel:DWORD
	v_cvt_f16_f32_e32 v4, v4
	v_cvt_f16_f32_sdwa v9, v9 dst_sel:WORD_1 dst_unused:UNUSED_PAD src0_sel:DWORD
	v_lshl_add_u64 v[0:1], s[28:29], 2, v[0:1]
	v_cndmask_b32_e64 v11, v3, v11, s[6:7]
	;;#ASMSTART
	global_atomic_pk_add_f16 v[0:1], v2, off
	
	;;#ASMEND
	v_lshl_add_u64 v[2:3], v[0:1], 0, 32
	v_or_b32_e32 v7, v8, v7
	v_or_b32_e32 v4, v9, v4
	;;#ASMSTART
	global_atomic_pk_add_f16 v[2:3], v7, off
	
	;;#ASMEND
	v_lshl_add_u64 v[2:3], v[0:1], 0, 64
	;;#ASMSTART
	global_atomic_pk_add_f16 v[2:3], v4, off
	
	;;#ASMEND
	v_cvt_f16_f32_e32 v4, v6
	v_cvt_f16_f32_sdwa v5, v5 dst_sel:WORD_1 dst_unused:UNUSED_PAD src0_sel:DWORD
	v_cvt_f16_f32_e32 v6, v11
	v_cvt_f16_f32_sdwa v7, v12 dst_sel:WORD_1 dst_unused:UNUSED_PAD src0_sel:DWORD
	v_lshl_add_u64 v[2:3], v[0:1], 0, s[30:31]
	v_or_b32_e32 v4, v5, v4
	;;#ASMSTART
	global_atomic_pk_add_f16 v[2:3], v4, off
	
	;;#ASMEND
	v_lshl_add_u64 v[0:1], v[0:1], 0, s[34:35]
	v_or_b32_e32 v2, v7, v6
	;;#ASMSTART
	global_atomic_pk_add_f16 v[0:1], v2, off
	
	;;#ASMEND
.LBB119_35:                             ;   in Loop: Header=BB119_7 Depth=1
	s_or_b64 exec, exec, s[12:13]
	v_subrev_u32_e32 v54, s65, v54
.LBB119_36:                             ;   in Loop: Header=BB119_7 Depth=1
	s_or_b64 exec, exec, s[50:51]
.LBB119_37:                             ;   in Loop: Header=BB119_7 Depth=1
	s_andn2_saveexec_b64 s[6:7], s[48:49]
	s_cbranch_execz .LBB119_46
; %bb.38:                               ;   in Loop: Header=BB119_7 Depth=1
	s_mul_i32 s16, s65, 5
	v_cmp_gt_i32_e32 vcc, s16, v54
	s_and_saveexec_b64 s[8:9], vcc
	s_cbranch_execz .LBB119_45
; %bb.39:                               ;   in Loop: Header=BB119_7 Depth=1
	s_mul_i32 s10, s46, s23
	s_ashr_i32 s11, s10, 31
	s_waitcnt lgkmcnt(0)
	s_add_u32 s10, s38, s10
	s_addc_u32 s11, s39, s11
	s_ashr_i32 s12, s67, 31
	s_add_u32 s10, s10, s67
	s_addc_u32 s11, s11, s12
	v_lshl_add_u64 v[0:1], s[10:11], 0, v[26:27]
	v_lshl_add_u64 v[8:9], v[0:1], 0, v[24:25]
	s_mov_b64 s[10:11], 0
	s_branch .LBB119_41
.LBB119_40:                             ;   in Loop: Header=BB119_41 Depth=2
	s_or_b64 exec, exec, s[12:13]
	v_lshl_or_b32 v12, v10, 11, v49
	;;#ASMSTART
	s_waitcnt vmcnt(1)
	;;#ASMEND
	ds_write2_b32 v12, v4, v5 offset1:32
	ds_write2_b32 v12, v6, v7 offset0:64 offset1:96
	v_add_u32_e32 v4, 0x400, v12
	v_add_u32_e32 v54, s26, v54
	;;#ASMSTART
	s_waitcnt vmcnt(0)
	;;#ASMEND
	ds_write2_b32 v4, v0, v1 offset1:32
	ds_write2_b32 v4, v2, v3 offset0:64 offset1:96
	v_add_u32_e32 v0, 1, v40
	v_add_u32_e32 v28, s26, v10
	v_cmp_le_i32_e32 vcc, s16, v54
	ds_write_b32 v11, v0 offset:8
	v_add_u32_e32 v0, 2, v40
	s_or_b64 s[10:11], vcc, s[10:11]
	v_cmp_lt_i32_e32 vcc, 9, v28
	s_nop 1
	v_cndmask_b32_e32 v40, v40, v0, vcc
	s_andn2_b64 exec, exec, s[10:11]
	s_cbranch_execz .LBB119_44
.LBB119_41:                             ;   Parent Loop BB119_7 Depth=1
                                        ; =>  This Loop Header: Depth=2
                                        ;       Child Loop BB119_43 Depth 3
	v_cmp_gt_i32_e32 vcc, 10, v28
	s_nop 1
	v_cndmask_b32_e64 v0, -10, 0, vcc
	v_add_u32_e32 v10, v0, v28
	v_mul_hi_i32 v0, v54, s54
	v_lshrrev_b32_e32 v1, 31, v0
	v_ashrrev_i32_e32 v0, 1, v0
	v_add_u32_e32 v0, v0, v1
	v_lshl_add_u32 v1, v0, 2, v0
	v_sub_u32_e32 v2, v54, v1
	v_lshlrev_b32_e32 v0, 7, v0
	v_ashrrev_i32_e32 v1, 31, v0
	v_mul_lo_u32 v2, s58, v2
	v_lshl_add_u64 v[0:1], v[8:9], 0, v[0:1]
	v_ashrrev_i32_e32 v3, 31, v2
	v_lshl_add_u64 v[0:1], v[0:1], 0, v[2:3]
	v_lshlrev_b32_e32 v11, 2, v10
	;;#ASMSTART
	global_load_dwordx4 v[4:7], v[0:1], off offset:0   sc0 sc1 nt  
	global_load_dwordx4 v[0:3], v[0:1], off offset:64  sc0 sc1 nt  
	
	;;#ASMEND
	ds_read_b32 v12, v11 offset:24584
	v_add_u32_e32 v11, 0x6000, v11
	s_waitcnt lgkmcnt(0)
	v_cmp_ne_u32_e32 vcc, v12, v40
	s_and_saveexec_b64 s[12:13], vcc
	s_cbranch_execz .LBB119_40
; %bb.42:                               ;   in Loop: Header=BB119_41 Depth=2
	s_mov_b64 s[14:15], 0
.LBB119_43:                             ;   Parent Loop BB119_7 Depth=1
                                        ;     Parent Loop BB119_41 Depth=2
                                        ; =>    This Inner Loop Header: Depth=3
	;;#ASMSTART
	s_sleep 0
	;;#ASMEND
	ds_read_b32 v12, v11 offset:8
	s_waitcnt lgkmcnt(0)
	v_cmp_eq_u32_e32 vcc, v12, v40
	s_or_b64 s[14:15], vcc, s[14:15]
	s_andn2_b64 exec, exec, s[14:15]
	s_cbranch_execnz .LBB119_43
	s_branch .LBB119_40
.LBB119_44:                             ;   in Loop: Header=BB119_7 Depth=1
	s_or_b64 exec, exec, s[10:11]
.LBB119_45:                             ;   in Loop: Header=BB119_7 Depth=1
	s_or_b64 exec, exec, s[8:9]
	v_subrev_u32_e32 v54, s16, v54
.LBB119_46:                             ;   in Loop: Header=BB119_7 Depth=1
	s_or_b64 exec, exec, s[6:7]
.LBB119_47:                             ;   in Loop: Header=BB119_7 Depth=1
	s_andn2_saveexec_b64 s[6:7], s[44:45]
	s_cbranch_execz .LBB119_6
; %bb.48:                               ;   in Loop: Header=BB119_7 Depth=1
	v_cmp_gt_i32_e32 vcc, s65, v54
	s_and_saveexec_b64 s[8:9], vcc
	s_cbranch_execz .LBB119_5
; %bb.49:                               ;   in Loop: Header=BB119_7 Depth=1
	s_mul_i32 s66, s66, s22
	s_ashr_i32 s10, s66, 31
	s_waitcnt lgkmcnt(0)
	s_add_u32 s11, s36, s66
	s_addc_u32 s12, s37, s10
	s_ashr_i32 s13, s67, 31
	v_cmp_le_i32_e32 vcc, s68, v50
	s_add_u32 s10, s11, s67
	s_addc_u32 s11, s12, s13
	v_cndmask_b32_e32 v0, 0, v51, vcc
	v_ashrrev_i32_e32 v1, 31, v0
	v_lshl_add_u64 v[0:1], s[10:11], 0, v[0:1]
	v_lshl_add_u64 v[8:9], v[0:1], 0, v[24:25]
	s_mov_b64 s[10:11], 0
	s_branch .LBB119_51
.LBB119_50:                             ;   in Loop: Header=BB119_51 Depth=2
	s_or_b64 exec, exec, s[12:13]
	v_lshl_add_u32 v12, v10, 11, v52
	;;#ASMSTART
	s_waitcnt vmcnt(1)
	;;#ASMEND
	ds_write2_b32 v12, v4, v5 offset1:32
	ds_write2_b32 v12, v6, v7 offset0:64 offset1:96
	v_add_u32_e32 v4, 0x400, v12
	v_add_u32_e32 v54, s25, v54
	;;#ASMSTART
	s_waitcnt vmcnt(0)
	;;#ASMEND
	ds_write2_b32 v4, v0, v1 offset1:32
	ds_write2_b32 v4, v2, v3 offset0:64 offset1:96
	v_add_u32_e32 v0, 1, v40
	v_add_u32_e32 v28, s25, v10
	v_cmp_le_i32_e32 vcc, s65, v54
	ds_write_b32 v11, v0
	v_add_u32_e32 v0, 2, v40
	s_or_b64 s[10:11], vcc, s[10:11]
	v_cmp_lt_i32_e32 vcc, 1, v28
	s_nop 1
	v_cndmask_b32_e32 v40, v40, v0, vcc
	s_andn2_b64 exec, exec, s[10:11]
	s_cbranch_execz .LBB119_4
.LBB119_51:                             ;   Parent Loop BB119_7 Depth=1
                                        ; =>  This Loop Header: Depth=2
                                        ;       Child Loop BB119_53 Depth 3
	v_cmp_gt_i32_e32 vcc, 2, v28
	s_nop 1
	v_cndmask_b32_e64 v0, -2, 0, vcc
	v_add_u32_e32 v10, v0, v28
	v_lshlrev_b32_e32 v0, 7, v54
	v_ashrrev_i32_e32 v1, 31, v0
	v_lshl_add_u64 v[0:1], v[8:9], 0, v[0:1]
	v_lshlrev_b32_e32 v11, 2, v10
	;;#ASMSTART
	global_load_dwordx4 v[4:7], v[0:1], off offset:0   
	global_load_dwordx4 v[0:3], v[0:1], off offset:64  
	
	;;#ASMEND
	ds_read_b32 v12, v11 offset:24576
	v_add_u32_e32 v11, 0x6000, v11
	s_waitcnt lgkmcnt(0)
	v_cmp_ne_u32_e32 vcc, v12, v40
	s_and_saveexec_b64 s[12:13], vcc
	s_cbranch_execz .LBB119_50
; %bb.52:                               ;   in Loop: Header=BB119_51 Depth=2
	s_mov_b64 s[14:15], 0
.LBB119_53:                             ;   Parent Loop BB119_7 Depth=1
                                        ;     Parent Loop BB119_51 Depth=2
                                        ; =>    This Inner Loop Header: Depth=3
	;;#ASMSTART
	s_sleep 0
	;;#ASMEND
	ds_read_b32 v12, v11
	s_waitcnt lgkmcnt(0)
	v_cmp_eq_u32_e32 vcc, v12, v40
	s_or_b64 s[14:15], vcc, s[14:15]
	s_andn2_b64 exec, exec, s[14:15]
	s_cbranch_execnz .LBB119_53
	s_branch .LBB119_50
.LBB119_54:
	s_endpgm
	.section	.rodata,"a",@progbits
	.p2align	6, 0x0
	.amdhsa_kernel _Z19_skinny_gemm_kernelILi1ELi5ELi2ELi16ELi4EEvPKhS1_P6__halfPKfiiiiiiii
		.amdhsa_group_segment_fixed_size 24624
		.amdhsa_private_segment_fixed_size 0
		.amdhsa_kernarg_size 64
		.amdhsa_user_sgpr_count 2
		.amdhsa_user_sgpr_dispatch_ptr 0
		.amdhsa_user_sgpr_queue_ptr 0
		.amdhsa_user_sgpr_kernarg_segment_ptr 1
		.amdhsa_user_sgpr_dispatch_id 0
		.amdhsa_user_sgpr_kernarg_preload_length 0
		.amdhsa_user_sgpr_kernarg_preload_offset 0
		.amdhsa_user_sgpr_private_segment_size 0
		.amdhsa_uses_dynamic_stack 0
		.amdhsa_enable_private_segment 0
		.amdhsa_system_sgpr_workgroup_id_x 1
		.amdhsa_system_sgpr_workgroup_id_y 0
		.amdhsa_system_sgpr_workgroup_id_z 0
		.amdhsa_system_sgpr_workgroup_info 0
		.amdhsa_system_vgpr_workitem_id 0
		.amdhsa_next_free_vgpr 62
		.amdhsa_next_free_sgpr 69
		.amdhsa_accum_offset 64
		.amdhsa_reserve_vcc 1
		.amdhsa_float_round_mode_32 0
		.amdhsa_float_round_mode_16_64 0
		.amdhsa_float_denorm_mode_32 3
		.amdhsa_float_denorm_mode_16_64 3
		.amdhsa_dx10_clamp 1
		.amdhsa_ieee_mode 1
		.amdhsa_fp16_overflow 0
		.amdhsa_tg_split 0
		.amdhsa_exception_fp_ieee_invalid_op 0
		.amdhsa_exception_fp_denorm_src 0
		.amdhsa_exception_fp_ieee_div_zero 0
		.amdhsa_exception_fp_ieee_overflow 0
		.amdhsa_exception_fp_ieee_underflow 0
		.amdhsa_exception_fp_ieee_inexact 0
		.amdhsa_exception_int_div_zero 0
	.end_amdhsa_kernel
	.section	.text._Z19_skinny_gemm_kernelILi1ELi5ELi2ELi16ELi4EEvPKhS1_P6__halfPKfiiiiiiii,"axG",@progbits,_Z19_skinny_gemm_kernelILi1ELi5ELi2ELi16ELi4EEvPKhS1_P6__halfPKfiiiiiiii,comdat
.Lfunc_end119:
	.size	_Z19_skinny_gemm_kernelILi1ELi5ELi2ELi16ELi4EEvPKhS1_P6__halfPKfiiiiiiii, .Lfunc_end119-_Z19_skinny_gemm_kernelILi1ELi5ELi2ELi16ELi4EEvPKhS1_P6__halfPKfiiiiiiii
                                        ; -- End function
	.set _Z19_skinny_gemm_kernelILi1ELi5ELi2ELi16ELi4EEvPKhS1_P6__halfPKfiiiiiiii.num_vgpr, 62
	.set _Z19_skinny_gemm_kernelILi1ELi5ELi2ELi16ELi4EEvPKhS1_P6__halfPKfiiiiiiii.num_agpr, 0
	.set _Z19_skinny_gemm_kernelILi1ELi5ELi2ELi16ELi4EEvPKhS1_P6__halfPKfiiiiiiii.numbered_sgpr, 69
	.set _Z19_skinny_gemm_kernelILi1ELi5ELi2ELi16ELi4EEvPKhS1_P6__halfPKfiiiiiiii.num_named_barrier, 0
	.set _Z19_skinny_gemm_kernelILi1ELi5ELi2ELi16ELi4EEvPKhS1_P6__halfPKfiiiiiiii.private_seg_size, 0
	.set _Z19_skinny_gemm_kernelILi1ELi5ELi2ELi16ELi4EEvPKhS1_P6__halfPKfiiiiiiii.uses_vcc, 1
	.set _Z19_skinny_gemm_kernelILi1ELi5ELi2ELi16ELi4EEvPKhS1_P6__halfPKfiiiiiiii.uses_flat_scratch, 0
	.set _Z19_skinny_gemm_kernelILi1ELi5ELi2ELi16ELi4EEvPKhS1_P6__halfPKfiiiiiiii.has_dyn_sized_stack, 0
	.set _Z19_skinny_gemm_kernelILi1ELi5ELi2ELi16ELi4EEvPKhS1_P6__halfPKfiiiiiiii.has_recursion, 0
	.set _Z19_skinny_gemm_kernelILi1ELi5ELi2ELi16ELi4EEvPKhS1_P6__halfPKfiiiiiiii.has_indirect_call, 0
	.section	.AMDGPU.csdata,"",@progbits
; Kernel info:
; codeLenInByte = 4564
; TotalNumSgprs: 75
; NumVgprs: 62
; NumAgprs: 0
; TotalNumVgprs: 62
; ScratchSize: 0
; MemoryBound: 0
; FloatMode: 240
; IeeeMode: 1
; LDSByteSize: 24624 bytes/workgroup (compile time only)
; SGPRBlocks: 9
; VGPRBlocks: 7
; NumSGPRsForWavesPerEU: 75
; NumVGPRsForWavesPerEU: 62
; AccumOffset: 64
; Occupancy: 8
; WaveLimiterHint : 0
; COMPUTE_PGM_RSRC2:SCRATCH_EN: 0
; COMPUTE_PGM_RSRC2:USER_SGPR: 2
; COMPUTE_PGM_RSRC2:TRAP_HANDLER: 0
; COMPUTE_PGM_RSRC2:TGID_X_EN: 1
; COMPUTE_PGM_RSRC2:TGID_Y_EN: 0
; COMPUTE_PGM_RSRC2:TGID_Z_EN: 0
; COMPUTE_PGM_RSRC2:TIDIG_COMP_CNT: 0
; COMPUTE_PGM_RSRC3_GFX90A:ACCUM_OFFSET: 15
; COMPUTE_PGM_RSRC3_GFX90A:TG_SPLIT: 0
	.section	.text._Z19_skinny_gemm_kernelILi1ELi5ELi2ELi16ELi8EEvPKhS1_P6__halfPKfiiiiiiii,"axG",@progbits,_Z19_skinny_gemm_kernelILi1ELi5ELi2ELi16ELi8EEvPKhS1_P6__halfPKfiiiiiiii,comdat
	.protected	_Z19_skinny_gemm_kernelILi1ELi5ELi2ELi16ELi8EEvPKhS1_P6__halfPKfiiiiiiii ; -- Begin function _Z19_skinny_gemm_kernelILi1ELi5ELi2ELi16ELi8EEvPKhS1_P6__halfPKfiiiiiiii
	.globl	_Z19_skinny_gemm_kernelILi1ELi5ELi2ELi16ELi8EEvPKhS1_P6__halfPKfiiiiiiii
	.p2align	8
	.type	_Z19_skinny_gemm_kernelILi1ELi5ELi2ELi16ELi8EEvPKhS1_P6__halfPKfiiiiiiii,@function
_Z19_skinny_gemm_kernelILi1ELi5ELi2ELi16ELi8EEvPKhS1_P6__halfPKfiiiiiiii: ; @_Z19_skinny_gemm_kernelILi1ELi5ELi2ELi16ELi8EEvPKhS1_P6__halfPKfiiiiiiii
; %bb.0:
	v_cmp_gt_u32_e32 vcc, 12, v0
	v_lshlrev_b32_e32 v1, 2, v0
	s_and_saveexec_b64 s[4:5], vcc
; %bb.1:
	v_mov_b32_e32 v2, 0
	ds_write_b32 v1, v2 offset:49152
; %bb.2:
	s_or_b64 exec, exec, s[4:5]
	s_load_dwordx8 s[20:27], s[0:1], 0x20
	s_mov_b32 s54, 0x66666667
	s_waitcnt lgkmcnt(0)
	s_barrier
	s_add_i32 s3, s20, 15
	s_ashr_i32 s5, s3, 31
	s_lshr_b32 s5, s5, 28
	s_add_i32 s4, s21, 0x4f
	s_add_i32 s3, s3, s5
	s_ashr_i32 s33, s3, 4
	s_mul_hi_i32 s3, s4, 0x66666667
	s_lshr_b32 s4, s3, 31
	s_ashr_i32 s52, s3, 5
	s_add_i32 s52, s52, s4
	s_mul_i32 s3, s52, s33
	s_mul_i32 s3, s3, s24
	s_add_i32 s4, s3, 0x12f
	s_mul_hi_i32 s4, s4, 0x6bca1af3
	s_lshr_b32 s5, s4, 31
	s_ashr_i32 s4, s4, 7
	s_add_i32 s4, s4, s5
	s_add_i32 s5, s2, 1
	s_mul_i32 s5, s4, s5
	v_cvt_f64_i32_e32 v[2:3], s3
	v_cvt_f64_u32_e32 v[4:5], s5
	v_min_f64 v[2:3], v[2:3], v[4:5]
	v_cvt_i32_f64_e32 v21, v[2:3]
	s_mul_i32 s53, s4, s2
	v_cmp_ge_i32_e32 vcc, s53, v21
	s_cbranch_vccnz .LBB120_54
; %bb.3:
	v_lshrrev_b32_e32 v2, 6, v0
	s_add_i32 s4, s26, s25
	s_load_dwordx8 s[36:43], s[0:1], 0x0
	v_cmp_le_i32_e64 s[0:1], s4, v2
	v_mov_b32_e32 v3, s25
	v_cmp_le_i32_e64 s[2:3], s25, v2
	v_mov_b32_e32 v4, s26
	v_cndmask_b32_e64 v4, 0, v4, s[0:1]
	v_cndmask_b32_e64 v3, 0, v3, s[2:3]
	s_abs_i32 s5, s24
	v_add_u32_e32 v3, v3, v4
	v_cvt_f32_u32_e32 v4, s5
	v_sub_u32_e32 v28, v2, v3
	s_ashr_i32 s6, s22, 31
	s_lshr_b32 s6, s6, 24
	v_rcp_iflag_f32_e32 v3, v4
	s_sub_i32 s9, 0, s5
	s_add_i32 s6, s22, s6
	s_ashr_i32 s6, s6, 8
	v_mul_f32_e32 v3, 0x4f7ffffe, v3
	v_cvt_u32_f32_e32 v3, v3
	s_abs_i32 s8, s6
	s_xor_b32 s7, s6, s24
	s_ashr_i32 s7, s7, 31
	v_readfirstlane_b32 s10, v3
	s_mul_i32 s9, s9, s10
	s_mul_hi_u32 s9, s10, s9
	s_add_i32 s10, s10, s9
	s_mul_hi_u32 s9, s8, s10
	s_mul_i32 s10, s9, s5
	s_sub_i32 s8, s8, s10
	s_add_i32 s10, s9, 1
	s_sub_i32 s11, s8, s5
	s_cmp_ge_u32 s8, s5
	s_cselect_b32 s9, s10, s9
	s_cselect_b32 s8, s11, s8
	s_add_i32 s10, s9, 1
	s_cmp_ge_u32 s8, s5
	s_cselect_b32 s5, s10, s9
	s_xor_b32 s5, s5, s7
	s_sub_i32 s55, s5, s7
	s_add_i32 s24, s24, -1
	s_mul_i32 s5, s55, s24
	s_add_i32 s4, s4, s27
	s_sub_i32 s56, s6, s5
	v_cmp_gt_i32_e64 s[4:5], s4, v2
	v_lshlrev_b32_e32 v2, 1, v0
	v_lshlrev_b32_e32 v3, 4, v0
	v_and_b32_e32 v1, 60, v1
	v_and_b32_e32 v2, 64, v2
	v_and_b32_e32 v4, 0x100, v3
	s_abs_i32 s57, s33
	v_or3_b32 v53, v1, v2, v4
	v_and_b32_e32 v1, 1, v0
	v_cvt_f32_u32_e32 v6, s57
	v_lshlrev_b32_e32 v2, 1, v1
	v_lshrrev_b32_e32 v4, 2, v0
	v_and_b32_e32 v20, 14, v0
	v_sub_u32_e32 v2, v0, v2
	v_and_or_b32 v54, v4, 12, v1
	v_bitop3_b32 v55, v0, 1, v0 bitop3:0xc
	v_bitop3_b32 v56, v0, 3, 1 bitop3:0x6c
	v_and_b32_e32 v24, 48, v3
	v_bfe_u32 v1, v0, 2, 4
	v_and_b32_e32 v3, 60, v0
	v_lshlrev_b32_e32 v5, 8, v0
	v_lshlrev_b32_e32 v0, 6, v0
	v_and_b32_e32 v5, 0x200, v5
	v_and_b32_e32 v0, 64, v0
	v_or3_b32 v60, v3, v5, v0
	v_rcp_iflag_f32_e32 v0, v6
	s_abs_i32 s59, s52
	v_mul_lo_u32 v26, s23, v1
	v_mul_lo_u32 v62, s22, v1
	v_cvt_f32_u32_e32 v1, s59
	v_mul_f32_e32 v0, 0x4f7ffffe, v0
	v_cvt_u32_f32_e32 v0, v0
	v_mad_u64_u32 v[22:23], s[6:7], s21, v54, v[20:21]
	v_rcp_iflag_f32_e32 v1, v1
	v_readfirstlane_b32 s7, v0
	s_sub_i32 s6, 0, s57
	s_mul_i32 s6, s6, s7
	v_mul_f32_e32 v0, 0x4f7ffffe, v1
	v_cvt_u32_f32_e32 v0, v0
	s_mul_hi_u32 s6, s7, s6
	v_add_u32_e32 v2, 1, v2
	s_add_i32 s61, s7, s6
	s_sub_i32 s6, 0, s59
	v_readfirstlane_b32 s7, v0
	v_mbcnt_lo_u32_b32 v0, -1, 0
	v_and_b32_e32 v2, 63, v2
	s_mul_i32 s6, s6, s7
	v_mbcnt_hi_u32_b32 v0, -1, v0
	s_mul_hi_u32 s6, s7, s6
	v_and_or_b32 v0, v0, 64, v2
	v_cndmask_b32_e64 v52, 0, 1, s[0:1]
	v_or_b32_e32 v57, 32, v20
	v_or_b32_e32 v58, 48, v20
	;; [unrolled: 1-line block ×3, first 2 shown]
	v_ashrrev_i32_e32 v23, 31, v22
	s_ashr_i32 s29, s21, 31
	s_mov_b32 s28, s21
	v_ashrrev_i32_e32 v27, 31, v26
	v_mov_b32_e32 v25, 0
	s_lshl_b32 s58, s23, 4
	v_bitop3_b32 v61, v4, 15, v4 bitop3:0xc
	v_or_b32_e32 v63, 0xa000, v60
	s_ashr_i32 s60, s33, 31
	s_ashr_i32 s62, s52, 31
	s_add_i32 s63, s7, s6
	s_movk_i32 s64, 0x5000
	s_mov_b64 s[30:31], 0x60
	s_mov_b64 s[34:35], 0x80
	v_lshlrev_b32_e32 v64, 2, v0
	v_mov_b32_e32 v65, v28
	s_branch .LBB120_7
.LBB120_4:                              ;   in Loop: Header=BB120_7 Depth=1
	s_or_b64 exec, exec, s[10:11]
.LBB120_5:                              ;   in Loop: Header=BB120_7 Depth=1
	s_or_b64 exec, exec, s[8:9]
	v_subrev_u32_e32 v65, s65, v65
.LBB120_6:                              ;   in Loop: Header=BB120_7 Depth=1
	s_or_b64 exec, exec, s[6:7]
	s_add_i32 s53, s53, 1
	v_cmp_ge_i32_e32 vcc, s53, v21
	s_cbranch_vccnz .LBB120_54
.LBB120_7:                              ; =>This Loop Header: Depth=1
                                        ;     Child Loop BB120_13 Depth 2
                                        ;       Child Loop BB120_15 Depth 3
                                        ;       Child Loop BB120_18 Depth 3
	;; [unrolled: 1-line block ×6, first 2 shown]
                                        ;     Child Loop BB120_41 Depth 2
                                        ;       Child Loop BB120_43 Depth 3
                                        ;     Child Loop BB120_51 Depth 2
                                        ;       Child Loop BB120_53 Depth 3
	s_abs_i32 s7, s53
	s_mul_hi_u32 s8, s7, s61
	s_mul_i32 s9, s8, s57
	s_ashr_i32 s6, s53, 31
	s_sub_i32 s7, s7, s9
	s_xor_b32 s6, s6, s60
	s_add_i32 s9, s8, 1
	s_sub_i32 s10, s7, s57
	s_cmp_ge_u32 s7, s57
	s_cselect_b32 s8, s9, s8
	s_cselect_b32 s7, s10, s7
	s_add_i32 s9, s8, 1
	s_cmp_ge_u32 s7, s57
	s_cselect_b32 s7, s9, s8
	s_xor_b32 s7, s7, s6
	s_sub_i32 s6, s7, s6
	s_abs_i32 s8, s6
	s_mul_i32 s7, s6, s33
	s_mul_hi_u32 s9, s8, s63
	s_sub_i32 s7, s53, s7
	s_mul_i32 s10, s9, s59
	s_lshl_b32 s66, s7, 4
	s_ashr_i32 s7, s6, 31
	s_sub_i32 s8, s8, s10
	s_xor_b32 s7, s7, s62
	s_add_i32 s10, s9, 1
	s_sub_i32 s11, s8, s59
	s_cmp_ge_u32 s8, s59
	s_cselect_b32 s9, s10, s9
	s_cselect_b32 s8, s11, s8
	s_add_i32 s10, s9, 1
	s_cmp_ge_u32 s8, s59
	s_cselect_b32 s8, s10, s9
	s_xor_b32 s8, s8, s7
	s_sub_i32 s7, s8, s7
	s_mul_i32 s8, s7, s55
	s_lshl_b32 s67, s8, 8
	s_cmp_eq_u32 s7, s24
	s_cselect_b32 s65, s56, s55
	s_sub_i32 s68, s66, s20
	s_add_i32 s68, s68, 16
	s_and_saveexec_b64 s[8:9], s[2:3]
	s_xor_b64 s[44:45], exec, s[8:9]
	s_cbranch_execz .LBB120_47
; %bb.8:                                ;   in Loop: Header=BB120_7 Depth=1
	s_mul_i32 s7, s7, s52
	s_sub_i32 s6, s6, s7
	s_mulk_i32 s6, 0x50
	s_sub_i32 s47, s6, s21
	s_addk_i32 s47, 0x50
	s_max_i32 s7, s47, 0
	s_sub_i32 s46, s6, s7
	s_and_saveexec_b64 s[6:7], s[0:1]
	s_xor_b64 s[48:49], exec, s[6:7]
	s_cbranch_execz .LBB120_37
; %bb.9:                                ;   in Loop: Header=BB120_7 Depth=1
	s_and_saveexec_b64 s[50:51], s[4:5]
	s_cbranch_execz .LBB120_36
; %bb.10:                               ;   in Loop: Header=BB120_7 Depth=1
	s_waitcnt lgkmcnt(0)
	global_load_dword v66, v25, s[42:43]
	v_mov_b32_e32 v19, 0
	v_cmp_gt_i32_e32 vcc, s65, v65
	v_mov_b32_e32 v18, v19
	v_mov_b32_e32 v17, v19
	;; [unrolled: 1-line block ×19, first 2 shown]
	s_and_saveexec_b64 s[6:7], vcc
	s_cbranch_execz .LBB120_32
; %bb.11:                               ;   in Loop: Header=BB120_7 Depth=1
	v_mov_b32_e32 v0, 0
	s_mov_b64 s[8:9], 0
	v_mov_b32_e32 v1, v0
	v_mov_b32_e32 v2, v0
	;; [unrolled: 1-line block ×19, first 2 shown]
	s_branch .LBB120_13
.LBB120_12:                             ;   in Loop: Header=BB120_13 Depth=2
	s_or_b64 exec, exec, s[10:11]
	v_add_u32_e32 v46, 0x4000, v69
	ds_read2_b32 v[44:45], v46 offset1:32
	v_add_u32_e32 v65, s27, v65
	v_cmp_le_i32_e32 vcc, s65, v65
	s_or_b64 s[8:9], vcc, s[8:9]
	s_waitcnt lgkmcnt(0)
	v_mfma_f32_16x16x32_fp8_fp8 v[0:3], v[28:29], v[44:45], v[0:3]
	ds_read2_b32 v[28:29], v46 offset0:128 offset1:160
	v_add_u32_e32 v44, 0x4400, v69
	s_waitcnt lgkmcnt(0)
	v_mfma_f32_16x16x32_fp8_fp8 v[0:3], v[36:37], v[28:29], v[0:3]
	ds_read2_b32 v[28:29], v44 offset1:32
	v_add_u32_e32 v36, 0x4800, v69
	s_waitcnt lgkmcnt(0)
	v_mfma_f32_16x16x32_fp8_fp8 v[0:3], v[40:41], v[28:29], v[0:3]
	ds_read2_b32 v[28:29], v44 offset0:128 offset1:160
	s_waitcnt lgkmcnt(0)
	v_mfma_f32_16x16x32_fp8_fp8 v[0:3], v[38:39], v[28:29], v[0:3]
	ds_read2_b32 v[28:29], v36 offset1:32
	v_add_u32_e32 v38, 0x4c00, v69
	s_waitcnt lgkmcnt(0)
	v_mfma_f32_16x16x32_fp8_fp8 v[0:3], v[42:43], v[28:29], v[0:3]
	ds_read2_b32 v[28:29], v36 offset0:128 offset1:160
	ds_read2_b32 v[36:37], v38 offset1:32
	s_waitcnt lgkmcnt(1)
	v_mfma_f32_16x16x32_fp8_fp8 v[0:3], v[34:35], v[28:29], v[0:3]
	ds_read2_b32 v[34:35], v38 offset0:128 offset1:160
	v_add_u32_e32 v28, s27, v68
	v_add_u32_e32 v29, 2, v52
	s_waitcnt lgkmcnt(1)
	v_mfma_f32_16x16x32_fp8_fp8 v[0:3], v[32:33], v[36:37], v[0:3]
	v_cmp_lt_i32_e32 vcc, 1, v28
	;;#ASMSTART
	s_waitcnt lgkmcnt(0)
	;;#ASMEND
	ds_write_b32 v67, v70 offset:49176
	s_waitcnt lgkmcnt(1)
	v_mfma_f32_16x16x32_fp8_fp8 v[0:3], v[30:31], v[34:35], v[0:3]
	v_cndmask_b32_e32 v52, v52, v29, vcc
	s_andn2_b64 exec, exec, s[8:9]
	s_cbranch_execz .LBB120_31
.LBB120_13:                             ;   Parent Loop BB120_7 Depth=1
                                        ; =>  This Loop Header: Depth=2
                                        ;       Child Loop BB120_15 Depth 3
                                        ;       Child Loop BB120_18 Depth 3
	;; [unrolled: 1-line block ×6, first 2 shown]
	v_cmp_gt_i32_e32 vcc, 2, v28
	s_nop 1
	v_cndmask_b32_e64 v29, -2, 0, vcc
	v_add_u32_e32 v68, v29, v28
	v_mul_lo_u32 v67, v68, 20
	ds_read_b32 v28, v67 offset:49160
	s_waitcnt lgkmcnt(0)
	v_cmp_ne_u32_e32 vcc, v28, v52
	s_and_saveexec_b64 s[10:11], vcc
	s_cbranch_execz .LBB120_16
; %bb.14:                               ;   in Loop: Header=BB120_13 Depth=2
	s_mov_b64 s[12:13], 0
.LBB120_15:                             ;   Parent Loop BB120_7 Depth=1
                                        ;     Parent Loop BB120_13 Depth=2
                                        ; =>    This Inner Loop Header: Depth=3
	;;#ASMSTART
	s_sleep 0
	;;#ASMEND
	ds_read_b32 v28, v67 offset:49160
	s_waitcnt lgkmcnt(0)
	v_cmp_eq_u32_e32 vcc, v28, v52
	s_or_b64 s[12:13], vcc, s[12:13]
	s_andn2_b64 exec, exec, s[12:13]
	s_cbranch_execnz .LBB120_15
.LBB120_16:                             ;   in Loop: Header=BB120_13 Depth=2
	s_or_b64 exec, exec, s[10:11]
	v_mul_lo_u32 v28, v68, s64
	v_or_b32_e32 v69, v53, v28
	v_add_u32_e32 v28, 0x400, v69
	ds_read2_b32 v[32:33], v69 offset1:32
	ds_read2_b32 v[30:31], v69 offset0:128 offset1:160
	ds_read2_b32 v[38:39], v28 offset1:32
	ds_read2_b32 v[34:35], v28 offset0:128 offset1:160
	v_add_u32_e32 v28, 0x800, v69
	ds_read2_b32 v[48:49], v28 offset1:32
	ds_read2_b32 v[46:47], v28 offset0:128 offset1:160
	v_add_u32_e32 v28, 0xc00, v69
	ds_read2_b32 v[50:51], v28 offset1:32
	ds_read2_b32 v[44:45], v28 offset0:128 offset1:160
	v_lshlrev_b32_e32 v28, 2, v68
	;;#ASMSTART
	s_waitcnt lgkmcnt(0)
	;;#ASMEND
	ds_read_b32 v29, v28 offset:49152
	v_add_u32_e32 v70, 1, v52
	v_add_u32_e32 v71, 0xc000, v28
	ds_write_b32 v67, v70 offset:49160
	s_waitcnt lgkmcnt(1)
	v_cmp_ne_u32_e32 vcc, v29, v52
	s_and_saveexec_b64 s[10:11], vcc
	s_cbranch_execz .LBB120_19
; %bb.17:                               ;   in Loop: Header=BB120_13 Depth=2
	s_mov_b64 s[12:13], 0
.LBB120_18:                             ;   Parent Loop BB120_7 Depth=1
                                        ;     Parent Loop BB120_13 Depth=2
                                        ; =>    This Inner Loop Header: Depth=3
	;;#ASMSTART
	s_sleep 0
	;;#ASMEND
	ds_read_b32 v28, v71
	s_waitcnt lgkmcnt(0)
	v_cmp_eq_u32_e32 vcc, v28, v52
	s_or_b64 s[12:13], vcc, s[12:13]
	s_andn2_b64 exec, exec, s[12:13]
	s_cbranch_execnz .LBB120_18
.LBB120_19:                             ;   in Loop: Header=BB120_13 Depth=2
	s_or_b64 exec, exec, s[10:11]
	v_or_b32_e32 v28, 0xa000, v53
	v_lshl_add_u32 v72, v68, 12, v28
	ds_read2_b32 v[28:29], v72 offset1:32
	ds_read2_b32 v[36:37], v72 offset0:128 offset1:160
	s_waitcnt lgkmcnt(1)
	v_mfma_f32_16x16x32_fp8_fp8 v[16:19], v[28:29], v[32:33], v[16:19]
	v_add_u32_e32 v32, 0x400, v72
	ds_read2_b32 v[40:41], v32 offset1:32
	s_waitcnt lgkmcnt(1)
	v_mfma_f32_16x16x32_fp8_fp8 v[16:19], v[36:37], v[30:31], v[16:19]
	v_add_u32_e32 v30, 0x800, v72
	ds_read2_b32 v[42:43], v30 offset1:32
	s_waitcnt lgkmcnt(1)
	v_mfma_f32_16x16x32_fp8_fp8 v[16:19], v[40:41], v[38:39], v[16:19]
	ds_read2_b32 v[38:39], v32 offset0:128 offset1:160
	s_waitcnt lgkmcnt(0)
	v_mfma_f32_16x16x32_fp8_fp8 v[16:19], v[38:39], v[34:35], v[16:19]
	ds_read2_b32 v[34:35], v30 offset0:128 offset1:160
	v_add_u32_e32 v30, 0xc00, v72
	ds_read2_b32 v[32:33], v30 offset1:32
	v_mfma_f32_16x16x32_fp8_fp8 v[16:19], v[42:43], v[48:49], v[16:19]
	s_waitcnt lgkmcnt(1)
	v_mfma_f32_16x16x32_fp8_fp8 v[16:19], v[34:35], v[46:47], v[16:19]
	ds_read2_b32 v[30:31], v30 offset0:128 offset1:160
	ds_read_b32 v46, v67 offset:49164
	ds_write_b32 v71, v70
	s_waitcnt lgkmcnt(1)
	v_cmp_ne_u32_e32 vcc, v46, v52
	v_mfma_f32_16x16x32_fp8_fp8 v[16:19], v[32:33], v[50:51], v[16:19]
	v_mfma_f32_16x16x32_fp8_fp8 v[16:19], v[30:31], v[44:45], v[16:19]
	s_and_saveexec_b64 s[10:11], vcc
	s_cbranch_execz .LBB120_22
; %bb.20:                               ;   in Loop: Header=BB120_13 Depth=2
	s_mov_b64 s[12:13], 0
.LBB120_21:                             ;   Parent Loop BB120_7 Depth=1
                                        ;     Parent Loop BB120_13 Depth=2
                                        ; =>    This Inner Loop Header: Depth=3
	;;#ASMSTART
	s_sleep 0
	;;#ASMEND
	ds_read_b32 v44, v67 offset:49164
	s_waitcnt lgkmcnt(0)
	v_cmp_eq_u32_e32 vcc, v44, v52
	s_or_b64 s[12:13], vcc, s[12:13]
	s_andn2_b64 exec, exec, s[12:13]
	s_cbranch_execnz .LBB120_21
.LBB120_22:                             ;   in Loop: Header=BB120_13 Depth=2
	s_or_b64 exec, exec, s[10:11]
	v_add_u32_e32 v46, 0x1000, v69
	ds_read2_b32 v[44:45], v46 offset1:32
	s_waitcnt lgkmcnt(0)
	v_mfma_f32_16x16x32_fp8_fp8 v[12:15], v[28:29], v[44:45], v[12:15]
	ds_read2_b32 v[44:45], v46 offset0:128 offset1:160
	v_add_u32_e32 v46, 0x1400, v69
	s_waitcnt lgkmcnt(0)
	v_mfma_f32_16x16x32_fp8_fp8 v[12:15], v[36:37], v[44:45], v[12:15]
	ds_read2_b32 v[44:45], v46 offset1:32
	s_waitcnt lgkmcnt(0)
	v_mfma_f32_16x16x32_fp8_fp8 v[12:15], v[40:41], v[44:45], v[12:15]
	ds_read2_b32 v[44:45], v46 offset0:128 offset1:160
	v_add_u32_e32 v46, 0x1800, v69
	s_waitcnt lgkmcnt(0)
	v_mfma_f32_16x16x32_fp8_fp8 v[12:15], v[38:39], v[44:45], v[12:15]
	ds_read2_b32 v[44:45], v46 offset1:32
	s_waitcnt lgkmcnt(0)
	v_mfma_f32_16x16x32_fp8_fp8 v[12:15], v[42:43], v[44:45], v[12:15]
	ds_read2_b32 v[44:45], v46 offset0:128 offset1:160
	v_add_u32_e32 v46, 0x1c00, v69
	s_waitcnt lgkmcnt(0)
	v_mfma_f32_16x16x32_fp8_fp8 v[12:15], v[34:35], v[44:45], v[12:15]
	ds_read2_b32 v[44:45], v46 offset1:32
	ds_read2_b32 v[46:47], v46 offset0:128 offset1:160
	;;#ASMSTART
	s_waitcnt lgkmcnt(0)
	;;#ASMEND
	ds_write_b32 v67, v70 offset:49164
	s_waitcnt lgkmcnt(2)
	v_mfma_f32_16x16x32_fp8_fp8 v[12:15], v[32:33], v[44:45], v[12:15]
	ds_read_b32 v44, v67 offset:49168
	s_waitcnt lgkmcnt(0)
	v_cmp_ne_u32_e32 vcc, v44, v52
	v_mfma_f32_16x16x32_fp8_fp8 v[12:15], v[30:31], v[46:47], v[12:15]
	s_and_saveexec_b64 s[10:11], vcc
	s_cbranch_execz .LBB120_25
; %bb.23:                               ;   in Loop: Header=BB120_13 Depth=2
	s_mov_b64 s[12:13], 0
.LBB120_24:                             ;   Parent Loop BB120_7 Depth=1
                                        ;     Parent Loop BB120_13 Depth=2
                                        ; =>    This Inner Loop Header: Depth=3
	;;#ASMSTART
	s_sleep 0
	;;#ASMEND
	ds_read_b32 v44, v67 offset:49168
	s_waitcnt lgkmcnt(0)
	v_cmp_eq_u32_e32 vcc, v44, v52
	s_or_b64 s[12:13], vcc, s[12:13]
	s_andn2_b64 exec, exec, s[12:13]
	s_cbranch_execnz .LBB120_24
.LBB120_25:                             ;   in Loop: Header=BB120_13 Depth=2
	s_or_b64 exec, exec, s[10:11]
	v_add_u32_e32 v46, 0x2000, v69
	ds_read2_b32 v[44:45], v46 offset1:32
	s_waitcnt lgkmcnt(0)
	v_mfma_f32_16x16x32_fp8_fp8 v[8:11], v[28:29], v[44:45], v[8:11]
	ds_read2_b32 v[44:45], v46 offset0:128 offset1:160
	v_add_u32_e32 v46, 0x2400, v69
	s_waitcnt lgkmcnt(0)
	v_mfma_f32_16x16x32_fp8_fp8 v[8:11], v[36:37], v[44:45], v[8:11]
	ds_read2_b32 v[44:45], v46 offset1:32
	s_waitcnt lgkmcnt(0)
	v_mfma_f32_16x16x32_fp8_fp8 v[8:11], v[40:41], v[44:45], v[8:11]
	ds_read2_b32 v[44:45], v46 offset0:128 offset1:160
	v_add_u32_e32 v46, 0x2800, v69
	s_waitcnt lgkmcnt(0)
	v_mfma_f32_16x16x32_fp8_fp8 v[8:11], v[38:39], v[44:45], v[8:11]
	ds_read2_b32 v[44:45], v46 offset1:32
	s_waitcnt lgkmcnt(0)
	v_mfma_f32_16x16x32_fp8_fp8 v[8:11], v[42:43], v[44:45], v[8:11]
	ds_read2_b32 v[44:45], v46 offset0:128 offset1:160
	v_add_u32_e32 v46, 0x2c00, v69
	s_waitcnt lgkmcnt(0)
	v_mfma_f32_16x16x32_fp8_fp8 v[8:11], v[34:35], v[44:45], v[8:11]
	ds_read2_b32 v[44:45], v46 offset1:32
	ds_read2_b32 v[46:47], v46 offset0:128 offset1:160
	;;#ASMSTART
	s_waitcnt lgkmcnt(0)
	;;#ASMEND
	ds_write_b32 v67, v70 offset:49168
	s_waitcnt lgkmcnt(2)
	v_mfma_f32_16x16x32_fp8_fp8 v[8:11], v[32:33], v[44:45], v[8:11]
	ds_read_b32 v44, v67 offset:49172
	s_waitcnt lgkmcnt(0)
	v_cmp_ne_u32_e32 vcc, v44, v52
	;; [unrolled: 52-line block ×3, first 2 shown]
	v_mfma_f32_16x16x32_fp8_fp8 v[4:7], v[30:31], v[46:47], v[4:7]
	s_and_saveexec_b64 s[10:11], vcc
	s_cbranch_execz .LBB120_12
; %bb.29:                               ;   in Loop: Header=BB120_13 Depth=2
	s_mov_b64 s[12:13], 0
.LBB120_30:                             ;   Parent Loop BB120_7 Depth=1
                                        ;     Parent Loop BB120_13 Depth=2
                                        ; =>    This Inner Loop Header: Depth=3
	;;#ASMSTART
	s_sleep 0
	;;#ASMEND
	ds_read_b32 v44, v67 offset:49176
	s_waitcnt lgkmcnt(0)
	v_cmp_eq_u32_e32 vcc, v44, v52
	s_or_b64 s[12:13], vcc, s[12:13]
	s_andn2_b64 exec, exec, s[12:13]
	s_cbranch_execnz .LBB120_30
	s_branch .LBB120_12
.LBB120_31:                             ;   in Loop: Header=BB120_7 Depth=1
	s_or_b64 exec, exec, s[8:9]
.LBB120_32:                             ;   in Loop: Header=BB120_7 Depth=1
	s_or_b64 exec, exec, s[6:7]
	v_cmp_le_i32_e32 vcc, s47, v20
	v_cmp_eq_u32_e64 s[12:13], 1, v55
	v_cmp_eq_u32_e64 s[6:7], 3, v55
	s_waitcnt vmcnt(0)
	v_cndmask_b32_e32 v30, 0, v66, vcc
	v_pk_mul_f32 v[18:19], v[30:31], v[18:19] op_sel_hi:[0,1]
	v_pk_mul_f32 v[30:31], v[30:31], v[16:17] op_sel_hi:[0,1]
	v_cndmask_b32_e64 v16, v30, v31, s[12:13]
	v_cmp_eq_u32_e32 vcc, 2, v55
	v_cmp_eq_u32_e64 s[8:9], 0, v55
	v_cmp_eq_u32_e64 s[10:11], 1, v56
	v_cndmask_b32_e32 v16, v16, v18, vcc
	v_cndmask_b32_e64 v16, v16, v19, s[6:7]
	ds_bpermute_b32 v29, v64, v16
	v_cmp_le_i32_e64 s[18:19], s47, v57
	v_cmp_eq_u32_e64 s[16:17], 3, v56
	s_waitcnt lgkmcnt(0)
	v_cndmask_b32_e64 v16, v19, v29, s[6:7]
	v_cndmask_b32_e64 v19, v30, v29, s[8:9]
	v_or_b32_e32 v30, 16, v20
	v_cmp_le_i32_e64 s[14:15], s47, v30
	v_cndmask_b32_e32 v17, v18, v29, vcc
	v_cndmask_b32_e64 v18, v31, v29, s[12:13]
	v_cndmask_b32_e64 v30, 0, v66, s[14:15]
	v_pk_mul_f32 v[14:15], v[30:31], v[14:15] op_sel_hi:[0,1]
	v_pk_mul_f32 v[30:31], v[30:31], v[12:13] op_sel_hi:[0,1]
	v_cndmask_b32_e64 v12, v30, v31, s[12:13]
	v_cndmask_b32_e32 v12, v12, v14, vcc
	v_cndmask_b32_e64 v12, v12, v15, s[6:7]
	ds_bpermute_b32 v32, v64, v12
	v_cndmask_b32_e64 v29, v19, v18, s[10:11]
	v_cmp_eq_u32_e64 s[14:15], 2, v56
	s_waitcnt lgkmcnt(0)
	v_cndmask_b32_e64 v13, v15, v32, s[6:7]
	v_cndmask_b32_e64 v12, v29, v17, s[14:15]
	;; [unrolled: 1-line block ×4, first 2 shown]
	v_cndmask_b32_e32 v14, v14, v32, vcc
	v_cndmask_b32_e64 v15, v31, v32, s[12:13]
	v_pk_mul_f32 v[32:33], v[30:31], v[8:9] op_sel_hi:[0,1]
	v_pk_mul_f32 v[10:11], v[30:31], v[10:11] op_sel_hi:[0,1]
	v_cndmask_b32_e64 v8, v32, v33, s[12:13]
	v_cndmask_b32_e32 v8, v8, v10, vcc
	v_cndmask_b32_e64 v8, v8, v11, s[6:7]
	ds_bpermute_b32 v31, v64, v8
	v_cmp_le_i32_e64 s[18:19], s47, v58
	v_cndmask_b32_e64 v8, v29, v15, s[10:11]
	v_cndmask_b32_e64 v8, v8, v14, s[14:15]
	;; [unrolled: 1-line block ×3, first 2 shown]
	s_waitcnt lgkmcnt(0)
	v_cndmask_b32_e64 v9, v11, v31, s[6:7]
	v_cndmask_b32_e32 v10, v10, v31, vcc
	v_cndmask_b32_e64 v30, v33, v31, s[12:13]
	v_cndmask_b32_e64 v31, v32, v31, s[8:9]
	;; [unrolled: 1-line block ×3, first 2 shown]
	v_pk_mul_f32 v[6:7], v[32:33], v[6:7] op_sel_hi:[0,1]
	v_pk_mul_f32 v[32:33], v[32:33], v[4:5] op_sel_hi:[0,1]
	v_cndmask_b32_e64 v4, v32, v33, s[12:13]
	v_cndmask_b32_e32 v4, v4, v6, vcc
	v_cndmask_b32_e64 v4, v4, v7, s[6:7]
	ds_bpermute_b32 v11, v64, v4
	v_cmp_le_i32_e64 s[18:19], s47, v59
	v_cndmask_b32_e64 v4, v31, v30, s[10:11]
	v_cndmask_b32_e64 v4, v4, v10, s[14:15]
	;; [unrolled: 1-line block ×3, first 2 shown]
	s_waitcnt lgkmcnt(0)
	v_cndmask_b32_e64 v33, v33, v11, s[12:13]
	v_cndmask_b32_e64 v34, v32, v11, s[8:9]
	;; [unrolled: 1-line block ×3, first 2 shown]
	v_pk_mul_f32 v[38:39], v[32:33], v[0:1] op_sel_hi:[0,1]
	v_pk_mul_f32 v[36:37], v[32:33], v[2:3] op_sel_hi:[0,1]
	v_cndmask_b32_e64 v0, v38, v39, s[12:13]
	v_cndmask_b32_e32 v0, v0, v36, vcc
	v_cndmask_b32_e64 v0, v0, v37, s[6:7]
	ds_bpermute_b32 v1, v64, v0
	v_cndmask_b32_e32 v6, v6, v11, vcc
	v_cndmask_b32_e64 v0, v34, v33, s[10:11]
	v_cndmask_b32_e64 v5, v7, v11, s[6:7]
	;; [unrolled: 1-line block ×4, first 2 shown]
	s_waitcnt lgkmcnt(0)
	v_cndmask_b32_e32 v3, v36, v1, vcc
	v_cmp_ne_u32_e32 vcc, 0, v55
	ds_bpermute_b32 v7, v64, v0
	v_cndmask_b32_e64 v2, v37, v1, s[6:7]
	v_cndmask_b32_e32 v0, v39, v1, vcc
	v_cndmask_b32_e64 v1, v38, v1, s[8:9]
	v_cndmask_b32_e64 v11, v1, v0, s[10:11]
	;; [unrolled: 1-line block ×5, first 2 shown]
	ds_bpermute_b32 v12, v64, v12
	ds_bpermute_b32 v8, v64, v8
	;; [unrolled: 1-line block ×4, first 2 shown]
	s_max_i32 s6, s68, 0
	v_add_u32_e32 v32, s6, v54
	v_cmp_gt_u32_e32 vcc, 16, v32
	s_and_saveexec_b64 s[12:13], vcc
	s_cbranch_execz .LBB120_35
; %bb.33:                               ;   in Loop: Header=BB120_7 Depth=1
	v_cmp_eq_u32_e64 s[8:9], 1, v56
	v_cmp_eq_u32_e64 s[10:11], 0, v56
	v_cmp_eq_u32_e32 vcc, 3, v56
	s_waitcnt lgkmcnt(3)
	v_cndmask_b32_e64 v18, v18, v12, s[8:9]
	s_waitcnt lgkmcnt(2)
	v_cndmask_b32_e64 v15, v15, v8, s[8:9]
	;; [unrolled: 2-line block ×3, first 2 shown]
	v_cndmask_b32_e64 v33, v33, v7, s[8:9]
	s_waitcnt lgkmcnt(0)
	v_cndmask_b32_e64 v35, v0, v11, s[8:9]
	s_mul_i32 s8, s66, s21
	s_ashr_i32 s9, s8, 31
	s_lshl_b64 s[8:9], s[8:9], 1
	v_cndmask_b32_e64 v19, v19, v12, s[10:11]
	v_cndmask_b32_e64 v29, v29, v8, s[10:11]
	;; [unrolled: 1-line block ×5, first 2 shown]
	s_add_u32 s10, s40, s8
	s_addc_u32 s11, s41, s9
	s_ashr_i32 s47, s46, 31
	v_cvt_f16_f32_e32 v19, v19
	v_cvt_f16_f32_sdwa v18, v18 dst_sel:WORD_1 dst_unused:UNUSED_PAD src0_sel:DWORD
	v_cvt_f16_f32_e32 v29, v29
	v_cvt_f16_f32_sdwa v15, v15 dst_sel:WORD_1 dst_unused:UNUSED_PAD src0_sel:DWORD
	s_lshl_b64 s[8:9], s[46:47], 1
	v_cvt_f16_f32_e32 v31, v31
	v_cvt_f16_f32_sdwa v30, v30 dst_sel:WORD_1 dst_unused:UNUSED_PAD src0_sel:DWORD
	s_add_u32 s8, s10, s8
	s_addc_u32 s9, s11, s9
	v_lshl_add_u64 v[0:1], v[22:23], 1, s[8:9]
	v_or_b32_e32 v18, v18, v19
	v_or_b32_e32 v15, v15, v29
	;;#ASMSTART
	global_atomic_pk_add_f16 v[0:1], v18, off
	
	;;#ASMEND
	v_lshl_add_u64 v[18:19], v[0:1], 0, 32
	;;#ASMSTART
	global_atomic_pk_add_f16 v[18:19], v15, off
	
	;;#ASMEND
	v_or_b32_e32 v15, v30, v31
	v_lshl_add_u64 v[18:19], v[0:1], 0, 64
	;;#ASMSTART
	global_atomic_pk_add_f16 v[18:19], v15, off
	
	;;#ASMEND
	v_cvt_f16_f32_e32 v15, v34
	v_cvt_f16_f32_sdwa v29, v33 dst_sel:WORD_1 dst_unused:UNUSED_PAD src0_sel:DWORD
	v_cvt_f16_f32_e32 v30, v36
	v_cvt_f16_f32_sdwa v31, v35 dst_sel:WORD_1 dst_unused:UNUSED_PAD src0_sel:DWORD
	v_cmp_eq_u32_e64 s[6:7], 2, v56
	v_lshl_add_u64 v[18:19], v[0:1], 0, s[30:31]
	v_or_b32_e32 v15, v29, v15
	v_cmp_gt_u32_e64 s[8:9], 14, v32
	;;#ASMSTART
	global_atomic_pk_add_f16 v[18:19], v15, off
	
	;;#ASMEND
	v_lshl_add_u64 v[18:19], v[0:1], 0, s[34:35]
	v_or_b32_e32 v15, v31, v30
	;;#ASMSTART
	global_atomic_pk_add_f16 v[18:19], v15, off
	
	;;#ASMEND
	s_and_b64 exec, exec, s[8:9]
	s_cbranch_execz .LBB120_35
; %bb.34:                               ;   in Loop: Header=BB120_7 Depth=1
	v_cndmask_b32_e32 v15, v16, v12, vcc
	v_cndmask_b32_e64 v12, v17, v12, s[6:7]
	v_cndmask_b32_e32 v9, v9, v4, vcc
	v_cndmask_b32_e64 v4, v10, v4, s[6:7]
	;; [unrolled: 2-line block ×3, first 2 shown]
	v_cvt_f16_f32_e32 v7, v12
	v_cvt_f16_f32_sdwa v10, v15 dst_sel:WORD_1 dst_unused:UNUSED_PAD src0_sel:DWORD
	v_cndmask_b32_e32 v13, v13, v8, vcc
	v_cndmask_b32_e64 v8, v14, v8, s[6:7]
	v_cndmask_b32_e32 v12, v2, v11, vcc
	v_or_b32_e32 v2, v10, v7
	v_cvt_f16_f32_e32 v7, v8
	v_cvt_f16_f32_sdwa v8, v13 dst_sel:WORD_1 dst_unused:UNUSED_PAD src0_sel:DWORD
	v_cvt_f16_f32_e32 v4, v4
	v_cvt_f16_f32_sdwa v9, v9 dst_sel:WORD_1 dst_unused:UNUSED_PAD src0_sel:DWORD
	v_lshl_add_u64 v[0:1], s[28:29], 2, v[0:1]
	v_cndmask_b32_e64 v11, v3, v11, s[6:7]
	;;#ASMSTART
	global_atomic_pk_add_f16 v[0:1], v2, off
	
	;;#ASMEND
	v_lshl_add_u64 v[2:3], v[0:1], 0, 32
	v_or_b32_e32 v7, v8, v7
	v_or_b32_e32 v4, v9, v4
	;;#ASMSTART
	global_atomic_pk_add_f16 v[2:3], v7, off
	
	;;#ASMEND
	v_lshl_add_u64 v[2:3], v[0:1], 0, 64
	;;#ASMSTART
	global_atomic_pk_add_f16 v[2:3], v4, off
	
	;;#ASMEND
	v_cvt_f16_f32_e32 v4, v6
	v_cvt_f16_f32_sdwa v5, v5 dst_sel:WORD_1 dst_unused:UNUSED_PAD src0_sel:DWORD
	v_cvt_f16_f32_e32 v6, v11
	v_cvt_f16_f32_sdwa v7, v12 dst_sel:WORD_1 dst_unused:UNUSED_PAD src0_sel:DWORD
	v_lshl_add_u64 v[2:3], v[0:1], 0, s[30:31]
	v_or_b32_e32 v4, v5, v4
	;;#ASMSTART
	global_atomic_pk_add_f16 v[2:3], v4, off
	
	;;#ASMEND
	v_lshl_add_u64 v[0:1], v[0:1], 0, s[34:35]
	v_or_b32_e32 v2, v7, v6
	;;#ASMSTART
	global_atomic_pk_add_f16 v[0:1], v2, off
	
	;;#ASMEND
.LBB120_35:                             ;   in Loop: Header=BB120_7 Depth=1
	s_or_b64 exec, exec, s[12:13]
	v_subrev_u32_e32 v65, s65, v65
.LBB120_36:                             ;   in Loop: Header=BB120_7 Depth=1
	s_or_b64 exec, exec, s[50:51]
.LBB120_37:                             ;   in Loop: Header=BB120_7 Depth=1
	s_andn2_saveexec_b64 s[6:7], s[48:49]
	s_cbranch_execz .LBB120_46
; %bb.38:                               ;   in Loop: Header=BB120_7 Depth=1
	s_mul_i32 s16, s65, 5
	v_cmp_gt_i32_e32 vcc, s16, v65
	s_and_saveexec_b64 s[8:9], vcc
	s_cbranch_execz .LBB120_45
; %bb.39:                               ;   in Loop: Header=BB120_7 Depth=1
	s_mul_i32 s10, s46, s23
	s_ashr_i32 s11, s10, 31
	s_waitcnt lgkmcnt(0)
	s_add_u32 s10, s38, s10
	s_addc_u32 s11, s39, s11
	s_ashr_i32 s12, s67, 31
	s_add_u32 s10, s10, s67
	s_addc_u32 s11, s11, s12
	v_lshl_add_u64 v[0:1], s[10:11], 0, v[26:27]
	v_lshl_add_u64 v[16:17], v[0:1], 0, v[24:25]
	s_mov_b64 s[10:11], 0
	s_branch .LBB120_41
.LBB120_40:                             ;   in Loop: Header=BB120_41 Depth=2
	s_or_b64 exec, exec, s[12:13]
	v_lshl_or_b32 v28, v18, 12, v60
	;;#ASMSTART
	s_waitcnt vmcnt(3)
	;;#ASMEND
	ds_write2_b32 v28, v12, v13 offset1:32
	ds_write2_b32 v28, v14, v15 offset0:64 offset1:96
	v_add_u32_e32 v12, 0x400, v28
	;;#ASMSTART
	s_waitcnt vmcnt(2)
	;;#ASMEND
	ds_write2_b32 v12, v8, v9 offset1:32
	ds_write2_b32 v12, v10, v11 offset0:64 offset1:96
	v_add_u32_e32 v8, 0x800, v28
	;; [unrolled: 6-line block ×3, first 2 shown]
	v_add_u32_e32 v65, s26, v65
	;;#ASMSTART
	s_waitcnt vmcnt(0)
	;;#ASMEND
	ds_write2_b32 v4, v0, v1 offset1:32
	ds_write2_b32 v4, v2, v3 offset0:64 offset1:96
	v_add_u32_e32 v0, 1, v52
	v_add_u32_e32 v28, s26, v18
	v_cmp_le_i32_e32 vcc, s16, v65
	ds_write_b32 v19, v0 offset:8
	v_add_u32_e32 v0, 2, v52
	s_or_b64 s[10:11], vcc, s[10:11]
	v_cmp_lt_i32_e32 vcc, 9, v28
	s_nop 1
	v_cndmask_b32_e32 v52, v52, v0, vcc
	s_andn2_b64 exec, exec, s[10:11]
	s_cbranch_execz .LBB120_44
.LBB120_41:                             ;   Parent Loop BB120_7 Depth=1
                                        ; =>  This Loop Header: Depth=2
                                        ;       Child Loop BB120_43 Depth 3
	v_cmp_gt_i32_e32 vcc, 10, v28
	s_nop 1
	v_cndmask_b32_e64 v0, -10, 0, vcc
	v_add_u32_e32 v18, v0, v28
	v_mul_hi_i32 v0, v65, s54
	v_lshrrev_b32_e32 v1, 31, v0
	v_ashrrev_i32_e32 v0, 1, v0
	v_add_u32_e32 v0, v0, v1
	v_lshl_add_u32 v1, v0, 2, v0
	v_sub_u32_e32 v2, v65, v1
	v_lshlrev_b32_e32 v0, 8, v0
	v_ashrrev_i32_e32 v1, 31, v0
	v_mul_lo_u32 v2, s58, v2
	v_lshl_add_u64 v[0:1], v[16:17], 0, v[0:1]
	v_ashrrev_i32_e32 v3, 31, v2
	v_lshl_add_u64 v[0:1], v[0:1], 0, v[2:3]
	v_lshlrev_b32_e32 v19, 2, v18
	;;#ASMSTART
	global_load_dwordx4 v[12:15], v[0:1], off offset:0    sc0 sc1 nt  
	global_load_dwordx4 v[8:11], v[0:1], off offset:64   sc0 sc1 nt  
	global_load_dwordx4 v[4:7], v[0:1], off offset:128  sc0 sc1 nt  
	global_load_dwordx4 v[0:3], v[0:1], off offset:192  sc0 sc1 nt  
	
	;;#ASMEND
	ds_read_b32 v28, v19 offset:49160
	v_add_u32_e32 v19, 0xc000, v19
	s_waitcnt lgkmcnt(0)
	v_cmp_ne_u32_e32 vcc, v28, v52
	s_and_saveexec_b64 s[12:13], vcc
	s_cbranch_execz .LBB120_40
; %bb.42:                               ;   in Loop: Header=BB120_41 Depth=2
	s_mov_b64 s[14:15], 0
.LBB120_43:                             ;   Parent Loop BB120_7 Depth=1
                                        ;     Parent Loop BB120_41 Depth=2
                                        ; =>    This Inner Loop Header: Depth=3
	;;#ASMSTART
	s_sleep 0
	;;#ASMEND
	ds_read_b32 v28, v19 offset:8
	s_waitcnt lgkmcnt(0)
	v_cmp_eq_u32_e32 vcc, v28, v52
	s_or_b64 s[14:15], vcc, s[14:15]
	s_andn2_b64 exec, exec, s[14:15]
	s_cbranch_execnz .LBB120_43
	s_branch .LBB120_40
.LBB120_44:                             ;   in Loop: Header=BB120_7 Depth=1
	s_or_b64 exec, exec, s[10:11]
.LBB120_45:                             ;   in Loop: Header=BB120_7 Depth=1
	s_or_b64 exec, exec, s[8:9]
	v_subrev_u32_e32 v65, s16, v65
.LBB120_46:                             ;   in Loop: Header=BB120_7 Depth=1
	s_or_b64 exec, exec, s[6:7]
.LBB120_47:                             ;   in Loop: Header=BB120_7 Depth=1
	s_andn2_saveexec_b64 s[6:7], s[44:45]
	s_cbranch_execz .LBB120_6
; %bb.48:                               ;   in Loop: Header=BB120_7 Depth=1
	v_cmp_gt_i32_e32 vcc, s65, v65
	s_and_saveexec_b64 s[8:9], vcc
	s_cbranch_execz .LBB120_5
; %bb.49:                               ;   in Loop: Header=BB120_7 Depth=1
	s_mul_i32 s66, s66, s22
	s_ashr_i32 s10, s66, 31
	s_waitcnt lgkmcnt(0)
	s_add_u32 s11, s36, s66
	s_addc_u32 s12, s37, s10
	s_ashr_i32 s13, s67, 31
	v_cmp_le_i32_e32 vcc, s68, v61
	s_add_u32 s10, s11, s67
	s_addc_u32 s11, s12, s13
	v_cndmask_b32_e32 v0, 0, v62, vcc
	v_ashrrev_i32_e32 v1, 31, v0
	v_lshl_add_u64 v[0:1], s[10:11], 0, v[0:1]
	v_lshl_add_u64 v[16:17], v[0:1], 0, v[24:25]
	s_mov_b64 s[10:11], 0
	s_branch .LBB120_51
.LBB120_50:                             ;   in Loop: Header=BB120_51 Depth=2
	s_or_b64 exec, exec, s[12:13]
	v_lshl_add_u32 v28, v18, 12, v63
	;;#ASMSTART
	s_waitcnt vmcnt(3)
	;;#ASMEND
	ds_write2_b32 v28, v12, v13 offset1:32
	ds_write2_b32 v28, v14, v15 offset0:64 offset1:96
	v_add_u32_e32 v12, 0x400, v28
	;;#ASMSTART
	s_waitcnt vmcnt(2)
	;;#ASMEND
	ds_write2_b32 v12, v8, v9 offset1:32
	ds_write2_b32 v12, v10, v11 offset0:64 offset1:96
	v_add_u32_e32 v8, 0x800, v28
	;; [unrolled: 6-line block ×3, first 2 shown]
	v_add_u32_e32 v65, s25, v65
	;;#ASMSTART
	s_waitcnt vmcnt(0)
	;;#ASMEND
	ds_write2_b32 v4, v0, v1 offset1:32
	ds_write2_b32 v4, v2, v3 offset0:64 offset1:96
	v_add_u32_e32 v0, 1, v52
	v_add_u32_e32 v28, s25, v18
	v_cmp_le_i32_e32 vcc, s65, v65
	ds_write_b32 v19, v0
	v_add_u32_e32 v0, 2, v52
	s_or_b64 s[10:11], vcc, s[10:11]
	v_cmp_lt_i32_e32 vcc, 1, v28
	s_nop 1
	v_cndmask_b32_e32 v52, v52, v0, vcc
	s_andn2_b64 exec, exec, s[10:11]
	s_cbranch_execz .LBB120_4
.LBB120_51:                             ;   Parent Loop BB120_7 Depth=1
                                        ; =>  This Loop Header: Depth=2
                                        ;       Child Loop BB120_53 Depth 3
	v_cmp_gt_i32_e32 vcc, 2, v28
	s_nop 1
	v_cndmask_b32_e64 v0, -2, 0, vcc
	v_add_u32_e32 v18, v0, v28
	v_lshlrev_b32_e32 v0, 8, v65
	v_ashrrev_i32_e32 v1, 31, v0
	v_lshl_add_u64 v[0:1], v[16:17], 0, v[0:1]
	v_lshlrev_b32_e32 v19, 2, v18
	;;#ASMSTART
	global_load_dwordx4 v[12:15], v[0:1], off offset:0    
	global_load_dwordx4 v[8:11], v[0:1], off offset:64   
	;; [unrolled: 1-line block ×4, first 2 shown]
	
	;;#ASMEND
	ds_read_b32 v28, v19 offset:49152
	v_add_u32_e32 v19, 0xc000, v19
	s_waitcnt lgkmcnt(0)
	v_cmp_ne_u32_e32 vcc, v28, v52
	s_and_saveexec_b64 s[12:13], vcc
	s_cbranch_execz .LBB120_50
; %bb.52:                               ;   in Loop: Header=BB120_51 Depth=2
	s_mov_b64 s[14:15], 0
.LBB120_53:                             ;   Parent Loop BB120_7 Depth=1
                                        ;     Parent Loop BB120_51 Depth=2
                                        ; =>    This Inner Loop Header: Depth=3
	;;#ASMSTART
	s_sleep 0
	;;#ASMEND
	ds_read_b32 v28, v19
	s_waitcnt lgkmcnt(0)
	v_cmp_eq_u32_e32 vcc, v28, v52
	s_or_b64 s[14:15], vcc, s[14:15]
	s_andn2_b64 exec, exec, s[14:15]
	s_cbranch_execnz .LBB120_53
	s_branch .LBB120_50
.LBB120_54:
	s_endpgm
	.section	.rodata,"a",@progbits
	.p2align	6, 0x0
	.amdhsa_kernel _Z19_skinny_gemm_kernelILi1ELi5ELi2ELi16ELi8EEvPKhS1_P6__halfPKfiiiiiiii
		.amdhsa_group_segment_fixed_size 49200
		.amdhsa_private_segment_fixed_size 0
		.amdhsa_kernarg_size 64
		.amdhsa_user_sgpr_count 2
		.amdhsa_user_sgpr_dispatch_ptr 0
		.amdhsa_user_sgpr_queue_ptr 0
		.amdhsa_user_sgpr_kernarg_segment_ptr 1
		.amdhsa_user_sgpr_dispatch_id 0
		.amdhsa_user_sgpr_kernarg_preload_length 0
		.amdhsa_user_sgpr_kernarg_preload_offset 0
		.amdhsa_user_sgpr_private_segment_size 0
		.amdhsa_uses_dynamic_stack 0
		.amdhsa_enable_private_segment 0
		.amdhsa_system_sgpr_workgroup_id_x 1
		.amdhsa_system_sgpr_workgroup_id_y 0
		.amdhsa_system_sgpr_workgroup_id_z 0
		.amdhsa_system_sgpr_workgroup_info 0
		.amdhsa_system_vgpr_workitem_id 0
		.amdhsa_next_free_vgpr 73
		.amdhsa_next_free_sgpr 69
		.amdhsa_accum_offset 76
		.amdhsa_reserve_vcc 1
		.amdhsa_float_round_mode_32 0
		.amdhsa_float_round_mode_16_64 0
		.amdhsa_float_denorm_mode_32 3
		.amdhsa_float_denorm_mode_16_64 3
		.amdhsa_dx10_clamp 1
		.amdhsa_ieee_mode 1
		.amdhsa_fp16_overflow 0
		.amdhsa_tg_split 0
		.amdhsa_exception_fp_ieee_invalid_op 0
		.amdhsa_exception_fp_denorm_src 0
		.amdhsa_exception_fp_ieee_div_zero 0
		.amdhsa_exception_fp_ieee_overflow 0
		.amdhsa_exception_fp_ieee_underflow 0
		.amdhsa_exception_fp_ieee_inexact 0
		.amdhsa_exception_int_div_zero 0
	.end_amdhsa_kernel
	.section	.text._Z19_skinny_gemm_kernelILi1ELi5ELi2ELi16ELi8EEvPKhS1_P6__halfPKfiiiiiiii,"axG",@progbits,_Z19_skinny_gemm_kernelILi1ELi5ELi2ELi16ELi8EEvPKhS1_P6__halfPKfiiiiiiii,comdat
.Lfunc_end120:
	.size	_Z19_skinny_gemm_kernelILi1ELi5ELi2ELi16ELi8EEvPKhS1_P6__halfPKfiiiiiiii, .Lfunc_end120-_Z19_skinny_gemm_kernelILi1ELi5ELi2ELi16ELi8EEvPKhS1_P6__halfPKfiiiiiiii
                                        ; -- End function
	.set _Z19_skinny_gemm_kernelILi1ELi5ELi2ELi16ELi8EEvPKhS1_P6__halfPKfiiiiiiii.num_vgpr, 73
	.set _Z19_skinny_gemm_kernelILi1ELi5ELi2ELi16ELi8EEvPKhS1_P6__halfPKfiiiiiiii.num_agpr, 0
	.set _Z19_skinny_gemm_kernelILi1ELi5ELi2ELi16ELi8EEvPKhS1_P6__halfPKfiiiiiiii.numbered_sgpr, 69
	.set _Z19_skinny_gemm_kernelILi1ELi5ELi2ELi16ELi8EEvPKhS1_P6__halfPKfiiiiiiii.num_named_barrier, 0
	.set _Z19_skinny_gemm_kernelILi1ELi5ELi2ELi16ELi8EEvPKhS1_P6__halfPKfiiiiiiii.private_seg_size, 0
	.set _Z19_skinny_gemm_kernelILi1ELi5ELi2ELi16ELi8EEvPKhS1_P6__halfPKfiiiiiiii.uses_vcc, 1
	.set _Z19_skinny_gemm_kernelILi1ELi5ELi2ELi16ELi8EEvPKhS1_P6__halfPKfiiiiiiii.uses_flat_scratch, 0
	.set _Z19_skinny_gemm_kernelILi1ELi5ELi2ELi16ELi8EEvPKhS1_P6__halfPKfiiiiiiii.has_dyn_sized_stack, 0
	.set _Z19_skinny_gemm_kernelILi1ELi5ELi2ELi16ELi8EEvPKhS1_P6__halfPKfiiiiiiii.has_recursion, 0
	.set _Z19_skinny_gemm_kernelILi1ELi5ELi2ELi16ELi8EEvPKhS1_P6__halfPKfiiiiiiii.has_indirect_call, 0
	.section	.AMDGPU.csdata,"",@progbits
; Kernel info:
; codeLenInByte = 5304
; TotalNumSgprs: 75
; NumVgprs: 73
; NumAgprs: 0
; TotalNumVgprs: 73
; ScratchSize: 0
; MemoryBound: 0
; FloatMode: 240
; IeeeMode: 1
; LDSByteSize: 49200 bytes/workgroup (compile time only)
; SGPRBlocks: 9
; VGPRBlocks: 9
; NumSGPRsForWavesPerEU: 75
; NumVGPRsForWavesPerEU: 73
; AccumOffset: 76
; Occupancy: 6
; WaveLimiterHint : 0
; COMPUTE_PGM_RSRC2:SCRATCH_EN: 0
; COMPUTE_PGM_RSRC2:USER_SGPR: 2
; COMPUTE_PGM_RSRC2:TRAP_HANDLER: 0
; COMPUTE_PGM_RSRC2:TGID_X_EN: 1
; COMPUTE_PGM_RSRC2:TGID_Y_EN: 0
; COMPUTE_PGM_RSRC2:TGID_Z_EN: 0
; COMPUTE_PGM_RSRC2:TIDIG_COMP_CNT: 0
; COMPUTE_PGM_RSRC3_GFX90A:ACCUM_OFFSET: 18
; COMPUTE_PGM_RSRC3_GFX90A:TG_SPLIT: 0
	.section	.text._Z19_skinny_gemm_kernelILi1ELi5ELi2ELi32ELi4EEvPKhS1_P6__halfPKfiiiiiiii,"axG",@progbits,_Z19_skinny_gemm_kernelILi1ELi5ELi2ELi32ELi4EEvPKhS1_P6__halfPKfiiiiiiii,comdat
	.protected	_Z19_skinny_gemm_kernelILi1ELi5ELi2ELi32ELi4EEvPKhS1_P6__halfPKfiiiiiiii ; -- Begin function _Z19_skinny_gemm_kernelILi1ELi5ELi2ELi32ELi4EEvPKhS1_P6__halfPKfiiiiiiii
	.globl	_Z19_skinny_gemm_kernelILi1ELi5ELi2ELi32ELi4EEvPKhS1_P6__halfPKfiiiiiiii
	.p2align	8
	.type	_Z19_skinny_gemm_kernelILi1ELi5ELi2ELi32ELi4EEvPKhS1_P6__halfPKfiiiiiiii,@function
_Z19_skinny_gemm_kernelILi1ELi5ELi2ELi32ELi4EEvPKhS1_P6__halfPKfiiiiiiii: ; @_Z19_skinny_gemm_kernelILi1ELi5ELi2ELi32ELi4EEvPKhS1_P6__halfPKfiiiiiiii
; %bb.0:
	v_cmp_gt_u32_e32 vcc, 12, v0
	s_and_saveexec_b64 s[4:5], vcc
; %bb.1:
	v_lshlrev_b32_e32 v1, 2, v0
	v_mov_b32_e32 v2, 0
	ds_write_b32 v1, v2 offset:24576
; %bb.2:
	s_or_b64 exec, exec, s[4:5]
	s_load_dwordx8 s[24:31], s[0:1], 0x20
	s_waitcnt lgkmcnt(0)
	s_barrier
	s_add_i32 s3, s24, 31
	s_ashr_i32 s5, s3, 31
	s_add_i32 s4, s25, 0x9f
	s_lshr_b32 s5, s5, 27
	s_mul_hi_i32 s4, s4, 0x66666667
	s_add_i32 s3, s3, s5
	s_ashr_i32 s14, s3, 5
	s_lshr_b32 s3, s4, 31
	s_ashr_i32 s4, s4, 6
	s_add_i32 s15, s4, s3
	s_mul_i32 s3, s15, s14
	s_mul_i32 s3, s3, s28
	s_add_i32 s4, s3, 0x12f
	s_mul_hi_i32 s4, s4, 0x6bca1af3
	s_lshr_b32 s5, s4, 31
	s_ashr_i32 s4, s4, 7
	s_add_i32 s4, s4, s5
	s_add_i32 s5, s2, 1
	s_mul_i32 s5, s4, s5
	v_cvt_f64_i32_e32 v[2:3], s3
	v_cvt_f64_u32_e32 v[4:5], s5
	v_min_f64 v[2:3], v[2:3], v[4:5]
	v_cvt_i32_f64_e32 v13, v[2:3]
	s_mul_i32 s2, s4, s2
	v_cmp_ge_i32_e32 vcc, s2, v13
	s_cbranch_vccnz .LBB121_55
; %bb.3:
	s_load_dwordx8 s[16:23], s[0:1], 0x0
	v_lshrrev_b32_e32 v1, 6, v0
	s_add_i32 s0, s30, s29
	v_cmp_le_i32_e64 s[34:35], s0, v1
	v_mov_b32_e32 v2, s29
	v_cmp_le_i32_e64 s[36:37], s29, v1
	v_mov_b32_e32 v3, s30
	v_cndmask_b32_e64 v3, 0, v3, s[34:35]
	v_cndmask_b32_e64 v2, 0, v2, s[36:37]
	s_abs_i32 s1, s28
	v_add_u32_e32 v2, v2, v3
	v_cvt_f32_u32_e32 v3, s1
	v_sub_u32_e32 v88, v1, v2
	s_ashr_i32 s3, s26, 31
	s_lshr_b32 s3, s3, 26
	v_rcp_iflag_f32_e32 v2, v3
	s_sub_i32 s6, 0, s1
	s_add_i32 s3, s26, s3
	s_ashr_i32 s3, s3, 6
	v_mul_f32_e32 v2, 0x4f7ffffe, v2
	v_cvt_u32_f32_e32 v2, v2
	s_abs_i32 s5, s3
	s_xor_b32 s4, s3, s28
	s_ashr_i32 s4, s4, 31
	v_readfirstlane_b32 s7, v2
	s_mul_i32 s6, s6, s7
	s_mul_hi_u32 s6, s7, s6
	s_add_i32 s7, s7, s6
	s_mul_hi_u32 s6, s5, s7
	s_mul_i32 s7, s6, s1
	s_sub_i32 s5, s5, s7
	s_add_i32 s7, s6, 1
	s_sub_i32 s8, s5, s1
	s_cmp_ge_u32 s5, s1
	s_cselect_b32 s6, s7, s6
	s_cselect_b32 s5, s8, s5
	s_add_i32 s7, s6, 1
	s_cmp_ge_u32 s5, s1
	s_cselect_b32 s1, s7, s6
	s_add_i32 s0, s0, s31
	v_and_b32_e32 v9, 31, v0
	v_lshrrev_b32_e32 v2, 3, v0
	v_cmp_gt_i32_e64 s[42:43], s0, v1
	v_lshlrev_b32_e32 v1, 2, v9
	v_and_b32_e32 v3, 4, v2
	v_lshlrev_b32_e32 v2, 6, v3
	v_or_b32_e32 v4, 0x5000, v1
	v_and_b32_e32 v5, 1, v0
	v_or_b32_e32 v94, v4, v2
	v_or_b32_e32 v96, v1, v2
	v_lshlrev_b32_e32 v2, 1, v5
	v_sub_u32_e32 v2, v0, v2
	v_add_u32_e32 v2, 1, v2
	v_and_b32_e32 v6, 63, v2
	v_bitop3_b32 v2, v0, 1, v0 bitop3:0xc
	scratch_store_dword off, v2, off offset:24 ; 4-byte Folded Spill
	v_bitop3_b32 v2, v0, 3, 1 bitop3:0x6c
	scratch_store_dword off, v2, off offset:28 ; 4-byte Folded Spill
	;; [unrolled: 2-line block ×6, first 2 shown]
	v_bitop3_b32 v2, v0, 13, 1 bitop3:0x6c
	s_add_i32 s39, s28, -1
	scratch_store_dword off, v2, off offset:48 ; 4-byte Folded Spill
	v_bitop3_b32 v2, v0, 15, 1 bitop3:0x6c
	s_abs_i32 s28, s14
                                        ; implicit-def: $vgpr127 : SGPR spill to VGPR lane
	scratch_store_dword off, v2, off offset:52 ; 4-byte Folded Spill
	v_or_b32_e32 v2, 32, v9
	v_cvt_f32_u32_e32 v8, s28
	v_writelane_b32 v127, s14, 0
	scratch_store_dword off, v2, off offset:56 ; 4-byte Folded Spill
	v_or_b32_e32 v2, 64, v9
	v_writelane_b32 v127, s15, 1
	scratch_store_dword off, v2, off offset:60 ; 4-byte Folded Spill
	v_or_b32_e32 v2, 0x60, v9
	v_lshrrev_b32_e32 v7, 1, v0
	s_waitcnt lgkmcnt(0)
	v_writelane_b32 v127, s16, 2
	scratch_store_dword off, v2, off offset:64 ; 4-byte Folded Spill
	v_or_b32_e32 v2, 0x80, v9
	v_and_b32_e32 v14, 16, v7
	v_lshlrev_b32_e32 v7, 4, v0
	v_writelane_b32 v127, s17, 3
	scratch_store_dword off, v2, off offset:68 ; 4-byte Folded Spill
	v_and_b32_e32 v2, 30, v0
	v_and_b32_e32 v7, 0x200, v7
	v_bitop3_b32 v17, v0, 31, v0 bitop3:0xc
	v_rcp_iflag_f32_e32 v0, v8
	s_abs_i32 s99, s15
	v_writelane_b32 v127, s18, 4
	v_or_b32_e32 v16, v1, v7
	v_cvt_f32_u32_e32 v1, s99
	v_writelane_b32 v127, s19, 5
	v_writelane_b32 v127, s20, 6
	;; [unrolled: 1-line block ×3, first 2 shown]
	v_mul_f32_e32 v0, 0x4f7ffffe, v0
	v_writelane_b32 v127, s22, 8
	v_cvt_u32_f32_e32 v0, v0
	v_rcp_iflag_f32_e32 v1, v1
	v_writelane_b32 v127, s23, 9
	v_cndmask_b32_e64 v95, 0, 1, s[34:35]
	s_xor_b32 s1, s1, s4
	v_writelane_b32 v127, s34, 10
	s_sub_i32 s38, s1, s4
	s_mul_i32 s1, s38, s39
	v_writelane_b32 v127, s35, 11
	v_writelane_b32 v127, s36, 12
	s_sub_i32 s40, s3, s1
	v_readfirstlane_b32 s1, v0
	v_mul_f32_e32 v0, 0x4f7ffffe, v1
	v_writelane_b32 v127, s37, 13
	v_cvt_u32_f32_e32 v0, v0
	v_writelane_b32 v127, s38, 14
	s_sub_i32 s0, 0, s28
	v_writelane_b32 v127, s39, 15
	s_mul_i32 s0, s0, s1
	v_writelane_b32 v127, s40, 16
	s_mul_hi_u32 s0, s1, s0
	v_writelane_b32 v127, s42, 17
	s_ashr_i32 s41, s14, 31
	s_add_i32 s44, s1, s0
	s_sub_i32 s0, 0, s99
	v_readfirstlane_b32 s1, v0
	v_writelane_b32 v127, s43, 18
	s_mul_i32 s0, s0, s1
	v_mbcnt_lo_u32_b32 v0, -1, 0
	v_writelane_b32 v127, s41, 19
	s_ashr_i32 s45, s15, 31
	s_mul_hi_u32 s0, s1, s0
	v_mbcnt_hi_u32_b32 v0, -1, v0
	v_writelane_b32 v127, s44, 20
	v_mov_b32_e32 v99, 0
	v_mul_lo_u32 v10, s27, v9
	s_add_i32 s46, s1, s0
	v_and_or_b32 v0, v0, 64, v6
	v_writelane_b32 v127, s45, 21
	v_ashrrev_i32_e32 v11, 31, v10
	v_mov_b32_e32 v15, v99
	s_lshl_b32 s98, s27, 5
	v_mul_lo_u32 v18, s26, v9
	v_or_b32_e32 v114, v4, v7
	v_lshlrev_b32_e32 v98, 1, v2
	v_lshlrev_b32_e32 v116, 2, v0
	v_mov_b32_e32 v117, v88
	v_writelane_b32 v127, s46, 22
	scratch_store_dwordx2 off, v[10:11], off offset:80 ; 8-byte Folded Spill
	scratch_store_dword off, v9, off offset:12 ; 4-byte Folded Spill
	v_or_b32_e32 v97, v5, v3
	scratch_store_dword off, v13, off offset:8 ; 4-byte Folded Spill
	scratch_store_dword off, v94, off offset:16 ; 4-byte Folded Spill
	;; [unrolled: 1-line block ×3, first 2 shown]
	scratch_store_dwordx2 off, v[14:15], off offset:72 ; 8-byte Folded Spill
	scratch_store_dword off, v16, off offset:88 ; 4-byte Folded Spill
	scratch_store_dword off, v17, off offset:92 ; 4-byte Folded Spill
	;; [unrolled: 1-line block ×4, first 2 shown]
	s_branch .LBB121_7
.LBB121_4:                              ;   in Loop: Header=BB121_7 Depth=1
	s_or_b64 exec, exec, s[6:7]
.LBB121_5:                              ;   in Loop: Header=BB121_7 Depth=1
	s_or_b64 exec, exec, s[4:5]
	v_subrev_u32_e32 v117, s33, v117
.LBB121_6:                              ;   in Loop: Header=BB121_7 Depth=1
	s_or_b64 exec, exec, s[0:1]
	s_add_i32 s2, s2, 1
	s_waitcnt vmcnt(4)
	v_cmp_ge_i32_e32 vcc, s2, v13
	s_cbranch_vccnz .LBB121_55
.LBB121_7:                              ; =>This Loop Header: Depth=1
                                        ;     Child Loop BB121_13 Depth 2
                                        ;       Child Loop BB121_15 Depth 3
                                        ;       Child Loop BB121_18 Depth 3
	;; [unrolled: 1-line block ×6, first 2 shown]
                                        ;     Child Loop BB121_34 Depth 2
                                        ;     Child Loop BB121_42 Depth 2
                                        ;       Child Loop BB121_44 Depth 3
                                        ;     Child Loop BB121_52 Depth 2
                                        ;       Child Loop BB121_54 Depth 3
	s_abs_i32 s1, s2
	s_mul_hi_u32 s3, s1, s44
	s_mul_i32 s4, s3, s28
	s_ashr_i32 s0, s2, 31
	s_sub_i32 s1, s1, s4
	s_xor_b32 s0, s0, s41
	s_add_i32 s4, s3, 1
	s_sub_i32 s5, s1, s28
	s_cmp_ge_u32 s1, s28
	s_cselect_b32 s3, s4, s3
	s_cselect_b32 s1, s5, s1
	s_add_i32 s4, s3, 1
	s_cmp_ge_u32 s1, s28
	s_cselect_b32 s1, s4, s3
	s_xor_b32 s1, s1, s0
	s_sub_i32 s0, s1, s0
	s_abs_i32 s4, s0
	s_mul_i32 s1, s0, s14
	s_mul_hi_u32 s5, s4, s46
	s_sub_i32 s1, s2, s1
	s_mul_i32 s6, s5, s99
	s_lshl_b32 s3, s1, 5
	s_ashr_i32 s1, s0, 31
	s_sub_i32 s4, s4, s6
	s_xor_b32 s1, s1, s45
	s_add_i32 s6, s5, 1
	s_sub_i32 s7, s4, s99
	s_cmp_ge_u32 s4, s99
	s_cselect_b32 s5, s6, s5
	s_cselect_b32 s4, s7, s4
	s_add_i32 s6, s5, 1
	s_cmp_ge_u32 s4, s99
	s_cselect_b32 s4, s6, s5
	s_xor_b32 s4, s4, s1
	s_sub_i32 s1, s4, s1
	s_mul_i32 s4, s1, s38
	s_lshl_b32 s47, s4, 6
	s_cmp_eq_u32 s1, s39
	s_cselect_b32 s33, s40, s38
	s_sub_i32 s4, s3, s24
	s_add_i32 s80, s4, 32
	s_and_saveexec_b64 s[4:5], s[36:37]
	s_xor_b64 s[96:97], exec, s[4:5]
	s_cbranch_execz .LBB121_48
; %bb.8:                                ;   in Loop: Header=BB121_7 Depth=1
	s_mul_i32 s1, s1, s15
	s_sub_i32 s0, s0, s1
	s_mulk_i32 s0, 0xa0
	s_sub_i32 s70, s0, s25
	s_addk_i32 s70, 0xa0
	s_max_i32 s1, s70, 0
	s_sub_i32 s72, s0, s1
	s_and_saveexec_b64 s[0:1], s[34:35]
	s_xor_b64 s[4:5], exec, s[0:1]
	s_cbranch_execz .LBB121_38
; %bb.9:                                ;   in Loop: Header=BB121_7 Depth=1
	s_and_saveexec_b64 s[0:1], s[42:43]
	s_cbranch_execz .LBB121_37
; %bb.10:                               ;   in Loop: Header=BB121_7 Depth=1
	global_load_dword v118, v99, s[22:23]
	v_mov_b32_e32 v79, 0
	v_cmp_gt_i32_e32 vcc, s33, v117
	v_mov_b32_e32 v78, v79
	v_mov_b32_e32 v77, v79
	;; [unrolled: 1-line block ×60, first 2 shown]
	s_waitcnt vmcnt(1)
	v_mov_b32_e32 v18, v79
	v_mov_b32_e32 v17, v79
	;; [unrolled: 1-line block ×19, first 2 shown]
	s_and_saveexec_b64 s[6:7], vcc
	s_cbranch_execz .LBB121_32
; %bb.11:                               ;   in Loop: Header=BB121_7 Depth=1
	v_mov_b32_e32 v0, 0
	s_mov_b64 s[8:9], 0
	v_mov_b32_e32 v1, v0
	v_mov_b32_e32 v2, v0
	;; [unrolled: 1-line block ×79, first 2 shown]
	s_branch .LBB121_13
.LBB121_12:                             ;   in Loop: Header=BB121_13 Depth=2
	s_or_b64 exec, exec, s[10:11]
	v_add_u32_e32 v81, 0x2000, v80
	ds_read2_b32 v[82:83], v81 offset1:32
	v_add_u32_e32 v117, s31, v117
	s_waitcnt lgkmcnt(0)
	v_mfma_f32_32x32x16_fp8_fp8 v[0:15], v[92:93], v[82:83], v[0:15]
	ds_read2_b32 v[82:83], v81 offset0:128 offset1:160
	s_waitcnt lgkmcnt(0)
	v_mfma_f32_32x32x16_fp8_fp8 v[0:15], v[90:91], v[82:83], v[0:15]
	v_add_u32_e32 v82, 0x2400, v80
	ds_read2_b32 v[80:81], v82 offset1:32
	ds_read2_b32 v[82:83], v82 offset0:128 offset1:160
	ds_write_b32 v120, v121 offset:24612
	s_waitcnt lgkmcnt(2)
	v_mfma_f32_32x32x16_fp8_fp8 v[0:15], v[88:89], v[80:81], v[0:15]
	v_add_u32_e32 v88, s31, v119
	v_add_u32_e32 v80, 2, v95
	v_cmp_lt_i32_e32 vcc, 1, v88
	s_nop 1
	v_cndmask_b32_e32 v95, v95, v80, vcc
	v_cmp_le_i32_e32 vcc, s33, v117
	s_waitcnt lgkmcnt(1)
	v_mfma_f32_32x32x16_fp8_fp8 v[0:15], v[86:87], v[82:83], v[0:15]
	s_or_b64 s[8:9], vcc, s[8:9]
	s_andn2_b64 exec, exec, s[8:9]
	s_cbranch_execz .LBB121_31
.LBB121_13:                             ;   Parent Loop BB121_7 Depth=1
                                        ; =>  This Loop Header: Depth=2
                                        ;       Child Loop BB121_15 Depth 3
                                        ;       Child Loop BB121_18 Depth 3
	;; [unrolled: 1-line block ×6, first 2 shown]
	v_cmp_gt_i32_e32 vcc, 2, v88
	s_nop 1
	v_cndmask_b32_e64 v80, -2, 0, vcc
	v_add_u32_e32 v119, v80, v88
	v_mul_lo_u32 v120, v119, 40
	ds_read_b32 v80, v120 offset:24576
	s_waitcnt lgkmcnt(0)
	v_cmp_ne_u32_e32 vcc, v80, v95
	s_and_saveexec_b64 s[10:11], vcc
	s_cbranch_execz .LBB121_16
; %bb.14:                               ;   in Loop: Header=BB121_13 Depth=2
	s_mov_b64 s[12:13], 0
.LBB121_15:                             ;   Parent Loop BB121_7 Depth=1
                                        ;     Parent Loop BB121_13 Depth=2
                                        ; =>    This Inner Loop Header: Depth=3
	;;#ASMSTART
	s_sleep 0
	;;#ASMEND
	ds_read_b32 v80, v120 offset:24576
	s_waitcnt lgkmcnt(0)
	v_cmp_eq_u32_e32 vcc, v80, v95
	s_or_b64 s[12:13], vcc, s[12:13]
	s_andn2_b64 exec, exec, s[12:13]
	s_cbranch_execnz .LBB121_15
.LBB121_16:                             ;   in Loop: Header=BB121_13 Depth=2
	s_or_b64 exec, exec, s[10:11]
	v_lshl_add_u32 v80, v119, 11, v94
	ds_read2_b32 v[92:93], v80 offset1:32
	ds_read2_b32 v[90:91], v80 offset0:128 offset1:160
	v_add_u32_e32 v80, 0x400, v80
	ds_read2_b32 v[88:89], v80 offset1:32
	ds_read_b32 v81, v120 offset:24580
	ds_read2_b32 v[86:87], v80 offset0:128 offset1:160
	v_add_u32_e32 v121, 1, v95
	ds_write_b32 v120, v121 offset:24576
	s_waitcnt lgkmcnt(2)
	v_cmp_ne_u32_e32 vcc, v81, v95
	s_and_saveexec_b64 s[10:11], vcc
	s_cbranch_execz .LBB121_19
; %bb.17:                               ;   in Loop: Header=BB121_13 Depth=2
	s_mov_b64 s[12:13], 0
.LBB121_18:                             ;   Parent Loop BB121_7 Depth=1
                                        ;     Parent Loop BB121_13 Depth=2
                                        ; =>    This Inner Loop Header: Depth=3
	;;#ASMSTART
	s_sleep 0
	;;#ASMEND
	ds_read_b32 v80, v120 offset:24580
	s_waitcnt lgkmcnt(0)
	v_cmp_eq_u32_e32 vcc, v80, v95
	s_or_b64 s[12:13], vcc, s[12:13]
	s_andn2_b64 exec, exec, s[12:13]
	s_cbranch_execnz .LBB121_18
.LBB121_19:                             ;   in Loop: Header=BB121_13 Depth=2
	s_or_b64 exec, exec, s[10:11]
	s_movk_i32 s10, 0x2800
	v_mul_lo_u32 v80, v119, s10
	v_or_b32_e32 v81, v96, v80
	ds_read2_b32 v[82:83], v81 offset1:32
	ds_write_b32 v120, v121 offset:24580
	s_waitcnt lgkmcnt(1)
	v_mfma_f32_32x32x16_fp8_fp8 v[64:79], v[92:93], v[82:83], v[64:79]
	ds_read2_b32 v[82:83], v81 offset0:128 offset1:160
	v_add_u32_e32 v81, 0x400, v81
	s_waitcnt lgkmcnt(0)
	v_mfma_f32_32x32x16_fp8_fp8 v[64:79], v[90:91], v[82:83], v[64:79]
	ds_read2_b32 v[82:83], v81 offset1:32
	s_waitcnt lgkmcnt(0)
	v_mfma_f32_32x32x16_fp8_fp8 v[64:79], v[88:89], v[82:83], v[64:79]
	ds_read2_b32 v[82:83], v81 offset0:128 offset1:160
	ds_read_b32 v81, v120 offset:24588
	s_waitcnt lgkmcnt(0)
	v_cmp_ne_u32_e32 vcc, v81, v95
	v_mfma_f32_32x32x16_fp8_fp8 v[64:79], v[86:87], v[82:83], v[64:79]
	s_and_saveexec_b64 s[10:11], vcc
	s_cbranch_execz .LBB121_22
; %bb.20:                               ;   in Loop: Header=BB121_13 Depth=2
	s_mov_b64 s[12:13], 0
.LBB121_21:                             ;   Parent Loop BB121_7 Depth=1
                                        ;     Parent Loop BB121_13 Depth=2
                                        ; =>    This Inner Loop Header: Depth=3
	;;#ASMSTART
	s_sleep 0
	;;#ASMEND
	ds_read_b32 v81, v120 offset:24588
	s_waitcnt lgkmcnt(0)
	v_cmp_eq_u32_e32 vcc, v81, v95
	s_or_b64 s[12:13], vcc, s[12:13]
	s_andn2_b64 exec, exec, s[12:13]
	s_cbranch_execnz .LBB121_21
.LBB121_22:                             ;   in Loop: Header=BB121_13 Depth=2
	s_or_b64 exec, exec, s[10:11]
	v_add_u32_e32 v80, v96, v80
	v_add_u32_e32 v81, 0x800, v80
	ds_read2_b32 v[82:83], v81 offset1:32
	ds_write_b32 v120, v121 offset:24588
	s_waitcnt lgkmcnt(1)
	v_mfma_f32_32x32x16_fp8_fp8 v[48:63], v[92:93], v[82:83], v[48:63]
	ds_read2_b32 v[82:83], v81 offset0:128 offset1:160
	v_add_u32_e32 v81, 0xc00, v80
	s_waitcnt lgkmcnt(0)
	v_mfma_f32_32x32x16_fp8_fp8 v[48:63], v[90:91], v[82:83], v[48:63]
	ds_read2_b32 v[82:83], v81 offset1:32
	s_waitcnt lgkmcnt(0)
	v_mfma_f32_32x32x16_fp8_fp8 v[48:63], v[88:89], v[82:83], v[48:63]
	ds_read2_b32 v[82:83], v81 offset0:128 offset1:160
	ds_read_b32 v81, v120 offset:24596
	s_waitcnt lgkmcnt(0)
	v_cmp_ne_u32_e32 vcc, v81, v95
	v_mfma_f32_32x32x16_fp8_fp8 v[48:63], v[86:87], v[82:83], v[48:63]
	s_and_saveexec_b64 s[10:11], vcc
	s_cbranch_execz .LBB121_25
; %bb.23:                               ;   in Loop: Header=BB121_13 Depth=2
	s_mov_b64 s[12:13], 0
.LBB121_24:                             ;   Parent Loop BB121_7 Depth=1
                                        ;     Parent Loop BB121_13 Depth=2
                                        ; =>    This Inner Loop Header: Depth=3
	;;#ASMSTART
	s_sleep 0
	;;#ASMEND
	ds_read_b32 v81, v120 offset:24596
	s_waitcnt lgkmcnt(0)
	v_cmp_eq_u32_e32 vcc, v81, v95
	s_or_b64 s[12:13], vcc, s[12:13]
	s_andn2_b64 exec, exec, s[12:13]
	s_cbranch_execnz .LBB121_24
.LBB121_25:                             ;   in Loop: Header=BB121_13 Depth=2
	s_or_b64 exec, exec, s[10:11]
	v_add_u32_e32 v81, 0x1000, v80
	ds_read2_b32 v[82:83], v81 offset1:32
	s_waitcnt lgkmcnt(0)
	v_mfma_f32_32x32x16_fp8_fp8 v[32:47], v[92:93], v[82:83], v[32:47]
	ds_read2_b32 v[82:83], v81 offset0:128 offset1:160
	v_add_u32_e32 v81, 0x1400, v80
	s_waitcnt lgkmcnt(0)
	v_mfma_f32_32x32x16_fp8_fp8 v[32:47], v[90:91], v[82:83], v[32:47]
	ds_read2_b32 v[82:83], v81 offset1:32
	s_waitcnt lgkmcnt(0)
	v_mfma_f32_32x32x16_fp8_fp8 v[32:47], v[88:89], v[82:83], v[32:47]
	ds_read_b32 v84, v120 offset:24604
	ds_read2_b32 v[82:83], v81 offset0:128 offset1:160
	ds_write_b32 v120, v121 offset:24596
	s_waitcnt lgkmcnt(2)
	v_cmp_ne_u32_e32 vcc, v84, v95
	s_waitcnt lgkmcnt(1)
	v_mfma_f32_32x32x16_fp8_fp8 v[32:47], v[86:87], v[82:83], v[32:47]
	s_and_saveexec_b64 s[10:11], vcc
	s_cbranch_execz .LBB121_28
; %bb.26:                               ;   in Loop: Header=BB121_13 Depth=2
	s_mov_b64 s[12:13], 0
.LBB121_27:                             ;   Parent Loop BB121_7 Depth=1
                                        ;     Parent Loop BB121_13 Depth=2
                                        ; =>    This Inner Loop Header: Depth=3
	;;#ASMSTART
	s_sleep 0
	;;#ASMEND
	ds_read_b32 v81, v120 offset:24604
	s_waitcnt lgkmcnt(0)
	v_cmp_eq_u32_e32 vcc, v81, v95
	s_or_b64 s[12:13], vcc, s[12:13]
	s_andn2_b64 exec, exec, s[12:13]
	s_cbranch_execnz .LBB121_27
.LBB121_28:                             ;   in Loop: Header=BB121_13 Depth=2
	s_or_b64 exec, exec, s[10:11]
	v_add_u32_e32 v81, 0x1800, v80
	ds_read2_b32 v[82:83], v81 offset1:32
	s_waitcnt lgkmcnt(0)
	v_mfma_f32_32x32x16_fp8_fp8 v[16:31], v[92:93], v[82:83], v[16:31]
	ds_read2_b32 v[82:83], v81 offset0:128 offset1:160
	v_add_u32_e32 v81, 0x1c00, v80
	s_waitcnt lgkmcnt(0)
	v_mfma_f32_32x32x16_fp8_fp8 v[16:31], v[90:91], v[82:83], v[16:31]
	ds_read2_b32 v[82:83], v81 offset1:32
	s_waitcnt lgkmcnt(0)
	v_mfma_f32_32x32x16_fp8_fp8 v[16:31], v[88:89], v[82:83], v[16:31]
	ds_read_b32 v84, v120 offset:24612
	ds_read2_b32 v[82:83], v81 offset0:128 offset1:160
	ds_write_b32 v120, v121 offset:24604
	s_waitcnt lgkmcnt(2)
	v_cmp_ne_u32_e32 vcc, v84, v95
	s_waitcnt lgkmcnt(1)
	v_mfma_f32_32x32x16_fp8_fp8 v[16:31], v[86:87], v[82:83], v[16:31]
	s_and_saveexec_b64 s[10:11], vcc
	s_cbranch_execz .LBB121_12
; %bb.29:                               ;   in Loop: Header=BB121_13 Depth=2
	s_mov_b64 s[12:13], 0
.LBB121_30:                             ;   Parent Loop BB121_7 Depth=1
                                        ;     Parent Loop BB121_13 Depth=2
                                        ; =>    This Inner Loop Header: Depth=3
	;;#ASMSTART
	s_sleep 0
	;;#ASMEND
	ds_read_b32 v81, v120 offset:24612
	s_waitcnt lgkmcnt(0)
	v_cmp_eq_u32_e32 vcc, v81, v95
	s_or_b64 s[12:13], vcc, s[12:13]
	s_andn2_b64 exec, exec, s[12:13]
	s_cbranch_execnz .LBB121_30
	s_branch .LBB121_12
.LBB121_31:                             ;   in Loop: Header=BB121_7 Depth=1
	s_or_b64 exec, exec, s[8:9]
.LBB121_32:                             ;   in Loop: Header=BB121_7 Depth=1
	v_writelane_b32 v127, s80, 23
	v_writelane_b32 v127, s47, 24
	s_or_b64 exec, exec, s[6:7]
	scratch_load_dword v80, off, off offset:12 ; 4-byte Folded Reload
	scratch_load_dword v111, off, off offset:24 ; 4-byte Folded Reload
	;; [unrolled: 1-line block ×4, first 2 shown]
	s_mul_i32 s6, s3, s25
	s_ashr_i32 s7, s6, 31
	s_lshl_b64 s[6:7], s[6:7], 1
	s_add_u32 s68, s20, s6
	s_addc_u32 s69, s21, s7
	s_mov_b32 s34, s72
	s_ashr_i32 s73, s72, 31
	v_writelane_b32 v127, s34, 25
	scratch_store_dwordx2 off, v[98:99], off ; 8-byte Folded Spill
	v_subrev_u32_e32 v117, s33, v117
	v_writelane_b32 v127, s35, 26
	s_lshl_b64 s[34:35], s[72:73], 1
	s_add_u32 s34, s68, s34
	s_addc_u32 s35, s69, s35
	v_writelane_b32 v127, s34, 27
	s_waitcnt vmcnt(4)
	v_cmp_le_i32_e32 vcc, s70, v80
	s_nop 1
	v_cndmask_b32_e32 v80, 0, v118, vcc
	v_pk_mul_f32 v[64:65], v[80:81], v[64:65] op_sel_hi:[0,1]
	s_waitcnt vmcnt(3)
	v_cmp_eq_u32_e64 s[64:65], 1, v111
	v_pk_mul_f32 v[78:79], v[80:81], v[78:79] op_sel_hi:[0,1]
	v_pk_mul_f32 v[76:77], v[80:81], v[76:77] op_sel_hi:[0,1]
	;; [unrolled: 1-line block ×7, first 2 shown]
	v_cndmask_b32_e64 v80, v64, v65, s[64:65]
	v_cmp_eq_u32_e64 s[38:39], 2, v111
	v_cmp_eq_u32_e64 s[40:41], 3, v111
	v_cmp_eq_u32_e64 s[42:43], 4, v111
	v_cndmask_b32_e64 v80, v80, v66, s[38:39]
	v_cndmask_b32_e64 v80, v80, v67, s[40:41]
	v_cndmask_b32_e64 v80, v80, v68, s[42:43]
	v_cmp_eq_u32_e64 s[44:45], 5, v111
	v_cmp_eq_u32_e64 s[46:47], 6, v111
	v_cmp_eq_u32_e64 s[48:49], 7, v111
	v_cndmask_b32_e64 v80, v80, v69, s[44:45]
	v_cndmask_b32_e64 v80, v80, v70, s[46:47]
	;; [unrolled: 6-line block ×5, first 2 shown]
	ds_bpermute_b32 v80, v116, v80
	s_waitcnt vmcnt(2)
	v_cmp_eq_u32_e32 vcc, 1, v91
	v_cmp_eq_u32_e64 s[6:7], 2, v91
	v_cmp_eq_u32_e64 s[8:9], 3, v91
	;; [unrolled: 1-line block ×3, first 2 shown]
	s_waitcnt lgkmcnt(0)
	v_cndmask_b32_e64 v90, v65, v80, s[64:65]
	v_cndmask_b32_e64 v87, v64, v80, s[36:37]
	;; [unrolled: 1-line block ×3, first 2 shown]
	v_cndmask_b32_e32 v64, v87, v90, vcc
	v_cndmask_b32_e64 v86, v67, v80, s[40:41]
	v_cndmask_b32_e64 v64, v64, v66, s[6:7]
	;; [unrolled: 1-line block ×6, first 2 shown]
	v_cmp_eq_u32_e64 s[12:13], 5, v91
	v_cndmask_b32_e64 v83, v70, v80, s[46:47]
	v_cmp_eq_u32_e64 s[14:15], 6, v91
	v_cndmask_b32_e64 v64, v64, v84, s[12:13]
	v_cndmask_b32_e64 v82, v71, v80, s[48:49]
	v_cndmask_b32_e64 v64, v64, v83, s[14:15]
	v_cmp_eq_u32_e64 s[16:17], 7, v91
	v_cndmask_b32_e64 v81, v72, v80, s[50:51]
	v_cmp_eq_u32_e64 s[18:19], 8, v91
	v_cndmask_b32_e64 v64, v64, v82, s[16:17]
	v_cndmask_b32_e64 v73, v73, v80, s[52:53]
	v_cndmask_b32_e64 v64, v64, v81, s[18:19]
	;; [unrolled: 6-line block ×5, first 2 shown]
	v_writelane_b32 v127, s35, 28
	v_cmp_eq_u32_e64 s[34:35], 15, v91
	scratch_load_dword v80, off, off offset:64 ; 4-byte Folded Reload
	s_waitcnt vmcnt(2)
	v_cmp_eq_u32_e64 s[72:73], 9, v115
	v_cndmask_b32_e64 v64, v64, v79, s[34:35]
	ds_bpermute_b32 v89, v116, v64
	scratch_load_dword v64, off, off offset:56 ; 4-byte Folded Reload
	s_waitcnt lgkmcnt(0)
	v_cndmask_b32_e64 v65, v79, v89, s[34:35]
	v_cndmask_b32_e64 v79, v66, v89, s[6:7]
	;; [unrolled: 1-line block ×8, first 2 shown]
	v_cndmask_b32_e32 v86, v90, v89, vcc
	v_cndmask_b32_e64 v68, v77, v89, s[78:79]
	v_cndmask_b32_e64 v77, v85, v89, s[10:11]
	;; [unrolled: 1-line block ×6, first 2 shown]
	s_waitcnt vmcnt(0)
	v_cmp_le_i32_e64 s[68:69], s70, v64
	scratch_load_dword v64, off, off offset:60 ; 4-byte Folded Reload
	s_nop 0
	v_cndmask_b32_e64 v66, 0, v118, s[68:69]
	v_pk_mul_f32 v[62:63], v[66:67], v[62:63] op_sel_hi:[0,1]
	v_pk_mul_f32 v[60:61], v[66:67], v[60:61] op_sel_hi:[0,1]
	;; [unrolled: 1-line block ×8, first 2 shown]
	s_waitcnt vmcnt(0)
	v_cmp_le_i32_e64 s[68:69], s70, v64
	s_nop 1
	v_cndmask_b32_e64 v64, 0, v118, s[68:69]
	v_cmp_le_i32_e64 s[68:69], s70, v80
	scratch_load_dword v80, off, off offset:68 ; 4-byte Folded Reload
	v_pk_mul_f32 v[46:47], v[64:65], v[46:47] op_sel_hi:[0,1]
	v_cndmask_b32_e64 v66, 0, v118, s[68:69]
	v_pk_mul_f32 v[16:17], v[66:67], v[16:17] op_sel_hi:[0,1]
	v_pk_mul_f32 v[96:97], v[66:67], v[26:27] op_sel_hi:[0,1]
	;; [unrolled: 1-line block ×3, first 2 shown]
	v_cndmask_b32_e64 v26, v16, v17, s[64:65]
	v_cndmask_b32_e64 v26, v26, v18, s[38:39]
	v_pk_mul_f32 v[20:21], v[66:67], v[20:21] op_sel_hi:[0,1]
	v_cndmask_b32_e64 v26, v26, v19, s[40:41]
	v_cndmask_b32_e64 v26, v26, v20, s[42:43]
	v_pk_mul_f32 v[44:45], v[64:65], v[44:45] op_sel_hi:[0,1]
	v_pk_mul_f32 v[42:43], v[64:65], v[42:43] op_sel_hi:[0,1]
	;; [unrolled: 1-line block ×7, first 2 shown]
	v_cndmask_b32_e64 v64, v48, v49, s[64:65]
	v_pk_mul_f32 v[22:23], v[66:67], v[22:23] op_sel_hi:[0,1]
	v_cndmask_b32_e64 v26, v26, v21, s[44:45]
	v_cndmask_b32_e64 v64, v64, v50, s[38:39]
	;; [unrolled: 1-line block ×4, first 2 shown]
	v_pk_mul_f32 v[24:25], v[66:67], v[24:25] op_sel_hi:[0,1]
	v_cndmask_b32_e64 v26, v26, v23, s[48:49]
	v_cndmask_b32_e64 v64, v64, v52, s[42:43]
	;; [unrolled: 1-line block ×8, first 2 shown]
	v_pk_mul_f32 v[82:83], v[66:67], v[28:29] op_sel_hi:[0,1]
	v_cndmask_b32_e64 v26, v26, v97, s[56:57]
	v_cndmask_b32_e64 v64, v64, v56, s[50:51]
	;; [unrolled: 1-line block ×4, first 2 shown]
	v_pk_mul_f32 v[30:31], v[66:67], v[30:31] op_sel_hi:[0,1]
	v_cndmask_b32_e64 v26, v26, v83, s[60:61]
	v_cndmask_b32_e64 v64, v64, v58, s[54:55]
	;; [unrolled: 1-line block ×6, first 2 shown]
	ds_bpermute_b32 v99, v116, v26
	v_cndmask_b32_e64 v64, v64, v61, s[60:61]
	v_cndmask_b32_e64 v64, v64, v62, s[62:63]
	v_cndmask_b32_e64 v64, v64, v63, s[66:67]
	ds_bpermute_b32 v106, v116, v64
	v_cndmask_b32_e64 v64, v32, v33, s[64:65]
	v_cndmask_b32_e64 v64, v64, v34, s[38:39]
	;; [unrolled: 1-line block ×15, first 2 shown]
	ds_bpermute_b32 v105, v116, v64
	s_waitcnt lgkmcnt(1)
	v_cndmask_b32_e64 v26, v49, v106, s[64:65]
	v_cndmask_b32_e64 v27, v63, v106, s[66:67]
	;; [unrolled: 1-line block ×4, first 2 shown]
	s_waitcnt lgkmcnt(0)
	v_cndmask_b32_e64 v63, v47, v105, s[66:67]
	v_cndmask_b32_e64 v62, v46, v105, s[62:63]
	;; [unrolled: 1-line block ×10, first 2 shown]
	s_waitcnt vmcnt(0)
	v_cmp_le_i32_e64 s[68:69], s70, v80
	v_cmp_eq_u32_e64 s[70:71], 7, v115
	v_cndmask_b32_e64 v93, v96, v99, s[54:55]
	v_cndmask_b32_e64 v80, 0, v118, s[68:69]
	v_pk_mul_f32 v[0:1], v[80:81], v[0:1] op_sel_hi:[0,1]
	v_pk_mul_f32 v[100:101], v[80:81], v[6:7] op_sel_hi:[0,1]
	;; [unrolled: 1-line block ×3, first 2 shown]
	v_cndmask_b32_e64 v7, v17, v99, s[64:65]
	v_cndmask_b32_e64 v17, v0, v1, s[64:65]
	;; [unrolled: 1-line block ×3, first 2 shown]
	v_pk_mul_f32 v[4:5], v[80:81], v[4:5] op_sel_hi:[0,1]
	v_cndmask_b32_e64 v17, v17, v3, s[40:41]
	v_cndmask_b32_e64 v17, v17, v4, s[42:43]
	;; [unrolled: 1-line block ×4, first 2 shown]
	v_pk_mul_f32 v[8:9], v[80:81], v[8:9] op_sel_hi:[0,1]
	v_cndmask_b32_e64 v17, v17, v101, s[48:49]
	v_cndmask_b32_e64 v17, v17, v8, s[50:51]
	v_pk_mul_f32 v[10:11], v[80:81], v[10:11] op_sel_hi:[0,1]
	v_cndmask_b32_e64 v17, v17, v9, s[52:53]
	v_cndmask_b32_e64 v17, v17, v10, s[54:55]
	;; [unrolled: 3-line block ×4, first 2 shown]
	v_cndmask_b32_e64 v17, v17, v15, s[66:67]
	ds_bpermute_b32 v98, v116, v17
	v_cmp_eq_u32_e64 s[68:69], 0, v91
	v_cndmask_b32_e64 v6, v33, v105, s[64:65]
	v_cmp_eq_u32_e64 s[64:65], 1, v115
	v_cndmask_b32_e64 v87, v87, v89, s[68:69]
	s_waitcnt lgkmcnt(0)
	v_cndmask_b32_e64 v113, v15, v98, s[66:67]
	v_cndmask_b32_e64 v17, v87, v86, s[64:65]
	v_cmp_eq_u32_e64 s[66:67], 2, v115
	v_cndmask_b32_e64 v89, v30, v99, s[62:63]
	v_cndmask_b32_e64 v118, v14, v98, s[62:63]
	;; [unrolled: 1-line block ×3, first 2 shown]
	v_cmp_eq_u32_e64 s[62:63], 3, v115
	v_cndmask_b32_e64 v119, v13, v98, s[60:61]
	v_cmp_eq_u32_e64 s[60:61], 4, v115
	v_cndmask_b32_e64 v14, v15, v78, s[62:63]
	v_cndmask_b32_e64 v30, v60, v106, s[58:59]
	;; [unrolled: 1-line block ×6, first 2 shown]
	v_cmp_eq_u32_e64 s[58:59], 5, v115
	v_cndmask_b32_e64 v121, v11, v98, s[56:57]
	v_cmp_eq_u32_e64 s[56:57], 6, v115
	v_cndmask_b32_e64 v12, v13, v76, s[58:59]
	v_cndmask_b32_e64 v33, v58, v106, s[54:55]
	v_cndmask_b32_e64 v11, v12, v75, s[56:57]
	v_cndmask_b32_e64 v58, v42, v105, s[54:55]
	v_cndmask_b32_e64 v122, v10, v98, s[54:55]
	v_cndmask_b32_e64 v10, v11, v74, s[70:71]
	v_cndmask_b32_e64 v42, v57, v106, s[52:53]
	v_cndmask_b32_e64 v57, v25, v99, s[52:53]
	v_cndmask_b32_e64 v123, v9, v98, s[52:53]
	v_cmp_eq_u32_e64 s[52:53], 8, v115
	v_cndmask_b32_e64 v124, v8, v98, s[50:51]
	v_cndmask_b32_e64 v44, v55, v106, s[48:49]
	;; [unrolled: 1-line block ×6, first 2 shown]
	v_cmp_eq_u32_e64 s[48:49], 10, v115
	v_cndmask_b32_e64 v43, v56, v106, s[50:51]
	v_cndmask_b32_e64 v64, v40, v105, s[50:51]
	;; [unrolled: 1-line block ×4, first 2 shown]
	v_cmp_eq_u32_e64 s[50:51], 11, v115
	v_cndmask_b32_e64 v45, v54, v106, s[46:47]
	v_cndmask_b32_e64 v81, v38, v105, s[46:47]
	;; [unrolled: 1-line block ×5, first 2 shown]
	v_cmp_eq_u32_e64 s[46:47], 12, v115
	v_cndmask_b32_e64 v104, v5, v98, s[44:45]
	v_cndmask_b32_e64 v46, v52, v106, s[42:43]
	;; [unrolled: 1-line block ×6, first 2 shown]
	v_cmp_eq_u32_e64 s[42:43], 13, v115
	v_cndmask_b32_e64 v101, v53, v106, s[44:45]
	v_cndmask_b32_e64 v102, v37, v105, s[44:45]
	;; [unrolled: 1-line block ×4, first 2 shown]
	v_cmp_eq_u32_e64 s[44:45], 14, v115
	v_cndmask_b32_e64 v49, v50, v106, s[38:39]
	v_cndmask_b32_e64 v84, v34, v105, s[38:39]
	;; [unrolled: 1-line block ×4, first 2 shown]
	v_cmp_ne_u32_e64 s[38:39], 0, v111
	v_cndmask_b32_e64 v97, v3, v98, s[40:41]
	v_cndmask_b32_e64 v3, v4, v67, s[44:45]
	;; [unrolled: 1-line block ×3, first 2 shown]
	v_cmp_eq_u32_e64 s[38:39], 15, v115
	v_cndmask_b32_e64 v110, v19, v99, s[40:41]
	v_cndmask_b32_e64 v19, v48, v106, s[36:37]
	;; [unrolled: 1-line block ×3, first 2 shown]
	ds_bpermute_b32 v20, v116, v1
	v_cndmask_b32_e64 v47, v51, v106, s[40:41]
	v_cndmask_b32_e64 v34, v32, v105, s[36:37]
	;; [unrolled: 1-line block ×4, first 2 shown]
	s_waitcnt lgkmcnt(0)
	v_cndmask_b32_e64 v2, v67, v20, s[44:45]
	v_cndmask_b32_e64 v67, v0, v98, s[36:37]
	v_cndmask_b32_e32 v0, v19, v26, vcc
	v_cndmask_b32_e64 v0, v0, v49, s[6:7]
	v_cndmask_b32_e64 v0, v0, v47, s[8:9]
	v_cndmask_b32_e64 v0, v0, v46, s[10:11]
	v_cndmask_b32_e64 v0, v0, v101, s[12:13]
	v_cndmask_b32_e64 v0, v0, v45, s[14:15]
	v_cndmask_b32_e64 v0, v0, v44, s[16:17]
	v_cndmask_b32_e64 v0, v0, v43, s[18:19]
	v_cndmask_b32_e64 v0, v0, v42, s[20:21]
	v_cndmask_b32_e64 v0, v0, v33, s[22:23]
	v_cndmask_b32_e64 v0, v0, v31, s[74:75]
	v_cndmask_b32_e64 v0, v0, v30, s[76:77]
	v_cndmask_b32_e64 v0, v0, v29, s[78:79]
	v_cndmask_b32_e64 v0, v0, v28, s[80:81]
	v_cndmask_b32_e64 v0, v0, v27, s[34:35]
	ds_bpermute_b32 v98, v116, v0
	v_cndmask_b32_e32 v0, v34, v6, vcc
	v_cndmask_b32_e64 v0, v0, v84, s[6:7]
	v_cndmask_b32_e64 v0, v0, v83, s[8:9]
	v_cndmask_b32_e64 v0, v0, v82, s[10:11]
	v_cndmask_b32_e64 v0, v0, v102, s[12:13]
	v_cndmask_b32_e64 v0, v0, v81, s[14:15]
	v_cndmask_b32_e64 v0, v0, v80, s[16:17]
	v_cndmask_b32_e64 v0, v0, v64, s[18:19]
	v_cndmask_b32_e64 v0, v0, v41, s[20:21]
	v_cndmask_b32_e64 v0, v0, v58, s[22:23]
	v_cndmask_b32_e64 v0, v0, v59, s[74:75]
	v_cndmask_b32_e64 v0, v0, v60, s[76:77]
	v_cndmask_b32_e64 v0, v0, v61, s[78:79]
	v_cndmask_b32_e64 v0, v0, v62, s[80:81]
	v_cndmask_b32_e64 v0, v0, v63, s[34:35]
	ds_bpermute_b32 v99, v116, v0
	;; [unrolled: 16-line block ×3, first 2 shown]
	v_cndmask_b32_e32 v0, v67, v66, vcc
	v_cndmask_b32_e64 v0, v0, v100, s[6:7]
	v_cndmask_b32_e64 v0, v0, v97, s[8:9]
	v_cndmask_b32_e64 v0, v0, v94, s[10:11]
	s_waitcnt lgkmcnt(0)
	v_cndmask_b32_e64 v51, v85, v105, s[34:35]
	scratch_load_dword v85, off, off offset:36 ; 4-byte Folded Reload
	v_cndmask_b32_e64 v0, v0, v104, s[12:13]
	v_cndmask_b32_e64 v0, v0, v126, s[14:15]
	;; [unrolled: 1-line block ×11, first 2 shown]
	ds_bpermute_b32 v106, v116, v0
	v_cmp_eq_u32_e64 s[36:37], 0, v115
	v_cndmask_b32_e64 v3, v68, v20, s[42:43]
	v_cndmask_b32_e64 v18, v86, v20, s[64:65]
	;; [unrolled: 1-line block ×5, first 2 shown]
	s_waitcnt lgkmcnt(0)
	v_cndmask_b32_e64 v68, v113, v106, s[34:35]
	v_cndmask_b32_e64 v48, v84, v99, s[6:7]
	scratch_load_dword v84, off, off offset:44 ; 4-byte Folded Reload
	v_cndmask_b32_e64 v17, v79, v20, s[66:67]
	v_cndmask_b32_e64 v15, v78, v20, s[62:63]
	;; [unrolled: 1-line block ×37, first 2 shown]
	v_cndmask_b32_e32 v26, v26, v98, vcc
	v_cndmask_b32_e32 v89, v66, v106, vcc
	v_cndmask_b32_e64 v34, v34, v99, s[68:69]
	v_cndmask_b32_e64 v66, v50, v105, s[68:69]
	;; [unrolled: 1-line block ×10, first 2 shown]
	scratch_load_dword v104, off, off offset:48 ; 4-byte Folded Reload
	s_waitcnt vmcnt(2)
	v_cmp_eq_u32_e64 s[34:35], 1, v85
	s_nop 1
	v_cndmask_b32_e64 v21, v0, v18, s[34:35]
	v_cmp_eq_u32_e64 s[90:91], 2, v85
	v_cmp_eq_u32_e64 s[86:87], 3, v85
	;; [unrolled: 1-line block ×3, first 2 shown]
	v_cndmask_b32_e64 v22, v21, v17, s[90:91]
	v_cndmask_b32_e64 v23, v22, v15, s[86:87]
	v_cndmask_b32_e64 v24, v23, v14, s[82:83]
	v_cmp_eq_u32_e64 s[94:95], 5, v85
	v_cndmask_b32_e64 v21, v29, v98, s[78:79]
	v_cndmask_b32_e64 v22, v30, v98, s[76:77]
	;; [unrolled: 1-line block ×4, first 2 shown]
	v_cmp_eq_u32_e64 s[22:23], 6, v85
	v_cndmask_b32_e64 v23, v31, v98, s[74:75]
	v_cmp_eq_u32_e64 s[76:77], 13, v85
	v_cndmask_b32_e64 v27, v25, v12, s[22:23]
	v_cndmask_b32_e64 v25, v42, v98, s[20:21]
	v_cmp_eq_u32_e64 s[20:21], 7, v85
	v_cndmask_b32_e64 v42, v64, v99, s[18:19]
	v_cndmask_b32_e64 v64, v112, v105, s[6:7]
	;; [unrolled: 1-line block ×4, first 2 shown]
	v_cmp_eq_u32_e64 s[18:19], 8, v85
	v_cndmask_b32_e64 v43, v80, v99, s[16:17]
	s_nop 0
	v_cndmask_b32_e64 v29, v28, v10, s[18:19]
	v_cndmask_b32_e64 v28, v44, v98, s[16:17]
	v_cmp_eq_u32_e64 s[16:17], 9, v85
	v_cndmask_b32_e64 v44, v81, v99, s[14:15]
	s_nop 0
	v_cndmask_b32_e64 v30, v29, v9, s[16:17]
	v_cndmask_b32_e64 v29, v45, v98, s[14:15]
	;; [unrolled: 5-line block ×3, first 2 shown]
	v_cmp_eq_u32_e64 s[12:13], 11, v85
	s_nop 1
	v_cndmask_b32_e64 v32, v31, v5, s[12:13]
	v_cndmask_b32_e64 v31, v46, v98, s[10:11]
	;; [unrolled: 1-line block ×3, first 2 shown]
	v_cmp_eq_u32_e64 s[10:11], 12, v85
	s_nop 1
	v_cndmask_b32_e64 v33, v32, v4, s[10:11]
	v_cndmask_b32_e64 v65, v33, v3, s[76:77]
	;; [unrolled: 1-line block ×3, first 2 shown]
	v_cmp_eq_u32_e64 s[6:7], 14, v85
	v_cndmask_b32_e32 v49, v6, v99, vcc
	v_cndmask_b32_e64 v32, v47, v98, s[8:9]
	v_cndmask_b32_e64 v80, v65, v2, s[6:7]
	v_cndmask_b32_e32 v65, v7, v105, vcc
	v_cmp_eq_u32_e32 vcc, 15, v85
	v_cndmask_b32_e64 v47, v83, v99, s[8:9]
	v_cmp_eq_u32_e64 s[8:9], 0, v85
	v_cndmask_b32_e32 v6, v80, v1, vcc
	ds_bpermute_b32 v80, v116, v6
	s_waitcnt lgkmcnt(0)
	v_cndmask_b32_e64 v6, v8, v80, s[14:15]
	v_cndmask_b32_e64 v8, v10, v80, s[18:19]
	v_cndmask_b32_e64 v10, v12, v80, s[22:23]
	v_cndmask_b32_e64 v12, v14, v80, s[82:83]
	v_cndmask_b32_e64 v14, v17, v80, s[90:91]
	v_cndmask_b32_e64 v17, v19, v98, s[68:69]
	v_cndmask_b32_e64 v7, v9, v80, s[16:17]
	v_cndmask_b32_e64 v9, v11, v80, s[20:21]
	v_cndmask_b32_e64 v11, v13, v80, s[94:95]
	v_cndmask_b32_e64 v13, v15, v80, s[86:87]
	v_cndmask_b32_e64 v15, v18, v80, s[34:35]
	v_cndmask_b32_e64 v18, v17, v26, s[64:65]
	v_cndmask_b32_e64 v18, v18, v33, s[66:67]
	v_cndmask_b32_e64 v18, v18, v32, s[62:63]
	v_cndmask_b32_e64 v18, v18, v31, s[60:61]
	v_cndmask_b32_e64 v18, v18, v30, s[58:59]
	v_cndmask_b32_e64 v18, v18, v29, s[56:57]
	v_cndmask_b32_e64 v18, v18, v28, s[70:71]
	v_cndmask_b32_e64 v18, v18, v27, s[52:53]
	v_cndmask_b32_e64 v18, v18, v25, s[72:73]
	v_cndmask_b32_e64 v18, v18, v24, s[48:49]
	v_cndmask_b32_e64 v18, v18, v23, s[50:51]
	v_cndmask_b32_e64 v18, v18, v22, s[46:47]
	v_cndmask_b32_e64 v18, v18, v21, s[42:43]
	v_cndmask_b32_e64 v18, v18, v20, s[44:45]
	v_cndmask_b32_e64 v18, v18, v16, s[38:39]
	ds_bpermute_b32 v50, v116, v18
	v_cndmask_b32_e64 v18, v34, v49, s[64:65]
	v_cndmask_b32_e64 v18, v18, v48, s[66:67]
	;; [unrolled: 1-line block ×15, first 2 shown]
	ds_bpermute_b32 v81, v116, v18
	v_cndmask_b32_e64 v18, v66, v65, s[64:65]
	v_cndmask_b32_e64 v18, v18, v64, s[66:67]
	;; [unrolled: 1-line block ×15, first 2 shown]
	ds_bpermute_b32 v82, v116, v18
	v_cndmask_b32_e64 v18, v90, v89, s[64:65]
	v_cndmask_b32_e64 v18, v18, v87, s[66:67]
	;; [unrolled: 1-line block ×4, first 2 shown]
	s_waitcnt lgkmcnt(0)
	v_cndmask_b32_e64 v67, v51, v82, s[38:39]
	scratch_load_dword v51, off, off offset:40 ; 4-byte Folded Reload
	v_cndmask_b32_e64 v18, v18, v78, s[58:59]
	v_cndmask_b32_e64 v18, v18, v77, s[56:57]
	;; [unrolled: 1-line block ×11, first 2 shown]
	ds_bpermute_b32 v83, v116, v18
	v_cndmask_b32_e64 v0, v0, v80, s[8:9]
	v_cndmask_b32_e64 v16, v16, v50, s[38:39]
	;; [unrolled: 1-line block ×4, first 2 shown]
	s_waitcnt lgkmcnt(0)
	v_cndmask_b32_e64 v91, v68, v83, s[38:39]
	v_cndmask_b32_e64 v36, v36, v81, s[44:45]
	;; [unrolled: 1-line block ×23, first 2 shown]
	v_cndmask_b32_e32 v1, v1, v80, vcc
	v_cndmask_b32_e64 v26, v26, v50, s[64:65]
	v_cndmask_b32_e64 v49, v49, v81, s[64:65]
	;; [unrolled: 1-line block ×27, first 2 shown]
	s_waitcnt vmcnt(2)
	v_cmp_eq_u32_e64 s[64:65], 9, v84
	s_waitcnt vmcnt(0)
	v_cmp_eq_u32_e64 s[40:41], 1, v51
	s_nop 1
	v_cndmask_b32_e64 v19, v0, v15, s[40:41]
	v_cmp_eq_u32_e64 s[38:39], 2, v51
	v_cmp_eq_u32_e64 s[44:45], 3, v51
	;; [unrolled: 1-line block ×3, first 2 shown]
	v_cndmask_b32_e64 v20, v19, v14, s[38:39]
	v_cndmask_b32_e64 v19, v21, v50, s[42:43]
	;; [unrolled: 1-line block ×4, first 2 shown]
	v_cmp_eq_u32_e64 s[46:47], 4, v51
	v_cmp_eq_u32_e64 s[68:69], 7, v51
	v_cmp_eq_u32_e64 s[74:75], 10, v51
	v_cndmask_b32_e64 v22, v21, v12, s[46:47]
	v_cndmask_b32_e64 v21, v23, v50, s[50:51]
	v_cmp_eq_u32_e64 s[50:51], 5, v51
	v_cmp_eq_u32_e64 s[78:79], 11, v51
	;; [unrolled: 1-line block ×3, first 2 shown]
	v_cndmask_b32_e64 v23, v22, v11, s[50:51]
	v_cndmask_b32_e64 v22, v24, v50, s[48:49]
	;; [unrolled: 1-line block ×5, first 2 shown]
	v_cmp_eq_u32_e64 s[72:73], 8, v51
	v_cndmask_b32_e64 v24, v27, v50, s[52:53]
	v_cmp_eq_u32_e64 s[84:85], 13, v51
	v_cndmask_b32_e64 v27, v25, v8, s[72:73]
	v_cndmask_b32_e64 v25, v28, v50, s[70:71]
	v_cmp_eq_u32_e64 s[70:71], 9, v51
	v_cmp_eq_u32_e64 s[88:89], 14, v51
	;; [unrolled: 1-line block ×3, first 2 shown]
	v_cndmask_b32_e64 v28, v27, v7, s[70:71]
	v_cndmask_b32_e64 v27, v29, v50, s[56:57]
	;; [unrolled: 1-line block ×12, first 2 shown]
	ds_bpermute_b32 v33, v116, v32
	v_cndmask_b32_e64 v32, v17, v50, s[36:37]
	v_cndmask_b32_e64 v17, v32, v26, s[34:35]
	;; [unrolled: 1-line block ×16, first 2 shown]
	v_cndmask_b32_e32 v17, v17, v16, vcc
	ds_bpermute_b32 v80, v116, v17
	v_cndmask_b32_e64 v17, v50, v49, s[34:35]
	v_cndmask_b32_e64 v17, v17, v48, s[90:91]
	v_cndmask_b32_e64 v17, v17, v47, s[86:87]
	v_cndmask_b32_e64 v17, v17, v46, s[82:83]
	v_cndmask_b32_e64 v17, v17, v45, s[94:95]
	v_cndmask_b32_e64 v17, v17, v44, s[22:23]
	v_cndmask_b32_e64 v17, v17, v43, s[20:21]
	v_cndmask_b32_e64 v17, v17, v42, s[18:19]
	v_cndmask_b32_e64 v17, v17, v41, s[16:17]
	v_cndmask_b32_e64 v17, v17, v40, s[14:15]
	v_cndmask_b32_e64 v17, v17, v39, s[12:13]
	v_cndmask_b32_e64 v17, v17, v38, s[10:11]
	v_cndmask_b32_e64 v17, v17, v37, s[76:77]
	v_cndmask_b32_e64 v17, v17, v36, s[6:7]
	v_cndmask_b32_e32 v17, v17, v35, vcc
	ds_bpermute_b32 v81, v116, v17
	v_cndmask_b32_e64 v17, v66, v65, s[34:35]
	v_cndmask_b32_e64 v17, v17, v64, s[90:91]
	v_cndmask_b32_e64 v17, v17, v63, s[86:87]
	v_cndmask_b32_e64 v17, v17, v78, s[82:83]
	v_cndmask_b32_e64 v17, v17, v77, s[94:95]
	v_cndmask_b32_e64 v17, v17, v76, s[22:23]
	v_cndmask_b32_e64 v17, v17, v75, s[20:21]
	v_cndmask_b32_e64 v17, v17, v74, s[18:19]
	v_cndmask_b32_e64 v17, v17, v73, s[16:17]
	v_cndmask_b32_e64 v17, v17, v72, s[14:15]
	v_cndmask_b32_e64 v17, v17, v71, s[12:13]
	v_cndmask_b32_e64 v17, v17, v70, s[10:11]
	v_cndmask_b32_e64 v17, v17, v69, s[76:77]
	v_cndmask_b32_e64 v17, v17, v68, s[6:7]
	;; [unrolled: 16-line block ×3, first 2 shown]
	v_cndmask_b32_e32 v17, v17, v91, vcc
	ds_bpermute_b32 v83, v116, v17
	v_cmp_eq_u32_e64 s[60:61], 0, v51
	s_waitcnt lgkmcnt(4)
	v_cndmask_b32_e64 v1, v1, v33, s[92:93]
	v_cndmask_b32_e64 v2, v2, v33, s[88:89]
	;; [unrolled: 1-line block ×16, first 2 shown]
	s_waitcnt lgkmcnt(3)
	v_cndmask_b32_e32 v33, v16, v80, vcc
	s_waitcnt lgkmcnt(2)
	v_cndmask_b32_e32 v51, v35, v81, vcc
	;; [unrolled: 2-line block ×4, first 2 shown]
	v_cmp_eq_u32_e32 vcc, 1, v84
	v_cndmask_b32_e64 v34, v18, v80, s[6:7]
	v_cndmask_b32_e64 v52, v36, v81, s[6:7]
	v_cndmask_b32_e32 v16, v0, v15, vcc
	v_cndmask_b32_e64 v68, v68, v82, s[6:7]
	v_cndmask_b32_e64 v92, v92, v83, s[6:7]
	v_cmp_eq_u32_e64 s[6:7], 2, v84
	v_cmp_eq_u32_e64 s[36:37], 3, v84
	;; [unrolled: 1-line block ×3, first 2 shown]
	v_cndmask_b32_e64 v16, v16, v14, s[6:7]
	v_cndmask_b32_e64 v16, v16, v13, s[36:37]
	;; [unrolled: 1-line block ×3, first 2 shown]
	v_cmp_eq_u32_e64 s[52:53], 5, v84
	v_cmp_eq_u32_e64 s[56:57], 6, v84
	v_cmp_eq_u32_e64 s[58:59], 7, v84
	v_cndmask_b32_e64 v16, v16, v11, s[52:53]
	v_cndmask_b32_e64 v16, v16, v10, s[56:57]
	;; [unrolled: 1-line block ×3, first 2 shown]
	v_cmp_eq_u32_e64 s[62:63], 8, v84
	v_cndmask_b32_e64 v35, v19, v80, s[76:77]
	v_cndmask_b32_e64 v53, v37, v81, s[76:77]
	;; [unrolled: 1-line block ×6, first 2 shown]
	v_cmp_eq_u32_e64 s[76:77], 10, v84
	v_cmp_eq_u32_e64 s[66:67], 11, v84
	v_cndmask_b32_e64 v29, v29, v80, s[82:83]
	v_cndmask_b32_e64 v16, v16, v6, s[76:77]
	v_cndmask_b32_e64 v16, v16, v5, s[66:67]
	v_cndmask_b32_e64 v62, v46, v81, s[82:83]
	v_cndmask_b32_e64 v78, v78, v82, s[82:83]
	v_cndmask_b32_e64 v126, v79, v83, s[82:83]
	v_cmp_eq_u32_e64 s[82:83], 12, v84
	v_cndmask_b32_e64 v30, v30, v80, s[86:87]
	v_cndmask_b32_e64 v47, v47, v81, s[86:87]
	v_cndmask_b32_e64 v16, v16, v4, s[82:83]
	v_cndmask_b32_e64 v63, v63, v82, s[86:87]
	v_cndmask_b32_e64 v107, v86, v83, s[86:87]
	v_cmp_eq_u32_e64 s[86:87], 13, v84
	v_cndmask_b32_e64 v31, v31, v80, s[90:91]
	v_cndmask_b32_e64 v48, v48, v81, s[90:91]
	v_cndmask_b32_e64 v16, v16, v3, s[86:87]
	v_cndmask_b32_e64 v79, v64, v82, s[90:91]
	v_cndmask_b32_e64 v108, v87, v83, s[90:91]
	;; [unrolled: 6-line block ×3, first 2 shown]
	v_cmp_eq_u32_e64 s[94:95], 15, v84
	v_cndmask_b32_e64 v58, v42, v81, s[18:19]
	v_cndmask_b32_e64 v42, v26, v80, s[34:35]
	;; [unrolled: 1-line block ×3, first 2 shown]
	ds_bpermute_b32 v26, v116, v16
	v_cndmask_b32_e64 v32, v32, v80, s[8:9]
	v_cndmask_b32_e64 v27, v27, v80, s[22:23]
	;; [unrolled: 1-line block ×4, first 2 shown]
	s_waitcnt lgkmcnt(0)
	v_cndmask_b32_e64 v16, v3, v26, s[86:87]
	v_cndmask_b32_e64 v3, v32, v42, s[40:41]
	;; [unrolled: 1-line block ×26, first 2 shown]
	ds_bpermute_b32 v98, v116, v3
	v_cndmask_b32_e64 v3, v50, v49, s[40:41]
	v_cndmask_b32_e64 v3, v3, v48, s[38:39]
	;; [unrolled: 1-line block ×19, first 2 shown]
	ds_bpermute_b32 v99, v116, v3
	v_cndmask_b32_e64 v3, v87, v86, s[40:41]
	v_cndmask_b32_e64 v3, v3, v79, s[38:39]
	;; [unrolled: 1-line block ×24, first 2 shown]
	ds_bpermute_b32 v102, v116, v3
	v_cndmask_b32_e64 v3, v110, v109, s[40:41]
	v_cndmask_b32_e64 v3, v3, v108, s[38:39]
	;; [unrolled: 1-line block ×18, first 2 shown]
	v_cmp_eq_u32_e64 s[42:43], 0, v84
	v_cndmask_b32_e64 v3, v3, v118, s[80:81]
	v_cndmask_b32_e64 v1, v1, v26, s[94:95]
	;; [unrolled: 1-line block ×14, first 2 shown]
	v_cndmask_b32_e32 v15, v15, v26, vcc
	v_cndmask_b32_e64 v3, v3, v93, s[84:85]
	v_cndmask_b32_e64 v26, v0, v26, s[42:43]
	v_cmp_eq_u32_e64 s[8:9], 1, v104
	v_cndmask_b32_e64 v3, v3, v92, s[88:89]
	v_cmp_eq_u32_e64 s[10:11], 2, v104
	v_cndmask_b32_e64 v0, v26, v15, s[8:9]
	v_cndmask_b32_e64 v3, v3, v91, s[92:93]
	v_cndmask_b32_e64 v0, v0, v25, s[10:11]
	v_cmp_eq_u32_e64 s[12:13], 3, v104
	ds_bpermute_b32 v103, v116, v3
	v_cmp_eq_u32_e64 s[14:15], 4, v104
	v_cndmask_b32_e64 v0, v0, v13, s[12:13]
	v_cmp_eq_u32_e64 s[16:17], 5, v104
	v_cndmask_b32_e64 v0, v0, v12, s[14:15]
	;; [unrolled: 2-line block ×5, first 2 shown]
	s_waitcnt lgkmcnt(1)
	v_cndmask_b32_e64 v89, v67, v102, s[92:93]
	s_waitcnt lgkmcnt(0)
	v_cndmask_b32_e64 v96, v119, v103, s[78:79]
	v_cndmask_b32_e64 v46, v39, v98, s[70:71]
	;; [unrolled: 1-line block ×6, first 2 shown]
	v_cmp_eq_u32_e64 s[70:71], 9, v104
	v_cndmask_b32_e64 v64, v54, v99, s[80:81]
	v_cndmask_b32_e64 v80, v120, v103, s[74:75]
	;; [unrolled: 1-line block ×7, first 2 shown]
	v_cmp_eq_u32_e64 s[72:73], 10, v104
	v_cndmask_b32_e64 v113, v118, v103, s[80:81]
	v_cndmask_b32_e64 v45, v38, v98, s[74:75]
	;; [unrolled: 1-line block ×5, first 2 shown]
	v_cmp_eq_u32_e64 s[74:75], 11, v104
	v_cndmask_b32_e64 v112, v93, v103, s[84:85]
	v_cndmask_b32_e64 v44, v37, v98, s[78:79]
	;; [unrolled: 1-line block ×5, first 2 shown]
	v_cmp_eq_u32_e64 s[78:79], 12, v104
	v_cmp_eq_u32_e64 s[34:35], 13, v104
	v_cndmask_b32_e64 v84, v91, v103, s[92:93]
	v_cndmask_b32_e64 v0, v0, v17, s[78:79]
	;; [unrolled: 1-line block ×9, first 2 shown]
	v_cmp_eq_u32_e64 s[38:39], 14, v104
	v_cndmask_b32_e64 v94, v29, v98, s[46:47]
	v_cndmask_b32_e64 v97, v62, v99, s[46:47]
	;; [unrolled: 1-line block ×5, first 2 shown]
	v_cmp_eq_u32_e64 s[46:47], 15, v104
	v_cndmask_b32_e64 v56, v27, v98, s[54:55]
	v_cndmask_b32_e64 v33, v33, v98, s[92:93]
	;; [unrolled: 1-line block ×3, first 2 shown]
	ds_bpermute_b32 v27, v116, v0
	v_cndmask_b32_e64 v34, v34, v98, s[88:89]
	v_cndmask_b32_e64 v35, v35, v98, s[84:85]
	;; [unrolled: 1-line block ×7, first 2 shown]
	s_waitcnt lgkmcnt(0)
	v_cndmask_b32_e64 v0, v12, v27, s[14:15]
	v_cndmask_b32_e64 v12, v32, v98, s[60:61]
	scratch_load_dword v98, off, off offset:52 ; 4-byte Folded Reload
	v_cndmask_b32_e64 v11, v17, v27, s[78:79]
	v_cndmask_b32_e64 v17, v18, v27, s[74:75]
	;; [unrolled: 1-line block ×8, first 2 shown]
	v_cndmask_b32_e32 v24, v12, v3, vcc
	v_cndmask_b32_e64 v24, v24, v73, s[6:7]
	v_cndmask_b32_e64 v24, v24, v126, s[36:37]
	;; [unrolled: 1-line block ×18, first 2 shown]
	ds_bpermute_b32 v29, v116, v24
	v_cndmask_b32_e32 v24, v13, v4, vcc
	v_cndmask_b32_e64 v90, v68, v102, s[88:89]
	v_cndmask_b32_e64 v68, v59, v99, s[68:69]
	;; [unrolled: 1-line block ×27, first 2 shown]
	ds_bpermute_b32 v30, v116, v24
	v_cndmask_b32_e32 v24, v15, v5, vcc
	v_cndmask_b32_e64 v63, v63, v102, s[44:45]
	v_cndmask_b32_e64 v24, v24, v14, s[6:7]
	;; [unrolled: 1-line block ×21, first 2 shown]
	ds_bpermute_b32 v62, v116, v24
	v_cndmask_b32_e32 v24, v28, v7, vcc
	v_cndmask_b32_e64 v71, v107, v103, s[44:45]
	v_cndmask_b32_e64 v24, v24, v6, s[6:7]
	;; [unrolled: 1-line block ×17, first 2 shown]
	v_cmp_eq_u32_e64 s[40:41], 0, v104
	ds_bpermute_b32 v75, v116, v24
	s_waitcnt vmcnt(0)
	v_cmp_eq_u32_e64 s[44:45], 1, v98
	v_cndmask_b32_e64 v24, v26, v27, s[40:41]
	v_cndmask_b32_e64 v9, v2, v27, s[38:39]
	;; [unrolled: 1-line block ×3, first 2 shown]
	s_waitcnt lgkmcnt(3)
	v_cndmask_b32_e64 v31, v33, v29, s[94:95]
	v_cndmask_b32_e64 v33, v24, v16, s[44:45]
	v_cmp_eq_u32_e64 s[50:51], 2, v98
	v_cndmask_b32_e64 v47, v34, v29, s[90:91]
	v_cmp_eq_u32_e64 s[54:55], 3, v98
	v_cndmask_b32_e64 v34, v33, v2, s[50:51]
	v_cndmask_b32_e64 v61, v35, v29, s[86:87]
	;; [unrolled: 1-line block ×3, first 2 shown]
	v_cmp_eq_u32_e64 s[60:61], 4, v98
	s_waitcnt lgkmcnt(2)
	v_cndmask_b32_e64 v26, v51, v30, s[94:95]
	v_cndmask_b32_e64 v74, v44, v29, s[66:67]
	;; [unrolled: 1-line block ×4, first 2 shown]
	s_waitcnt lgkmcnt(1)
	v_cndmask_b32_e64 v35, v93, v62, s[66:67]
	s_waitcnt lgkmcnt(0)
	v_cndmask_b32_e64 v51, v96, v75, s[66:67]
	v_cmp_eq_u32_e64 s[66:67], 5, v98
	v_cmp_eq_u32_e64 s[68:69], 6, v98
	v_cndmask_b32_e64 v37, v53, v30, s[86:87]
	v_cndmask_b32_e64 v41, v40, v23, s[66:67]
	;; [unrolled: 1-line block ×7, first 2 shown]
	v_cmp_eq_u32_e64 s[64:65], 7, v98
	v_cndmask_b32_e64 v72, v43, v29, s[82:83]
	v_cndmask_b32_e64 v40, v66, v30, s[76:77]
	;; [unrolled: 1-line block ×7, first 2 shown]
	v_cmp_eq_u32_e64 s[62:63], 8, v98
	v_cndmask_b32_e64 v86, v55, v29, s[58:59]
	v_cndmask_b32_e64 v55, v121, v62, s[58:59]
	v_cndmask_b32_e64 v44, v43, v20, s[62:63]
	v_cndmask_b32_e64 v43, v68, v30, s[58:59]
	v_cndmask_b32_e64 v67, v83, v75, s[58:59]
	v_cmp_eq_u32_e64 s[58:59], 9, v98
	v_cndmask_b32_e64 v76, v45, v29, s[76:77]
	v_cndmask_b32_e64 v87, v56, v29, s[56:57]
	v_cndmask_b32_e64 v45, v44, v19, s[58:59]
	v_cndmask_b32_e64 v44, v69, v30, s[56:57]
	v_cndmask_b32_e64 v56, v122, v62, s[56:57]
	v_cndmask_b32_e64 v68, v124, v75, s[56:57]
	v_cmp_eq_u32_e64 s[56:57], 10, v98
	v_cndmask_b32_e64 v27, v89, v62, s[94:95]
	;; [unrolled: 7-line block ×3, first 2 shown]
	v_cndmask_b32_e64 v64, v80, v75, s[76:77]
	v_cndmask_b32_e64 v79, v46, v17, s[52:53]
	;; [unrolled: 1-line block ×6, first 2 shown]
	v_cmp_eq_u32_e64 s[48:49], 12, v98
	v_cndmask_b32_e64 v81, v126, v29, s[36:37]
	v_cndmask_b32_e64 v71, v71, v75, s[36:37]
	;; [unrolled: 1-line block ×5, first 2 shown]
	v_cmp_eq_u32_e64 s[36:37], 13, v98
	v_cndmask_b32_e64 v83, v73, v29, s[6:7]
	v_cndmask_b32_e64 v60, v60, v30, s[6:7]
	;; [unrolled: 1-line block ×5, first 2 shown]
	v_cmp_eq_u32_e64 s[6:7], 14, v98
	v_cndmask_b32_e64 v25, v84, v75, s[94:95]
	v_cndmask_b32_e64 v32, v90, v62, s[90:91]
	;; [unrolled: 1-line block ×4, first 2 shown]
	v_cndmask_b32_e32 v82, v3, v29, vcc
	v_cndmask_b32_e32 v84, v4, v30, vcc
	;; [unrolled: 1-line block ×4, first 2 shown]
	v_cmp_eq_u32_e32 vcc, 15, v98
	v_cndmask_b32_e64 v29, v12, v29, s[42:43]
	v_cndmask_b32_e64 v33, v91, v62, s[86:87]
	v_cndmask_b32_e32 v3, v6, v8, vcc
	ds_bpermute_b32 v91, v116, v3
	v_cndmask_b32_e64 v3, v29, v82, s[8:9]
	v_cndmask_b32_e64 v3, v3, v83, s[10:11]
	;; [unrolled: 1-line block ×25, first 2 shown]
	s_waitcnt lgkmcnt(0)
	v_cndmask_b32_e64 v12, v11, v91, s[48:49]
	v_cndmask_b32_e64 v11, v17, v91, s[52:53]
	ds_bpermute_b32 v17, v116, v3
	v_cndmask_b32_e64 v28, v28, v58, s[14:15]
	v_cndmask_b32_e64 v28, v28, v57, s[16:17]
	;; [unrolled: 1-line block ×6, first 2 shown]
	v_cndmask_b32_e32 v15, v8, v91, vcc
	v_cndmask_b32_e64 v14, v9, v91, s[6:7]
	v_cndmask_b32_e64 v13, v10, v91, s[36:37]
	v_cndmask_b32_e64 v10, v18, v91, s[56:57]
	v_cndmask_b32_e64 v9, v19, v91, s[58:59]
	v_cndmask_b32_e64 v8, v20, v91, s[62:63]
	v_cndmask_b32_e64 v7, v21, v91, s[64:65]
	v_cndmask_b32_e64 v6, v22, v91, s[68:69]
	v_cndmask_b32_e64 v5, v23, v91, s[66:67]
	v_cndmask_b32_e64 v3, v1, v91, s[54:55]
	v_cndmask_b32_e64 v1, v16, v91, s[44:45]
	s_waitcnt lgkmcnt(0)
	v_cndmask_b32_e64 v16, v31, v17, s[46:47]
	v_cndmask_b32_e64 v18, v47, v17, s[38:39]
	;; [unrolled: 1-line block ×39, first 2 shown]
	ds_bpermute_b32 v82, v116, v28
	v_cndmask_b32_e64 v28, v75, v90, s[8:9]
	v_cndmask_b32_e64 v0, v0, v47, s[62:63]
	;; [unrolled: 1-line block ×22, first 2 shown]
	ds_bpermute_b32 v17, v116, v17
	v_cndmask_b32_e64 v28, v28, v65, s[70:71]
	v_cndmask_b32_e32 v0, v0, v16, vcc
	v_cndmask_b32_e64 v28, v28, v64, s[72:73]
	ds_bpermute_b32 v86, v116, v0
	v_cndmask_b32_e64 v28, v28, v51, s[74:75]
	v_cndmask_b32_e64 v28, v28, v50, s[78:79]
	;; [unrolled: 1-line block ×4, first 2 shown]
	s_waitcnt lgkmcnt(1)
	v_cndmask_b32_e64 v84, v84, v17, s[8:9]
	v_cndmask_b32_e64 v92, v92, v17, s[40:41]
	;; [unrolled: 1-line block ×3, first 2 shown]
	s_waitcnt lgkmcnt(0)
	v_cndmask_b32_e32 v31, v16, v86, vcc
	v_cndmask_b32_e64 v60, v60, v17, s[10:11]
	v_cndmask_b32_e64 v16, v92, v84, s[44:45]
	ds_bpermute_b32 v83, v116, v28
	v_cmp_eq_u32_e64 s[42:43], 0, v98
	v_cndmask_b32_e64 v79, v79, v17, s[12:13]
	v_cndmask_b32_e64 v16, v16, v60, s[50:51]
	;; [unrolled: 1-line block ×20, first 2 shown]
	s_waitcnt lgkmcnt(0)
	v_cndmask_b32_e64 v93, v25, v83, s[46:47]
	v_cndmask_b32_e64 v25, v23, v86, s[58:59]
	;; [unrolled: 1-line block ×18, first 2 shown]
	v_cndmask_b32_e32 v16, v16, v87, vcc
	ds_bpermute_b32 v94, v116, v16
	v_cndmask_b32_e64 v30, v18, v86, s[6:7]
	v_cndmask_b32_e64 v29, v19, v86, s[36:37]
	;; [unrolled: 1-line block ×7, first 2 shown]
	s_waitcnt lgkmcnt(0)
	v_cndmask_b32_e64 v45, v37, v94, s[36:37]
	v_cndmask_b32_e64 v44, v38, v94, s[48:49]
	v_cndmask_b32_e64 v43, v39, v94, s[52:53]
	v_cndmask_b32_e64 v42, v40, v94, s[56:57]
	v_cndmask_b32_e64 v40, v61, v94, s[62:63]
	v_cndmask_b32_e64 v39, v72, v94, s[64:65]
	v_cndmask_b32_e64 v38, v74, v94, s[68:69]
	v_cndmask_b32_e64 v37, v76, v94, s[66:67]
	v_cndmask_b32_e64 v61, v32, v82, s[38:39]
	v_cndmask_b32_e64 v72, v33, v82, s[34:35]
	v_cndmask_b32_e64 v74, v34, v82, s[78:79]
	v_cndmask_b32_e64 v76, v35, v82, s[74:75]
	v_cndmask_b32_e64 v52, v52, v82, s[72:73]
	v_cndmask_b32_e64 v53, v53, v82, s[70:71]
	v_cndmask_b32_e64 v54, v54, v82, s[22:23]
	v_cndmask_b32_e64 v55, v55, v82, s[20:21]
	v_cndmask_b32_e64 v77, v56, v82, s[18:19]
	v_cndmask_b32_e64 v78, v57, v82, s[16:17]
	v_cndmask_b32_e64 v80, v58, v82, s[14:15]
	v_cndmask_b32_e64 v81, v59, v82, s[12:13]
	v_cndmask_b32_e64 v86, v63, v82, s[10:11]
	v_cndmask_b32_e64 v85, v85, v82, s[8:9]
	v_cndmask_b32_e64 v82, v62, v82, s[40:41]
	v_cndmask_b32_e64 v32, v82, v85, s[44:45]
	v_cndmask_b32_e64 v32, v32, v86, s[50:51]
	v_cndmask_b32_e64 v32, v32, v81, s[54:55]
	v_cndmask_b32_e64 v32, v32, v80, s[60:61]
	v_cndmask_b32_e64 v32, v32, v78, s[66:67]
	v_cndmask_b32_e64 v32, v32, v77, s[68:69]
	v_cndmask_b32_e64 v32, v32, v55, s[64:65]
	v_cndmask_b32_e64 v32, v32, v54, s[62:63]
	v_cndmask_b32_e64 v32, v32, v53, s[58:59]
	v_cndmask_b32_e64 v32, v32, v52, s[56:57]
	v_cndmask_b32_e64 v32, v32, v76, s[52:53]
	v_cndmask_b32_e64 v32, v32, v74, s[48:49]
	v_cndmask_b32_e64 v32, v32, v72, s[36:37]
	v_cndmask_b32_e64 v32, v32, v61, s[6:7]
	v_cndmask_b32_e32 v32, v32, v89, vcc
	v_cndmask_b32_e32 v47, v87, v94, vcc
	v_cndmask_b32_e64 v46, v36, v94, s[6:7]
	v_cndmask_b32_e64 v41, v41, v94, s[58:59]
	;; [unrolled: 1-line block ×3, first 2 shown]
	ds_bpermute_b32 v87, v116, v32
	v_cndmask_b32_e64 v35, v79, v94, s[54:55]
	v_cndmask_b32_e64 v34, v60, v94, s[50:51]
	;; [unrolled: 1-line block ×4, first 2 shown]
	scratch_load_dwordx2 v[98:99], off, off ; 8-byte Folded Reload
	scratch_load_dword v94, off, off offset:16 ; 4-byte Folded Reload
	scratch_load_dword v96, off, off offset:20 ; 4-byte Folded Reload
	;; [unrolled: 1-line block ×3, first 2 shown]
	s_waitcnt lgkmcnt(0)
	v_cndmask_b32_e32 v63, v89, v87, vcc
	v_cndmask_b32_e64 v62, v61, v87, s[6:7]
	v_cndmask_b32_e64 v61, v72, v87, s[36:37]
	;; [unrolled: 1-line block ×35, first 2 shown]
	v_cndmask_b32_e32 v48, v48, v93, vcc
	ds_bpermute_b32 v92, v116, v48
	v_cndmask_b32_e64 v57, v53, v87, s[58:59]
	v_cndmask_b32_e64 v53, v78, v87, s[66:67]
	v_readlane_b32 s80, v127, 23
	v_cndmask_b32_e64 v56, v54, v87, s[62:63]
	s_waitcnt lgkmcnt(0)
	v_cndmask_b32_e64 v78, v72, v92, s[6:7]
	v_readlane_b32 s6, v127, 27
	v_cndmask_b32_e64 v54, v77, v87, s[68:69]
	v_cndmask_b32_e64 v48, v82, v87, s[42:43]
	;; [unrolled: 1-line block ×5, first 2 shown]
	v_readlane_b32 s7, v127, 28
	v_readlane_b32 s34, v127, 10
	;; [unrolled: 1-line block ×4, first 2 shown]
	s_mov_b32 s76, 0
	s_max_i32 s77, s80, 0
	v_cndmask_b32_e64 v55, v55, v87, s[64:65]
	v_cndmask_b32_e64 v51, v81, v87, s[54:55]
	;; [unrolled: 1-line block ×4, first 2 shown]
	v_cndmask_b32_e32 v79, v93, v92, vcc
	v_cndmask_b32_e64 v76, v76, v92, s[48:49]
	v_cndmask_b32_e64 v75, v80, v92, s[52:53]
	;; [unrolled: 1-line block ×11, first 2 shown]
	s_mov_b32 s12, 0
	v_readlane_b32 s35, v127, 11
	v_readlane_b32 s37, v127, 13
	;; [unrolled: 1-line block ×6, first 2 shown]
	s_waitcnt vmcnt(3)
	v_lshl_add_u64 v[86:87], s[6:7], 0, v[98:99]
	s_mov_b64 s[6:7], 0
	v_readlane_b32 s41, v127, 19
	v_readlane_b32 s44, v127, 20
	;; [unrolled: 1-line block ×5, first 2 shown]
                                        ; implicit-def: $sgpr8_sgpr9
	s_branch .LBB121_34
.LBB121_33:                             ;   in Loop: Header=BB121_34 Depth=2
	s_or_b64 exec, exec, s[10:11]
	s_and_b64 s[10:11], exec, s[8:9]
	s_or_b64 s[6:7], s[10:11], s[6:7]
	s_andn2_b64 exec, exec, s[6:7]
	s_cbranch_execz .LBB121_36
.LBB121_34:                             ;   Parent Loop BB121_7 Depth=1
                                        ; =>  This Inner Loop Header: Depth=2
	s_and_b32 s10, s12, 2
	s_and_b32 s11, s76, 24
	s_or_b32 s10, s11, s10
	s_waitcnt vmcnt(0)
	v_or_b32_e32 v80, s10, v97
	v_add_u32_e32 v81, s77, v80
	v_cmp_gt_u32_e32 vcc, 32, v81
	s_or_b64 s[8:9], s[8:9], exec
	s_and_saveexec_b64 s[10:11], vcc
	s_cbranch_execz .LBB121_33
; %bb.35:                               ;   in Loop: Header=BB121_34 Depth=2
	s_add_i32 s13, s12, 1
	s_set_gpr_idx_on s12, gpr_idx(SRC0)
	v_mov_b32_e32 v81, v0
	s_set_gpr_idx_off
	v_cvt_f16_f32_e32 v82, v81
	s_set_gpr_idx_on s13, gpr_idx(SRC0)
	v_mov_b32_e32 v81, v0
	s_set_gpr_idx_off
	v_cvt_f16_f32_sdwa v83, v81 dst_sel:WORD_1 dst_unused:UNUSED_PAD src0_sel:DWORD
	v_mul_lo_u32 v80, v80, s25
	v_ashrrev_i32_e32 v81, 31, v80
	v_lshl_add_u64 v[80:81], v[80:81], 1, v[86:87]
	v_or_b32_e32 v82, v83, v82
	;;#ASMSTART
	global_atomic_pk_add_f16 v[80:81], v82, off
	
	;;#ASMEND
	s_set_gpr_idx_on s12, gpr_idx(SRC0)
	v_mov_b32_e32 v82, v16
	s_set_gpr_idx_off
	v_cvt_f16_f32_e32 v84, v82
	s_set_gpr_idx_on s13, gpr_idx(SRC0)
	v_mov_b32_e32 v82, v16
	s_set_gpr_idx_off
	v_cvt_f16_f32_sdwa v85, v82 dst_sel:WORD_1 dst_unused:UNUSED_PAD src0_sel:DWORD
	v_lshl_add_u64 v[82:83], v[80:81], 0, 64
	s_mov_b64 s[14:15], 0x80
	s_add_i32 s76, s76, 4
	v_or_b32_e32 v84, v85, v84
	;;#ASMSTART
	global_atomic_pk_add_f16 v[82:83], v84, off
	
	;;#ASMEND
	s_set_gpr_idx_on s12, gpr_idx(SRC0)
	v_mov_b32_e32 v82, v32
	s_set_gpr_idx_off
	v_cvt_f16_f32_e32 v84, v82
	s_set_gpr_idx_on s13, gpr_idx(SRC0)
	v_mov_b32_e32 v82, v32
	s_set_gpr_idx_off
	v_cvt_f16_f32_sdwa v85, v82 dst_sel:WORD_1 dst_unused:UNUSED_PAD src0_sel:DWORD
	v_lshl_add_u64 v[82:83], v[80:81], 0, s[14:15]
	s_mov_b64 s[14:15], 0xc0
	v_or_b32_e32 v84, v85, v84
	;;#ASMSTART
	global_atomic_pk_add_f16 v[82:83], v84, off
	
	;;#ASMEND
	s_set_gpr_idx_on s12, gpr_idx(SRC0)
	v_mov_b32_e32 v82, v48
	s_set_gpr_idx_off
	v_cvt_f16_f32_e32 v84, v82
	s_set_gpr_idx_on s13, gpr_idx(SRC0)
	v_mov_b32_e32 v82, v48
	s_set_gpr_idx_off
	v_cvt_f16_f32_sdwa v85, v82 dst_sel:WORD_1 dst_unused:UNUSED_PAD src0_sel:DWORD
	v_lshl_add_u64 v[82:83], v[80:81], 0, s[14:15]
	s_mov_b64 s[14:15], 0x100
	v_lshl_add_u64 v[80:81], v[80:81], 0, s[14:15]
	v_or_b32_e32 v84, v85, v84
	;;#ASMSTART
	global_atomic_pk_add_f16 v[82:83], v84, off
	
	;;#ASMEND
	s_set_gpr_idx_on s12, gpr_idx(SRC0)
	v_mov_b32_e32 v82, v64
	s_set_gpr_idx_off
	v_cvt_f16_f32_e32 v82, v82
	s_set_gpr_idx_on s13, gpr_idx(SRC0)
	v_mov_b32_e32 v83, v64
	s_set_gpr_idx_off
	s_add_i32 s12, s12, 2
	v_cvt_f16_f32_sdwa v83, v83 dst_sel:WORD_1 dst_unused:UNUSED_PAD src0_sel:DWORD
	s_cmp_eq_u32 s12, 16
	s_cselect_b64 s[14:15], -1, 0
	s_andn2_b64 s[8:9], s[8:9], exec
	s_and_b64 s[14:15], s[14:15], exec
	s_or_b64 s[8:9], s[8:9], s[14:15]
	v_or_b32_e32 v82, v83, v82
	;;#ASMSTART
	global_atomic_pk_add_f16 v[80:81], v82, off
	
	;;#ASMEND
	s_branch .LBB121_33
.LBB121_36:                             ;   in Loop: Header=BB121_7 Depth=1
	s_or_b64 exec, exec, s[6:7]
	scratch_load_dword v13, off, off offset:8 ; 4-byte Folded Reload
	scratch_load_dwordx2 v[14:15], off, off offset:72 ; 8-byte Folded Reload
	scratch_load_dword v16, off, off offset:88 ; 4-byte Folded Reload
	scratch_load_dword v17, off, off offset:92 ; 4-byte Folded Reload
	scratch_load_dword v18, off, off offset:96 ; 4-byte Folded Reload
	v_readlane_b32 s16, v127, 2
	v_readlane_b32 s14, v127, 0
	;; [unrolled: 1-line block ×12, first 2 shown]
.LBB121_37:                             ;   in Loop: Header=BB121_7 Depth=1
	s_or_b64 exec, exec, s[0:1]
.LBB121_38:                             ;   in Loop: Header=BB121_7 Depth=1
	s_andn2_saveexec_b64 s[0:1], s[4:5]
	s_cbranch_execz .LBB121_47
; %bb.39:                               ;   in Loop: Header=BB121_7 Depth=1
	s_mul_i32 s12, s33, 5
	v_cmp_gt_i32_e32 vcc, s12, v117
	s_and_saveexec_b64 s[4:5], vcc
	s_cbranch_execz .LBB121_46
; %bb.40:                               ;   in Loop: Header=BB121_7 Depth=1
	scratch_load_dwordx2 v[0:1], off, off offset:80 ; 8-byte Folded Reload
	s_mul_i32 s6, s72, s27
	s_ashr_i32 s7, s6, 31
	s_add_u32 s6, s18, s6
	s_addc_u32 s7, s19, s7
	s_ashr_i32 s8, s47, 31
	s_add_u32 s6, s6, s47
	s_addc_u32 s7, s7, s8
	s_waitcnt vmcnt(0)
	v_lshl_add_u64 v[0:1], s[6:7], 0, v[0:1]
	v_lshl_add_u64 v[8:9], v[0:1], 0, v[14:15]
	s_mov_b64 s[6:7], 0
	s_branch .LBB121_42
.LBB121_41:                             ;   in Loop: Header=BB121_42 Depth=2
	s_or_b64 exec, exec, s[8:9]
	v_lshl_or_b32 v12, v10, 11, v16
	;;#ASMSTART
	s_waitcnt vmcnt(1)
	;;#ASMEND
	ds_write2_b32 v12, v4, v5 offset1:32
	ds_write2_b32 v12, v6, v7 offset0:64 offset1:96
	v_add_u32_e32 v4, 0x400, v12
	v_add_u32_e32 v117, s30, v117
	;;#ASMSTART
	s_waitcnt vmcnt(0)
	;;#ASMEND
	ds_write2_b32 v4, v0, v1 offset1:32
	ds_write2_b32 v4, v2, v3 offset0:64 offset1:96
	v_add_u32_e32 v0, 1, v95
	v_add_u32_e32 v88, s30, v10
	v_cmp_le_i32_e32 vcc, s12, v117
	ds_write_b32 v11, v0 offset:8
	v_add_u32_e32 v0, 2, v95
	s_or_b64 s[6:7], vcc, s[6:7]
	v_cmp_lt_i32_e32 vcc, 9, v88
	s_nop 1
	v_cndmask_b32_e32 v95, v95, v0, vcc
	s_andn2_b64 exec, exec, s[6:7]
	s_cbranch_execz .LBB121_45
.LBB121_42:                             ;   Parent Loop BB121_7 Depth=1
                                        ; =>  This Loop Header: Depth=2
                                        ;       Child Loop BB121_44 Depth 3
	v_cmp_gt_i32_e32 vcc, 10, v88
	s_mov_b32 s8, 0x66666667
	s_nop 0
	v_cndmask_b32_e64 v0, -10, 0, vcc
	v_add_u32_e32 v10, v0, v88
	v_mul_hi_i32 v0, v117, s8
	v_lshrrev_b32_e32 v1, 31, v0
	v_ashrrev_i32_e32 v0, 1, v0
	v_add_u32_e32 v0, v0, v1
	v_lshl_add_u32 v1, v0, 2, v0
	v_sub_u32_e32 v2, v117, v1
	v_lshlrev_b32_e32 v0, 6, v0
	v_ashrrev_i32_e32 v1, 31, v0
	v_mul_lo_u32 v2, s98, v2
	v_lshl_add_u64 v[0:1], v[8:9], 0, v[0:1]
	v_ashrrev_i32_e32 v3, 31, v2
	v_lshl_add_u64 v[0:1], v[0:1], 0, v[2:3]
	v_lshlrev_b32_e32 v11, 2, v10
	;;#ASMSTART
	global_load_dwordx4 v[4:7], v[0:1], off offset:0   sc0 sc1 nt  
	global_load_dwordx4 v[0:3], v[0:1], off offset:32  sc0 sc1 nt  
	
	;;#ASMEND
	ds_read_b32 v12, v11 offset:24584
	v_add_u32_e32 v11, 0x6000, v11
	s_waitcnt lgkmcnt(0)
	v_cmp_ne_u32_e32 vcc, v12, v95
	s_and_saveexec_b64 s[8:9], vcc
	s_cbranch_execz .LBB121_41
; %bb.43:                               ;   in Loop: Header=BB121_42 Depth=2
	s_mov_b64 s[10:11], 0
.LBB121_44:                             ;   Parent Loop BB121_7 Depth=1
                                        ;     Parent Loop BB121_42 Depth=2
                                        ; =>    This Inner Loop Header: Depth=3
	;;#ASMSTART
	s_sleep 0
	;;#ASMEND
	ds_read_b32 v12, v11 offset:8
	s_waitcnt lgkmcnt(0)
	v_cmp_eq_u32_e32 vcc, v12, v95
	s_or_b64 s[10:11], vcc, s[10:11]
	s_andn2_b64 exec, exec, s[10:11]
	s_cbranch_execnz .LBB121_44
	s_branch .LBB121_41
.LBB121_45:                             ;   in Loop: Header=BB121_7 Depth=1
	s_or_b64 exec, exec, s[6:7]
.LBB121_46:                             ;   in Loop: Header=BB121_7 Depth=1
	s_or_b64 exec, exec, s[4:5]
	v_subrev_u32_e32 v117, s12, v117
.LBB121_47:                             ;   in Loop: Header=BB121_7 Depth=1
	s_or_b64 exec, exec, s[0:1]
.LBB121_48:                             ;   in Loop: Header=BB121_7 Depth=1
	s_andn2_saveexec_b64 s[0:1], s[96:97]
	s_cbranch_execz .LBB121_6
; %bb.49:                               ;   in Loop: Header=BB121_7 Depth=1
	v_cmp_gt_i32_e32 vcc, s33, v117
	s_and_saveexec_b64 s[4:5], vcc
	s_cbranch_execz .LBB121_5
; %bb.50:                               ;   in Loop: Header=BB121_7 Depth=1
	s_mul_i32 s3, s3, s26
	s_ashr_i32 s6, s3, 31
	s_add_u32 s3, s16, s3
	s_addc_u32 s7, s17, s6
	s_ashr_i32 s8, s47, 31
	s_waitcnt vmcnt(1)
	v_cmp_le_i32_e32 vcc, s80, v17
	s_add_u32 s6, s3, s47
	s_addc_u32 s7, s7, s8
	s_waitcnt vmcnt(0)
	v_cndmask_b32_e32 v0, 0, v18, vcc
	v_ashrrev_i32_e32 v1, 31, v0
	v_lshl_add_u64 v[0:1], s[6:7], 0, v[0:1]
	v_lshl_add_u64 v[8:9], v[0:1], 0, v[14:15]
	s_mov_b64 s[6:7], 0
	s_branch .LBB121_52
.LBB121_51:                             ;   in Loop: Header=BB121_52 Depth=2
	s_or_b64 exec, exec, s[8:9]
	v_lshl_add_u32 v12, v10, 11, v114
	;;#ASMSTART
	s_waitcnt vmcnt(1)
	;;#ASMEND
	ds_write2_b32 v12, v4, v5 offset1:32
	ds_write2_b32 v12, v6, v7 offset0:64 offset1:96
	v_add_u32_e32 v4, 0x400, v12
	v_add_u32_e32 v117, s29, v117
	;;#ASMSTART
	s_waitcnt vmcnt(0)
	;;#ASMEND
	ds_write2_b32 v4, v0, v1 offset1:32
	ds_write2_b32 v4, v2, v3 offset0:64 offset1:96
	v_add_u32_e32 v0, 1, v95
	v_add_u32_e32 v88, s29, v10
	v_cmp_le_i32_e32 vcc, s33, v117
	ds_write_b32 v11, v0
	v_add_u32_e32 v0, 2, v95
	s_or_b64 s[6:7], vcc, s[6:7]
	v_cmp_lt_i32_e32 vcc, 1, v88
	s_nop 1
	v_cndmask_b32_e32 v95, v95, v0, vcc
	s_andn2_b64 exec, exec, s[6:7]
	s_cbranch_execz .LBB121_4
.LBB121_52:                             ;   Parent Loop BB121_7 Depth=1
                                        ; =>  This Loop Header: Depth=2
                                        ;       Child Loop BB121_54 Depth 3
	v_cmp_gt_i32_e32 vcc, 2, v88
	s_nop 1
	v_cndmask_b32_e64 v0, -2, 0, vcc
	v_add_u32_e32 v10, v0, v88
	v_lshlrev_b32_e32 v0, 6, v117
	v_ashrrev_i32_e32 v1, 31, v0
	v_lshl_add_u64 v[0:1], v[8:9], 0, v[0:1]
	v_lshlrev_b32_e32 v11, 2, v10
	;;#ASMSTART
	global_load_dwordx4 v[4:7], v[0:1], off offset:0   
	global_load_dwordx4 v[0:3], v[0:1], off offset:32  
	
	;;#ASMEND
	ds_read_b32 v12, v11 offset:24576
	v_add_u32_e32 v11, 0x6000, v11
	s_waitcnt lgkmcnt(0)
	v_cmp_ne_u32_e32 vcc, v12, v95
	s_and_saveexec_b64 s[8:9], vcc
	s_cbranch_execz .LBB121_51
; %bb.53:                               ;   in Loop: Header=BB121_52 Depth=2
	s_mov_b64 s[10:11], 0
.LBB121_54:                             ;   Parent Loop BB121_7 Depth=1
                                        ;     Parent Loop BB121_52 Depth=2
                                        ; =>    This Inner Loop Header: Depth=3
	;;#ASMSTART
	s_sleep 0
	;;#ASMEND
	ds_read_b32 v12, v11
	s_waitcnt lgkmcnt(0)
	v_cmp_eq_u32_e32 vcc, v12, v95
	s_or_b64 s[10:11], vcc, s[10:11]
	s_andn2_b64 exec, exec, s[10:11]
	s_cbranch_execnz .LBB121_54
	s_branch .LBB121_51
.LBB121_55:
	s_endpgm
	.section	.rodata,"a",@progbits
	.p2align	6, 0x0
	.amdhsa_kernel _Z19_skinny_gemm_kernelILi1ELi5ELi2ELi32ELi4EEvPKhS1_P6__halfPKfiiiiiiii
		.amdhsa_group_segment_fixed_size 24624
		.amdhsa_private_segment_fixed_size 108
		.amdhsa_kernarg_size 64
		.amdhsa_user_sgpr_count 2
		.amdhsa_user_sgpr_dispatch_ptr 0
		.amdhsa_user_sgpr_queue_ptr 0
		.amdhsa_user_sgpr_kernarg_segment_ptr 1
		.amdhsa_user_sgpr_dispatch_id 0
		.amdhsa_user_sgpr_kernarg_preload_length 0
		.amdhsa_user_sgpr_kernarg_preload_offset 0
		.amdhsa_user_sgpr_private_segment_size 0
		.amdhsa_uses_dynamic_stack 0
		.amdhsa_enable_private_segment 1
		.amdhsa_system_sgpr_workgroup_id_x 1
		.amdhsa_system_sgpr_workgroup_id_y 0
		.amdhsa_system_sgpr_workgroup_id_z 0
		.amdhsa_system_sgpr_workgroup_info 0
		.amdhsa_system_vgpr_workitem_id 0
		.amdhsa_next_free_vgpr 128
		.amdhsa_next_free_sgpr 100
		.amdhsa_accum_offset 128
		.amdhsa_reserve_vcc 1
		.amdhsa_float_round_mode_32 0
		.amdhsa_float_round_mode_16_64 0
		.amdhsa_float_denorm_mode_32 3
		.amdhsa_float_denorm_mode_16_64 3
		.amdhsa_dx10_clamp 1
		.amdhsa_ieee_mode 1
		.amdhsa_fp16_overflow 0
		.amdhsa_tg_split 0
		.amdhsa_exception_fp_ieee_invalid_op 0
		.amdhsa_exception_fp_denorm_src 0
		.amdhsa_exception_fp_ieee_div_zero 0
		.amdhsa_exception_fp_ieee_overflow 0
		.amdhsa_exception_fp_ieee_underflow 0
		.amdhsa_exception_fp_ieee_inexact 0
		.amdhsa_exception_int_div_zero 0
	.end_amdhsa_kernel
	.section	.text._Z19_skinny_gemm_kernelILi1ELi5ELi2ELi32ELi4EEvPKhS1_P6__halfPKfiiiiiiii,"axG",@progbits,_Z19_skinny_gemm_kernelILi1ELi5ELi2ELi32ELi4EEvPKhS1_P6__halfPKfiiiiiiii,comdat
.Lfunc_end121:
	.size	_Z19_skinny_gemm_kernelILi1ELi5ELi2ELi32ELi4EEvPKhS1_P6__halfPKfiiiiiiii, .Lfunc_end121-_Z19_skinny_gemm_kernelILi1ELi5ELi2ELi32ELi4EEvPKhS1_P6__halfPKfiiiiiiii
                                        ; -- End function
	.set _Z19_skinny_gemm_kernelILi1ELi5ELi2ELi32ELi4EEvPKhS1_P6__halfPKfiiiiiiii.num_vgpr, 128
	.set _Z19_skinny_gemm_kernelILi1ELi5ELi2ELi32ELi4EEvPKhS1_P6__halfPKfiiiiiiii.num_agpr, 0
	.set _Z19_skinny_gemm_kernelILi1ELi5ELi2ELi32ELi4EEvPKhS1_P6__halfPKfiiiiiiii.numbered_sgpr, 100
	.set _Z19_skinny_gemm_kernelILi1ELi5ELi2ELi32ELi4EEvPKhS1_P6__halfPKfiiiiiiii.num_named_barrier, 0
	.set _Z19_skinny_gemm_kernelILi1ELi5ELi2ELi32ELi4EEvPKhS1_P6__halfPKfiiiiiiii.private_seg_size, 108
	.set _Z19_skinny_gemm_kernelILi1ELi5ELi2ELi32ELi4EEvPKhS1_P6__halfPKfiiiiiiii.uses_vcc, 1
	.set _Z19_skinny_gemm_kernelILi1ELi5ELi2ELi32ELi4EEvPKhS1_P6__halfPKfiiiiiiii.uses_flat_scratch, 0
	.set _Z19_skinny_gemm_kernelILi1ELi5ELi2ELi32ELi4EEvPKhS1_P6__halfPKfiiiiiiii.has_dyn_sized_stack, 0
	.set _Z19_skinny_gemm_kernelILi1ELi5ELi2ELi32ELi4EEvPKhS1_P6__halfPKfiiiiiiii.has_recursion, 0
	.set _Z19_skinny_gemm_kernelILi1ELi5ELi2ELi32ELi4EEvPKhS1_P6__halfPKfiiiiiiii.has_indirect_call, 0
	.section	.AMDGPU.csdata,"",@progbits
; Kernel info:
; codeLenInByte = 16700
; TotalNumSgprs: 106
; NumVgprs: 128
; NumAgprs: 0
; TotalNumVgprs: 128
; ScratchSize: 108
; MemoryBound: 0
; FloatMode: 240
; IeeeMode: 1
; LDSByteSize: 24624 bytes/workgroup (compile time only)
; SGPRBlocks: 13
; VGPRBlocks: 15
; NumSGPRsForWavesPerEU: 106
; NumVGPRsForWavesPerEU: 128
; AccumOffset: 128
; Occupancy: 4
; WaveLimiterHint : 0
; COMPUTE_PGM_RSRC2:SCRATCH_EN: 1
; COMPUTE_PGM_RSRC2:USER_SGPR: 2
; COMPUTE_PGM_RSRC2:TRAP_HANDLER: 0
; COMPUTE_PGM_RSRC2:TGID_X_EN: 1
; COMPUTE_PGM_RSRC2:TGID_Y_EN: 0
; COMPUTE_PGM_RSRC2:TGID_Z_EN: 0
; COMPUTE_PGM_RSRC2:TIDIG_COMP_CNT: 0
; COMPUTE_PGM_RSRC3_GFX90A:ACCUM_OFFSET: 31
; COMPUTE_PGM_RSRC3_GFX90A:TG_SPLIT: 0
	.section	.text._Z19_skinny_gemm_kernelILi1ELi5ELi2ELi32ELi8EEvPKhS1_P6__halfPKfiiiiiiii,"axG",@progbits,_Z19_skinny_gemm_kernelILi1ELi5ELi2ELi32ELi8EEvPKhS1_P6__halfPKfiiiiiiii,comdat
	.protected	_Z19_skinny_gemm_kernelILi1ELi5ELi2ELi32ELi8EEvPKhS1_P6__halfPKfiiiiiiii ; -- Begin function _Z19_skinny_gemm_kernelILi1ELi5ELi2ELi32ELi8EEvPKhS1_P6__halfPKfiiiiiiii
	.globl	_Z19_skinny_gemm_kernelILi1ELi5ELi2ELi32ELi8EEvPKhS1_P6__halfPKfiiiiiiii
	.p2align	8
	.type	_Z19_skinny_gemm_kernelILi1ELi5ELi2ELi32ELi8EEvPKhS1_P6__halfPKfiiiiiiii,@function
_Z19_skinny_gemm_kernelILi1ELi5ELi2ELi32ELi8EEvPKhS1_P6__halfPKfiiiiiiii: ; @_Z19_skinny_gemm_kernelILi1ELi5ELi2ELi32ELi8EEvPKhS1_P6__halfPKfiiiiiiii
; %bb.0:
	v_cmp_gt_u32_e32 vcc, 12, v0
	s_and_saveexec_b64 s[4:5], vcc
; %bb.1:
	v_lshlrev_b32_e32 v1, 2, v0
	v_mov_b32_e32 v2, 0
	ds_write_b32 v1, v2 offset:49152
; %bb.2:
	s_or_b64 exec, exec, s[4:5]
	s_load_dwordx8 s[24:31], s[0:1], 0x20
	s_waitcnt lgkmcnt(0)
	s_barrier
	s_add_i32 s3, s24, 31
	s_ashr_i32 s5, s3, 31
	s_add_i32 s4, s25, 0x9f
	s_lshr_b32 s5, s5, 27
	s_mul_hi_i32 s4, s4, 0x66666667
	s_add_i32 s3, s3, s5
	s_ashr_i32 s14, s3, 5
	s_lshr_b32 s3, s4, 31
	s_ashr_i32 s4, s4, 6
	s_add_i32 s15, s4, s3
	s_mul_i32 s3, s15, s14
	s_mul_i32 s3, s3, s28
	s_add_i32 s4, s3, 0x12f
	s_mul_hi_i32 s4, s4, 0x6bca1af3
	s_lshr_b32 s5, s4, 31
	s_ashr_i32 s4, s4, 7
	s_add_i32 s4, s4, s5
	s_add_i32 s5, s2, 1
	s_mul_i32 s5, s4, s5
	v_cvt_f64_i32_e32 v[2:3], s3
	v_cvt_f64_u32_e32 v[4:5], s5
	v_min_f64 v[2:3], v[2:3], v[4:5]
	v_cvt_i32_f64_e32 v21, v[2:3]
	s_mul_i32 s2, s4, s2
	v_cmp_ge_i32_e32 vcc, s2, v21
	s_cbranch_vccnz .LBB122_55
; %bb.3:
	s_load_dwordx8 s[16:23], s[0:1], 0x0
	v_lshrrev_b32_e32 v1, 6, v0
	s_add_i32 s0, s30, s29
	v_cmp_le_i32_e64 s[34:35], s0, v1
	v_mov_b32_e32 v2, s29
	v_cmp_le_i32_e64 s[36:37], s29, v1
	v_mov_b32_e32 v3, s30
	v_cndmask_b32_e64 v3, 0, v3, s[34:35]
	v_cndmask_b32_e64 v2, 0, v2, s[36:37]
	s_abs_i32 s1, s28
	v_add_u32_e32 v2, v2, v3
	v_cvt_f32_u32_e32 v3, s1
	v_sub_u32_e32 v88, v1, v2
	s_ashr_i32 s3, s26, 31
	s_lshr_b32 s3, s3, 25
	v_rcp_iflag_f32_e32 v2, v3
	s_sub_i32 s6, 0, s1
	s_add_i32 s3, s26, s3
	s_ashr_i32 s3, s3, 7
	v_mul_f32_e32 v2, 0x4f7ffffe, v2
	v_cvt_u32_f32_e32 v2, v2
	s_abs_i32 s5, s3
	s_xor_b32 s4, s3, s28
	s_ashr_i32 s4, s4, 31
	v_readfirstlane_b32 s7, v2
	s_mul_i32 s6, s6, s7
	s_mul_hi_u32 s6, s7, s6
	s_add_i32 s7, s7, s6
	s_mul_hi_u32 s6, s5, s7
	s_mul_i32 s7, s6, s1
	s_sub_i32 s5, s5, s7
	s_add_i32 s7, s6, 1
	s_sub_i32 s8, s5, s1
	s_cmp_ge_u32 s5, s1
	s_cselect_b32 s6, s7, s6
	s_cselect_b32 s5, s8, s5
	s_add_i32 s7, s6, 1
	s_cmp_ge_u32 s5, s1
	s_cselect_b32 s1, s7, s6
	s_add_i32 s0, s0, s31
	v_and_b32_e32 v102, 31, v0
	v_lshrrev_b32_e32 v2, 3, v0
	v_cmp_gt_i32_e64 s[42:43], s0, v1
	v_lshlrev_b32_e32 v1, 2, v102
	v_and_b32_e32 v3, 4, v2
	v_lshlrev_b32_e32 v2, 6, v3
	v_or_b32_e32 v4, 0xa000, v1
	v_and_b32_e32 v5, 1, v0
	v_or_b32_e32 v104, v4, v2
	v_or_b32_e32 v105, v1, v2
	v_lshlrev_b32_e32 v2, 1, v5
	v_sub_u32_e32 v2, v0, v2
	v_mul_lo_u32 v8, s27, v102
	s_add_i32 s39, s28, -1
	v_add_u32_e32 v2, 1, v2
	v_ashrrev_i32_e32 v9, 31, v8
	s_abs_i32 s28, s14
	v_and_b32_e32 v6, 63, v2
	v_bitop3_b32 v2, v0, 1, v0 bitop3:0xc
	scratch_store_dwordx2 off, v[8:9], off offset:64 ; 8-byte Folded Spill
	v_cvt_f32_u32_e32 v8, s28
	scratch_store_dword off, v2, off offset:24 ; 4-byte Folded Spill
	v_bitop3_b32 v2, v0, 3, 1 bitop3:0x6c
	v_lshrrev_b32_e32 v7, 1, v0
	scratch_store_dword off, v2, off offset:28 ; 4-byte Folded Spill
	v_bitop3_b32 v2, v0, 5, 1 bitop3:0x6c
	v_and_b32_e32 v22, 16, v7
	v_lshlrev_b32_e32 v7, 4, v0
                                        ; implicit-def: $vgpr127 : SGPR spill to VGPR lane
	scratch_store_dword off, v2, off offset:32 ; 4-byte Folded Spill
	v_bitop3_b32 v2, v0, 7, 1 bitop3:0x6c
	v_and_b32_e32 v7, 0x200, v7
	v_writelane_b32 v127, s14, 0
	scratch_store_dword off, v2, off offset:36 ; 4-byte Folded Spill
	v_bitop3_b32 v2, v0, 9, 1 bitop3:0x6c
	v_or_b32_e32 v24, v1, v7
	v_rcp_iflag_f32_e32 v1, v8
	v_writelane_b32 v127, s15, 1
	scratch_store_dword off, v2, off offset:40 ; 4-byte Folded Spill
	v_bitop3_b32 v2, v0, 11, 1 bitop3:0x6c
	s_waitcnt lgkmcnt(0)
	v_writelane_b32 v127, s16, 2
	scratch_store_dword off, v2, off offset:44 ; 4-byte Folded Spill
	v_bitop3_b32 v2, v0, 13, 1 bitop3:0x6c
	v_writelane_b32 v127, s17, 3
	scratch_store_dword off, v2, off offset:48 ; 4-byte Folded Spill
	v_bitop3_b32 v2, v0, 15, 1 bitop3:0x6c
	s_abs_i32 s99, s15
	v_writelane_b32 v127, s18, 4
	scratch_store_dword off, v2, off offset:52 ; 4-byte Folded Spill
	v_and_b32_e32 v2, 30, v0
	v_bitop3_b32 v25, v0, 31, v0 bitop3:0xc
	v_mul_f32_e32 v0, 0x4f7ffffe, v1
	v_cvt_f32_u32_e32 v1, s99
	v_writelane_b32 v127, s19, 5
	v_writelane_b32 v127, s20, 6
	v_writelane_b32 v127, s21, 7
	v_writelane_b32 v127, s22, 8
	v_cvt_u32_f32_e32 v0, v0
	v_rcp_iflag_f32_e32 v1, v1
	v_writelane_b32 v127, s23, 9
	v_cndmask_b32_e64 v103, 0, 1, s[34:35]
	s_xor_b32 s1, s1, s4
	v_writelane_b32 v127, s34, 10
	s_sub_i32 s38, s1, s4
	s_mul_i32 s1, s38, s39
	v_writelane_b32 v127, s35, 11
	v_writelane_b32 v127, s36, 12
	s_sub_i32 s40, s3, s1
	v_readfirstlane_b32 s1, v0
	v_mul_f32_e32 v0, 0x4f7ffffe, v1
	v_writelane_b32 v127, s37, 13
	v_cvt_u32_f32_e32 v0, v0
	v_writelane_b32 v127, s38, 14
	s_sub_i32 s0, 0, s28
	v_writelane_b32 v127, s39, 15
	s_mul_i32 s0, s0, s1
	v_writelane_b32 v127, s40, 16
	s_mul_hi_u32 s0, s1, s0
	v_writelane_b32 v127, s42, 17
	s_ashr_i32 s41, s14, 31
	s_add_i32 s44, s1, s0
	s_sub_i32 s0, 0, s99
	v_readfirstlane_b32 s1, v0
	v_writelane_b32 v127, s43, 18
	s_mul_i32 s0, s0, s1
	v_mbcnt_lo_u32_b32 v0, -1, 0
	v_writelane_b32 v127, s41, 19
	s_ashr_i32 s45, s15, 31
	s_mul_hi_u32 s0, s1, s0
	v_mbcnt_hi_u32_b32 v0, -1, v0
	v_writelane_b32 v127, s44, 20
	v_mov_b32_e32 v107, 0
	s_add_i32 s46, s1, s0
	v_and_or_b32 v0, v0, 64, v6
	v_writelane_b32 v127, s45, 21
	v_mov_b32_e32 v23, v107
	s_lshl_b32 s98, s27, 5
	v_or_b32_e32 v117, v4, v7
	v_lshlrev_b32_e32 v106, 1, v2
	v_lshlrev_b32_e32 v119, 2, v0
	v_mov_b32_e32 v120, v88
	v_writelane_b32 v127, s46, 22
	v_or_b32_e32 v108, v5, v3
	scratch_store_dword off, v21, off offset:8 ; 4-byte Folded Spill
	scratch_store_dword off, v102, off offset:12 ; 4-byte Folded Spill
	;; [unrolled: 1-line block ×4, first 2 shown]
	scratch_store_dwordx2 off, v[22:23], off offset:56 ; 8-byte Folded Spill
	scratch_store_dword off, v24, off offset:72 ; 4-byte Folded Spill
	scratch_store_dword off, v25, off offset:76 ; 4-byte Folded Spill
	scratch_store_dword off, v108, off offset:80 ; 4-byte Folded Spill
	s_branch .LBB122_7
.LBB122_4:                              ;   in Loop: Header=BB122_7 Depth=1
	s_or_b64 exec, exec, s[6:7]
.LBB122_5:                              ;   in Loop: Header=BB122_7 Depth=1
	s_or_b64 exec, exec, s[4:5]
	v_subrev_u32_e32 v120, s33, v120
.LBB122_6:                              ;   in Loop: Header=BB122_7 Depth=1
	s_or_b64 exec, exec, s[0:1]
	s_add_i32 s2, s2, 1
	s_waitcnt vmcnt(4)
	v_cmp_ge_i32_e32 vcc, s2, v21
	s_cbranch_vccnz .LBB122_55
.LBB122_7:                              ; =>This Loop Header: Depth=1
                                        ;     Child Loop BB122_13 Depth 2
                                        ;       Child Loop BB122_15 Depth 3
                                        ;       Child Loop BB122_18 Depth 3
	;; [unrolled: 1-line block ×6, first 2 shown]
                                        ;     Child Loop BB122_34 Depth 2
                                        ;     Child Loop BB122_42 Depth 2
                                        ;       Child Loop BB122_44 Depth 3
                                        ;     Child Loop BB122_52 Depth 2
                                        ;       Child Loop BB122_54 Depth 3
	s_abs_i32 s1, s2
	s_mul_hi_u32 s3, s1, s44
	s_mul_i32 s4, s3, s28
	s_ashr_i32 s0, s2, 31
	s_sub_i32 s1, s1, s4
	s_xor_b32 s0, s0, s41
	s_add_i32 s4, s3, 1
	s_sub_i32 s5, s1, s28
	s_cmp_ge_u32 s1, s28
	s_cselect_b32 s3, s4, s3
	s_cselect_b32 s1, s5, s1
	s_add_i32 s4, s3, 1
	s_cmp_ge_u32 s1, s28
	s_cselect_b32 s1, s4, s3
	s_xor_b32 s1, s1, s0
	s_sub_i32 s0, s1, s0
	s_abs_i32 s4, s0
	s_mul_i32 s1, s0, s14
	s_mul_hi_u32 s5, s4, s46
	s_sub_i32 s1, s2, s1
	s_mul_i32 s6, s5, s99
	s_lshl_b32 s3, s1, 5
	s_ashr_i32 s1, s0, 31
	s_sub_i32 s4, s4, s6
	s_xor_b32 s1, s1, s45
	s_add_i32 s6, s5, 1
	s_sub_i32 s7, s4, s99
	s_cmp_ge_u32 s4, s99
	s_cselect_b32 s5, s6, s5
	s_cselect_b32 s4, s7, s4
	s_add_i32 s6, s5, 1
	s_cmp_ge_u32 s4, s99
	s_cselect_b32 s4, s6, s5
	s_xor_b32 s4, s4, s1
	s_sub_i32 s1, s4, s1
	s_mul_i32 s4, s1, s38
	s_lshl_b32 s47, s4, 7
	s_cmp_eq_u32 s1, s39
	s_cselect_b32 s33, s40, s38
	s_sub_i32 s4, s3, s24
	s_add_i32 s80, s4, 32
	s_and_saveexec_b64 s[4:5], s[36:37]
	s_xor_b64 s[96:97], exec, s[4:5]
	s_cbranch_execz .LBB122_48
; %bb.8:                                ;   in Loop: Header=BB122_7 Depth=1
	s_mul_i32 s1, s1, s15
	s_sub_i32 s0, s0, s1
	s_mulk_i32 s0, 0xa0
	s_sub_i32 s70, s0, s25
	s_addk_i32 s70, 0xa0
	s_max_i32 s1, s70, 0
	s_sub_i32 s72, s0, s1
	s_and_saveexec_b64 s[0:1], s[34:35]
	s_xor_b64 s[4:5], exec, s[0:1]
	s_cbranch_execz .LBB122_38
; %bb.9:                                ;   in Loop: Header=BB122_7 Depth=1
	s_and_saveexec_b64 s[0:1], s[42:43]
	s_cbranch_execz .LBB122_37
; %bb.10:                               ;   in Loop: Header=BB122_7 Depth=1
	global_load_dword v121, v107, s[22:23]
	v_mov_b32_e32 v79, 0
	v_cmp_gt_i32_e32 vcc, s33, v120
	v_mov_b32_e32 v78, v79
	v_mov_b32_e32 v77, v79
	;; [unrolled: 1-line block ×53, first 2 shown]
	s_waitcnt vmcnt(1)
	v_mov_b32_e32 v25, v79
	v_mov_b32_e32 v24, v79
	;; [unrolled: 1-line block ×26, first 2 shown]
	s_and_saveexec_b64 s[6:7], vcc
	s_cbranch_execz .LBB122_32
; %bb.11:                               ;   in Loop: Header=BB122_7 Depth=1
	v_mov_b32_e32 v0, 0
	s_mov_b64 s[8:9], 0
	v_mov_b32_e32 v1, v0
	v_mov_b32_e32 v2, v0
	;; [unrolled: 1-line block ×79, first 2 shown]
	s_branch .LBB122_13
.LBB122_12:                             ;   in Loop: Header=BB122_13 Depth=2
	s_or_b64 exec, exec, s[10:11]
	v_add_u32_e32 v82, 0x4000, v125
	ds_read2_b32 v[80:81], v82 offset1:32
	v_add_u32_e32 v120, s31, v120
	s_waitcnt lgkmcnt(0)
	v_mfma_f32_32x32x16_fp8_fp8 v[0:15], v[100:101], v[80:81], v[0:15]
	ds_read2_b32 v[80:81], v82 offset0:128 offset1:160
	v_add_u32_e32 v82, 0x4400, v125
	s_waitcnt lgkmcnt(0)
	v_mfma_f32_32x32x16_fp8_fp8 v[0:15], v[98:99], v[80:81], v[0:15]
	ds_read2_b32 v[80:81], v82 offset1:32
	s_waitcnt lgkmcnt(0)
	v_mfma_f32_32x32x16_fp8_fp8 v[0:15], v[96:97], v[80:81], v[0:15]
	ds_read2_b32 v[80:81], v82 offset0:128 offset1:160
	v_add_u32_e32 v82, 0x4800, v125
	s_waitcnt lgkmcnt(0)
	v_mfma_f32_32x32x16_fp8_fp8 v[0:15], v[94:95], v[80:81], v[0:15]
	ds_read2_b32 v[80:81], v82 offset1:32
	;; [unrolled: 7-line block ×3, first 2 shown]
	ds_read2_b32 v[82:83], v82 offset0:128 offset1:160
	ds_write_b32 v123, v124 offset:49188
	s_waitcnt lgkmcnt(2)
	v_mfma_f32_32x32x16_fp8_fp8 v[0:15], v[88:89], v[80:81], v[0:15]
	v_add_u32_e32 v88, s31, v122
	v_add_u32_e32 v80, 2, v103
	v_cmp_lt_i32_e32 vcc, 1, v88
	s_nop 1
	v_cndmask_b32_e32 v103, v103, v80, vcc
	v_cmp_le_i32_e32 vcc, s33, v120
	s_waitcnt lgkmcnt(1)
	v_mfma_f32_32x32x16_fp8_fp8 v[0:15], v[86:87], v[82:83], v[0:15]
	s_or_b64 s[8:9], vcc, s[8:9]
	s_andn2_b64 exec, exec, s[8:9]
	s_cbranch_execz .LBB122_31
.LBB122_13:                             ;   Parent Loop BB122_7 Depth=1
                                        ; =>  This Loop Header: Depth=2
                                        ;       Child Loop BB122_15 Depth 3
                                        ;       Child Loop BB122_18 Depth 3
	;; [unrolled: 1-line block ×6, first 2 shown]
	v_cmp_gt_i32_e32 vcc, 2, v88
	s_nop 1
	v_cndmask_b32_e64 v80, -2, 0, vcc
	v_add_u32_e32 v122, v80, v88
	v_mul_lo_u32 v123, v122, 40
	ds_read_b32 v80, v123 offset:49152
	s_waitcnt lgkmcnt(0)
	v_cmp_ne_u32_e32 vcc, v80, v103
	s_and_saveexec_b64 s[10:11], vcc
	s_cbranch_execz .LBB122_16
; %bb.14:                               ;   in Loop: Header=BB122_13 Depth=2
	s_mov_b64 s[12:13], 0
.LBB122_15:                             ;   Parent Loop BB122_7 Depth=1
                                        ;     Parent Loop BB122_13 Depth=2
                                        ; =>    This Inner Loop Header: Depth=3
	;;#ASMSTART
	s_sleep 0
	;;#ASMEND
	ds_read_b32 v80, v123 offset:49152
	s_waitcnt lgkmcnt(0)
	v_cmp_eq_u32_e32 vcc, v80, v103
	s_or_b64 s[12:13], vcc, s[12:13]
	s_andn2_b64 exec, exec, s[12:13]
	s_cbranch_execnz .LBB122_15
.LBB122_16:                             ;   in Loop: Header=BB122_13 Depth=2
	s_or_b64 exec, exec, s[10:11]
	v_lshl_add_u32 v80, v122, 12, v104
	v_add_u32_e32 v81, 0x400, v80
	ds_read2_b32 v[100:101], v80 offset1:32
	ds_read2_b32 v[98:99], v80 offset0:128 offset1:160
	ds_read2_b32 v[96:97], v81 offset1:32
	ds_read2_b32 v[94:95], v81 offset0:128 offset1:160
	v_add_u32_e32 v81, 0x800, v80
	v_add_u32_e32 v80, 0xc00, v80
	ds_read2_b32 v[92:93], v81 offset1:32
	ds_read2_b32 v[90:91], v81 offset0:128 offset1:160
	ds_read2_b32 v[88:89], v80 offset1:32
	ds_read_b32 v81, v123 offset:49156
	ds_read2_b32 v[86:87], v80 offset0:128 offset1:160
	v_add_u32_e32 v124, 1, v103
	ds_write_b32 v123, v124 offset:49152
	s_waitcnt lgkmcnt(2)
	v_cmp_ne_u32_e32 vcc, v81, v103
	s_and_saveexec_b64 s[10:11], vcc
	s_cbranch_execz .LBB122_19
; %bb.17:                               ;   in Loop: Header=BB122_13 Depth=2
	s_mov_b64 s[12:13], 0
.LBB122_18:                             ;   Parent Loop BB122_7 Depth=1
                                        ;     Parent Loop BB122_13 Depth=2
                                        ; =>    This Inner Loop Header: Depth=3
	;;#ASMSTART
	s_sleep 0
	;;#ASMEND
	ds_read_b32 v80, v123 offset:49156
	s_waitcnt lgkmcnt(0)
	v_cmp_eq_u32_e32 vcc, v80, v103
	s_or_b64 s[12:13], vcc, s[12:13]
	s_andn2_b64 exec, exec, s[12:13]
	s_cbranch_execnz .LBB122_18
.LBB122_19:                             ;   in Loop: Header=BB122_13 Depth=2
	s_or_b64 exec, exec, s[10:11]
	s_movk_i32 s10, 0x5000
	v_mul_lo_u32 v80, v122, s10
	v_or_b32_e32 v125, v105, v80
	ds_read2_b32 v[80:81], v125 offset1:32
	v_add_u32_e32 v82, 0x400, v125
	ds_write_b32 v123, v124 offset:49156
	s_waitcnt lgkmcnt(1)
	v_mfma_f32_32x32x16_fp8_fp8 v[64:79], v[100:101], v[80:81], v[64:79]
	ds_read2_b32 v[80:81], v125 offset0:128 offset1:160
	s_waitcnt lgkmcnt(0)
	v_mfma_f32_32x32x16_fp8_fp8 v[64:79], v[98:99], v[80:81], v[64:79]
	ds_read2_b32 v[80:81], v82 offset1:32
	s_waitcnt lgkmcnt(0)
	v_mfma_f32_32x32x16_fp8_fp8 v[64:79], v[96:97], v[80:81], v[64:79]
	ds_read2_b32 v[80:81], v82 offset0:128 offset1:160
	v_add_u32_e32 v82, 0x800, v125
	s_waitcnt lgkmcnt(0)
	v_mfma_f32_32x32x16_fp8_fp8 v[64:79], v[94:95], v[80:81], v[64:79]
	ds_read2_b32 v[80:81], v82 offset1:32
	s_waitcnt lgkmcnt(0)
	v_mfma_f32_32x32x16_fp8_fp8 v[64:79], v[92:93], v[80:81], v[64:79]
	ds_read2_b32 v[80:81], v82 offset0:128 offset1:160
	v_add_u32_e32 v82, 0xc00, v125
	s_waitcnt lgkmcnt(0)
	v_mfma_f32_32x32x16_fp8_fp8 v[64:79], v[90:91], v[80:81], v[64:79]
	ds_read2_b32 v[80:81], v82 offset1:32
	s_waitcnt lgkmcnt(0)
	v_mfma_f32_32x32x16_fp8_fp8 v[64:79], v[88:89], v[80:81], v[64:79]
	ds_read2_b32 v[80:81], v82 offset0:128 offset1:160
	ds_read_b32 v82, v123 offset:49164
	s_waitcnt lgkmcnt(0)
	v_cmp_ne_u32_e32 vcc, v82, v103
	v_mfma_f32_32x32x16_fp8_fp8 v[64:79], v[86:87], v[80:81], v[64:79]
	s_and_saveexec_b64 s[10:11], vcc
	s_cbranch_execz .LBB122_22
; %bb.20:                               ;   in Loop: Header=BB122_13 Depth=2
	s_mov_b64 s[12:13], 0
.LBB122_21:                             ;   Parent Loop BB122_7 Depth=1
                                        ;     Parent Loop BB122_13 Depth=2
                                        ; =>    This Inner Loop Header: Depth=3
	;;#ASMSTART
	s_sleep 0
	;;#ASMEND
	ds_read_b32 v80, v123 offset:49164
	s_waitcnt lgkmcnt(0)
	v_cmp_eq_u32_e32 vcc, v80, v103
	s_or_b64 s[12:13], vcc, s[12:13]
	s_andn2_b64 exec, exec, s[12:13]
	s_cbranch_execnz .LBB122_21
.LBB122_22:                             ;   in Loop: Header=BB122_13 Depth=2
	s_or_b64 exec, exec, s[10:11]
	v_add_u32_e32 v82, 0x1000, v125
	ds_read2_b32 v[80:81], v82 offset1:32
	s_waitcnt lgkmcnt(0)
	v_mfma_f32_32x32x16_fp8_fp8 v[48:63], v[100:101], v[80:81], v[48:63]
	ds_read2_b32 v[80:81], v82 offset0:128 offset1:160
	v_add_u32_e32 v82, 0x1400, v125
	s_waitcnt lgkmcnt(0)
	v_mfma_f32_32x32x16_fp8_fp8 v[48:63], v[98:99], v[80:81], v[48:63]
	ds_read2_b32 v[80:81], v82 offset1:32
	s_waitcnt lgkmcnt(0)
	v_mfma_f32_32x32x16_fp8_fp8 v[48:63], v[96:97], v[80:81], v[48:63]
	ds_read2_b32 v[80:81], v82 offset0:128 offset1:160
	v_add_u32_e32 v82, 0x1800, v125
	s_waitcnt lgkmcnt(0)
	v_mfma_f32_32x32x16_fp8_fp8 v[48:63], v[94:95], v[80:81], v[48:63]
	ds_read2_b32 v[80:81], v82 offset1:32
	s_waitcnt lgkmcnt(0)
	v_mfma_f32_32x32x16_fp8_fp8 v[48:63], v[92:93], v[80:81], v[48:63]
	ds_read2_b32 v[80:81], v82 offset0:128 offset1:160
	v_add_u32_e32 v82, 0x1c00, v125
	s_waitcnt lgkmcnt(0)
	v_mfma_f32_32x32x16_fp8_fp8 v[48:63], v[90:91], v[80:81], v[48:63]
	ds_read2_b32 v[80:81], v82 offset1:32
	s_waitcnt lgkmcnt(0)
	v_mfma_f32_32x32x16_fp8_fp8 v[48:63], v[88:89], v[80:81], v[48:63]
	ds_read_b32 v83, v123 offset:49172
	ds_read2_b32 v[80:81], v82 offset0:128 offset1:160
	ds_write_b32 v123, v124 offset:49164
	s_waitcnt lgkmcnt(2)
	v_cmp_ne_u32_e32 vcc, v83, v103
	s_waitcnt lgkmcnt(1)
	v_mfma_f32_32x32x16_fp8_fp8 v[48:63], v[86:87], v[80:81], v[48:63]
	s_and_saveexec_b64 s[10:11], vcc
	s_cbranch_execz .LBB122_25
; %bb.23:                               ;   in Loop: Header=BB122_13 Depth=2
	s_mov_b64 s[12:13], 0
.LBB122_24:                             ;   Parent Loop BB122_7 Depth=1
                                        ;     Parent Loop BB122_13 Depth=2
                                        ; =>    This Inner Loop Header: Depth=3
	;;#ASMSTART
	s_sleep 0
	;;#ASMEND
	ds_read_b32 v80, v123 offset:49172
	s_waitcnt lgkmcnt(0)
	v_cmp_eq_u32_e32 vcc, v80, v103
	s_or_b64 s[12:13], vcc, s[12:13]
	s_andn2_b64 exec, exec, s[12:13]
	s_cbranch_execnz .LBB122_24
.LBB122_25:                             ;   in Loop: Header=BB122_13 Depth=2
	s_or_b64 exec, exec, s[10:11]
	v_add_u32_e32 v82, 0x2000, v125
	ds_read2_b32 v[80:81], v82 offset1:32
	s_waitcnt lgkmcnt(0)
	v_mfma_f32_32x32x16_fp8_fp8 v[32:47], v[100:101], v[80:81], v[32:47]
	ds_read2_b32 v[80:81], v82 offset0:128 offset1:160
	v_add_u32_e32 v82, 0x2400, v125
	s_waitcnt lgkmcnt(0)
	v_mfma_f32_32x32x16_fp8_fp8 v[32:47], v[98:99], v[80:81], v[32:47]
	ds_read2_b32 v[80:81], v82 offset1:32
	s_waitcnt lgkmcnt(0)
	v_mfma_f32_32x32x16_fp8_fp8 v[32:47], v[96:97], v[80:81], v[32:47]
	ds_read2_b32 v[80:81], v82 offset0:128 offset1:160
	v_add_u32_e32 v82, 0x2800, v125
	s_waitcnt lgkmcnt(0)
	v_mfma_f32_32x32x16_fp8_fp8 v[32:47], v[94:95], v[80:81], v[32:47]
	ds_read2_b32 v[80:81], v82 offset1:32
	s_waitcnt lgkmcnt(0)
	v_mfma_f32_32x32x16_fp8_fp8 v[32:47], v[92:93], v[80:81], v[32:47]
	ds_read2_b32 v[80:81], v82 offset0:128 offset1:160
	v_add_u32_e32 v82, 0x2c00, v125
	s_waitcnt lgkmcnt(0)
	v_mfma_f32_32x32x16_fp8_fp8 v[32:47], v[90:91], v[80:81], v[32:47]
	ds_read2_b32 v[80:81], v82 offset1:32
	s_waitcnt lgkmcnt(0)
	v_mfma_f32_32x32x16_fp8_fp8 v[32:47], v[88:89], v[80:81], v[32:47]
	ds_read_b32 v83, v123 offset:49180
	ds_read2_b32 v[80:81], v82 offset0:128 offset1:160
	ds_write_b32 v123, v124 offset:49172
	s_waitcnt lgkmcnt(2)
	v_cmp_ne_u32_e32 vcc, v83, v103
	s_waitcnt lgkmcnt(1)
	;; [unrolled: 50-line block ×3, first 2 shown]
	v_mfma_f32_32x32x16_fp8_fp8 v[16:31], v[86:87], v[80:81], v[16:31]
	s_and_saveexec_b64 s[10:11], vcc
	s_cbranch_execz .LBB122_12
; %bb.29:                               ;   in Loop: Header=BB122_13 Depth=2
	s_mov_b64 s[12:13], 0
.LBB122_30:                             ;   Parent Loop BB122_7 Depth=1
                                        ;     Parent Loop BB122_13 Depth=2
                                        ; =>    This Inner Loop Header: Depth=3
	;;#ASMSTART
	s_sleep 0
	;;#ASMEND
	ds_read_b32 v80, v123 offset:49188
	s_waitcnt lgkmcnt(0)
	v_cmp_eq_u32_e32 vcc, v80, v103
	s_or_b64 s[12:13], vcc, s[12:13]
	s_andn2_b64 exec, exec, s[12:13]
	s_cbranch_execnz .LBB122_30
	s_branch .LBB122_12
.LBB122_31:                             ;   in Loop: Header=BB122_7 Depth=1
	s_or_b64 exec, exec, s[8:9]
.LBB122_32:                             ;   in Loop: Header=BB122_7 Depth=1
	v_writelane_b32 v127, s47, 23
	v_writelane_b32 v127, s80, 24
	s_or_b64 exec, exec, s[6:7]
	scratch_load_dword v115, off, off offset:24 ; 4-byte Folded Reload
	scratch_load_dword v91, off, off offset:28 ; 4-byte Folded Reload
	;; [unrolled: 1-line block ×3, first 2 shown]
	v_cmp_le_i32_e32 vcc, s70, v102
	s_mul_i32 s6, s3, s25
	s_ashr_i32 s7, s6, 31
	s_waitcnt vmcnt(3)
	v_cndmask_b32_e32 v80, 0, v121, vcc
	v_pk_mul_f32 v[64:65], v[80:81], v[64:65] op_sel_hi:[0,1]
	v_pk_mul_f32 v[78:79], v[80:81], v[78:79] op_sel_hi:[0,1]
	;; [unrolled: 1-line block ×8, first 2 shown]
	s_lshl_b64 s[6:7], s[6:7], 1
	s_add_u32 s68, s20, s6
	s_addc_u32 s69, s21, s7
	s_mov_b32 s34, s72
	s_ashr_i32 s73, s72, 31
	v_writelane_b32 v127, s34, 25
	scratch_store_dwordx2 off, v[106:107], off ; 8-byte Folded Spill
	v_subrev_u32_e32 v120, s33, v120
	v_writelane_b32 v127, s35, 26
	s_lshl_b64 s[34:35], s[72:73], 1
	s_add_u32 s34, s68, s34
	s_addc_u32 s35, s69, s35
	v_writelane_b32 v127, s34, 27
	s_waitcnt vmcnt(3)
	v_cmp_eq_u32_e64 s[64:65], 1, v115
	s_nop 1
	v_cndmask_b32_e64 v80, v64, v65, s[64:65]
	v_cmp_eq_u32_e64 s[38:39], 2, v115
	v_cmp_eq_u32_e64 s[40:41], 3, v115
	v_cmp_eq_u32_e64 s[42:43], 4, v115
	v_cndmask_b32_e64 v80, v80, v66, s[38:39]
	v_cndmask_b32_e64 v80, v80, v67, s[40:41]
	v_cndmask_b32_e64 v80, v80, v68, s[42:43]
	v_cmp_eq_u32_e64 s[44:45], 5, v115
	v_cmp_eq_u32_e64 s[46:47], 6, v115
	v_cmp_eq_u32_e64 s[48:49], 7, v115
	v_cndmask_b32_e64 v80, v80, v69, s[44:45]
	v_cndmask_b32_e64 v80, v80, v70, s[46:47]
	v_cndmask_b32_e64 v80, v80, v71, s[48:49]
	v_cmp_eq_u32_e64 s[50:51], 8, v115
	v_cmp_eq_u32_e64 s[52:53], 9, v115
	v_cmp_eq_u32_e64 s[54:55], 10, v115
	v_cndmask_b32_e64 v80, v80, v72, s[50:51]
	v_cndmask_b32_e64 v80, v80, v73, s[52:53]
	v_cndmask_b32_e64 v80, v80, v74, s[54:55]
	v_cmp_eq_u32_e64 s[56:57], 11, v115
	v_cmp_eq_u32_e64 s[58:59], 12, v115
	v_cmp_eq_u32_e64 s[60:61], 13, v115
	v_cndmask_b32_e64 v80, v80, v75, s[56:57]
	v_cndmask_b32_e64 v80, v80, v76, s[58:59]
	v_cndmask_b32_e64 v80, v80, v77, s[60:61]
	v_cmp_eq_u32_e64 s[62:63], 14, v115
	v_cmp_eq_u32_e64 s[66:67], 15, v115
	v_cmp_eq_u32_e64 s[36:37], 0, v115
	v_cndmask_b32_e64 v80, v80, v78, s[62:63]
	v_cndmask_b32_e64 v80, v80, v79, s[66:67]
	ds_bpermute_b32 v80, v119, v80
	s_waitcnt vmcnt(2)
	v_cmp_eq_u32_e32 vcc, 1, v91
	v_cmp_eq_u32_e64 s[6:7], 2, v91
	v_cmp_eq_u32_e64 s[8:9], 3, v91
	;; [unrolled: 1-line block ×3, first 2 shown]
	s_waitcnt lgkmcnt(0)
	v_cndmask_b32_e64 v90, v65, v80, s[64:65]
	v_cndmask_b32_e64 v87, v64, v80, s[36:37]
	;; [unrolled: 1-line block ×3, first 2 shown]
	v_cndmask_b32_e32 v64, v87, v90, vcc
	v_cndmask_b32_e64 v86, v67, v80, s[40:41]
	v_cndmask_b32_e64 v64, v64, v66, s[6:7]
	;; [unrolled: 1-line block ×6, first 2 shown]
	v_cmp_eq_u32_e64 s[12:13], 5, v91
	v_cndmask_b32_e64 v83, v70, v80, s[46:47]
	v_cmp_eq_u32_e64 s[14:15], 6, v91
	v_cndmask_b32_e64 v64, v64, v84, s[12:13]
	v_cndmask_b32_e64 v82, v71, v80, s[48:49]
	v_cndmask_b32_e64 v64, v64, v83, s[14:15]
	v_cmp_eq_u32_e64 s[16:17], 7, v91
	v_cndmask_b32_e64 v81, v72, v80, s[50:51]
	v_cmp_eq_u32_e64 s[18:19], 8, v91
	v_cndmask_b32_e64 v64, v64, v82, s[16:17]
	v_cndmask_b32_e64 v73, v73, v80, s[52:53]
	v_cndmask_b32_e64 v64, v64, v81, s[18:19]
	;; [unrolled: 6-line block ×5, first 2 shown]
	v_writelane_b32 v127, s35, 28
	v_cmp_eq_u32_e64 s[34:35], 15, v91
	v_or_b32_e32 v80, 0x60, v102
	s_waitcnt vmcnt(1)
	v_cmp_eq_u32_e64 s[72:73], 9, v118
	v_cndmask_b32_e64 v64, v64, v79, s[34:35]
	ds_bpermute_b32 v89, v119, v64
	v_or_b32_e32 v64, 32, v102
	v_cmp_le_i32_e64 s[68:69], s70, v64
	v_or_b32_e32 v64, 64, v102
	s_waitcnt lgkmcnt(0)
	v_cndmask_b32_e64 v65, v79, v89, s[34:35]
	v_cndmask_b32_e64 v79, v66, v89, s[6:7]
	;; [unrolled: 1-line block ×3, first 2 shown]
	v_cmp_le_i32_e64 s[68:69], s70, v64
	v_cndmask_b32_e64 v67, v78, v89, s[80:81]
	v_pk_mul_f32 v[62:63], v[66:67], v[62:63] op_sel_hi:[0,1]
	v_cndmask_b32_e64 v64, 0, v121, s[68:69]
	v_cmp_le_i32_e64 s[68:69], s70, v80
	v_pk_mul_f32 v[60:61], v[66:67], v[60:61] op_sel_hi:[0,1]
	v_pk_mul_f32 v[58:59], v[66:67], v[58:59] op_sel_hi:[0,1]
	;; [unrolled: 1-line block ×7, first 2 shown]
	v_cndmask_b32_e64 v66, 0, v121, s[68:69]
	v_pk_mul_f32 v[16:17], v[66:67], v[16:17] op_sel_hi:[0,1]
	v_pk_mul_f32 v[94:95], v[66:67], v[26:27] op_sel_hi:[0,1]
	;; [unrolled: 1-line block ×3, first 2 shown]
	v_cndmask_b32_e64 v26, v16, v17, s[64:65]
	v_cndmask_b32_e64 v26, v26, v18, s[38:39]
	v_pk_mul_f32 v[20:21], v[66:67], v[20:21] op_sel_hi:[0,1]
	v_cndmask_b32_e64 v26, v26, v19, s[40:41]
	v_cndmask_b32_e64 v26, v26, v20, s[42:43]
	v_pk_mul_f32 v[46:47], v[64:65], v[46:47] op_sel_hi:[0,1]
	v_pk_mul_f32 v[44:45], v[64:65], v[44:45] op_sel_hi:[0,1]
	;; [unrolled: 1-line block ×8, first 2 shown]
	v_cndmask_b32_e64 v64, v48, v49, s[64:65]
	v_pk_mul_f32 v[22:23], v[66:67], v[22:23] op_sel_hi:[0,1]
	v_cndmask_b32_e64 v26, v26, v21, s[44:45]
	v_cndmask_b32_e64 v64, v64, v50, s[38:39]
	;; [unrolled: 1-line block ×4, first 2 shown]
	v_pk_mul_f32 v[24:25], v[66:67], v[24:25] op_sel_hi:[0,1]
	v_cndmask_b32_e64 v26, v26, v23, s[48:49]
	v_cndmask_b32_e64 v64, v64, v52, s[42:43]
	;; [unrolled: 1-line block ×12, first 2 shown]
	v_pk_mul_f32 v[82:83], v[66:67], v[28:29] op_sel_hi:[0,1]
	v_cndmask_b32_e64 v26, v26, v95, s[56:57]
	v_cndmask_b32_e64 v64, v64, v56, s[50:51]
	;; [unrolled: 1-line block ×4, first 2 shown]
	v_pk_mul_f32 v[30:31], v[66:67], v[30:31] op_sel_hi:[0,1]
	v_cndmask_b32_e64 v26, v26, v83, s[60:61]
	v_cndmask_b32_e64 v64, v64, v58, s[54:55]
	v_cndmask_b32_e64 v26, v26, v30, s[62:63]
	v_cndmask_b32_e64 v64, v64, v59, s[56:57]
	v_cndmask_b32_e64 v26, v26, v31, s[66:67]
	v_cndmask_b32_e64 v64, v64, v60, s[58:59]
	ds_bpermute_b32 v114, v119, v26
	v_cndmask_b32_e64 v78, v86, v89, s[8:9]
	v_cndmask_b32_e32 v86, v90, v89, vcc
	v_or_b32_e32 v90, 0x80, v102
	v_cndmask_b32_e64 v64, v64, v61, s[60:61]
	v_cmp_le_i32_e64 s[68:69], s70, v90
	v_cndmask_b32_e64 v64, v64, v62, s[62:63]
	v_cndmask_b32_e64 v64, v64, v63, s[66:67]
	;; [unrolled: 1-line block ×3, first 2 shown]
	ds_bpermute_b32 v113, v119, v64
	v_cndmask_b32_e64 v64, v32, v33, s[64:65]
	v_pk_mul_f32 v[0:1], v[80:81], v[0:1] op_sel_hi:[0,1]
	v_cndmask_b32_e64 v64, v64, v34, s[38:39]
	v_pk_mul_f32 v[98:99], v[80:81], v[6:7] op_sel_hi:[0,1]
	v_pk_mul_f32 v[2:3], v[80:81], v[2:3] op_sel_hi:[0,1]
	s_waitcnt lgkmcnt(1)
	v_cndmask_b32_e64 v7, v17, v114, s[64:65]
	v_cndmask_b32_e64 v17, v0, v1, s[64:65]
	v_cndmask_b32_e64 v64, v64, v35, s[40:41]
	v_cndmask_b32_e64 v17, v17, v2, s[38:39]
	v_cndmask_b32_e64 v64, v64, v36, s[42:43]
	v_pk_mul_f32 v[4:5], v[80:81], v[4:5] op_sel_hi:[0,1]
	v_cndmask_b32_e64 v17, v17, v3, s[40:41]
	v_cndmask_b32_e64 v64, v64, v37, s[44:45]
	;; [unrolled: 1-line block ×8, first 2 shown]
	v_pk_mul_f32 v[8:9], v[80:81], v[8:9] op_sel_hi:[0,1]
	v_cndmask_b32_e64 v17, v17, v99, s[48:49]
	v_cndmask_b32_e64 v64, v64, v41, s[52:53]
	v_cndmask_b32_e64 v17, v17, v8, s[50:51]
	v_cndmask_b32_e64 v64, v64, v42, s[54:55]
	v_pk_mul_f32 v[10:11], v[80:81], v[10:11] op_sel_hi:[0,1]
	v_cndmask_b32_e64 v17, v17, v9, s[52:53]
	v_cndmask_b32_e64 v64, v64, v43, s[56:57]
	v_cndmask_b32_e64 v17, v17, v10, s[54:55]
	v_cndmask_b32_e64 v64, v64, v44, s[58:59]
	;; [unrolled: 5-line block ×3, first 2 shown]
	v_pk_mul_f32 v[14:15], v[80:81], v[14:15] op_sel_hi:[0,1]
	v_cndmask_b32_e64 v17, v17, v13, s[60:61]
	v_cndmask_b32_e64 v64, v64, v47, s[66:67]
	;; [unrolled: 1-line block ×3, first 2 shown]
	ds_bpermute_b32 v112, v119, v64
	v_cndmask_b32_e64 v17, v17, v15, s[66:67]
	ds_bpermute_b32 v107, v119, v17
	v_cmp_eq_u32_e64 s[68:69], 0, v91
	s_waitcnt lgkmcnt(2)
	v_cndmask_b32_e64 v26, v49, v113, s[64:65]
	s_waitcnt lgkmcnt(1)
	v_cndmask_b32_e64 v6, v33, v112, s[64:65]
	v_cndmask_b32_e64 v87, v87, v89, s[68:69]
	v_cmp_eq_u32_e64 s[64:65], 1, v118
	v_cndmask_b32_e64 v68, v77, v89, s[78:79]
	v_cndmask_b32_e64 v77, v85, v89, s[10:11]
	;; [unrolled: 1-line block ×6, first 2 shown]
	s_waitcnt lgkmcnt(0)
	v_cndmask_b32_e64 v100, v15, v107, s[66:67]
	v_cmp_eq_u32_e64 s[66:67], 2, v118
	v_cndmask_b32_e64 v69, v76, v89, s[76:77]
	v_cndmask_b32_e64 v72, v73, v89, s[20:21]
	;; [unrolled: 1-line block ×9, first 2 shown]
	v_cmp_eq_u32_e64 s[62:63], 3, v118
	v_cndmask_b32_e64 v29, v61, v113, s[60:61]
	v_cndmask_b32_e64 v61, v45, v112, s[60:61]
	v_cndmask_b32_e64 v14, v15, v78, s[62:63]
	v_cndmask_b32_e64 v90, v83, v114, s[60:61]
	v_cndmask_b32_e64 v104, v13, v107, s[60:61]
	v_cmp_eq_u32_e64 s[60:61], 4, v118
	v_cndmask_b32_e64 v30, v60, v113, s[58:59]
	v_cndmask_b32_e64 v60, v44, v112, s[58:59]
	v_cndmask_b32_e64 v13, v14, v77, s[60:61]
	v_cndmask_b32_e64 v91, v82, v114, s[58:59]
	v_cndmask_b32_e64 v116, v12, v107, s[58:59]
	;; [unrolled: 6-line block ×3, first 2 shown]
	v_cmp_eq_u32_e64 s[56:57], 6, v118
	v_cmp_eq_u32_e64 s[70:71], 7, v118
	v_cndmask_b32_e64 v33, v58, v113, s[54:55]
	v_cndmask_b32_e64 v11, v12, v75, s[56:57]
	;; [unrolled: 1-line block ×9, first 2 shown]
	v_cmp_eq_u32_e64 s[52:53], 8, v118
	v_cndmask_b32_e64 v124, v8, v107, s[50:51]
	v_cndmask_b32_e64 v44, v55, v113, s[48:49]
	;; [unrolled: 1-line block ×7, first 2 shown]
	v_cmp_eq_u32_e64 s[48:49], 10, v118
	v_cndmask_b32_e64 v93, v94, v114, s[54:55]
	v_cndmask_b32_e64 v43, v56, v113, s[50:51]
	v_cndmask_b32_e64 v64, v40, v112, s[50:51]
	v_cndmask_b32_e64 v94, v24, v114, s[50:51]
	v_cndmask_b32_e64 v8, v8, v71, s[48:49]
	v_cmp_eq_u32_e64 s[50:51], 11, v118
	v_cndmask_b32_e64 v45, v54, v113, s[46:47]
	v_cndmask_b32_e64 v81, v38, v112, s[46:47]
	v_cndmask_b32_e64 v96, v22, v114, s[46:47]
	v_cndmask_b32_e64 v126, v98, v107, s[46:47]
	v_cndmask_b32_e64 v8, v8, v70, s[50:51]
	;; [unrolled: 6-line block ×3, first 2 shown]
	v_cndmask_b32_e64 v102, v4, v107, s[42:43]
	v_cmp_eq_u32_e64 s[42:43], 13, v118
	v_cndmask_b32_e64 v108, v53, v113, s[44:45]
	v_cndmask_b32_e64 v109, v37, v112, s[44:45]
	;; [unrolled: 1-line block ×4, first 2 shown]
	v_cmp_eq_u32_e64 s[44:45], 14, v118
	v_cndmask_b32_e64 v49, v50, v113, s[38:39]
	v_cndmask_b32_e64 v84, v34, v112, s[38:39]
	;; [unrolled: 1-line block ×4, first 2 shown]
	v_cmp_ne_u32_e64 s[38:39], 0, v115
	v_cndmask_b32_e64 v105, v3, v107, s[40:41]
	v_cndmask_b32_e64 v3, v4, v67, s[44:45]
	;; [unrolled: 1-line block ×3, first 2 shown]
	v_cmp_eq_u32_e64 s[38:39], 15, v118
	v_cndmask_b32_e64 v98, v19, v114, s[40:41]
	v_cndmask_b32_e64 v19, v48, v113, s[36:37]
	v_cndmask_b32_e64 v1, v3, v65, s[38:39]
	ds_bpermute_b32 v20, v119, v1
	v_cndmask_b32_e64 v47, v51, v113, s[40:41]
	v_cndmask_b32_e64 v34, v32, v112, s[36:37]
	;; [unrolled: 1-line block ×4, first 2 shown]
	s_waitcnt lgkmcnt(0)
	v_cndmask_b32_e64 v2, v67, v20, s[44:45]
	v_cndmask_b32_e64 v67, v0, v107, s[36:37]
	v_cndmask_b32_e32 v0, v19, v26, vcc
	v_cndmask_b32_e64 v0, v0, v49, s[6:7]
	v_cndmask_b32_e64 v0, v0, v47, s[8:9]
	v_cndmask_b32_e64 v0, v0, v46, s[10:11]
	v_cndmask_b32_e64 v0, v0, v108, s[12:13]
	v_cndmask_b32_e64 v0, v0, v45, s[14:15]
	v_cndmask_b32_e64 v0, v0, v44, s[16:17]
	v_cndmask_b32_e64 v0, v0, v43, s[18:19]
	v_cndmask_b32_e64 v0, v0, v42, s[20:21]
	v_cndmask_b32_e64 v0, v0, v33, s[22:23]
	v_cndmask_b32_e64 v0, v0, v31, s[74:75]
	v_cndmask_b32_e64 v0, v0, v30, s[76:77]
	v_cndmask_b32_e64 v0, v0, v29, s[78:79]
	v_cndmask_b32_e64 v0, v0, v28, s[80:81]
	v_cndmask_b32_e64 v0, v0, v27, s[34:35]
	ds_bpermute_b32 v107, v119, v0
	v_cndmask_b32_e32 v0, v34, v6, vcc
	v_cndmask_b32_e64 v0, v0, v84, s[6:7]
	v_cndmask_b32_e64 v0, v0, v83, s[8:9]
	v_cndmask_b32_e64 v0, v0, v82, s[10:11]
	v_cndmask_b32_e64 v0, v0, v109, s[12:13]
	v_cndmask_b32_e64 v0, v0, v81, s[14:15]
	v_cndmask_b32_e64 v0, v0, v80, s[16:17]
	v_cndmask_b32_e64 v0, v0, v64, s[18:19]
	v_cndmask_b32_e64 v0, v0, v41, s[20:21]
	v_cndmask_b32_e64 v0, v0, v58, s[22:23]
	v_cndmask_b32_e64 v0, v0, v59, s[74:75]
	v_cndmask_b32_e64 v0, v0, v60, s[76:77]
	v_cndmask_b32_e64 v0, v0, v61, s[78:79]
	v_cndmask_b32_e64 v0, v0, v62, s[80:81]
	v_cndmask_b32_e64 v0, v0, v63, s[34:35]
	ds_bpermute_b32 v112, v119, v0
	;; [unrolled: 16-line block ×3, first 2 shown]
	v_cndmask_b32_e32 v0, v67, v66, vcc
	v_cndmask_b32_e64 v0, v0, v106, s[6:7]
	v_cndmask_b32_e64 v0, v0, v105, s[8:9]
	;; [unrolled: 1-line block ×3, first 2 shown]
	s_waitcnt lgkmcnt(0)
	v_cndmask_b32_e64 v51, v85, v113, s[34:35]
	scratch_load_dword v85, off, off offset:36 ; 4-byte Folded Reload
	v_cndmask_b32_e64 v0, v0, v111, s[12:13]
	v_cndmask_b32_e64 v0, v0, v126, s[14:15]
	;; [unrolled: 1-line block ×11, first 2 shown]
	ds_bpermute_b32 v114, v119, v0
	v_cmp_eq_u32_e64 s[36:37], 0, v118
	v_cndmask_b32_e64 v3, v68, v20, s[42:43]
	v_cndmask_b32_e64 v18, v86, v20, s[64:65]
	;; [unrolled: 1-line block ×5, first 2 shown]
	s_waitcnt lgkmcnt(0)
	v_cndmask_b32_e64 v68, v100, v114, s[34:35]
	v_cndmask_b32_e64 v48, v84, v112, s[6:7]
	scratch_load_dword v84, off, off offset:44 ; 4-byte Folded Reload
	v_cndmask_b32_e64 v17, v79, v20, s[66:67]
	v_cndmask_b32_e64 v15, v78, v20, s[62:63]
	;; [unrolled: 1-line block ×37, first 2 shown]
	v_cndmask_b32_e32 v26, v26, v107, vcc
	v_cndmask_b32_e32 v89, v66, v114, vcc
	v_cndmask_b32_e64 v34, v34, v112, s[68:69]
	v_cndmask_b32_e64 v66, v50, v113, s[68:69]
	;; [unrolled: 1-line block ×10, first 2 shown]
	s_waitcnt vmcnt(1)
	v_cmp_eq_u32_e64 s[34:35], 1, v85
	s_nop 1
	v_cndmask_b32_e64 v21, v0, v18, s[34:35]
	v_cmp_eq_u32_e64 s[90:91], 2, v85
	v_cmp_eq_u32_e64 s[86:87], 3, v85
	;; [unrolled: 1-line block ×3, first 2 shown]
	v_cndmask_b32_e64 v22, v21, v17, s[90:91]
	v_cndmask_b32_e64 v23, v22, v15, s[86:87]
	;; [unrolled: 1-line block ×3, first 2 shown]
	v_cmp_eq_u32_e64 s[94:95], 5, v85
	v_cndmask_b32_e64 v21, v29, v107, s[78:79]
	v_cndmask_b32_e64 v22, v30, v107, s[76:77]
	;; [unrolled: 1-line block ×4, first 2 shown]
	v_cmp_eq_u32_e64 s[22:23], 6, v85
	v_cndmask_b32_e64 v23, v31, v107, s[74:75]
	v_cmp_eq_u32_e64 s[76:77], 13, v85
	v_cndmask_b32_e64 v27, v25, v12, s[22:23]
	v_cndmask_b32_e64 v25, v42, v107, s[20:21]
	v_cmp_eq_u32_e64 s[20:21], 7, v85
	v_cndmask_b32_e64 v42, v64, v112, s[18:19]
	v_cndmask_b32_e64 v64, v99, v113, s[6:7]
	;; [unrolled: 1-line block ×4, first 2 shown]
	v_cmp_eq_u32_e64 s[18:19], 8, v85
	v_cndmask_b32_e64 v43, v80, v112, s[16:17]
	s_nop 0
	v_cndmask_b32_e64 v29, v28, v10, s[18:19]
	v_cndmask_b32_e64 v28, v44, v107, s[16:17]
	v_cmp_eq_u32_e64 s[16:17], 9, v85
	v_cndmask_b32_e64 v44, v81, v112, s[14:15]
	s_nop 0
	v_cndmask_b32_e64 v30, v29, v9, s[16:17]
	v_cndmask_b32_e64 v29, v45, v107, s[14:15]
	;; [unrolled: 5-line block ×3, first 2 shown]
	v_cmp_eq_u32_e64 s[12:13], 11, v85
	s_nop 1
	v_cndmask_b32_e64 v32, v31, v5, s[12:13]
	v_cndmask_b32_e64 v31, v46, v107, s[10:11]
	;; [unrolled: 1-line block ×3, first 2 shown]
	v_cmp_eq_u32_e64 s[10:11], 12, v85
	s_nop 1
	v_cndmask_b32_e64 v33, v32, v4, s[10:11]
	v_cndmask_b32_e64 v65, v33, v3, s[76:77]
	v_cndmask_b32_e64 v33, v49, v107, s[6:7]
	v_cmp_eq_u32_e64 s[6:7], 14, v85
	v_cndmask_b32_e32 v49, v6, v112, vcc
	v_cndmask_b32_e64 v32, v47, v107, s[8:9]
	v_cndmask_b32_e64 v80, v65, v2, s[6:7]
	v_cndmask_b32_e32 v65, v7, v113, vcc
	v_cmp_eq_u32_e32 vcc, 15, v85
	v_cndmask_b32_e64 v47, v83, v112, s[8:9]
	v_cmp_eq_u32_e64 s[8:9], 0, v85
	v_cndmask_b32_e32 v6, v80, v1, vcc
	ds_bpermute_b32 v80, v119, v6
	scratch_load_dword v112, off, off offset:48 ; 4-byte Folded Reload
	s_waitcnt lgkmcnt(0)
	v_cndmask_b32_e64 v6, v8, v80, s[14:15]
	v_cndmask_b32_e64 v8, v10, v80, s[18:19]
	;; [unrolled: 1-line block ×26, first 2 shown]
	ds_bpermute_b32 v50, v119, v18
	v_cndmask_b32_e64 v18, v34, v49, s[64:65]
	v_cndmask_b32_e64 v18, v18, v48, s[66:67]
	;; [unrolled: 1-line block ×15, first 2 shown]
	ds_bpermute_b32 v81, v119, v18
	v_cndmask_b32_e64 v18, v66, v65, s[64:65]
	v_cndmask_b32_e64 v18, v18, v64, s[66:67]
	;; [unrolled: 1-line block ×15, first 2 shown]
	ds_bpermute_b32 v82, v119, v18
	v_cndmask_b32_e64 v18, v90, v89, s[64:65]
	v_cndmask_b32_e64 v18, v18, v87, s[66:67]
	v_cndmask_b32_e64 v18, v18, v86, s[62:63]
	v_cndmask_b32_e64 v18, v18, v79, s[60:61]
	s_waitcnt lgkmcnt(0)
	v_cndmask_b32_e64 v67, v51, v82, s[38:39]
	scratch_load_dword v51, off, off offset:40 ; 4-byte Folded Reload
	v_cndmask_b32_e64 v18, v18, v78, s[58:59]
	v_cndmask_b32_e64 v18, v18, v77, s[56:57]
	;; [unrolled: 1-line block ×11, first 2 shown]
	ds_bpermute_b32 v83, v119, v18
	v_cndmask_b32_e64 v0, v0, v80, s[8:9]
	v_cndmask_b32_e64 v16, v16, v50, s[38:39]
	;; [unrolled: 1-line block ×4, first 2 shown]
	s_waitcnt lgkmcnt(0)
	v_cndmask_b32_e64 v91, v68, v83, s[38:39]
	v_cndmask_b32_e64 v36, v36, v81, s[44:45]
	;; [unrolled: 1-line block ×23, first 2 shown]
	v_cndmask_b32_e32 v1, v1, v80, vcc
	v_cndmask_b32_e64 v26, v26, v50, s[64:65]
	v_cndmask_b32_e64 v49, v49, v81, s[64:65]
	;; [unrolled: 1-line block ×27, first 2 shown]
	s_waitcnt vmcnt(2)
	v_cmp_eq_u32_e64 s[64:65], 9, v84
	s_waitcnt vmcnt(0)
	v_cmp_eq_u32_e64 s[40:41], 1, v51
	s_nop 1
	v_cndmask_b32_e64 v19, v0, v15, s[40:41]
	v_cmp_eq_u32_e64 s[38:39], 2, v51
	v_cmp_eq_u32_e64 s[44:45], 3, v51
	;; [unrolled: 1-line block ×3, first 2 shown]
	v_cndmask_b32_e64 v20, v19, v14, s[38:39]
	v_cndmask_b32_e64 v19, v21, v50, s[42:43]
	;; [unrolled: 1-line block ×4, first 2 shown]
	v_cmp_eq_u32_e64 s[46:47], 4, v51
	v_cmp_eq_u32_e64 s[68:69], 7, v51
	;; [unrolled: 1-line block ×3, first 2 shown]
	v_cndmask_b32_e64 v22, v21, v12, s[46:47]
	v_cndmask_b32_e64 v21, v23, v50, s[50:51]
	v_cmp_eq_u32_e64 s[50:51], 5, v51
	v_cmp_eq_u32_e64 s[78:79], 11, v51
	;; [unrolled: 1-line block ×3, first 2 shown]
	v_cndmask_b32_e64 v23, v22, v11, s[50:51]
	v_cndmask_b32_e64 v22, v24, v50, s[48:49]
	;; [unrolled: 1-line block ×5, first 2 shown]
	v_cmp_eq_u32_e64 s[72:73], 8, v51
	v_cndmask_b32_e64 v24, v27, v50, s[52:53]
	v_cmp_eq_u32_e64 s[84:85], 13, v51
	v_cndmask_b32_e64 v27, v25, v8, s[72:73]
	v_cndmask_b32_e64 v25, v28, v50, s[70:71]
	v_cmp_eq_u32_e64 s[70:71], 9, v51
	v_cmp_eq_u32_e64 s[88:89], 14, v51
	;; [unrolled: 1-line block ×3, first 2 shown]
	v_cndmask_b32_e64 v28, v27, v7, s[70:71]
	v_cndmask_b32_e64 v27, v29, v50, s[56:57]
	;; [unrolled: 1-line block ×12, first 2 shown]
	ds_bpermute_b32 v33, v119, v32
	v_cndmask_b32_e64 v32, v17, v50, s[36:37]
	v_cndmask_b32_e64 v17, v32, v26, s[34:35]
	;; [unrolled: 1-line block ×16, first 2 shown]
	v_cndmask_b32_e32 v17, v17, v16, vcc
	ds_bpermute_b32 v80, v119, v17
	v_cndmask_b32_e64 v17, v50, v49, s[34:35]
	v_cndmask_b32_e64 v17, v17, v48, s[90:91]
	v_cndmask_b32_e64 v17, v17, v47, s[86:87]
	v_cndmask_b32_e64 v17, v17, v46, s[82:83]
	v_cndmask_b32_e64 v17, v17, v45, s[94:95]
	v_cndmask_b32_e64 v17, v17, v44, s[22:23]
	v_cndmask_b32_e64 v17, v17, v43, s[20:21]
	v_cndmask_b32_e64 v17, v17, v42, s[18:19]
	v_cndmask_b32_e64 v17, v17, v41, s[16:17]
	v_cndmask_b32_e64 v17, v17, v40, s[14:15]
	v_cndmask_b32_e64 v17, v17, v39, s[12:13]
	v_cndmask_b32_e64 v17, v17, v38, s[10:11]
	v_cndmask_b32_e64 v17, v17, v37, s[76:77]
	v_cndmask_b32_e64 v17, v17, v36, s[6:7]
	v_cndmask_b32_e32 v17, v17, v35, vcc
	ds_bpermute_b32 v81, v119, v17
	v_cndmask_b32_e64 v17, v66, v65, s[34:35]
	v_cndmask_b32_e64 v17, v17, v64, s[90:91]
	v_cndmask_b32_e64 v17, v17, v63, s[86:87]
	v_cndmask_b32_e64 v17, v17, v78, s[82:83]
	v_cndmask_b32_e64 v17, v17, v77, s[94:95]
	v_cndmask_b32_e64 v17, v17, v76, s[22:23]
	v_cndmask_b32_e64 v17, v17, v75, s[20:21]
	v_cndmask_b32_e64 v17, v17, v74, s[18:19]
	v_cndmask_b32_e64 v17, v17, v73, s[16:17]
	v_cndmask_b32_e64 v17, v17, v72, s[14:15]
	v_cndmask_b32_e64 v17, v17, v71, s[12:13]
	v_cndmask_b32_e64 v17, v17, v70, s[10:11]
	v_cndmask_b32_e64 v17, v17, v69, s[76:77]
	v_cndmask_b32_e64 v17, v17, v68, s[6:7]
	;; [unrolled: 16-line block ×3, first 2 shown]
	v_cndmask_b32_e32 v17, v17, v91, vcc
	ds_bpermute_b32 v83, v119, v17
	v_cmp_eq_u32_e64 s[60:61], 0, v51
	s_waitcnt lgkmcnt(4)
	v_cndmask_b32_e64 v1, v1, v33, s[92:93]
	v_cndmask_b32_e64 v2, v2, v33, s[88:89]
	v_cndmask_b32_e64 v3, v3, v33, s[84:85]
	v_cndmask_b32_e64 v4, v4, v33, s[80:81]
	v_cndmask_b32_e64 v5, v5, v33, s[78:79]
	v_cndmask_b32_e64 v6, v6, v33, s[74:75]
	v_cndmask_b32_e64 v7, v7, v33, s[70:71]
	v_cndmask_b32_e64 v8, v8, v33, s[72:73]
	v_cndmask_b32_e64 v9, v9, v33, s[68:69]
	v_cndmask_b32_e64 v10, v10, v33, s[54:55]
	v_cndmask_b32_e64 v11, v11, v33, s[50:51]
	v_cndmask_b32_e64 v12, v12, v33, s[46:47]
	v_cndmask_b32_e64 v13, v13, v33, s[44:45]
	v_cndmask_b32_e64 v14, v14, v33, s[38:39]
	v_cndmask_b32_e64 v15, v15, v33, s[40:41]
	v_cndmask_b32_e64 v0, v0, v33, s[60:61]
	s_waitcnt lgkmcnt(3)
	v_cndmask_b32_e32 v33, v16, v80, vcc
	s_waitcnt lgkmcnt(2)
	v_cndmask_b32_e32 v51, v35, v81, vcc
	;; [unrolled: 2-line block ×4, first 2 shown]
	v_cmp_eq_u32_e32 vcc, 1, v84
	v_cndmask_b32_e64 v34, v18, v80, s[6:7]
	v_cndmask_b32_e64 v52, v36, v81, s[6:7]
	v_cndmask_b32_e32 v16, v0, v15, vcc
	v_cndmask_b32_e64 v68, v68, v82, s[6:7]
	v_cndmask_b32_e64 v92, v92, v83, s[6:7]
	v_cmp_eq_u32_e64 s[6:7], 2, v84
	v_cmp_eq_u32_e64 s[36:37], 3, v84
	;; [unrolled: 1-line block ×3, first 2 shown]
	v_cndmask_b32_e64 v16, v16, v14, s[6:7]
	v_cndmask_b32_e64 v16, v16, v13, s[36:37]
	;; [unrolled: 1-line block ×3, first 2 shown]
	v_cmp_eq_u32_e64 s[52:53], 5, v84
	v_cmp_eq_u32_e64 s[56:57], 6, v84
	;; [unrolled: 1-line block ×3, first 2 shown]
	v_cndmask_b32_e64 v16, v16, v11, s[52:53]
	v_cndmask_b32_e64 v16, v16, v10, s[56:57]
	;; [unrolled: 1-line block ×3, first 2 shown]
	v_cmp_eq_u32_e64 s[62:63], 8, v84
	v_cndmask_b32_e64 v35, v19, v80, s[76:77]
	v_cndmask_b32_e64 v53, v37, v81, s[76:77]
	v_cndmask_b32_e64 v16, v16, v8, s[62:63]
	v_cndmask_b32_e64 v69, v69, v82, s[76:77]
	v_cndmask_b32_e64 v93, v93, v83, s[76:77]
	v_cndmask_b32_e64 v16, v16, v7, s[64:65]
	v_cmp_eq_u32_e64 s[76:77], 10, v84
	v_cmp_eq_u32_e64 s[66:67], 11, v84
	v_cndmask_b32_e64 v29, v29, v80, s[82:83]
	v_cndmask_b32_e64 v16, v16, v6, s[76:77]
	;; [unrolled: 1-line block ×6, first 2 shown]
	v_cmp_eq_u32_e64 s[82:83], 12, v84
	v_cndmask_b32_e64 v30, v30, v80, s[86:87]
	v_cndmask_b32_e64 v47, v47, v81, s[86:87]
	v_cndmask_b32_e64 v16, v16, v4, s[82:83]
	v_cndmask_b32_e64 v63, v63, v82, s[86:87]
	v_cndmask_b32_e64 v122, v86, v83, s[86:87]
	v_cmp_eq_u32_e64 s[86:87], 13, v84
	v_cndmask_b32_e64 v31, v31, v80, s[90:91]
	v_cndmask_b32_e64 v48, v48, v81, s[90:91]
	v_cndmask_b32_e64 v16, v16, v3, s[86:87]
	v_cndmask_b32_e64 v79, v64, v82, s[90:91]
	v_cndmask_b32_e64 v123, v87, v83, s[90:91]
	;; [unrolled: 6-line block ×3, first 2 shown]
	v_cmp_eq_u32_e64 s[94:95], 15, v84
	v_cndmask_b32_e64 v58, v42, v81, s[18:19]
	v_cndmask_b32_e64 v42, v26, v80, s[34:35]
	;; [unrolled: 1-line block ×3, first 2 shown]
	ds_bpermute_b32 v26, v119, v16
	v_cndmask_b32_e64 v32, v32, v80, s[8:9]
	v_cndmask_b32_e64 v27, v27, v80, s[22:23]
	;; [unrolled: 1-line block ×4, first 2 shown]
	s_waitcnt lgkmcnt(0)
	v_cndmask_b32_e64 v16, v3, v26, s[86:87]
	v_cndmask_b32_e64 v3, v32, v42, s[40:41]
	;; [unrolled: 1-line block ×26, first 2 shown]
	ds_bpermute_b32 v107, v119, v3
	v_cndmask_b32_e64 v3, v50, v49, s[40:41]
	v_cndmask_b32_e64 v3, v3, v48, s[38:39]
	;; [unrolled: 1-line block ×19, first 2 shown]
	ds_bpermute_b32 v109, v119, v3
	v_cndmask_b32_e64 v3, v87, v86, s[40:41]
	v_cndmask_b32_e64 v3, v3, v79, s[38:39]
	;; [unrolled: 1-line block ×24, first 2 shown]
	ds_bpermute_b32 v110, v119, v3
	v_cndmask_b32_e64 v3, v125, v124, s[40:41]
	v_cndmask_b32_e64 v3, v3, v123, s[38:39]
	;; [unrolled: 1-line block ×18, first 2 shown]
	v_cmp_eq_u32_e64 s[42:43], 0, v84
	v_cndmask_b32_e64 v3, v3, v94, s[80:81]
	v_cndmask_b32_e64 v1, v1, v26, s[94:95]
	;; [unrolled: 1-line block ×14, first 2 shown]
	v_cndmask_b32_e32 v15, v15, v26, vcc
	v_cndmask_b32_e64 v3, v3, v93, s[84:85]
	v_cndmask_b32_e64 v26, v0, v26, s[42:43]
	v_cmp_eq_u32_e64 s[8:9], 1, v112
	v_cndmask_b32_e64 v3, v3, v92, s[88:89]
	v_cmp_eq_u32_e64 s[10:11], 2, v112
	v_cndmask_b32_e64 v0, v26, v15, s[8:9]
	v_cndmask_b32_e64 v3, v3, v91, s[92:93]
	;; [unrolled: 1-line block ×3, first 2 shown]
	v_cmp_eq_u32_e64 s[12:13], 3, v112
	ds_bpermute_b32 v111, v119, v3
	v_cmp_eq_u32_e64 s[14:15], 4, v112
	v_cndmask_b32_e64 v0, v0, v13, s[12:13]
	v_cmp_eq_u32_e64 s[16:17], 5, v112
	v_cndmask_b32_e64 v0, v0, v12, s[14:15]
	;; [unrolled: 2-line block ×5, first 2 shown]
	s_waitcnt lgkmcnt(1)
	v_cndmask_b32_e64 v89, v67, v110, s[92:93]
	s_waitcnt lgkmcnt(0)
	v_cndmask_b32_e64 v80, v95, v111, s[78:79]
	v_cndmask_b32_e64 v46, v39, v107, s[70:71]
	;; [unrolled: 1-line block ×6, first 2 shown]
	v_cmp_eq_u32_e64 s[70:71], 9, v112
	v_cndmask_b32_e64 v64, v54, v109, s[80:81]
	v_cndmask_b32_e64 v81, v96, v111, s[74:75]
	;; [unrolled: 1-line block ×7, first 2 shown]
	v_cmp_eq_u32_e64 s[72:73], 10, v112
	v_cndmask_b32_e64 v116, v94, v111, s[80:81]
	v_cndmask_b32_e64 v45, v38, v107, s[74:75]
	;; [unrolled: 1-line block ×5, first 2 shown]
	v_cmp_eq_u32_e64 s[74:75], 11, v112
	v_cndmask_b32_e64 v85, v93, v111, s[84:85]
	v_cndmask_b32_e64 v44, v37, v107, s[78:79]
	;; [unrolled: 1-line block ×5, first 2 shown]
	v_cmp_eq_u32_e64 s[78:79], 12, v112
	v_cmp_eq_u32_e64 s[34:35], 13, v112
	v_cndmask_b32_e64 v126, v91, v111, s[92:93]
	v_cndmask_b32_e64 v0, v0, v17, s[78:79]
	;; [unrolled: 1-line block ×9, first 2 shown]
	v_cmp_eq_u32_e64 s[38:39], 14, v112
	v_cndmask_b32_e64 v102, v29, v107, s[46:47]
	v_cndmask_b32_e64 v105, v62, v109, s[46:47]
	;; [unrolled: 1-line block ×5, first 2 shown]
	v_cmp_eq_u32_e64 s[46:47], 15, v112
	v_cndmask_b32_e64 v56, v27, v107, s[54:55]
	v_cndmask_b32_e64 v33, v33, v107, s[92:93]
	v_cndmask_b32_e64 v0, v0, v1, s[46:47]
	ds_bpermute_b32 v27, v119, v0
	v_cndmask_b32_e64 v34, v34, v107, s[88:89]
	v_cndmask_b32_e64 v35, v35, v107, s[84:85]
	;; [unrolled: 1-line block ×7, first 2 shown]
	s_waitcnt lgkmcnt(0)
	v_cndmask_b32_e64 v0, v12, v27, s[14:15]
	v_cndmask_b32_e64 v12, v32, v107, s[60:61]
	scratch_load_dword v107, off, off offset:52 ; 4-byte Folded Reload
	v_cndmask_b32_e64 v11, v17, v27, s[78:79]
	v_cndmask_b32_e64 v17, v18, v27, s[74:75]
	;; [unrolled: 1-line block ×8, first 2 shown]
	v_cndmask_b32_e32 v24, v12, v3, vcc
	v_cndmask_b32_e64 v24, v24, v73, s[6:7]
	v_cndmask_b32_e64 v24, v24, v121, s[36:37]
	;; [unrolled: 1-line block ×18, first 2 shown]
	ds_bpermute_b32 v29, v119, v24
	v_cndmask_b32_e32 v24, v13, v4, vcc
	v_cndmask_b32_e64 v90, v68, v110, s[88:89]
	v_cndmask_b32_e64 v68, v59, v109, s[68:69]
	;; [unrolled: 1-line block ×27, first 2 shown]
	ds_bpermute_b32 v30, v119, v24
	v_cndmask_b32_e32 v24, v15, v5, vcc
	v_cndmask_b32_e64 v63, v63, v110, s[44:45]
	v_cndmask_b32_e64 v24, v24, v14, s[6:7]
	;; [unrolled: 1-line block ×21, first 2 shown]
	ds_bpermute_b32 v62, v119, v24
	v_cndmask_b32_e32 v24, v28, v7, vcc
	v_cndmask_b32_e64 v71, v122, v111, s[44:45]
	v_cndmask_b32_e64 v24, v24, v6, s[6:7]
	;; [unrolled: 1-line block ×17, first 2 shown]
	v_cmp_eq_u32_e64 s[40:41], 0, v112
	ds_bpermute_b32 v75, v119, v24
	s_waitcnt vmcnt(0)
	v_cmp_eq_u32_e64 s[44:45], 1, v107
	v_cndmask_b32_e64 v24, v26, v27, s[40:41]
	v_cndmask_b32_e64 v9, v2, v27, s[38:39]
	;; [unrolled: 1-line block ×3, first 2 shown]
	s_waitcnt lgkmcnt(3)
	v_cndmask_b32_e64 v31, v33, v29, s[94:95]
	v_cndmask_b32_e64 v33, v24, v16, s[44:45]
	v_cmp_eq_u32_e64 s[50:51], 2, v107
	v_cndmask_b32_e64 v47, v34, v29, s[90:91]
	v_cmp_eq_u32_e64 s[54:55], 3, v107
	v_cndmask_b32_e64 v34, v33, v2, s[50:51]
	v_cndmask_b32_e64 v61, v35, v29, s[86:87]
	;; [unrolled: 1-line block ×3, first 2 shown]
	v_cmp_eq_u32_e64 s[60:61], 4, v107
	s_waitcnt lgkmcnt(2)
	v_cndmask_b32_e64 v26, v51, v30, s[94:95]
	v_cndmask_b32_e64 v74, v44, v29, s[66:67]
	;; [unrolled: 1-line block ×4, first 2 shown]
	s_waitcnt lgkmcnt(1)
	v_cndmask_b32_e64 v35, v93, v62, s[66:67]
	s_waitcnt lgkmcnt(0)
	v_cndmask_b32_e64 v51, v80, v75, s[66:67]
	v_cmp_eq_u32_e64 s[66:67], 5, v107
	v_cmp_eq_u32_e64 s[68:69], 6, v107
	v_cndmask_b32_e64 v37, v53, v30, s[86:87]
	v_cndmask_b32_e64 v41, v40, v23, s[66:67]
	v_cndmask_b32_e64 v42, v41, v22, s[68:69]
	v_cndmask_b32_e64 v77, v46, v29, s[64:65]
	v_cndmask_b32_e64 v41, v67, v30, s[64:65]
	v_cndmask_b32_e64 v53, v95, v62, s[64:65]
	v_cndmask_b32_e64 v65, v82, v75, s[64:65]
	v_cmp_eq_u32_e64 s[64:65], 7, v107
	v_cndmask_b32_e64 v72, v43, v29, s[82:83]
	v_cndmask_b32_e64 v40, v66, v30, s[76:77]
	;; [unrolled: 1-line block ×7, first 2 shown]
	v_cmp_eq_u32_e64 s[62:63], 8, v107
	v_cndmask_b32_e64 v86, v55, v29, s[58:59]
	v_cndmask_b32_e64 v55, v97, v62, s[58:59]
	v_cndmask_b32_e64 v44, v43, v20, s[62:63]
	v_cndmask_b32_e64 v43, v68, v30, s[58:59]
	v_cndmask_b32_e64 v67, v104, v75, s[58:59]
	v_cmp_eq_u32_e64 s[58:59], 9, v107
	v_cndmask_b32_e64 v76, v45, v29, s[76:77]
	v_cndmask_b32_e64 v87, v56, v29, s[56:57]
	v_cndmask_b32_e64 v45, v44, v19, s[58:59]
	v_cndmask_b32_e64 v44, v69, v30, s[56:57]
	v_cndmask_b32_e64 v56, v98, v62, s[56:57]
	v_cndmask_b32_e64 v68, v100, v75, s[56:57]
	v_cmp_eq_u32_e64 s[56:57], 10, v107
	v_cndmask_b32_e64 v27, v89, v62, s[94:95]
	;; [unrolled: 7-line block ×3, first 2 shown]
	v_cndmask_b32_e64 v58, v106, v62, s[48:49]
	v_cndmask_b32_e64 v79, v46, v17, s[52:53]
	;; [unrolled: 1-line block ×4, first 2 shown]
	v_cmp_eq_u32_e64 s[48:49], 12, v107
	v_cndmask_b32_e64 v38, v64, v30, s[82:83]
	v_cndmask_b32_e64 v64, v81, v75, s[76:77]
	;; [unrolled: 1-line block ×7, first 2 shown]
	v_cmp_eq_u32_e64 s[36:37], 13, v107
	v_cndmask_b32_e64 v83, v73, v29, s[6:7]
	v_cndmask_b32_e64 v60, v60, v30, s[6:7]
	;; [unrolled: 1-line block ×5, first 2 shown]
	v_cmp_eq_u32_e64 s[6:7], 14, v107
	v_cndmask_b32_e64 v32, v90, v62, s[90:91]
	v_cndmask_b32_e64 v48, v84, v75, s[90:91]
	;; [unrolled: 1-line block ×4, first 2 shown]
	v_cndmask_b32_e32 v82, v3, v29, vcc
	v_cndmask_b32_e32 v84, v4, v30, vcc
	;; [unrolled: 1-line block ×4, first 2 shown]
	v_cmp_eq_u32_e32 vcc, 15, v107
	v_cndmask_b32_e64 v29, v12, v29, s[42:43]
	v_cndmask_b32_e64 v33, v91, v62, s[86:87]
	v_cndmask_b32_e32 v3, v6, v8, vcc
	ds_bpermute_b32 v91, v119, v3
	v_cndmask_b32_e64 v3, v29, v82, s[8:9]
	v_cndmask_b32_e64 v3, v3, v83, s[10:11]
	;; [unrolled: 1-line block ×25, first 2 shown]
	s_waitcnt lgkmcnt(0)
	v_cndmask_b32_e64 v12, v11, v91, s[48:49]
	v_cndmask_b32_e64 v11, v17, v91, s[52:53]
	ds_bpermute_b32 v17, v119, v3
	v_cndmask_b32_e64 v28, v28, v58, s[14:15]
	v_cndmask_b32_e64 v28, v28, v57, s[16:17]
	;; [unrolled: 1-line block ×6, first 2 shown]
	v_cndmask_b32_e32 v15, v8, v91, vcc
	v_cndmask_b32_e64 v14, v9, v91, s[6:7]
	v_cndmask_b32_e64 v13, v10, v91, s[36:37]
	;; [unrolled: 1-line block ×10, first 2 shown]
	s_waitcnt lgkmcnt(0)
	v_cndmask_b32_e64 v16, v31, v17, s[46:47]
	v_cndmask_b32_e64 v18, v47, v17, s[38:39]
	;; [unrolled: 1-line block ×34, first 2 shown]
	v_cmp_eq_u32_e64 s[42:43], 0, v107
	scratch_load_dwordx2 v[106:107], off, off ; 8-byte Folded Reload
	scratch_load_dword v104, off, off offset:16 ; 4-byte Folded Reload
	scratch_load_dword v105, off, off offset:20 ; 4-byte Folded Reload
	;; [unrolled: 1-line block ×3, first 2 shown]
	v_cndmask_b32_e64 v0, v0, v72, s[68:69]
	v_cndmask_b32_e64 v17, v17, v43, s[20:21]
	;; [unrolled: 1-line block ×5, first 2 shown]
	ds_bpermute_b32 v82, v119, v28
	v_cndmask_b32_e64 v28, v75, v90, s[8:9]
	v_cndmask_b32_e64 v0, v0, v47, s[62:63]
	;; [unrolled: 1-line block ×22, first 2 shown]
	ds_bpermute_b32 v17, v119, v17
	v_cndmask_b32_e64 v28, v28, v65, s[70:71]
	v_cndmask_b32_e32 v0, v0, v16, vcc
	v_cndmask_b32_e64 v28, v28, v64, s[72:73]
	ds_bpermute_b32 v86, v119, v0
	v_cndmask_b32_e64 v28, v28, v51, s[74:75]
	v_cndmask_b32_e64 v28, v28, v50, s[78:79]
	;; [unrolled: 1-line block ×4, first 2 shown]
	s_waitcnt lgkmcnt(1)
	v_cndmask_b32_e64 v84, v84, v17, s[8:9]
	v_cndmask_b32_e64 v92, v92, v17, s[40:41]
	;; [unrolled: 1-line block ×3, first 2 shown]
	s_waitcnt lgkmcnt(0)
	v_cndmask_b32_e32 v31, v16, v86, vcc
	v_cndmask_b32_e64 v60, v60, v17, s[10:11]
	v_cndmask_b32_e64 v16, v92, v84, s[44:45]
	ds_bpermute_b32 v83, v119, v28
	v_cndmask_b32_e64 v79, v79, v17, s[12:13]
	v_cndmask_b32_e64 v16, v16, v60, s[50:51]
	;; [unrolled: 1-line block ×20, first 2 shown]
	s_waitcnt lgkmcnt(0)
	v_cndmask_b32_e64 v93, v25, v83, s[46:47]
	v_cndmask_b32_e64 v25, v23, v86, s[58:59]
	;; [unrolled: 1-line block ×18, first 2 shown]
	v_cndmask_b32_e32 v16, v16, v87, vcc
	ds_bpermute_b32 v94, v119, v16
	v_cndmask_b32_e64 v30, v18, v86, s[6:7]
	v_cndmask_b32_e64 v29, v19, v86, s[36:37]
	;; [unrolled: 1-line block ×7, first 2 shown]
	s_waitcnt lgkmcnt(0)
	v_cndmask_b32_e64 v45, v37, v94, s[36:37]
	v_cndmask_b32_e64 v44, v38, v94, s[48:49]
	;; [unrolled: 1-line block ×37, first 2 shown]
	v_cndmask_b32_e32 v32, v32, v89, vcc
	v_cndmask_b32_e32 v47, v87, v94, vcc
	ds_bpermute_b32 v87, v119, v32
	v_cndmask_b32_e64 v46, v36, v94, s[6:7]
	v_cndmask_b32_e64 v36, v91, v94, s[60:61]
	;; [unrolled: 1-line block ×4, first 2 shown]
	s_waitcnt lgkmcnt(0)
	v_cndmask_b32_e32 v63, v89, v87, vcc
	v_cndmask_b32_e64 v62, v61, v87, s[6:7]
	v_cndmask_b32_e64 v61, v72, v87, s[36:37]
	;; [unrolled: 1-line block ×35, first 2 shown]
	v_cndmask_b32_e32 v48, v48, v93, vcc
	v_cndmask_b32_e64 v32, v92, v94, s[42:43]
	ds_bpermute_b32 v92, v119, v48
	v_cndmask_b32_e64 v57, v53, v87, s[58:59]
	v_cndmask_b32_e64 v53, v78, v87, s[66:67]
	v_readlane_b32 s80, v127, 24
	v_cndmask_b32_e64 v56, v54, v87, s[62:63]
	s_waitcnt lgkmcnt(0)
	v_cndmask_b32_e64 v78, v72, v92, s[6:7]
	v_readlane_b32 s6, v127, 27
	v_cndmask_b32_e64 v54, v77, v87, s[68:69]
	v_cndmask_b32_e64 v48, v82, v87, s[42:43]
	;; [unrolled: 1-line block ×5, first 2 shown]
	v_readlane_b32 s7, v127, 28
	v_readlane_b32 s34, v127, 10
	;; [unrolled: 1-line block ×4, first 2 shown]
	s_mov_b32 s76, 0
	s_max_i32 s77, s80, 0
	v_cndmask_b32_e64 v41, v41, v94, s[58:59]
	v_cndmask_b32_e64 v35, v79, v94, s[54:55]
	;; [unrolled: 1-line block ×6, first 2 shown]
	v_cndmask_b32_e32 v79, v93, v92, vcc
	v_cndmask_b32_e64 v76, v76, v92, s[48:49]
	v_cndmask_b32_e64 v75, v80, v92, s[52:53]
	;; [unrolled: 1-line block ×11, first 2 shown]
	s_waitcnt vmcnt(3)
	v_lshl_add_u64 v[86:87], s[6:7], 0, v[106:107]
	s_mov_b64 s[6:7], 0
	s_mov_b32 s12, 0
	v_readlane_b32 s35, v127, 11
	v_readlane_b32 s37, v127, 13
	;; [unrolled: 1-line block ×11, first 2 shown]
                                        ; implicit-def: $sgpr8_sgpr9
	s_branch .LBB122_34
.LBB122_33:                             ;   in Loop: Header=BB122_34 Depth=2
	s_or_b64 exec, exec, s[10:11]
	s_and_b64 s[10:11], exec, s[8:9]
	s_or_b64 s[6:7], s[10:11], s[6:7]
	s_andn2_b64 exec, exec, s[6:7]
	s_cbranch_execz .LBB122_36
.LBB122_34:                             ;   Parent Loop BB122_7 Depth=1
                                        ; =>  This Inner Loop Header: Depth=2
	s_and_b32 s10, s12, 2
	s_and_b32 s11, s76, 24
	s_or_b32 s10, s11, s10
	s_waitcnt vmcnt(0)
	v_or_b32_e32 v80, s10, v108
	v_add_u32_e32 v81, s77, v80
	v_cmp_gt_u32_e32 vcc, 32, v81
	s_or_b64 s[8:9], s[8:9], exec
	s_and_saveexec_b64 s[10:11], vcc
	s_cbranch_execz .LBB122_33
; %bb.35:                               ;   in Loop: Header=BB122_34 Depth=2
	s_add_i32 s13, s12, 1
	s_set_gpr_idx_on s12, gpr_idx(SRC0)
	v_mov_b32_e32 v81, v0
	s_set_gpr_idx_off
	v_cvt_f16_f32_e32 v82, v81
	s_set_gpr_idx_on s13, gpr_idx(SRC0)
	v_mov_b32_e32 v81, v0
	s_set_gpr_idx_off
	v_cvt_f16_f32_sdwa v83, v81 dst_sel:WORD_1 dst_unused:UNUSED_PAD src0_sel:DWORD
	v_mul_lo_u32 v80, v80, s25
	v_ashrrev_i32_e32 v81, 31, v80
	v_lshl_add_u64 v[80:81], v[80:81], 1, v[86:87]
	v_or_b32_e32 v82, v83, v82
	;;#ASMSTART
	global_atomic_pk_add_f16 v[80:81], v82, off
	
	;;#ASMEND
	s_set_gpr_idx_on s12, gpr_idx(SRC0)
	v_mov_b32_e32 v82, v16
	s_set_gpr_idx_off
	v_cvt_f16_f32_e32 v84, v82
	s_set_gpr_idx_on s13, gpr_idx(SRC0)
	v_mov_b32_e32 v82, v16
	s_set_gpr_idx_off
	v_cvt_f16_f32_sdwa v85, v82 dst_sel:WORD_1 dst_unused:UNUSED_PAD src0_sel:DWORD
	v_lshl_add_u64 v[82:83], v[80:81], 0, 64
	s_mov_b64 s[14:15], 0x80
	s_add_i32 s76, s76, 4
	v_or_b32_e32 v84, v85, v84
	;;#ASMSTART
	global_atomic_pk_add_f16 v[82:83], v84, off
	
	;;#ASMEND
	s_set_gpr_idx_on s12, gpr_idx(SRC0)
	v_mov_b32_e32 v82, v32
	s_set_gpr_idx_off
	v_cvt_f16_f32_e32 v84, v82
	s_set_gpr_idx_on s13, gpr_idx(SRC0)
	v_mov_b32_e32 v82, v32
	s_set_gpr_idx_off
	v_cvt_f16_f32_sdwa v85, v82 dst_sel:WORD_1 dst_unused:UNUSED_PAD src0_sel:DWORD
	v_lshl_add_u64 v[82:83], v[80:81], 0, s[14:15]
	s_mov_b64 s[14:15], 0xc0
	v_or_b32_e32 v84, v85, v84
	;;#ASMSTART
	global_atomic_pk_add_f16 v[82:83], v84, off
	
	;;#ASMEND
	s_set_gpr_idx_on s12, gpr_idx(SRC0)
	v_mov_b32_e32 v82, v48
	s_set_gpr_idx_off
	v_cvt_f16_f32_e32 v84, v82
	s_set_gpr_idx_on s13, gpr_idx(SRC0)
	v_mov_b32_e32 v82, v48
	s_set_gpr_idx_off
	v_cvt_f16_f32_sdwa v85, v82 dst_sel:WORD_1 dst_unused:UNUSED_PAD src0_sel:DWORD
	v_lshl_add_u64 v[82:83], v[80:81], 0, s[14:15]
	s_mov_b64 s[14:15], 0x100
	v_lshl_add_u64 v[80:81], v[80:81], 0, s[14:15]
	v_or_b32_e32 v84, v85, v84
	;;#ASMSTART
	global_atomic_pk_add_f16 v[82:83], v84, off
	
	;;#ASMEND
	s_set_gpr_idx_on s12, gpr_idx(SRC0)
	v_mov_b32_e32 v82, v64
	s_set_gpr_idx_off
	v_cvt_f16_f32_e32 v82, v82
	s_set_gpr_idx_on s13, gpr_idx(SRC0)
	v_mov_b32_e32 v83, v64
	s_set_gpr_idx_off
	s_add_i32 s12, s12, 2
	v_cvt_f16_f32_sdwa v83, v83 dst_sel:WORD_1 dst_unused:UNUSED_PAD src0_sel:DWORD
	s_cmp_eq_u32 s12, 16
	s_cselect_b64 s[14:15], -1, 0
	s_andn2_b64 s[8:9], s[8:9], exec
	s_and_b64 s[14:15], s[14:15], exec
	s_or_b64 s[8:9], s[8:9], s[14:15]
	v_or_b32_e32 v82, v83, v82
	;;#ASMSTART
	global_atomic_pk_add_f16 v[80:81], v82, off
	
	;;#ASMEND
	s_branch .LBB122_33
.LBB122_36:                             ;   in Loop: Header=BB122_7 Depth=1
	s_or_b64 exec, exec, s[6:7]
	scratch_load_dword v21, off, off offset:8 ; 4-byte Folded Reload
	scratch_load_dword v102, off, off offset:12 ; 4-byte Folded Reload
	scratch_load_dwordx2 v[22:23], off, off offset:56 ; 8-byte Folded Reload
	scratch_load_dword v24, off, off offset:72 ; 4-byte Folded Reload
	scratch_load_dword v25, off, off offset:76 ; 4-byte Folded Reload
	v_readlane_b32 s16, v127, 2
	v_readlane_b32 s14, v127, 0
	;; [unrolled: 1-line block ×12, first 2 shown]
.LBB122_37:                             ;   in Loop: Header=BB122_7 Depth=1
	s_or_b64 exec, exec, s[0:1]
.LBB122_38:                             ;   in Loop: Header=BB122_7 Depth=1
	s_andn2_saveexec_b64 s[0:1], s[4:5]
	s_cbranch_execz .LBB122_47
; %bb.39:                               ;   in Loop: Header=BB122_7 Depth=1
	s_mul_i32 s12, s33, 5
	v_cmp_gt_i32_e32 vcc, s12, v120
	s_and_saveexec_b64 s[4:5], vcc
	s_cbranch_execz .LBB122_46
; %bb.40:                               ;   in Loop: Header=BB122_7 Depth=1
	scratch_load_dwordx2 v[0:1], off, off offset:64 ; 8-byte Folded Reload
	s_mul_i32 s6, s72, s27
	s_ashr_i32 s7, s6, 31
	s_add_u32 s6, s18, s6
	s_addc_u32 s7, s19, s7
	s_ashr_i32 s8, s47, 31
	s_add_u32 s6, s6, s47
	s_addc_u32 s7, s7, s8
	s_waitcnt vmcnt(0)
	v_lshl_add_u64 v[0:1], s[6:7], 0, v[0:1]
	v_lshl_add_u64 v[16:17], v[0:1], 0, v[22:23]
	s_mov_b64 s[6:7], 0
	s_branch .LBB122_42
.LBB122_41:                             ;   in Loop: Header=BB122_42 Depth=2
	s_or_b64 exec, exec, s[8:9]
	v_lshl_or_b32 v20, v18, 12, v24
	;;#ASMSTART
	s_waitcnt vmcnt(3)
	;;#ASMEND
	ds_write2_b32 v20, v12, v13 offset1:32
	ds_write2_b32 v20, v14, v15 offset0:64 offset1:96
	v_add_u32_e32 v12, 0x400, v20
	;;#ASMSTART
	s_waitcnt vmcnt(2)
	;;#ASMEND
	ds_write2_b32 v12, v8, v9 offset1:32
	ds_write2_b32 v12, v10, v11 offset0:64 offset1:96
	v_add_u32_e32 v8, 0x800, v20
	;; [unrolled: 6-line block ×3, first 2 shown]
	v_add_u32_e32 v120, s30, v120
	;;#ASMSTART
	s_waitcnt vmcnt(0)
	;;#ASMEND
	ds_write2_b32 v4, v0, v1 offset1:32
	ds_write2_b32 v4, v2, v3 offset0:64 offset1:96
	v_add_u32_e32 v0, 1, v103
	v_add_u32_e32 v88, s30, v18
	v_cmp_le_i32_e32 vcc, s12, v120
	ds_write_b32 v19, v0 offset:8
	v_add_u32_e32 v0, 2, v103
	s_or_b64 s[6:7], vcc, s[6:7]
	v_cmp_lt_i32_e32 vcc, 9, v88
	s_nop 1
	v_cndmask_b32_e32 v103, v103, v0, vcc
	s_andn2_b64 exec, exec, s[6:7]
	s_cbranch_execz .LBB122_45
.LBB122_42:                             ;   Parent Loop BB122_7 Depth=1
                                        ; =>  This Loop Header: Depth=2
                                        ;       Child Loop BB122_44 Depth 3
	v_cmp_gt_i32_e32 vcc, 10, v88
	s_mov_b32 s8, 0x66666667
	s_nop 0
	v_cndmask_b32_e64 v0, -10, 0, vcc
	v_add_u32_e32 v18, v0, v88
	v_mul_hi_i32 v0, v120, s8
	v_lshrrev_b32_e32 v1, 31, v0
	v_ashrrev_i32_e32 v0, 1, v0
	v_add_u32_e32 v0, v0, v1
	v_lshl_add_u32 v1, v0, 2, v0
	v_sub_u32_e32 v2, v120, v1
	v_lshlrev_b32_e32 v0, 7, v0
	v_ashrrev_i32_e32 v1, 31, v0
	v_mul_lo_u32 v2, s98, v2
	v_lshl_add_u64 v[0:1], v[16:17], 0, v[0:1]
	v_ashrrev_i32_e32 v3, 31, v2
	v_lshl_add_u64 v[0:1], v[0:1], 0, v[2:3]
	v_lshlrev_b32_e32 v19, 2, v18
	;;#ASMSTART
	global_load_dwordx4 v[12:15], v[0:1], off offset:0   sc0 sc1 nt  
	global_load_dwordx4 v[8:11], v[0:1], off offset:32  sc0 sc1 nt  
	global_load_dwordx4 v[4:7], v[0:1], off offset:64  sc0 sc1 nt  
	;; [unrolled: 1-line block ×3, first 2 shown]
	
	;;#ASMEND
	ds_read_b32 v20, v19 offset:49160
	v_add_u32_e32 v19, 0xc000, v19
	s_waitcnt lgkmcnt(0)
	v_cmp_ne_u32_e32 vcc, v20, v103
	s_and_saveexec_b64 s[8:9], vcc
	s_cbranch_execz .LBB122_41
; %bb.43:                               ;   in Loop: Header=BB122_42 Depth=2
	s_mov_b64 s[10:11], 0
.LBB122_44:                             ;   Parent Loop BB122_7 Depth=1
                                        ;     Parent Loop BB122_42 Depth=2
                                        ; =>    This Inner Loop Header: Depth=3
	;;#ASMSTART
	s_sleep 0
	;;#ASMEND
	ds_read_b32 v20, v19 offset:8
	s_waitcnt lgkmcnt(0)
	v_cmp_eq_u32_e32 vcc, v20, v103
	s_or_b64 s[10:11], vcc, s[10:11]
	s_andn2_b64 exec, exec, s[10:11]
	s_cbranch_execnz .LBB122_44
	s_branch .LBB122_41
.LBB122_45:                             ;   in Loop: Header=BB122_7 Depth=1
	s_or_b64 exec, exec, s[6:7]
.LBB122_46:                             ;   in Loop: Header=BB122_7 Depth=1
	s_or_b64 exec, exec, s[4:5]
	v_subrev_u32_e32 v120, s12, v120
.LBB122_47:                             ;   in Loop: Header=BB122_7 Depth=1
	s_or_b64 exec, exec, s[0:1]
.LBB122_48:                             ;   in Loop: Header=BB122_7 Depth=1
	s_andn2_saveexec_b64 s[0:1], s[96:97]
	s_cbranch_execz .LBB122_6
; %bb.49:                               ;   in Loop: Header=BB122_7 Depth=1
	v_cmp_gt_i32_e32 vcc, s33, v120
	s_and_saveexec_b64 s[4:5], vcc
	s_cbranch_execz .LBB122_5
; %bb.50:                               ;   in Loop: Header=BB122_7 Depth=1
	s_mul_i32 s3, s3, s26
	s_ashr_i32 s6, s3, 31
	s_add_u32 s3, s16, s3
	s_addc_u32 s7, s17, s6
	s_ashr_i32 s8, s47, 31
	s_waitcnt vmcnt(3)
	v_mul_lo_u32 v0, s26, v102
	s_waitcnt vmcnt(0)
	v_cmp_le_i32_e32 vcc, s80, v25
	s_add_u32 s6, s3, s47
	s_addc_u32 s7, s7, s8
	v_cndmask_b32_e32 v0, 0, v0, vcc
	v_ashrrev_i32_e32 v1, 31, v0
	v_lshl_add_u64 v[0:1], s[6:7], 0, v[0:1]
	v_lshl_add_u64 v[16:17], v[0:1], 0, v[22:23]
	s_mov_b64 s[6:7], 0
	s_branch .LBB122_52
.LBB122_51:                             ;   in Loop: Header=BB122_52 Depth=2
	s_or_b64 exec, exec, s[8:9]
	v_lshl_add_u32 v20, v18, 12, v117
	;;#ASMSTART
	s_waitcnt vmcnt(3)
	;;#ASMEND
	ds_write2_b32 v20, v12, v13 offset1:32
	ds_write2_b32 v20, v14, v15 offset0:64 offset1:96
	v_add_u32_e32 v12, 0x400, v20
	;;#ASMSTART
	s_waitcnt vmcnt(2)
	;;#ASMEND
	ds_write2_b32 v12, v8, v9 offset1:32
	ds_write2_b32 v12, v10, v11 offset0:64 offset1:96
	v_add_u32_e32 v8, 0x800, v20
	;;#ASMSTART
	s_waitcnt vmcnt(1)
	;;#ASMEND
	ds_write2_b32 v8, v4, v5 offset1:32
	ds_write2_b32 v8, v6, v7 offset0:64 offset1:96
	v_add_u32_e32 v4, 0xc00, v20
	v_add_u32_e32 v120, s29, v120
	;;#ASMSTART
	s_waitcnt vmcnt(0)
	;;#ASMEND
	ds_write2_b32 v4, v0, v1 offset1:32
	ds_write2_b32 v4, v2, v3 offset0:64 offset1:96
	v_add_u32_e32 v0, 1, v103
	v_add_u32_e32 v88, s29, v18
	v_cmp_le_i32_e32 vcc, s33, v120
	ds_write_b32 v19, v0
	v_add_u32_e32 v0, 2, v103
	s_or_b64 s[6:7], vcc, s[6:7]
	v_cmp_lt_i32_e32 vcc, 1, v88
	s_nop 1
	v_cndmask_b32_e32 v103, v103, v0, vcc
	s_andn2_b64 exec, exec, s[6:7]
	s_cbranch_execz .LBB122_4
.LBB122_52:                             ;   Parent Loop BB122_7 Depth=1
                                        ; =>  This Loop Header: Depth=2
                                        ;       Child Loop BB122_54 Depth 3
	v_cmp_gt_i32_e32 vcc, 2, v88
	s_nop 1
	v_cndmask_b32_e64 v0, -2, 0, vcc
	v_add_u32_e32 v18, v0, v88
	v_lshlrev_b32_e32 v0, 7, v120
	v_ashrrev_i32_e32 v1, 31, v0
	v_lshl_add_u64 v[0:1], v[16:17], 0, v[0:1]
	v_lshlrev_b32_e32 v19, 2, v18
	;;#ASMSTART
	global_load_dwordx4 v[12:15], v[0:1], off offset:0   
	global_load_dwordx4 v[8:11], v[0:1], off offset:32  
	;; [unrolled: 1-line block ×4, first 2 shown]
	
	;;#ASMEND
	ds_read_b32 v20, v19 offset:49152
	v_add_u32_e32 v19, 0xc000, v19
	s_waitcnt lgkmcnt(0)
	v_cmp_ne_u32_e32 vcc, v20, v103
	s_and_saveexec_b64 s[8:9], vcc
	s_cbranch_execz .LBB122_51
; %bb.53:                               ;   in Loop: Header=BB122_52 Depth=2
	s_mov_b64 s[10:11], 0
.LBB122_54:                             ;   Parent Loop BB122_7 Depth=1
                                        ;     Parent Loop BB122_52 Depth=2
                                        ; =>    This Inner Loop Header: Depth=3
	;;#ASMSTART
	s_sleep 0
	;;#ASMEND
	ds_read_b32 v20, v19
	s_waitcnt lgkmcnt(0)
	v_cmp_eq_u32_e32 vcc, v20, v103
	s_or_b64 s[10:11], vcc, s[10:11]
	s_andn2_b64 exec, exec, s[10:11]
	s_cbranch_execnz .LBB122_54
	s_branch .LBB122_51
.LBB122_55:
	s_endpgm
	.section	.rodata,"a",@progbits
	.p2align	6, 0x0
	.amdhsa_kernel _Z19_skinny_gemm_kernelILi1ELi5ELi2ELi32ELi8EEvPKhS1_P6__halfPKfiiiiiiii
		.amdhsa_group_segment_fixed_size 49200
		.amdhsa_private_segment_fixed_size 88
		.amdhsa_kernarg_size 64
		.amdhsa_user_sgpr_count 2
		.amdhsa_user_sgpr_dispatch_ptr 0
		.amdhsa_user_sgpr_queue_ptr 0
		.amdhsa_user_sgpr_kernarg_segment_ptr 1
		.amdhsa_user_sgpr_dispatch_id 0
		.amdhsa_user_sgpr_kernarg_preload_length 0
		.amdhsa_user_sgpr_kernarg_preload_offset 0
		.amdhsa_user_sgpr_private_segment_size 0
		.amdhsa_uses_dynamic_stack 0
		.amdhsa_enable_private_segment 1
		.amdhsa_system_sgpr_workgroup_id_x 1
		.amdhsa_system_sgpr_workgroup_id_y 0
		.amdhsa_system_sgpr_workgroup_id_z 0
		.amdhsa_system_sgpr_workgroup_info 0
		.amdhsa_system_vgpr_workitem_id 0
		.amdhsa_next_free_vgpr 128
		.amdhsa_next_free_sgpr 100
		.amdhsa_accum_offset 128
		.amdhsa_reserve_vcc 1
		.amdhsa_float_round_mode_32 0
		.amdhsa_float_round_mode_16_64 0
		.amdhsa_float_denorm_mode_32 3
		.amdhsa_float_denorm_mode_16_64 3
		.amdhsa_dx10_clamp 1
		.amdhsa_ieee_mode 1
		.amdhsa_fp16_overflow 0
		.amdhsa_tg_split 0
		.amdhsa_exception_fp_ieee_invalid_op 0
		.amdhsa_exception_fp_denorm_src 0
		.amdhsa_exception_fp_ieee_div_zero 0
		.amdhsa_exception_fp_ieee_overflow 0
		.amdhsa_exception_fp_ieee_underflow 0
		.amdhsa_exception_fp_ieee_inexact 0
		.amdhsa_exception_int_div_zero 0
	.end_amdhsa_kernel
	.section	.text._Z19_skinny_gemm_kernelILi1ELi5ELi2ELi32ELi8EEvPKhS1_P6__halfPKfiiiiiiii,"axG",@progbits,_Z19_skinny_gemm_kernelILi1ELi5ELi2ELi32ELi8EEvPKhS1_P6__halfPKfiiiiiiii,comdat
.Lfunc_end122:
	.size	_Z19_skinny_gemm_kernelILi1ELi5ELi2ELi32ELi8EEvPKhS1_P6__halfPKfiiiiiiii, .Lfunc_end122-_Z19_skinny_gemm_kernelILi1ELi5ELi2ELi32ELi8EEvPKhS1_P6__halfPKfiiiiiiii
                                        ; -- End function
	.set _Z19_skinny_gemm_kernelILi1ELi5ELi2ELi32ELi8EEvPKhS1_P6__halfPKfiiiiiiii.num_vgpr, 128
	.set _Z19_skinny_gemm_kernelILi1ELi5ELi2ELi32ELi8EEvPKhS1_P6__halfPKfiiiiiiii.num_agpr, 0
	.set _Z19_skinny_gemm_kernelILi1ELi5ELi2ELi32ELi8EEvPKhS1_P6__halfPKfiiiiiiii.numbered_sgpr, 100
	.set _Z19_skinny_gemm_kernelILi1ELi5ELi2ELi32ELi8EEvPKhS1_P6__halfPKfiiiiiiii.num_named_barrier, 0
	.set _Z19_skinny_gemm_kernelILi1ELi5ELi2ELi32ELi8EEvPKhS1_P6__halfPKfiiiiiiii.private_seg_size, 88
	.set _Z19_skinny_gemm_kernelILi1ELi5ELi2ELi32ELi8EEvPKhS1_P6__halfPKfiiiiiiii.uses_vcc, 1
	.set _Z19_skinny_gemm_kernelILi1ELi5ELi2ELi32ELi8EEvPKhS1_P6__halfPKfiiiiiiii.uses_flat_scratch, 0
	.set _Z19_skinny_gemm_kernelILi1ELi5ELi2ELi32ELi8EEvPKhS1_P6__halfPKfiiiiiiii.has_dyn_sized_stack, 0
	.set _Z19_skinny_gemm_kernelILi1ELi5ELi2ELi32ELi8EEvPKhS1_P6__halfPKfiiiiiiii.has_recursion, 0
	.set _Z19_skinny_gemm_kernelILi1ELi5ELi2ELi32ELi8EEvPKhS1_P6__halfPKfiiiiiiii.has_indirect_call, 0
	.section	.AMDGPU.csdata,"",@progbits
; Kernel info:
; codeLenInByte = 17356
; TotalNumSgprs: 106
; NumVgprs: 128
; NumAgprs: 0
; TotalNumVgprs: 128
; ScratchSize: 88
; MemoryBound: 0
; FloatMode: 240
; IeeeMode: 1
; LDSByteSize: 49200 bytes/workgroup (compile time only)
; SGPRBlocks: 13
; VGPRBlocks: 15
; NumSGPRsForWavesPerEU: 106
; NumVGPRsForWavesPerEU: 128
; AccumOffset: 128
; Occupancy: 4
; WaveLimiterHint : 0
; COMPUTE_PGM_RSRC2:SCRATCH_EN: 1
; COMPUTE_PGM_RSRC2:USER_SGPR: 2
; COMPUTE_PGM_RSRC2:TRAP_HANDLER: 0
; COMPUTE_PGM_RSRC2:TGID_X_EN: 1
; COMPUTE_PGM_RSRC2:TGID_Y_EN: 0
; COMPUTE_PGM_RSRC2:TGID_Z_EN: 0
; COMPUTE_PGM_RSRC2:TIDIG_COMP_CNT: 0
; COMPUTE_PGM_RSRC3_GFX90A:ACCUM_OFFSET: 31
; COMPUTE_PGM_RSRC3_GFX90A:TG_SPLIT: 0
	.section	.text._Z19_skinny_gemm_kernelILi1ELi5ELi3ELi16ELi4EEvPKhS1_P6__halfPKfiiiiiiii,"axG",@progbits,_Z19_skinny_gemm_kernelILi1ELi5ELi3ELi16ELi4EEvPKhS1_P6__halfPKfiiiiiiii,comdat
	.protected	_Z19_skinny_gemm_kernelILi1ELi5ELi3ELi16ELi4EEvPKhS1_P6__halfPKfiiiiiiii ; -- Begin function _Z19_skinny_gemm_kernelILi1ELi5ELi3ELi16ELi4EEvPKhS1_P6__halfPKfiiiiiiii
	.globl	_Z19_skinny_gemm_kernelILi1ELi5ELi3ELi16ELi4EEvPKhS1_P6__halfPKfiiiiiiii
	.p2align	8
	.type	_Z19_skinny_gemm_kernelILi1ELi5ELi3ELi16ELi4EEvPKhS1_P6__halfPKfiiiiiiii,@function
_Z19_skinny_gemm_kernelILi1ELi5ELi3ELi16ELi4EEvPKhS1_P6__halfPKfiiiiiiii: ; @_Z19_skinny_gemm_kernelILi1ELi5ELi3ELi16ELi4EEvPKhS1_P6__halfPKfiiiiiiii
; %bb.0:
	v_cmp_gt_u32_e32 vcc, 18, v0
	v_lshlrev_b32_e32 v1, 2, v0
	s_and_saveexec_b64 s[4:5], vcc
; %bb.1:
	v_mov_b32_e32 v2, 0
	ds_write_b32 v1, v2 offset:36864
; %bb.2:
	s_or_b64 exec, exec, s[4:5]
	s_load_dwordx8 s[20:27], s[0:1], 0x20
	s_mov_b32 s54, 0x66666667
	s_waitcnt lgkmcnt(0)
	s_barrier
	s_add_i32 s3, s20, 15
	s_ashr_i32 s5, s3, 31
	s_lshr_b32 s5, s5, 28
	s_add_i32 s4, s21, 0x4f
	s_add_i32 s3, s3, s5
	s_ashr_i32 s33, s3, 4
	s_mul_hi_i32 s3, s4, 0x66666667
	s_lshr_b32 s4, s3, 31
	s_ashr_i32 s52, s3, 5
	s_add_i32 s52, s52, s4
	s_mul_i32 s3, s52, s33
	s_mul_i32 s3, s3, s24
	s_add_i32 s4, s3, 0x12f
	s_mul_hi_i32 s4, s4, 0x6bca1af3
	s_lshr_b32 s5, s4, 31
	s_ashr_i32 s4, s4, 7
	s_add_i32 s4, s4, s5
	s_add_i32 s5, s2, 1
	s_mul_i32 s5, s4, s5
	v_cvt_f64_i32_e32 v[2:3], s3
	v_cvt_f64_u32_e32 v[4:5], s5
	v_min_f64 v[2:3], v[2:3], v[4:5]
	v_cvt_i32_f64_e32 v21, v[2:3]
	s_mul_i32 s53, s4, s2
	v_cmp_ge_i32_e32 vcc, s53, v21
	s_cbranch_vccnz .LBB123_54
; %bb.3:
	v_lshrrev_b32_e32 v2, 6, v0
	s_add_i32 s4, s26, s25
	s_load_dwordx8 s[36:43], s[0:1], 0x0
	v_cmp_le_i32_e64 s[0:1], s4, v2
	v_mov_b32_e32 v3, s25
	v_cmp_le_i32_e64 s[2:3], s25, v2
	v_mov_b32_e32 v4, s26
	v_cndmask_b32_e64 v4, 0, v4, s[0:1]
	v_cndmask_b32_e64 v3, 0, v3, s[2:3]
	s_abs_i32 s5, s24
	v_add_u32_e32 v3, v3, v4
	v_cvt_f32_u32_e32 v4, s5
	v_sub_u32_e32 v28, v2, v3
	s_ashr_i32 s6, s22, 31
	s_lshr_b32 s6, s6, 25
	v_rcp_iflag_f32_e32 v3, v4
	s_sub_i32 s9, 0, s5
	s_add_i32 s6, s22, s6
	s_ashr_i32 s6, s6, 7
	v_mul_f32_e32 v3, 0x4f7ffffe, v3
	v_cvt_u32_f32_e32 v3, v3
	s_abs_i32 s8, s6
	s_xor_b32 s7, s6, s24
	s_ashr_i32 s7, s7, 31
	v_readfirstlane_b32 s10, v3
	s_mul_i32 s9, s9, s10
	s_mul_hi_u32 s9, s10, s9
	s_add_i32 s10, s10, s9
	s_mul_hi_u32 s9, s8, s10
	s_mul_i32 s10, s9, s5
	s_sub_i32 s8, s8, s10
	s_add_i32 s10, s9, 1
	s_sub_i32 s11, s8, s5
	s_cmp_ge_u32 s8, s5
	s_cselect_b32 s9, s10, s9
	s_cselect_b32 s8, s11, s8
	s_add_i32 s10, s9, 1
	s_cmp_ge_u32 s8, s5
	s_cselect_b32 s5, s10, s9
	s_xor_b32 s5, s5, s7
	s_sub_i32 s55, s5, s7
	s_add_i32 s24, s24, -1
	s_mul_i32 s5, s55, s24
	s_add_i32 s4, s4, s27
	s_sub_i32 s56, s6, s5
	v_cmp_gt_i32_e64 s[4:5], s4, v2
	v_lshlrev_b32_e32 v2, 1, v0
	v_lshlrev_b32_e32 v3, 4, v0
	v_and_b32_e32 v1, 60, v1
	v_and_b32_e32 v2, 64, v2
	v_and_b32_e32 v4, 0x100, v3
	s_abs_i32 s57, s33
	v_or3_b32 v43, v1, v2, v4
	v_and_b32_e32 v1, 1, v0
	v_cvt_f32_u32_e32 v6, s57
	v_lshlrev_b32_e32 v2, 1, v1
	v_lshrrev_b32_e32 v4, 2, v0
	v_and_b32_e32 v20, 14, v0
	v_sub_u32_e32 v2, v0, v2
	v_and_or_b32 v44, v4, 12, v1
	v_bitop3_b32 v45, v0, 1, v0 bitop3:0xc
	v_bitop3_b32 v46, v0, 3, 1 bitop3:0x6c
	v_and_b32_e32 v24, 48, v3
	v_bfe_u32 v1, v0, 2, 4
	v_and_b32_e32 v3, 60, v0
	v_lshlrev_b32_e32 v5, 8, v0
	v_lshlrev_b32_e32 v0, 6, v0
	v_and_b32_e32 v5, 0x200, v5
	v_and_b32_e32 v0, 64, v0
	v_or3_b32 v49, v3, v5, v0
	v_rcp_iflag_f32_e32 v0, v6
	s_abs_i32 s59, s52
	v_mul_lo_u32 v26, s23, v1
	v_mul_lo_u32 v51, s22, v1
	v_cvt_f32_u32_e32 v1, s59
	v_mul_f32_e32 v0, 0x4f7ffffe, v0
	v_cvt_u32_f32_e32 v0, v0
	v_mad_u64_u32 v[22:23], s[6:7], s21, v44, v[20:21]
	v_rcp_iflag_f32_e32 v1, v1
	v_readfirstlane_b32 s7, v0
	s_sub_i32 s6, 0, s57
	s_mul_i32 s6, s6, s7
	v_mul_f32_e32 v0, 0x4f7ffffe, v1
	v_cvt_u32_f32_e32 v0, v0
	s_mul_hi_u32 s6, s7, s6
	v_add_u32_e32 v2, 1, v2
	s_add_i32 s61, s7, s6
	s_sub_i32 s6, 0, s59
	v_readfirstlane_b32 s7, v0
	v_mbcnt_lo_u32_b32 v0, -1, 0
	v_and_b32_e32 v2, 63, v2
	s_mul_i32 s6, s6, s7
	v_mbcnt_hi_u32_b32 v0, -1, v0
	s_mul_hi_u32 s6, s7, s6
	v_and_or_b32 v0, v0, 64, v2
	v_cndmask_b32_e64 v42, 0, 1, s[0:1]
	v_or_b32_e32 v47, 48, v20
	v_or_b32_e32 v48, 64, v20
	v_ashrrev_i32_e32 v23, 31, v22
	s_ashr_i32 s29, s21, 31
	s_mov_b32 s28, s21
	v_ashrrev_i32_e32 v27, 31, v26
	v_mov_b32_e32 v25, 0
	s_lshl_b32 s58, s23, 4
	v_bitop3_b32 v50, v4, 15, v4 bitop3:0xc
	v_or_b32_e32 v52, 0x7800, v49
	s_ashr_i32 s60, s33, 31
	s_ashr_i32 s62, s52, 31
	s_add_i32 s63, s7, s6
	s_movk_i32 s64, 0x2800
	s_mov_b64 s[30:31], 0x60
	s_mov_b64 s[34:35], 0x80
	v_lshlrev_b32_e32 v53, 2, v0
	v_mov_b32_e32 v54, v28
	s_branch .LBB123_7
.LBB123_4:                              ;   in Loop: Header=BB123_7 Depth=1
	s_or_b64 exec, exec, s[10:11]
.LBB123_5:                              ;   in Loop: Header=BB123_7 Depth=1
	s_or_b64 exec, exec, s[8:9]
	v_subrev_u32_e32 v54, s65, v54
.LBB123_6:                              ;   in Loop: Header=BB123_7 Depth=1
	s_or_b64 exec, exec, s[6:7]
	s_add_i32 s53, s53, 1
	v_cmp_ge_i32_e32 vcc, s53, v21
	s_cbranch_vccnz .LBB123_54
.LBB123_7:                              ; =>This Loop Header: Depth=1
                                        ;     Child Loop BB123_13 Depth 2
                                        ;       Child Loop BB123_15 Depth 3
                                        ;       Child Loop BB123_18 Depth 3
                                        ;       Child Loop BB123_21 Depth 3
                                        ;       Child Loop BB123_24 Depth 3
                                        ;       Child Loop BB123_27 Depth 3
                                        ;       Child Loop BB123_30 Depth 3
                                        ;     Child Loop BB123_41 Depth 2
                                        ;       Child Loop BB123_43 Depth 3
                                        ;     Child Loop BB123_51 Depth 2
                                        ;       Child Loop BB123_53 Depth 3
	s_abs_i32 s7, s53
	s_mul_hi_u32 s8, s7, s61
	s_mul_i32 s9, s8, s57
	s_ashr_i32 s6, s53, 31
	s_sub_i32 s7, s7, s9
	s_xor_b32 s6, s6, s60
	s_add_i32 s9, s8, 1
	s_sub_i32 s10, s7, s57
	s_cmp_ge_u32 s7, s57
	s_cselect_b32 s8, s9, s8
	s_cselect_b32 s7, s10, s7
	s_add_i32 s9, s8, 1
	s_cmp_ge_u32 s7, s57
	s_cselect_b32 s7, s9, s8
	s_xor_b32 s7, s7, s6
	s_sub_i32 s6, s7, s6
	s_abs_i32 s8, s6
	s_mul_i32 s7, s6, s33
	s_mul_hi_u32 s9, s8, s63
	s_sub_i32 s7, s53, s7
	s_mul_i32 s10, s9, s59
	s_lshl_b32 s66, s7, 4
	s_ashr_i32 s7, s6, 31
	s_sub_i32 s8, s8, s10
	s_xor_b32 s7, s7, s62
	s_add_i32 s10, s9, 1
	s_sub_i32 s11, s8, s59
	s_cmp_ge_u32 s8, s59
	s_cselect_b32 s9, s10, s9
	s_cselect_b32 s8, s11, s8
	s_add_i32 s10, s9, 1
	s_cmp_ge_u32 s8, s59
	s_cselect_b32 s8, s10, s9
	s_xor_b32 s8, s8, s7
	s_sub_i32 s7, s8, s7
	s_mul_i32 s8, s7, s55
	s_lshl_b32 s67, s8, 7
	s_cmp_eq_u32 s7, s24
	s_cselect_b32 s65, s56, s55
	s_sub_i32 s68, s66, s20
	s_add_i32 s68, s68, 16
	s_and_saveexec_b64 s[8:9], s[2:3]
	s_xor_b64 s[44:45], exec, s[8:9]
	s_cbranch_execz .LBB123_47
; %bb.8:                                ;   in Loop: Header=BB123_7 Depth=1
	s_mul_i32 s7, s7, s52
	s_sub_i32 s6, s6, s7
	s_mulk_i32 s6, 0x50
	s_sub_i32 s47, s6, s21
	s_addk_i32 s47, 0x50
	s_max_i32 s7, s47, 0
	s_sub_i32 s46, s6, s7
	s_and_saveexec_b64 s[6:7], s[0:1]
	s_xor_b64 s[48:49], exec, s[6:7]
	s_cbranch_execz .LBB123_37
; %bb.9:                                ;   in Loop: Header=BB123_7 Depth=1
	s_and_saveexec_b64 s[50:51], s[4:5]
	s_cbranch_execz .LBB123_36
; %bb.10:                               ;   in Loop: Header=BB123_7 Depth=1
	s_waitcnt lgkmcnt(0)
	global_load_dword v55, v25, s[42:43]
	v_mov_b32_e32 v19, 0
	v_cmp_gt_i32_e32 vcc, s65, v54
	v_mov_b32_e32 v18, v19
	v_mov_b32_e32 v17, v19
	;; [unrolled: 1-line block ×19, first 2 shown]
	s_and_saveexec_b64 s[6:7], vcc
	s_cbranch_execz .LBB123_32
; %bb.11:                               ;   in Loop: Header=BB123_7 Depth=1
	v_mov_b32_e32 v0, 0
	s_mov_b64 s[8:9], 0
	v_mov_b32_e32 v1, v0
	v_mov_b32_e32 v2, v0
	;; [unrolled: 1-line block ×19, first 2 shown]
	s_branch .LBB123_13
.LBB123_12:                             ;   in Loop: Header=BB123_13 Depth=2
	s_or_b64 exec, exec, s[10:11]
	v_add_u32_e32 v37, 0x2000, v36
	ds_read2_b32 v[38:39], v37 offset1:32
	v_add_u32_e32 v54, s27, v54
	v_cmp_le_i32_e32 vcc, s65, v54
	s_or_b64 s[8:9], vcc, s[8:9]
	s_waitcnt lgkmcnt(0)
	v_mfma_f32_16x16x32_fp8_fp8 v[0:3], v[30:31], v[38:39], v[0:3]
	ds_read2_b32 v[30:31], v37 offset0:128 offset1:160
	v_add_u32_e32 v38, 0x2400, v36
	ds_read2_b32 v[36:37], v38 offset1:32
	s_waitcnt lgkmcnt(1)
	v_mfma_f32_16x16x32_fp8_fp8 v[0:3], v[28:29], v[30:31], v[0:3]
	ds_read2_b32 v[30:31], v38 offset0:128 offset1:160
	v_add_u32_e32 v28, s27, v57
	v_add_u32_e32 v29, 2, v42
	s_waitcnt lgkmcnt(1)
	v_mfma_f32_16x16x32_fp8_fp8 v[0:3], v[34:35], v[36:37], v[0:3]
	v_cmp_lt_i32_e32 vcc, 2, v28
	;;#ASMSTART
	s_waitcnt lgkmcnt(0)
	;;#ASMEND
	ds_write_b32 v56, v58 offset:36892
	s_waitcnt lgkmcnt(1)
	v_mfma_f32_16x16x32_fp8_fp8 v[0:3], v[32:33], v[30:31], v[0:3]
	v_cndmask_b32_e32 v42, v42, v29, vcc
	s_andn2_b64 exec, exec, s[8:9]
	s_cbranch_execz .LBB123_31
.LBB123_13:                             ;   Parent Loop BB123_7 Depth=1
                                        ; =>  This Loop Header: Depth=2
                                        ;       Child Loop BB123_15 Depth 3
                                        ;       Child Loop BB123_18 Depth 3
	;; [unrolled: 1-line block ×6, first 2 shown]
	v_cmp_gt_i32_e32 vcc, 3, v28
	s_nop 1
	v_cndmask_b32_e64 v29, -3, 0, vcc
	v_add_u32_e32 v57, v29, v28
	v_mul_lo_u32 v56, v57, 20
	ds_read_b32 v28, v56 offset:36876
	s_waitcnt lgkmcnt(0)
	v_cmp_ne_u32_e32 vcc, v28, v42
	s_and_saveexec_b64 s[10:11], vcc
	s_cbranch_execz .LBB123_16
; %bb.14:                               ;   in Loop: Header=BB123_13 Depth=2
	s_mov_b64 s[12:13], 0
.LBB123_15:                             ;   Parent Loop BB123_7 Depth=1
                                        ;     Parent Loop BB123_13 Depth=2
                                        ; =>    This Inner Loop Header: Depth=3
	;;#ASMSTART
	s_sleep 0
	;;#ASMEND
	ds_read_b32 v28, v56 offset:36876
	s_waitcnt lgkmcnt(0)
	v_cmp_eq_u32_e32 vcc, v28, v42
	s_or_b64 s[12:13], vcc, s[12:13]
	s_andn2_b64 exec, exec, s[12:13]
	s_cbranch_execnz .LBB123_15
.LBB123_16:                             ;   in Loop: Header=BB123_13 Depth=2
	s_or_b64 exec, exec, s[10:11]
	v_mul_lo_u32 v59, v57, s64
	v_or_b32_e32 v28, v43, v59
	ds_read2_b32 v[32:33], v28 offset1:32
	ds_read2_b32 v[36:37], v28 offset0:128 offset1:160
	v_add_u32_e32 v28, 0x400, v28
	ds_read2_b32 v[40:41], v28 offset1:32
	ds_read2_b32 v[38:39], v28 offset0:128 offset1:160
	v_lshlrev_b32_e32 v28, 2, v57
	;;#ASMSTART
	s_waitcnt lgkmcnt(0)
	;;#ASMEND
	ds_read_b32 v29, v28 offset:36864
	v_add_u32_e32 v58, 1, v42
	v_add_u32_e32 v60, 0x9000, v28
	ds_write_b32 v56, v58 offset:36876
	s_waitcnt lgkmcnt(1)
	v_cmp_ne_u32_e32 vcc, v29, v42
	s_and_saveexec_b64 s[10:11], vcc
	s_cbranch_execz .LBB123_19
; %bb.17:                               ;   in Loop: Header=BB123_13 Depth=2
	s_mov_b64 s[12:13], 0
.LBB123_18:                             ;   Parent Loop BB123_7 Depth=1
                                        ;     Parent Loop BB123_13 Depth=2
                                        ; =>    This Inner Loop Header: Depth=3
	;;#ASMSTART
	s_sleep 0
	;;#ASMEND
	ds_read_b32 v28, v60
	s_waitcnt lgkmcnt(0)
	v_cmp_eq_u32_e32 vcc, v28, v42
	s_or_b64 s[12:13], vcc, s[12:13]
	s_andn2_b64 exec, exec, s[12:13]
	s_cbranch_execnz .LBB123_18
.LBB123_19:                             ;   in Loop: Header=BB123_13 Depth=2
	s_or_b64 exec, exec, s[10:11]
	v_or_b32_e32 v28, 0x7800, v43
	v_lshl_add_u32 v34, v57, 11, v28
	ds_read2_b32 v[30:31], v34 offset1:32
	ds_read2_b32 v[28:29], v34 offset0:128 offset1:160
	v_add_u32_e32 v61, 0x400, v34
	ds_read2_b32 v[34:35], v61 offset1:32
	ds_write_b32 v60, v58
	s_waitcnt lgkmcnt(3)
	v_mfma_f32_16x16x32_fp8_fp8 v[16:19], v[30:31], v[32:33], v[16:19]
	ds_read2_b32 v[32:33], v61 offset0:128 offset1:160
	s_waitcnt lgkmcnt(3)
	v_mfma_f32_16x16x32_fp8_fp8 v[16:19], v[28:29], v[36:37], v[16:19]
	ds_read_b32 v36, v56 offset:36880
	s_waitcnt lgkmcnt(0)
	v_cmp_ne_u32_e32 vcc, v36, v42
	v_mfma_f32_16x16x32_fp8_fp8 v[16:19], v[34:35], v[40:41], v[16:19]
	v_mfma_f32_16x16x32_fp8_fp8 v[16:19], v[32:33], v[38:39], v[16:19]
	s_and_saveexec_b64 s[10:11], vcc
	s_cbranch_execz .LBB123_22
; %bb.20:                               ;   in Loop: Header=BB123_13 Depth=2
	s_mov_b64 s[12:13], 0
.LBB123_21:                             ;   Parent Loop BB123_7 Depth=1
                                        ;     Parent Loop BB123_13 Depth=2
                                        ; =>    This Inner Loop Header: Depth=3
	;;#ASMSTART
	s_sleep 0
	;;#ASMEND
	ds_read_b32 v36, v56 offset:36880
	s_waitcnt lgkmcnt(0)
	v_cmp_eq_u32_e32 vcc, v36, v42
	s_or_b64 s[12:13], vcc, s[12:13]
	s_andn2_b64 exec, exec, s[12:13]
	s_cbranch_execnz .LBB123_21
.LBB123_22:                             ;   in Loop: Header=BB123_13 Depth=2
	s_or_b64 exec, exec, s[10:11]
	v_add_u32_e32 v36, v43, v59
	v_add_u32_e32 v37, 0x800, v36
	ds_read2_b32 v[38:39], v37 offset1:32
	s_waitcnt lgkmcnt(0)
	v_mfma_f32_16x16x32_fp8_fp8 v[12:15], v[30:31], v[38:39], v[12:15]
	ds_read2_b32 v[38:39], v37 offset0:128 offset1:160
	v_add_u32_e32 v37, 0xc00, v36
	s_waitcnt lgkmcnt(0)
	v_mfma_f32_16x16x32_fp8_fp8 v[12:15], v[28:29], v[38:39], v[12:15]
	ds_read2_b32 v[38:39], v37 offset1:32
	ds_read2_b32 v[40:41], v37 offset0:128 offset1:160
	;;#ASMSTART
	s_waitcnt lgkmcnt(0)
	;;#ASMEND
	ds_read_b32 v37, v56 offset:36884
	s_waitcnt lgkmcnt(2)
	v_mfma_f32_16x16x32_fp8_fp8 v[12:15], v[34:35], v[38:39], v[12:15]
	ds_write_b32 v56, v58 offset:36880
	s_waitcnt lgkmcnt(1)
	v_cmp_ne_u32_e32 vcc, v37, v42
	v_mfma_f32_16x16x32_fp8_fp8 v[12:15], v[32:33], v[40:41], v[12:15]
	s_and_saveexec_b64 s[10:11], vcc
	s_cbranch_execz .LBB123_25
; %bb.23:                               ;   in Loop: Header=BB123_13 Depth=2
	s_mov_b64 s[12:13], 0
.LBB123_24:                             ;   Parent Loop BB123_7 Depth=1
                                        ;     Parent Loop BB123_13 Depth=2
                                        ; =>    This Inner Loop Header: Depth=3
	;;#ASMSTART
	s_sleep 0
	;;#ASMEND
	ds_read_b32 v37, v56 offset:36884
	s_waitcnt lgkmcnt(0)
	v_cmp_eq_u32_e32 vcc, v37, v42
	s_or_b64 s[12:13], vcc, s[12:13]
	s_andn2_b64 exec, exec, s[12:13]
	s_cbranch_execnz .LBB123_24
.LBB123_25:                             ;   in Loop: Header=BB123_13 Depth=2
	s_or_b64 exec, exec, s[10:11]
	v_add_u32_e32 v37, 0x1000, v36
	ds_read2_b32 v[38:39], v37 offset1:32
	s_waitcnt lgkmcnt(0)
	v_mfma_f32_16x16x32_fp8_fp8 v[8:11], v[30:31], v[38:39], v[8:11]
	ds_read2_b32 v[38:39], v37 offset0:128 offset1:160
	v_add_u32_e32 v37, 0x1400, v36
	s_waitcnt lgkmcnt(0)
	v_mfma_f32_16x16x32_fp8_fp8 v[8:11], v[28:29], v[38:39], v[8:11]
	ds_read2_b32 v[38:39], v37 offset1:32
	ds_read2_b32 v[40:41], v37 offset0:128 offset1:160
	;;#ASMSTART
	s_waitcnt lgkmcnt(0)
	;;#ASMEND
	ds_read_b32 v37, v56 offset:36888
	s_waitcnt lgkmcnt(2)
	v_mfma_f32_16x16x32_fp8_fp8 v[8:11], v[34:35], v[38:39], v[8:11]
	ds_write_b32 v56, v58 offset:36884
	s_waitcnt lgkmcnt(1)
	v_cmp_ne_u32_e32 vcc, v37, v42
	v_mfma_f32_16x16x32_fp8_fp8 v[8:11], v[32:33], v[40:41], v[8:11]
	s_and_saveexec_b64 s[10:11], vcc
	s_cbranch_execz .LBB123_28
; %bb.26:                               ;   in Loop: Header=BB123_13 Depth=2
	s_mov_b64 s[12:13], 0
.LBB123_27:                             ;   Parent Loop BB123_7 Depth=1
                                        ;     Parent Loop BB123_13 Depth=2
                                        ; =>    This Inner Loop Header: Depth=3
	;;#ASMSTART
	s_sleep 0
	;;#ASMEND
	ds_read_b32 v37, v56 offset:36888
	s_waitcnt lgkmcnt(0)
	v_cmp_eq_u32_e32 vcc, v37, v42
	s_or_b64 s[12:13], vcc, s[12:13]
	s_andn2_b64 exec, exec, s[12:13]
	s_cbranch_execnz .LBB123_27
.LBB123_28:                             ;   in Loop: Header=BB123_13 Depth=2
	s_or_b64 exec, exec, s[10:11]
	v_add_u32_e32 v37, 0x1800, v36
	ds_read2_b32 v[38:39], v37 offset1:32
	s_waitcnt lgkmcnt(0)
	v_mfma_f32_16x16x32_fp8_fp8 v[4:7], v[30:31], v[38:39], v[4:7]
	ds_read2_b32 v[38:39], v37 offset0:128 offset1:160
	v_add_u32_e32 v37, 0x1c00, v36
	s_waitcnt lgkmcnt(0)
	v_mfma_f32_16x16x32_fp8_fp8 v[4:7], v[28:29], v[38:39], v[4:7]
	ds_read2_b32 v[38:39], v37 offset1:32
	ds_read2_b32 v[40:41], v37 offset0:128 offset1:160
	;;#ASMSTART
	s_waitcnt lgkmcnt(0)
	;;#ASMEND
	ds_read_b32 v37, v56 offset:36892
	s_waitcnt lgkmcnt(2)
	v_mfma_f32_16x16x32_fp8_fp8 v[4:7], v[34:35], v[38:39], v[4:7]
	ds_write_b32 v56, v58 offset:36888
	s_waitcnt lgkmcnt(1)
	v_cmp_ne_u32_e32 vcc, v37, v42
	v_mfma_f32_16x16x32_fp8_fp8 v[4:7], v[32:33], v[40:41], v[4:7]
	s_and_saveexec_b64 s[10:11], vcc
	s_cbranch_execz .LBB123_12
; %bb.29:                               ;   in Loop: Header=BB123_13 Depth=2
	s_mov_b64 s[12:13], 0
.LBB123_30:                             ;   Parent Loop BB123_7 Depth=1
                                        ;     Parent Loop BB123_13 Depth=2
                                        ; =>    This Inner Loop Header: Depth=3
	;;#ASMSTART
	s_sleep 0
	;;#ASMEND
	ds_read_b32 v37, v56 offset:36892
	s_waitcnt lgkmcnt(0)
	v_cmp_eq_u32_e32 vcc, v37, v42
	s_or_b64 s[12:13], vcc, s[12:13]
	s_andn2_b64 exec, exec, s[12:13]
	s_cbranch_execnz .LBB123_30
	s_branch .LBB123_12
.LBB123_31:                             ;   in Loop: Header=BB123_7 Depth=1
	s_or_b64 exec, exec, s[8:9]
.LBB123_32:                             ;   in Loop: Header=BB123_7 Depth=1
	s_or_b64 exec, exec, s[6:7]
	v_cmp_le_i32_e32 vcc, s47, v20
	v_cmp_eq_u32_e64 s[12:13], 1, v45
	v_cmp_eq_u32_e64 s[6:7], 3, v45
	s_waitcnt vmcnt(0)
	v_cndmask_b32_e32 v30, 0, v55, vcc
	v_pk_mul_f32 v[18:19], v[30:31], v[18:19] op_sel_hi:[0,1]
	v_pk_mul_f32 v[30:31], v[30:31], v[16:17] op_sel_hi:[0,1]
	v_cndmask_b32_e64 v16, v30, v31, s[12:13]
	v_cmp_eq_u32_e32 vcc, 2, v45
	v_cmp_eq_u32_e64 s[8:9], 0, v45
	v_cmp_eq_u32_e64 s[10:11], 1, v46
	v_cndmask_b32_e32 v16, v16, v18, vcc
	v_cndmask_b32_e64 v16, v16, v19, s[6:7]
	ds_bpermute_b32 v29, v53, v16
	v_cmp_eq_u32_e64 s[16:17], 3, v46
	s_waitcnt lgkmcnt(0)
	v_cndmask_b32_e64 v16, v19, v29, s[6:7]
	v_cndmask_b32_e64 v19, v30, v29, s[8:9]
	v_or_b32_e32 v30, 16, v20
	v_cmp_le_i32_e64 s[14:15], s47, v30
	v_cndmask_b32_e32 v17, v18, v29, vcc
	v_cndmask_b32_e64 v18, v31, v29, s[12:13]
	v_cndmask_b32_e64 v30, 0, v55, s[14:15]
	v_pk_mul_f32 v[14:15], v[30:31], v[14:15] op_sel_hi:[0,1]
	v_pk_mul_f32 v[30:31], v[30:31], v[12:13] op_sel_hi:[0,1]
	v_cndmask_b32_e64 v12, v30, v31, s[12:13]
	v_cndmask_b32_e32 v12, v12, v14, vcc
	v_cndmask_b32_e64 v12, v12, v15, s[6:7]
	ds_bpermute_b32 v32, v53, v12
	v_cndmask_b32_e64 v29, v19, v18, s[10:11]
	v_cmp_eq_u32_e64 s[14:15], 2, v46
	s_waitcnt lgkmcnt(0)
	v_cndmask_b32_e64 v13, v15, v32, s[6:7]
	v_cndmask_b32_e64 v12, v29, v17, s[14:15]
	;; [unrolled: 1-line block ×3, first 2 shown]
	v_or_b32_e32 v30, 32, v20
	v_cmp_le_i32_e64 s[18:19], s47, v30
	v_cndmask_b32_e32 v14, v14, v32, vcc
	v_cndmask_b32_e64 v15, v31, v32, s[12:13]
	v_cndmask_b32_e64 v30, 0, v55, s[18:19]
	v_pk_mul_f32 v[32:33], v[30:31], v[8:9] op_sel_hi:[0,1]
	v_pk_mul_f32 v[10:11], v[30:31], v[10:11] op_sel_hi:[0,1]
	v_cndmask_b32_e64 v8, v32, v33, s[12:13]
	v_cndmask_b32_e32 v8, v8, v10, vcc
	v_cndmask_b32_e64 v8, v8, v11, s[6:7]
	ds_bpermute_b32 v31, v53, v8
	v_cmp_le_i32_e64 s[18:19], s47, v47
	v_cndmask_b32_e64 v8, v29, v15, s[10:11]
	v_cndmask_b32_e64 v8, v8, v14, s[14:15]
	v_cndmask_b32_e64 v12, v12, v16, s[16:17]
	s_waitcnt lgkmcnt(0)
	v_cndmask_b32_e64 v9, v11, v31, s[6:7]
	v_cndmask_b32_e32 v10, v10, v31, vcc
	v_cndmask_b32_e64 v30, v33, v31, s[12:13]
	v_cndmask_b32_e64 v31, v32, v31, s[8:9]
	;; [unrolled: 1-line block ×3, first 2 shown]
	v_pk_mul_f32 v[6:7], v[32:33], v[6:7] op_sel_hi:[0,1]
	v_pk_mul_f32 v[32:33], v[32:33], v[4:5] op_sel_hi:[0,1]
	v_cndmask_b32_e64 v4, v32, v33, s[12:13]
	v_cndmask_b32_e32 v4, v4, v6, vcc
	v_cndmask_b32_e64 v4, v4, v7, s[6:7]
	ds_bpermute_b32 v11, v53, v4
	v_cmp_le_i32_e64 s[18:19], s47, v48
	v_cndmask_b32_e64 v4, v31, v30, s[10:11]
	v_cndmask_b32_e64 v4, v4, v10, s[14:15]
	v_cndmask_b32_e64 v8, v8, v13, s[16:17]
	s_waitcnt lgkmcnt(0)
	v_cndmask_b32_e64 v33, v33, v11, s[12:13]
	v_cndmask_b32_e64 v34, v32, v11, s[8:9]
	;; [unrolled: 1-line block ×3, first 2 shown]
	v_pk_mul_f32 v[38:39], v[32:33], v[0:1] op_sel_hi:[0,1]
	v_pk_mul_f32 v[36:37], v[32:33], v[2:3] op_sel_hi:[0,1]
	v_cndmask_b32_e64 v0, v38, v39, s[12:13]
	v_cndmask_b32_e32 v0, v0, v36, vcc
	v_cndmask_b32_e64 v0, v0, v37, s[6:7]
	ds_bpermute_b32 v1, v53, v0
	v_cndmask_b32_e32 v6, v6, v11, vcc
	v_cndmask_b32_e64 v0, v34, v33, s[10:11]
	v_cndmask_b32_e64 v5, v7, v11, s[6:7]
	;; [unrolled: 1-line block ×4, first 2 shown]
	s_waitcnt lgkmcnt(0)
	v_cndmask_b32_e32 v3, v36, v1, vcc
	v_cmp_ne_u32_e32 vcc, 0, v45
	ds_bpermute_b32 v7, v53, v0
	v_cndmask_b32_e64 v2, v37, v1, s[6:7]
	v_cndmask_b32_e32 v0, v39, v1, vcc
	v_cndmask_b32_e64 v1, v38, v1, s[8:9]
	v_cndmask_b32_e64 v11, v1, v0, s[10:11]
	;; [unrolled: 1-line block ×5, first 2 shown]
	ds_bpermute_b32 v12, v53, v12
	ds_bpermute_b32 v8, v53, v8
	;; [unrolled: 1-line block ×4, first 2 shown]
	s_max_i32 s6, s68, 0
	v_add_u32_e32 v32, s6, v44
	v_cmp_gt_u32_e32 vcc, 16, v32
	s_and_saveexec_b64 s[12:13], vcc
	s_cbranch_execz .LBB123_35
; %bb.33:                               ;   in Loop: Header=BB123_7 Depth=1
	v_cmp_eq_u32_e64 s[8:9], 1, v46
	v_cmp_eq_u32_e64 s[10:11], 0, v46
	v_cmp_eq_u32_e32 vcc, 3, v46
	s_waitcnt lgkmcnt(3)
	v_cndmask_b32_e64 v18, v18, v12, s[8:9]
	s_waitcnt lgkmcnt(2)
	v_cndmask_b32_e64 v15, v15, v8, s[8:9]
	;; [unrolled: 2-line block ×3, first 2 shown]
	v_cndmask_b32_e64 v33, v33, v7, s[8:9]
	s_waitcnt lgkmcnt(0)
	v_cndmask_b32_e64 v35, v0, v11, s[8:9]
	s_mul_i32 s8, s66, s21
	s_ashr_i32 s9, s8, 31
	s_lshl_b64 s[8:9], s[8:9], 1
	v_cndmask_b32_e64 v19, v19, v12, s[10:11]
	v_cndmask_b32_e64 v29, v29, v8, s[10:11]
	;; [unrolled: 1-line block ×5, first 2 shown]
	s_add_u32 s10, s40, s8
	s_addc_u32 s11, s41, s9
	s_ashr_i32 s47, s46, 31
	v_cvt_f16_f32_e32 v19, v19
	v_cvt_f16_f32_sdwa v18, v18 dst_sel:WORD_1 dst_unused:UNUSED_PAD src0_sel:DWORD
	v_cvt_f16_f32_e32 v29, v29
	v_cvt_f16_f32_sdwa v15, v15 dst_sel:WORD_1 dst_unused:UNUSED_PAD src0_sel:DWORD
	s_lshl_b64 s[8:9], s[46:47], 1
	v_cvt_f16_f32_e32 v31, v31
	v_cvt_f16_f32_sdwa v30, v30 dst_sel:WORD_1 dst_unused:UNUSED_PAD src0_sel:DWORD
	s_add_u32 s8, s10, s8
	s_addc_u32 s9, s11, s9
	v_lshl_add_u64 v[0:1], v[22:23], 1, s[8:9]
	v_or_b32_e32 v18, v18, v19
	v_or_b32_e32 v15, v15, v29
	;;#ASMSTART
	global_atomic_pk_add_f16 v[0:1], v18, off
	
	;;#ASMEND
	v_lshl_add_u64 v[18:19], v[0:1], 0, 32
	;;#ASMSTART
	global_atomic_pk_add_f16 v[18:19], v15, off
	
	;;#ASMEND
	v_or_b32_e32 v15, v30, v31
	v_lshl_add_u64 v[18:19], v[0:1], 0, 64
	;;#ASMSTART
	global_atomic_pk_add_f16 v[18:19], v15, off
	
	;;#ASMEND
	v_cvt_f16_f32_e32 v15, v34
	v_cvt_f16_f32_sdwa v29, v33 dst_sel:WORD_1 dst_unused:UNUSED_PAD src0_sel:DWORD
	v_cvt_f16_f32_e32 v30, v36
	v_cvt_f16_f32_sdwa v31, v35 dst_sel:WORD_1 dst_unused:UNUSED_PAD src0_sel:DWORD
	v_cmp_eq_u32_e64 s[6:7], 2, v46
	v_lshl_add_u64 v[18:19], v[0:1], 0, s[30:31]
	v_or_b32_e32 v15, v29, v15
	v_cmp_gt_u32_e64 s[8:9], 14, v32
	;;#ASMSTART
	global_atomic_pk_add_f16 v[18:19], v15, off
	
	;;#ASMEND
	v_lshl_add_u64 v[18:19], v[0:1], 0, s[34:35]
	v_or_b32_e32 v15, v31, v30
	;;#ASMSTART
	global_atomic_pk_add_f16 v[18:19], v15, off
	
	;;#ASMEND
	s_and_b64 exec, exec, s[8:9]
	s_cbranch_execz .LBB123_35
; %bb.34:                               ;   in Loop: Header=BB123_7 Depth=1
	v_cndmask_b32_e32 v15, v16, v12, vcc
	v_cndmask_b32_e64 v12, v17, v12, s[6:7]
	v_cndmask_b32_e32 v9, v9, v4, vcc
	v_cndmask_b32_e64 v4, v10, v4, s[6:7]
	;; [unrolled: 2-line block ×3, first 2 shown]
	v_cvt_f16_f32_e32 v7, v12
	v_cvt_f16_f32_sdwa v10, v15 dst_sel:WORD_1 dst_unused:UNUSED_PAD src0_sel:DWORD
	v_cndmask_b32_e32 v13, v13, v8, vcc
	v_cndmask_b32_e64 v8, v14, v8, s[6:7]
	v_cndmask_b32_e32 v12, v2, v11, vcc
	v_or_b32_e32 v2, v10, v7
	v_cvt_f16_f32_e32 v7, v8
	v_cvt_f16_f32_sdwa v8, v13 dst_sel:WORD_1 dst_unused:UNUSED_PAD src0_sel:DWORD
	v_cvt_f16_f32_e32 v4, v4
	v_cvt_f16_f32_sdwa v9, v9 dst_sel:WORD_1 dst_unused:UNUSED_PAD src0_sel:DWORD
	v_lshl_add_u64 v[0:1], s[28:29], 2, v[0:1]
	v_cndmask_b32_e64 v11, v3, v11, s[6:7]
	;;#ASMSTART
	global_atomic_pk_add_f16 v[0:1], v2, off
	
	;;#ASMEND
	v_lshl_add_u64 v[2:3], v[0:1], 0, 32
	v_or_b32_e32 v7, v8, v7
	v_or_b32_e32 v4, v9, v4
	;;#ASMSTART
	global_atomic_pk_add_f16 v[2:3], v7, off
	
	;;#ASMEND
	v_lshl_add_u64 v[2:3], v[0:1], 0, 64
	;;#ASMSTART
	global_atomic_pk_add_f16 v[2:3], v4, off
	
	;;#ASMEND
	v_cvt_f16_f32_e32 v4, v6
	v_cvt_f16_f32_sdwa v5, v5 dst_sel:WORD_1 dst_unused:UNUSED_PAD src0_sel:DWORD
	v_cvt_f16_f32_e32 v6, v11
	v_cvt_f16_f32_sdwa v7, v12 dst_sel:WORD_1 dst_unused:UNUSED_PAD src0_sel:DWORD
	v_lshl_add_u64 v[2:3], v[0:1], 0, s[30:31]
	v_or_b32_e32 v4, v5, v4
	;;#ASMSTART
	global_atomic_pk_add_f16 v[2:3], v4, off
	
	;;#ASMEND
	v_lshl_add_u64 v[0:1], v[0:1], 0, s[34:35]
	v_or_b32_e32 v2, v7, v6
	;;#ASMSTART
	global_atomic_pk_add_f16 v[0:1], v2, off
	
	;;#ASMEND
.LBB123_35:                             ;   in Loop: Header=BB123_7 Depth=1
	s_or_b64 exec, exec, s[12:13]
	v_subrev_u32_e32 v54, s65, v54
.LBB123_36:                             ;   in Loop: Header=BB123_7 Depth=1
	s_or_b64 exec, exec, s[50:51]
.LBB123_37:                             ;   in Loop: Header=BB123_7 Depth=1
	s_andn2_saveexec_b64 s[6:7], s[48:49]
	s_cbranch_execz .LBB123_46
; %bb.38:                               ;   in Loop: Header=BB123_7 Depth=1
	s_mul_i32 s16, s65, 5
	v_cmp_gt_i32_e32 vcc, s16, v54
	s_and_saveexec_b64 s[8:9], vcc
	s_cbranch_execz .LBB123_45
; %bb.39:                               ;   in Loop: Header=BB123_7 Depth=1
	s_mul_i32 s10, s46, s23
	s_ashr_i32 s11, s10, 31
	s_waitcnt lgkmcnt(0)
	s_add_u32 s10, s38, s10
	s_addc_u32 s11, s39, s11
	s_ashr_i32 s12, s67, 31
	s_add_u32 s10, s10, s67
	s_addc_u32 s11, s11, s12
	v_lshl_add_u64 v[0:1], s[10:11], 0, v[26:27]
	v_lshl_add_u64 v[8:9], v[0:1], 0, v[24:25]
	s_mov_b64 s[10:11], 0
	s_branch .LBB123_41
.LBB123_40:                             ;   in Loop: Header=BB123_41 Depth=2
	s_or_b64 exec, exec, s[12:13]
	v_lshl_or_b32 v12, v10, 11, v49
	;;#ASMSTART
	s_waitcnt vmcnt(1)
	;;#ASMEND
	ds_write2_b32 v12, v4, v5 offset1:32
	ds_write2_b32 v12, v6, v7 offset0:64 offset1:96
	v_add_u32_e32 v4, 0x400, v12
	v_add_u32_e32 v54, s26, v54
	;;#ASMSTART
	s_waitcnt vmcnt(0)
	;;#ASMEND
	ds_write2_b32 v4, v0, v1 offset1:32
	ds_write2_b32 v4, v2, v3 offset0:64 offset1:96
	v_add_u32_e32 v0, 1, v42
	v_add_u32_e32 v28, s26, v10
	v_cmp_le_i32_e32 vcc, s16, v54
	ds_write_b32 v11, v0 offset:12
	v_add_u32_e32 v0, 2, v42
	s_or_b64 s[10:11], vcc, s[10:11]
	v_cmp_lt_i32_e32 vcc, 14, v28
	s_nop 1
	v_cndmask_b32_e32 v42, v42, v0, vcc
	s_andn2_b64 exec, exec, s[10:11]
	s_cbranch_execz .LBB123_44
.LBB123_41:                             ;   Parent Loop BB123_7 Depth=1
                                        ; =>  This Loop Header: Depth=2
                                        ;       Child Loop BB123_43 Depth 3
	v_cmp_gt_i32_e32 vcc, 15, v28
	s_nop 1
	v_cndmask_b32_e64 v0, -15, 0, vcc
	v_add_u32_e32 v10, v0, v28
	v_mul_hi_i32 v0, v54, s54
	v_lshrrev_b32_e32 v1, 31, v0
	v_ashrrev_i32_e32 v0, 1, v0
	v_add_u32_e32 v0, v0, v1
	v_lshl_add_u32 v1, v0, 2, v0
	v_sub_u32_e32 v2, v54, v1
	v_lshlrev_b32_e32 v0, 7, v0
	v_ashrrev_i32_e32 v1, 31, v0
	v_mul_lo_u32 v2, s58, v2
	v_lshl_add_u64 v[0:1], v[8:9], 0, v[0:1]
	v_ashrrev_i32_e32 v3, 31, v2
	v_lshl_add_u64 v[0:1], v[0:1], 0, v[2:3]
	v_lshlrev_b32_e32 v11, 2, v10
	;;#ASMSTART
	global_load_dwordx4 v[4:7], v[0:1], off offset:0   sc0 sc1 nt  
	global_load_dwordx4 v[0:3], v[0:1], off offset:64  sc0 sc1 nt  
	
	;;#ASMEND
	ds_read_b32 v12, v11 offset:36876
	v_add_u32_e32 v11, 0x9000, v11
	s_waitcnt lgkmcnt(0)
	v_cmp_ne_u32_e32 vcc, v12, v42
	s_and_saveexec_b64 s[12:13], vcc
	s_cbranch_execz .LBB123_40
; %bb.42:                               ;   in Loop: Header=BB123_41 Depth=2
	s_mov_b64 s[14:15], 0
.LBB123_43:                             ;   Parent Loop BB123_7 Depth=1
                                        ;     Parent Loop BB123_41 Depth=2
                                        ; =>    This Inner Loop Header: Depth=3
	;;#ASMSTART
	s_sleep 0
	;;#ASMEND
	ds_read_b32 v12, v11 offset:12
	s_waitcnt lgkmcnt(0)
	v_cmp_eq_u32_e32 vcc, v12, v42
	s_or_b64 s[14:15], vcc, s[14:15]
	s_andn2_b64 exec, exec, s[14:15]
	s_cbranch_execnz .LBB123_43
	s_branch .LBB123_40
.LBB123_44:                             ;   in Loop: Header=BB123_7 Depth=1
	s_or_b64 exec, exec, s[10:11]
.LBB123_45:                             ;   in Loop: Header=BB123_7 Depth=1
	s_or_b64 exec, exec, s[8:9]
	v_subrev_u32_e32 v54, s16, v54
.LBB123_46:                             ;   in Loop: Header=BB123_7 Depth=1
	s_or_b64 exec, exec, s[6:7]
.LBB123_47:                             ;   in Loop: Header=BB123_7 Depth=1
	s_andn2_saveexec_b64 s[6:7], s[44:45]
	s_cbranch_execz .LBB123_6
; %bb.48:                               ;   in Loop: Header=BB123_7 Depth=1
	v_cmp_gt_i32_e32 vcc, s65, v54
	s_and_saveexec_b64 s[8:9], vcc
	s_cbranch_execz .LBB123_5
; %bb.49:                               ;   in Loop: Header=BB123_7 Depth=1
	s_mul_i32 s66, s66, s22
	s_ashr_i32 s10, s66, 31
	s_waitcnt lgkmcnt(0)
	s_add_u32 s11, s36, s66
	s_addc_u32 s12, s37, s10
	s_ashr_i32 s13, s67, 31
	v_cmp_le_i32_e32 vcc, s68, v50
	s_add_u32 s10, s11, s67
	s_addc_u32 s11, s12, s13
	v_cndmask_b32_e32 v0, 0, v51, vcc
	v_ashrrev_i32_e32 v1, 31, v0
	v_lshl_add_u64 v[0:1], s[10:11], 0, v[0:1]
	v_lshl_add_u64 v[8:9], v[0:1], 0, v[24:25]
	s_mov_b64 s[10:11], 0
	s_branch .LBB123_51
.LBB123_50:                             ;   in Loop: Header=BB123_51 Depth=2
	s_or_b64 exec, exec, s[12:13]
	v_lshl_add_u32 v12, v10, 11, v52
	;;#ASMSTART
	s_waitcnt vmcnt(1)
	;;#ASMEND
	ds_write2_b32 v12, v4, v5 offset1:32
	ds_write2_b32 v12, v6, v7 offset0:64 offset1:96
	v_add_u32_e32 v4, 0x400, v12
	v_add_u32_e32 v54, s25, v54
	;;#ASMSTART
	s_waitcnt vmcnt(0)
	;;#ASMEND
	ds_write2_b32 v4, v0, v1 offset1:32
	ds_write2_b32 v4, v2, v3 offset0:64 offset1:96
	v_add_u32_e32 v0, 1, v42
	v_add_u32_e32 v28, s25, v10
	v_cmp_le_i32_e32 vcc, s65, v54
	ds_write_b32 v11, v0
	v_add_u32_e32 v0, 2, v42
	s_or_b64 s[10:11], vcc, s[10:11]
	v_cmp_lt_i32_e32 vcc, 2, v28
	s_nop 1
	v_cndmask_b32_e32 v42, v42, v0, vcc
	s_andn2_b64 exec, exec, s[10:11]
	s_cbranch_execz .LBB123_4
.LBB123_51:                             ;   Parent Loop BB123_7 Depth=1
                                        ; =>  This Loop Header: Depth=2
                                        ;       Child Loop BB123_53 Depth 3
	v_cmp_gt_i32_e32 vcc, 3, v28
	s_nop 1
	v_cndmask_b32_e64 v0, -3, 0, vcc
	v_add_u32_e32 v10, v0, v28
	v_lshlrev_b32_e32 v0, 7, v54
	v_ashrrev_i32_e32 v1, 31, v0
	v_lshl_add_u64 v[0:1], v[8:9], 0, v[0:1]
	v_lshlrev_b32_e32 v11, 2, v10
	;;#ASMSTART
	global_load_dwordx4 v[4:7], v[0:1], off offset:0   
	global_load_dwordx4 v[0:3], v[0:1], off offset:64  
	
	;;#ASMEND
	ds_read_b32 v12, v11 offset:36864
	v_add_u32_e32 v11, 0x9000, v11
	s_waitcnt lgkmcnt(0)
	v_cmp_ne_u32_e32 vcc, v12, v42
	s_and_saveexec_b64 s[12:13], vcc
	s_cbranch_execz .LBB123_50
; %bb.52:                               ;   in Loop: Header=BB123_51 Depth=2
	s_mov_b64 s[14:15], 0
.LBB123_53:                             ;   Parent Loop BB123_7 Depth=1
                                        ;     Parent Loop BB123_51 Depth=2
                                        ; =>    This Inner Loop Header: Depth=3
	;;#ASMSTART
	s_sleep 0
	;;#ASMEND
	ds_read_b32 v12, v11
	s_waitcnt lgkmcnt(0)
	v_cmp_eq_u32_e32 vcc, v12, v42
	s_or_b64 s[14:15], vcc, s[14:15]
	s_andn2_b64 exec, exec, s[14:15]
	s_cbranch_execnz .LBB123_53
	s_branch .LBB123_50
.LBB123_54:
	s_endpgm
	.section	.rodata,"a",@progbits
	.p2align	6, 0x0
	.amdhsa_kernel _Z19_skinny_gemm_kernelILi1ELi5ELi3ELi16ELi4EEvPKhS1_P6__halfPKfiiiiiiii
		.amdhsa_group_segment_fixed_size 36936
		.amdhsa_private_segment_fixed_size 0
		.amdhsa_kernarg_size 64
		.amdhsa_user_sgpr_count 2
		.amdhsa_user_sgpr_dispatch_ptr 0
		.amdhsa_user_sgpr_queue_ptr 0
		.amdhsa_user_sgpr_kernarg_segment_ptr 1
		.amdhsa_user_sgpr_dispatch_id 0
		.amdhsa_user_sgpr_kernarg_preload_length 0
		.amdhsa_user_sgpr_kernarg_preload_offset 0
		.amdhsa_user_sgpr_private_segment_size 0
		.amdhsa_uses_dynamic_stack 0
		.amdhsa_enable_private_segment 0
		.amdhsa_system_sgpr_workgroup_id_x 1
		.amdhsa_system_sgpr_workgroup_id_y 0
		.amdhsa_system_sgpr_workgroup_id_z 0
		.amdhsa_system_sgpr_workgroup_info 0
		.amdhsa_system_vgpr_workitem_id 0
		.amdhsa_next_free_vgpr 62
		.amdhsa_next_free_sgpr 69
		.amdhsa_accum_offset 64
		.amdhsa_reserve_vcc 1
		.amdhsa_float_round_mode_32 0
		.amdhsa_float_round_mode_16_64 0
		.amdhsa_float_denorm_mode_32 3
		.amdhsa_float_denorm_mode_16_64 3
		.amdhsa_dx10_clamp 1
		.amdhsa_ieee_mode 1
		.amdhsa_fp16_overflow 0
		.amdhsa_tg_split 0
		.amdhsa_exception_fp_ieee_invalid_op 0
		.amdhsa_exception_fp_denorm_src 0
		.amdhsa_exception_fp_ieee_div_zero 0
		.amdhsa_exception_fp_ieee_overflow 0
		.amdhsa_exception_fp_ieee_underflow 0
		.amdhsa_exception_fp_ieee_inexact 0
		.amdhsa_exception_int_div_zero 0
	.end_amdhsa_kernel
	.section	.text._Z19_skinny_gemm_kernelILi1ELi5ELi3ELi16ELi4EEvPKhS1_P6__halfPKfiiiiiiii,"axG",@progbits,_Z19_skinny_gemm_kernelILi1ELi5ELi3ELi16ELi4EEvPKhS1_P6__halfPKfiiiiiiii,comdat
.Lfunc_end123:
	.size	_Z19_skinny_gemm_kernelILi1ELi5ELi3ELi16ELi4EEvPKhS1_P6__halfPKfiiiiiiii, .Lfunc_end123-_Z19_skinny_gemm_kernelILi1ELi5ELi3ELi16ELi4EEvPKhS1_P6__halfPKfiiiiiiii
                                        ; -- End function
	.set _Z19_skinny_gemm_kernelILi1ELi5ELi3ELi16ELi4EEvPKhS1_P6__halfPKfiiiiiiii.num_vgpr, 62
	.set _Z19_skinny_gemm_kernelILi1ELi5ELi3ELi16ELi4EEvPKhS1_P6__halfPKfiiiiiiii.num_agpr, 0
	.set _Z19_skinny_gemm_kernelILi1ELi5ELi3ELi16ELi4EEvPKhS1_P6__halfPKfiiiiiiii.numbered_sgpr, 69
	.set _Z19_skinny_gemm_kernelILi1ELi5ELi3ELi16ELi4EEvPKhS1_P6__halfPKfiiiiiiii.num_named_barrier, 0
	.set _Z19_skinny_gemm_kernelILi1ELi5ELi3ELi16ELi4EEvPKhS1_P6__halfPKfiiiiiiii.private_seg_size, 0
	.set _Z19_skinny_gemm_kernelILi1ELi5ELi3ELi16ELi4EEvPKhS1_P6__halfPKfiiiiiiii.uses_vcc, 1
	.set _Z19_skinny_gemm_kernelILi1ELi5ELi3ELi16ELi4EEvPKhS1_P6__halfPKfiiiiiiii.uses_flat_scratch, 0
	.set _Z19_skinny_gemm_kernelILi1ELi5ELi3ELi16ELi4EEvPKhS1_P6__halfPKfiiiiiiii.has_dyn_sized_stack, 0
	.set _Z19_skinny_gemm_kernelILi1ELi5ELi3ELi16ELi4EEvPKhS1_P6__halfPKfiiiiiiii.has_recursion, 0
	.set _Z19_skinny_gemm_kernelILi1ELi5ELi3ELi16ELi4EEvPKhS1_P6__halfPKfiiiiiiii.has_indirect_call, 0
	.section	.AMDGPU.csdata,"",@progbits
; Kernel info:
; codeLenInByte = 4560
; TotalNumSgprs: 75
; NumVgprs: 62
; NumAgprs: 0
; TotalNumVgprs: 62
; ScratchSize: 0
; MemoryBound: 0
; FloatMode: 240
; IeeeMode: 1
; LDSByteSize: 36936 bytes/workgroup (compile time only)
; SGPRBlocks: 9
; VGPRBlocks: 7
; NumSGPRsForWavesPerEU: 75
; NumVGPRsForWavesPerEU: 62
; AccumOffset: 64
; Occupancy: 8
; WaveLimiterHint : 0
; COMPUTE_PGM_RSRC2:SCRATCH_EN: 0
; COMPUTE_PGM_RSRC2:USER_SGPR: 2
; COMPUTE_PGM_RSRC2:TRAP_HANDLER: 0
; COMPUTE_PGM_RSRC2:TGID_X_EN: 1
; COMPUTE_PGM_RSRC2:TGID_Y_EN: 0
; COMPUTE_PGM_RSRC2:TGID_Z_EN: 0
; COMPUTE_PGM_RSRC2:TIDIG_COMP_CNT: 0
; COMPUTE_PGM_RSRC3_GFX90A:ACCUM_OFFSET: 15
; COMPUTE_PGM_RSRC3_GFX90A:TG_SPLIT: 0
	.section	.text._Z19_skinny_gemm_kernelILi1ELi5ELi3ELi32ELi4EEvPKhS1_P6__halfPKfiiiiiiii,"axG",@progbits,_Z19_skinny_gemm_kernelILi1ELi5ELi3ELi32ELi4EEvPKhS1_P6__halfPKfiiiiiiii,comdat
	.protected	_Z19_skinny_gemm_kernelILi1ELi5ELi3ELi32ELi4EEvPKhS1_P6__halfPKfiiiiiiii ; -- Begin function _Z19_skinny_gemm_kernelILi1ELi5ELi3ELi32ELi4EEvPKhS1_P6__halfPKfiiiiiiii
	.globl	_Z19_skinny_gemm_kernelILi1ELi5ELi3ELi32ELi4EEvPKhS1_P6__halfPKfiiiiiiii
	.p2align	8
	.type	_Z19_skinny_gemm_kernelILi1ELi5ELi3ELi32ELi4EEvPKhS1_P6__halfPKfiiiiiiii,@function
_Z19_skinny_gemm_kernelILi1ELi5ELi3ELi32ELi4EEvPKhS1_P6__halfPKfiiiiiiii: ; @_Z19_skinny_gemm_kernelILi1ELi5ELi3ELi32ELi4EEvPKhS1_P6__halfPKfiiiiiiii
; %bb.0:
	v_cmp_gt_u32_e32 vcc, 18, v0
	s_and_saveexec_b64 s[4:5], vcc
; %bb.1:
	v_lshlrev_b32_e32 v1, 2, v0
	v_mov_b32_e32 v2, 0
	ds_write_b32 v1, v2 offset:36864
; %bb.2:
	s_or_b64 exec, exec, s[4:5]
	s_load_dwordx8 s[24:31], s[0:1], 0x20
	s_waitcnt lgkmcnt(0)
	s_barrier
	s_add_i32 s3, s24, 31
	s_ashr_i32 s5, s3, 31
	s_add_i32 s4, s25, 0x9f
	s_lshr_b32 s5, s5, 27
	s_mul_hi_i32 s4, s4, 0x66666667
	s_add_i32 s3, s3, s5
	s_ashr_i32 s14, s3, 5
	s_lshr_b32 s3, s4, 31
	s_ashr_i32 s4, s4, 6
	s_add_i32 s15, s4, s3
	s_mul_i32 s3, s15, s14
	s_mul_i32 s3, s3, s28
	s_add_i32 s4, s3, 0x12f
	s_mul_hi_i32 s4, s4, 0x6bca1af3
	s_lshr_b32 s5, s4, 31
	s_ashr_i32 s4, s4, 7
	s_add_i32 s4, s4, s5
	s_add_i32 s5, s2, 1
	s_mul_i32 s5, s4, s5
	v_cvt_f64_i32_e32 v[2:3], s3
	v_cvt_f64_u32_e32 v[4:5], s5
	v_min_f64 v[2:3], v[2:3], v[4:5]
	v_cvt_i32_f64_e32 v13, v[2:3]
	s_mul_i32 s2, s4, s2
	v_cmp_ge_i32_e32 vcc, s2, v13
	s_cbranch_vccnz .LBB124_55
; %bb.3:
	s_load_dwordx8 s[16:23], s[0:1], 0x0
	v_lshrrev_b32_e32 v1, 6, v0
	s_add_i32 s0, s30, s29
	v_cmp_le_i32_e64 s[34:35], s0, v1
	v_mov_b32_e32 v2, s29
	v_cmp_le_i32_e64 s[36:37], s29, v1
	v_mov_b32_e32 v3, s30
	v_cndmask_b32_e64 v3, 0, v3, s[34:35]
	v_cndmask_b32_e64 v2, 0, v2, s[36:37]
	s_abs_i32 s1, s28
	v_add_u32_e32 v2, v2, v3
	v_cvt_f32_u32_e32 v3, s1
	v_sub_u32_e32 v88, v1, v2
	s_ashr_i32 s3, s26, 31
	s_lshr_b32 s3, s3, 26
	v_rcp_iflag_f32_e32 v2, v3
	s_sub_i32 s6, 0, s1
	s_add_i32 s3, s26, s3
	s_ashr_i32 s3, s3, 6
	v_mul_f32_e32 v2, 0x4f7ffffe, v2
	v_cvt_u32_f32_e32 v2, v2
	s_abs_i32 s5, s3
	s_xor_b32 s4, s3, s28
	s_ashr_i32 s4, s4, 31
	v_readfirstlane_b32 s7, v2
	s_mul_i32 s6, s6, s7
	s_mul_hi_u32 s6, s7, s6
	s_add_i32 s7, s7, s6
	s_mul_hi_u32 s6, s5, s7
	s_mul_i32 s7, s6, s1
	s_sub_i32 s5, s5, s7
	s_add_i32 s7, s6, 1
	s_sub_i32 s8, s5, s1
	s_cmp_ge_u32 s5, s1
	s_cselect_b32 s6, s7, s6
	s_cselect_b32 s5, s8, s5
	s_add_i32 s7, s6, 1
	s_cmp_ge_u32 s5, s1
	s_cselect_b32 s1, s7, s6
	s_add_i32 s0, s0, s31
	v_and_b32_e32 v9, 31, v0
	v_lshrrev_b32_e32 v2, 3, v0
	v_cmp_gt_i32_e64 s[42:43], s0, v1
	v_lshlrev_b32_e32 v1, 2, v9
	v_and_b32_e32 v3, 4, v2
	v_lshlrev_b32_e32 v2, 6, v3
	v_or_b32_e32 v4, 0x7800, v1
	v_and_b32_e32 v5, 1, v0
	v_or_b32_e32 v94, v4, v2
	v_or_b32_e32 v96, v1, v2
	v_lshlrev_b32_e32 v2, 1, v5
	v_sub_u32_e32 v2, v0, v2
	v_add_u32_e32 v2, 1, v2
	v_and_b32_e32 v6, 63, v2
	v_bitop3_b32 v2, v0, 1, v0 bitop3:0xc
	scratch_store_dword off, v2, off offset:24 ; 4-byte Folded Spill
	v_bitop3_b32 v2, v0, 3, 1 bitop3:0x6c
	scratch_store_dword off, v2, off offset:28 ; 4-byte Folded Spill
	;; [unrolled: 2-line block ×6, first 2 shown]
	v_bitop3_b32 v2, v0, 13, 1 bitop3:0x6c
	s_add_i32 s39, s28, -1
	scratch_store_dword off, v2, off offset:48 ; 4-byte Folded Spill
	v_bitop3_b32 v2, v0, 15, 1 bitop3:0x6c
	s_abs_i32 s28, s14
                                        ; implicit-def: $vgpr127 : SGPR spill to VGPR lane
	scratch_store_dword off, v2, off offset:52 ; 4-byte Folded Spill
	v_or_b32_e32 v2, 32, v9
	v_cvt_f32_u32_e32 v8, s28
	v_writelane_b32 v127, s14, 0
	scratch_store_dword off, v2, off offset:56 ; 4-byte Folded Spill
	v_or_b32_e32 v2, 64, v9
	v_writelane_b32 v127, s15, 1
	scratch_store_dword off, v2, off offset:60 ; 4-byte Folded Spill
	v_or_b32_e32 v2, 0x60, v9
	v_lshrrev_b32_e32 v7, 1, v0
	s_waitcnt lgkmcnt(0)
	v_writelane_b32 v127, s16, 2
	scratch_store_dword off, v2, off offset:64 ; 4-byte Folded Spill
	v_or_b32_e32 v2, 0x80, v9
	v_and_b32_e32 v14, 16, v7
	v_lshlrev_b32_e32 v7, 4, v0
	v_writelane_b32 v127, s17, 3
	scratch_store_dword off, v2, off offset:68 ; 4-byte Folded Spill
	v_and_b32_e32 v2, 30, v0
	v_and_b32_e32 v7, 0x200, v7
	v_bitop3_b32 v17, v0, 31, v0 bitop3:0xc
	v_rcp_iflag_f32_e32 v0, v8
	s_abs_i32 s99, s15
	v_writelane_b32 v127, s18, 4
	v_or_b32_e32 v16, v1, v7
	v_cvt_f32_u32_e32 v1, s99
	v_writelane_b32 v127, s19, 5
	v_writelane_b32 v127, s20, 6
	;; [unrolled: 1-line block ×3, first 2 shown]
	v_mul_f32_e32 v0, 0x4f7ffffe, v0
	v_writelane_b32 v127, s22, 8
	v_cvt_u32_f32_e32 v0, v0
	v_rcp_iflag_f32_e32 v1, v1
	v_writelane_b32 v127, s23, 9
	v_cndmask_b32_e64 v95, 0, 1, s[34:35]
	s_xor_b32 s1, s1, s4
	v_writelane_b32 v127, s34, 10
	s_sub_i32 s38, s1, s4
	s_mul_i32 s1, s38, s39
	v_writelane_b32 v127, s35, 11
	v_writelane_b32 v127, s36, 12
	s_sub_i32 s40, s3, s1
	v_readfirstlane_b32 s1, v0
	v_mul_f32_e32 v0, 0x4f7ffffe, v1
	v_writelane_b32 v127, s37, 13
	v_cvt_u32_f32_e32 v0, v0
	v_writelane_b32 v127, s38, 14
	s_sub_i32 s0, 0, s28
	v_writelane_b32 v127, s39, 15
	s_mul_i32 s0, s0, s1
	v_writelane_b32 v127, s40, 16
	s_mul_hi_u32 s0, s1, s0
	v_writelane_b32 v127, s42, 17
	s_ashr_i32 s41, s14, 31
	s_add_i32 s44, s1, s0
	s_sub_i32 s0, 0, s99
	v_readfirstlane_b32 s1, v0
	v_writelane_b32 v127, s43, 18
	s_mul_i32 s0, s0, s1
	v_mbcnt_lo_u32_b32 v0, -1, 0
	v_writelane_b32 v127, s41, 19
	s_ashr_i32 s45, s15, 31
	s_mul_hi_u32 s0, s1, s0
	v_mbcnt_hi_u32_b32 v0, -1, v0
	v_writelane_b32 v127, s44, 20
	v_mov_b32_e32 v99, 0
	v_mul_lo_u32 v10, s27, v9
	s_add_i32 s46, s1, s0
	v_and_or_b32 v0, v0, 64, v6
	v_writelane_b32 v127, s45, 21
	v_ashrrev_i32_e32 v11, 31, v10
	v_mov_b32_e32 v15, v99
	s_lshl_b32 s98, s27, 5
	v_mul_lo_u32 v18, s26, v9
	v_or_b32_e32 v114, v4, v7
	v_lshlrev_b32_e32 v98, 1, v2
	v_lshlrev_b32_e32 v116, 2, v0
	v_mov_b32_e32 v117, v88
	v_writelane_b32 v127, s46, 22
	scratch_store_dwordx2 off, v[10:11], off offset:80 ; 8-byte Folded Spill
	scratch_store_dword off, v9, off offset:12 ; 4-byte Folded Spill
	v_or_b32_e32 v97, v5, v3
	scratch_store_dword off, v13, off offset:8 ; 4-byte Folded Spill
	scratch_store_dword off, v94, off offset:16 ; 4-byte Folded Spill
	;; [unrolled: 1-line block ×3, first 2 shown]
	scratch_store_dwordx2 off, v[14:15], off offset:72 ; 8-byte Folded Spill
	scratch_store_dword off, v16, off offset:88 ; 4-byte Folded Spill
	scratch_store_dword off, v17, off offset:92 ; 4-byte Folded Spill
	;; [unrolled: 1-line block ×4, first 2 shown]
	s_branch .LBB124_7
.LBB124_4:                              ;   in Loop: Header=BB124_7 Depth=1
	s_or_b64 exec, exec, s[6:7]
.LBB124_5:                              ;   in Loop: Header=BB124_7 Depth=1
	s_or_b64 exec, exec, s[4:5]
	v_subrev_u32_e32 v117, s33, v117
.LBB124_6:                              ;   in Loop: Header=BB124_7 Depth=1
	s_or_b64 exec, exec, s[0:1]
	s_add_i32 s2, s2, 1
	s_waitcnt vmcnt(4)
	v_cmp_ge_i32_e32 vcc, s2, v13
	s_cbranch_vccnz .LBB124_55
.LBB124_7:                              ; =>This Loop Header: Depth=1
                                        ;     Child Loop BB124_13 Depth 2
                                        ;       Child Loop BB124_15 Depth 3
                                        ;       Child Loop BB124_18 Depth 3
                                        ;       Child Loop BB124_21 Depth 3
                                        ;       Child Loop BB124_24 Depth 3
                                        ;       Child Loop BB124_27 Depth 3
                                        ;       Child Loop BB124_30 Depth 3
                                        ;     Child Loop BB124_34 Depth 2
                                        ;     Child Loop BB124_42 Depth 2
                                        ;       Child Loop BB124_44 Depth 3
                                        ;     Child Loop BB124_52 Depth 2
                                        ;       Child Loop BB124_54 Depth 3
	s_abs_i32 s1, s2
	s_mul_hi_u32 s3, s1, s44
	s_mul_i32 s4, s3, s28
	s_ashr_i32 s0, s2, 31
	s_sub_i32 s1, s1, s4
	s_xor_b32 s0, s0, s41
	s_add_i32 s4, s3, 1
	s_sub_i32 s5, s1, s28
	s_cmp_ge_u32 s1, s28
	s_cselect_b32 s3, s4, s3
	s_cselect_b32 s1, s5, s1
	s_add_i32 s4, s3, 1
	s_cmp_ge_u32 s1, s28
	s_cselect_b32 s1, s4, s3
	s_xor_b32 s1, s1, s0
	s_sub_i32 s0, s1, s0
	s_abs_i32 s4, s0
	s_mul_i32 s1, s0, s14
	s_mul_hi_u32 s5, s4, s46
	s_sub_i32 s1, s2, s1
	s_mul_i32 s6, s5, s99
	s_lshl_b32 s3, s1, 5
	s_ashr_i32 s1, s0, 31
	s_sub_i32 s4, s4, s6
	s_xor_b32 s1, s1, s45
	s_add_i32 s6, s5, 1
	s_sub_i32 s7, s4, s99
	s_cmp_ge_u32 s4, s99
	s_cselect_b32 s5, s6, s5
	s_cselect_b32 s4, s7, s4
	s_add_i32 s6, s5, 1
	s_cmp_ge_u32 s4, s99
	s_cselect_b32 s4, s6, s5
	s_xor_b32 s4, s4, s1
	s_sub_i32 s1, s4, s1
	s_mul_i32 s4, s1, s38
	s_lshl_b32 s47, s4, 6
	s_cmp_eq_u32 s1, s39
	s_cselect_b32 s33, s40, s38
	s_sub_i32 s4, s3, s24
	s_add_i32 s80, s4, 32
	s_and_saveexec_b64 s[4:5], s[36:37]
	s_xor_b64 s[96:97], exec, s[4:5]
	s_cbranch_execz .LBB124_48
; %bb.8:                                ;   in Loop: Header=BB124_7 Depth=1
	s_mul_i32 s1, s1, s15
	s_sub_i32 s0, s0, s1
	s_mulk_i32 s0, 0xa0
	s_sub_i32 s70, s0, s25
	s_addk_i32 s70, 0xa0
	s_max_i32 s1, s70, 0
	s_sub_i32 s72, s0, s1
	s_and_saveexec_b64 s[0:1], s[34:35]
	s_xor_b64 s[4:5], exec, s[0:1]
	s_cbranch_execz .LBB124_38
; %bb.9:                                ;   in Loop: Header=BB124_7 Depth=1
	s_and_saveexec_b64 s[0:1], s[42:43]
	s_cbranch_execz .LBB124_37
; %bb.10:                               ;   in Loop: Header=BB124_7 Depth=1
	global_load_dword v118, v99, s[22:23]
	v_mov_b32_e32 v79, 0
	v_cmp_gt_i32_e32 vcc, s33, v117
	v_mov_b32_e32 v78, v79
	v_mov_b32_e32 v77, v79
	v_mov_b32_e32 v76, v79
	v_mov_b32_e32 v75, v79
	v_mov_b32_e32 v74, v79
	v_mov_b32_e32 v73, v79
	v_mov_b32_e32 v72, v79
	v_mov_b32_e32 v71, v79
	v_mov_b32_e32 v70, v79
	v_mov_b32_e32 v69, v79
	v_mov_b32_e32 v68, v79
	v_mov_b32_e32 v67, v79
	v_mov_b32_e32 v66, v79
	v_mov_b32_e32 v65, v79
	v_mov_b32_e32 v64, v79
	v_mov_b32_e32 v63, v79
	v_mov_b32_e32 v62, v79
	v_mov_b32_e32 v61, v79
	v_mov_b32_e32 v60, v79
	v_mov_b32_e32 v59, v79
	v_mov_b32_e32 v58, v79
	v_mov_b32_e32 v57, v79
	v_mov_b32_e32 v56, v79
	v_mov_b32_e32 v55, v79
	v_mov_b32_e32 v54, v79
	v_mov_b32_e32 v53, v79
	v_mov_b32_e32 v52, v79
	v_mov_b32_e32 v51, v79
	v_mov_b32_e32 v50, v79
	v_mov_b32_e32 v49, v79
	v_mov_b32_e32 v48, v79
	v_mov_b32_e32 v47, v79
	v_mov_b32_e32 v46, v79
	v_mov_b32_e32 v45, v79
	v_mov_b32_e32 v44, v79
	v_mov_b32_e32 v43, v79
	v_mov_b32_e32 v42, v79
	v_mov_b32_e32 v41, v79
	v_mov_b32_e32 v40, v79
	v_mov_b32_e32 v39, v79
	v_mov_b32_e32 v38, v79
	v_mov_b32_e32 v37, v79
	v_mov_b32_e32 v36, v79
	v_mov_b32_e32 v35, v79
	v_mov_b32_e32 v34, v79
	v_mov_b32_e32 v33, v79
	v_mov_b32_e32 v32, v79
	v_mov_b32_e32 v31, v79
	v_mov_b32_e32 v30, v79
	v_mov_b32_e32 v29, v79
	v_mov_b32_e32 v28, v79
	v_mov_b32_e32 v27, v79
	v_mov_b32_e32 v26, v79
	v_mov_b32_e32 v25, v79
	v_mov_b32_e32 v24, v79
	v_mov_b32_e32 v23, v79
	v_mov_b32_e32 v22, v79
	v_mov_b32_e32 v21, v79
	v_mov_b32_e32 v20, v79
	v_mov_b32_e32 v19, v79
	s_waitcnt vmcnt(1)
	v_mov_b32_e32 v18, v79
	v_mov_b32_e32 v17, v79
	;; [unrolled: 1-line block ×19, first 2 shown]
	s_and_saveexec_b64 s[6:7], vcc
	s_cbranch_execz .LBB124_32
; %bb.11:                               ;   in Loop: Header=BB124_7 Depth=1
	v_mov_b32_e32 v0, 0
	s_mov_b64 s[8:9], 0
	v_mov_b32_e32 v1, v0
	v_mov_b32_e32 v2, v0
	;; [unrolled: 1-line block ×79, first 2 shown]
	s_branch .LBB124_13
.LBB124_12:                             ;   in Loop: Header=BB124_13 Depth=2
	s_or_b64 exec, exec, s[10:11]
	v_add_u32_e32 v81, 0x2000, v80
	ds_read2_b32 v[82:83], v81 offset1:32
	v_add_u32_e32 v117, s31, v117
	s_waitcnt lgkmcnt(0)
	v_mfma_f32_32x32x16_fp8_fp8 v[0:15], v[92:93], v[82:83], v[0:15]
	ds_read2_b32 v[82:83], v81 offset0:128 offset1:160
	s_waitcnt lgkmcnt(0)
	v_mfma_f32_32x32x16_fp8_fp8 v[0:15], v[90:91], v[82:83], v[0:15]
	v_add_u32_e32 v82, 0x2400, v80
	ds_read2_b32 v[80:81], v82 offset1:32
	ds_read2_b32 v[82:83], v82 offset0:128 offset1:160
	ds_write_b32 v120, v121 offset:36900
	s_waitcnt lgkmcnt(2)
	v_mfma_f32_32x32x16_fp8_fp8 v[0:15], v[88:89], v[80:81], v[0:15]
	v_add_u32_e32 v88, s31, v119
	v_add_u32_e32 v80, 2, v95
	v_cmp_lt_i32_e32 vcc, 2, v88
	s_nop 1
	v_cndmask_b32_e32 v95, v95, v80, vcc
	v_cmp_le_i32_e32 vcc, s33, v117
	s_waitcnt lgkmcnt(1)
	v_mfma_f32_32x32x16_fp8_fp8 v[0:15], v[86:87], v[82:83], v[0:15]
	s_or_b64 s[8:9], vcc, s[8:9]
	s_andn2_b64 exec, exec, s[8:9]
	s_cbranch_execz .LBB124_31
.LBB124_13:                             ;   Parent Loop BB124_7 Depth=1
                                        ; =>  This Loop Header: Depth=2
                                        ;       Child Loop BB124_15 Depth 3
                                        ;       Child Loop BB124_18 Depth 3
	;; [unrolled: 1-line block ×6, first 2 shown]
	v_cmp_gt_i32_e32 vcc, 3, v88
	s_nop 1
	v_cndmask_b32_e64 v80, -3, 0, vcc
	v_add_u32_e32 v119, v80, v88
	v_mul_lo_u32 v120, v119, 40
	ds_read_b32 v80, v120 offset:36864
	s_waitcnt lgkmcnt(0)
	v_cmp_ne_u32_e32 vcc, v80, v95
	s_and_saveexec_b64 s[10:11], vcc
	s_cbranch_execz .LBB124_16
; %bb.14:                               ;   in Loop: Header=BB124_13 Depth=2
	s_mov_b64 s[12:13], 0
.LBB124_15:                             ;   Parent Loop BB124_7 Depth=1
                                        ;     Parent Loop BB124_13 Depth=2
                                        ; =>    This Inner Loop Header: Depth=3
	;;#ASMSTART
	s_sleep 0
	;;#ASMEND
	ds_read_b32 v80, v120 offset:36864
	s_waitcnt lgkmcnt(0)
	v_cmp_eq_u32_e32 vcc, v80, v95
	s_or_b64 s[12:13], vcc, s[12:13]
	s_andn2_b64 exec, exec, s[12:13]
	s_cbranch_execnz .LBB124_15
.LBB124_16:                             ;   in Loop: Header=BB124_13 Depth=2
	s_or_b64 exec, exec, s[10:11]
	v_lshl_add_u32 v80, v119, 11, v94
	ds_read2_b32 v[92:93], v80 offset1:32
	ds_read2_b32 v[90:91], v80 offset0:128 offset1:160
	v_add_u32_e32 v80, 0x400, v80
	ds_read2_b32 v[88:89], v80 offset1:32
	ds_read_b32 v81, v120 offset:36868
	ds_read2_b32 v[86:87], v80 offset0:128 offset1:160
	v_add_u32_e32 v121, 1, v95
	ds_write_b32 v120, v121 offset:36864
	s_waitcnt lgkmcnt(2)
	v_cmp_ne_u32_e32 vcc, v81, v95
	s_and_saveexec_b64 s[10:11], vcc
	s_cbranch_execz .LBB124_19
; %bb.17:                               ;   in Loop: Header=BB124_13 Depth=2
	s_mov_b64 s[12:13], 0
.LBB124_18:                             ;   Parent Loop BB124_7 Depth=1
                                        ;     Parent Loop BB124_13 Depth=2
                                        ; =>    This Inner Loop Header: Depth=3
	;;#ASMSTART
	s_sleep 0
	;;#ASMEND
	ds_read_b32 v80, v120 offset:36868
	s_waitcnt lgkmcnt(0)
	v_cmp_eq_u32_e32 vcc, v80, v95
	s_or_b64 s[12:13], vcc, s[12:13]
	s_andn2_b64 exec, exec, s[12:13]
	s_cbranch_execnz .LBB124_18
.LBB124_19:                             ;   in Loop: Header=BB124_13 Depth=2
	s_or_b64 exec, exec, s[10:11]
	s_movk_i32 s10, 0x2800
	v_mul_lo_u32 v80, v119, s10
	v_or_b32_e32 v81, v96, v80
	ds_read2_b32 v[82:83], v81 offset1:32
	ds_write_b32 v120, v121 offset:36868
	s_waitcnt lgkmcnt(1)
	v_mfma_f32_32x32x16_fp8_fp8 v[64:79], v[92:93], v[82:83], v[64:79]
	ds_read2_b32 v[82:83], v81 offset0:128 offset1:160
	v_add_u32_e32 v81, 0x400, v81
	s_waitcnt lgkmcnt(0)
	v_mfma_f32_32x32x16_fp8_fp8 v[64:79], v[90:91], v[82:83], v[64:79]
	ds_read2_b32 v[82:83], v81 offset1:32
	s_waitcnt lgkmcnt(0)
	v_mfma_f32_32x32x16_fp8_fp8 v[64:79], v[88:89], v[82:83], v[64:79]
	ds_read2_b32 v[82:83], v81 offset0:128 offset1:160
	ds_read_b32 v81, v120 offset:36876
	s_waitcnt lgkmcnt(0)
	v_cmp_ne_u32_e32 vcc, v81, v95
	v_mfma_f32_32x32x16_fp8_fp8 v[64:79], v[86:87], v[82:83], v[64:79]
	s_and_saveexec_b64 s[10:11], vcc
	s_cbranch_execz .LBB124_22
; %bb.20:                               ;   in Loop: Header=BB124_13 Depth=2
	s_mov_b64 s[12:13], 0
.LBB124_21:                             ;   Parent Loop BB124_7 Depth=1
                                        ;     Parent Loop BB124_13 Depth=2
                                        ; =>    This Inner Loop Header: Depth=3
	;;#ASMSTART
	s_sleep 0
	;;#ASMEND
	ds_read_b32 v81, v120 offset:36876
	s_waitcnt lgkmcnt(0)
	v_cmp_eq_u32_e32 vcc, v81, v95
	s_or_b64 s[12:13], vcc, s[12:13]
	s_andn2_b64 exec, exec, s[12:13]
	s_cbranch_execnz .LBB124_21
.LBB124_22:                             ;   in Loop: Header=BB124_13 Depth=2
	s_or_b64 exec, exec, s[10:11]
	v_add_u32_e32 v80, v96, v80
	v_add_u32_e32 v81, 0x800, v80
	ds_read2_b32 v[82:83], v81 offset1:32
	ds_write_b32 v120, v121 offset:36876
	s_waitcnt lgkmcnt(1)
	v_mfma_f32_32x32x16_fp8_fp8 v[48:63], v[92:93], v[82:83], v[48:63]
	ds_read2_b32 v[82:83], v81 offset0:128 offset1:160
	v_add_u32_e32 v81, 0xc00, v80
	s_waitcnt lgkmcnt(0)
	v_mfma_f32_32x32x16_fp8_fp8 v[48:63], v[90:91], v[82:83], v[48:63]
	ds_read2_b32 v[82:83], v81 offset1:32
	s_waitcnt lgkmcnt(0)
	v_mfma_f32_32x32x16_fp8_fp8 v[48:63], v[88:89], v[82:83], v[48:63]
	ds_read2_b32 v[82:83], v81 offset0:128 offset1:160
	ds_read_b32 v81, v120 offset:36884
	s_waitcnt lgkmcnt(0)
	v_cmp_ne_u32_e32 vcc, v81, v95
	v_mfma_f32_32x32x16_fp8_fp8 v[48:63], v[86:87], v[82:83], v[48:63]
	s_and_saveexec_b64 s[10:11], vcc
	s_cbranch_execz .LBB124_25
; %bb.23:                               ;   in Loop: Header=BB124_13 Depth=2
	s_mov_b64 s[12:13], 0
.LBB124_24:                             ;   Parent Loop BB124_7 Depth=1
                                        ;     Parent Loop BB124_13 Depth=2
                                        ; =>    This Inner Loop Header: Depth=3
	;;#ASMSTART
	s_sleep 0
	;;#ASMEND
	ds_read_b32 v81, v120 offset:36884
	s_waitcnt lgkmcnt(0)
	v_cmp_eq_u32_e32 vcc, v81, v95
	s_or_b64 s[12:13], vcc, s[12:13]
	s_andn2_b64 exec, exec, s[12:13]
	s_cbranch_execnz .LBB124_24
.LBB124_25:                             ;   in Loop: Header=BB124_13 Depth=2
	s_or_b64 exec, exec, s[10:11]
	v_add_u32_e32 v81, 0x1000, v80
	ds_read2_b32 v[82:83], v81 offset1:32
	s_waitcnt lgkmcnt(0)
	v_mfma_f32_32x32x16_fp8_fp8 v[32:47], v[92:93], v[82:83], v[32:47]
	ds_read2_b32 v[82:83], v81 offset0:128 offset1:160
	v_add_u32_e32 v81, 0x1400, v80
	s_waitcnt lgkmcnt(0)
	v_mfma_f32_32x32x16_fp8_fp8 v[32:47], v[90:91], v[82:83], v[32:47]
	ds_read2_b32 v[82:83], v81 offset1:32
	s_waitcnt lgkmcnt(0)
	v_mfma_f32_32x32x16_fp8_fp8 v[32:47], v[88:89], v[82:83], v[32:47]
	ds_read_b32 v84, v120 offset:36892
	ds_read2_b32 v[82:83], v81 offset0:128 offset1:160
	ds_write_b32 v120, v121 offset:36884
	s_waitcnt lgkmcnt(2)
	v_cmp_ne_u32_e32 vcc, v84, v95
	s_waitcnt lgkmcnt(1)
	v_mfma_f32_32x32x16_fp8_fp8 v[32:47], v[86:87], v[82:83], v[32:47]
	s_and_saveexec_b64 s[10:11], vcc
	s_cbranch_execz .LBB124_28
; %bb.26:                               ;   in Loop: Header=BB124_13 Depth=2
	s_mov_b64 s[12:13], 0
.LBB124_27:                             ;   Parent Loop BB124_7 Depth=1
                                        ;     Parent Loop BB124_13 Depth=2
                                        ; =>    This Inner Loop Header: Depth=3
	;;#ASMSTART
	s_sleep 0
	;;#ASMEND
	ds_read_b32 v81, v120 offset:36892
	s_waitcnt lgkmcnt(0)
	v_cmp_eq_u32_e32 vcc, v81, v95
	s_or_b64 s[12:13], vcc, s[12:13]
	s_andn2_b64 exec, exec, s[12:13]
	s_cbranch_execnz .LBB124_27
.LBB124_28:                             ;   in Loop: Header=BB124_13 Depth=2
	s_or_b64 exec, exec, s[10:11]
	v_add_u32_e32 v81, 0x1800, v80
	ds_read2_b32 v[82:83], v81 offset1:32
	s_waitcnt lgkmcnt(0)
	v_mfma_f32_32x32x16_fp8_fp8 v[16:31], v[92:93], v[82:83], v[16:31]
	ds_read2_b32 v[82:83], v81 offset0:128 offset1:160
	v_add_u32_e32 v81, 0x1c00, v80
	s_waitcnt lgkmcnt(0)
	v_mfma_f32_32x32x16_fp8_fp8 v[16:31], v[90:91], v[82:83], v[16:31]
	ds_read2_b32 v[82:83], v81 offset1:32
	s_waitcnt lgkmcnt(0)
	v_mfma_f32_32x32x16_fp8_fp8 v[16:31], v[88:89], v[82:83], v[16:31]
	ds_read_b32 v84, v120 offset:36900
	ds_read2_b32 v[82:83], v81 offset0:128 offset1:160
	ds_write_b32 v120, v121 offset:36892
	s_waitcnt lgkmcnt(2)
	v_cmp_ne_u32_e32 vcc, v84, v95
	s_waitcnt lgkmcnt(1)
	v_mfma_f32_32x32x16_fp8_fp8 v[16:31], v[86:87], v[82:83], v[16:31]
	s_and_saveexec_b64 s[10:11], vcc
	s_cbranch_execz .LBB124_12
; %bb.29:                               ;   in Loop: Header=BB124_13 Depth=2
	s_mov_b64 s[12:13], 0
.LBB124_30:                             ;   Parent Loop BB124_7 Depth=1
                                        ;     Parent Loop BB124_13 Depth=2
                                        ; =>    This Inner Loop Header: Depth=3
	;;#ASMSTART
	s_sleep 0
	;;#ASMEND
	ds_read_b32 v81, v120 offset:36900
	s_waitcnt lgkmcnt(0)
	v_cmp_eq_u32_e32 vcc, v81, v95
	s_or_b64 s[12:13], vcc, s[12:13]
	s_andn2_b64 exec, exec, s[12:13]
	s_cbranch_execnz .LBB124_30
	s_branch .LBB124_12
.LBB124_31:                             ;   in Loop: Header=BB124_7 Depth=1
	s_or_b64 exec, exec, s[8:9]
.LBB124_32:                             ;   in Loop: Header=BB124_7 Depth=1
	v_writelane_b32 v127, s80, 23
	v_writelane_b32 v127, s47, 24
	s_or_b64 exec, exec, s[6:7]
	scratch_load_dword v80, off, off offset:12 ; 4-byte Folded Reload
	scratch_load_dword v111, off, off offset:24 ; 4-byte Folded Reload
	;; [unrolled: 1-line block ×4, first 2 shown]
	s_mul_i32 s6, s3, s25
	s_ashr_i32 s7, s6, 31
	s_lshl_b64 s[6:7], s[6:7], 1
	s_add_u32 s68, s20, s6
	s_addc_u32 s69, s21, s7
	s_mov_b32 s34, s72
	s_ashr_i32 s73, s72, 31
	v_writelane_b32 v127, s34, 25
	scratch_store_dwordx2 off, v[98:99], off ; 8-byte Folded Spill
	v_subrev_u32_e32 v117, s33, v117
	v_writelane_b32 v127, s35, 26
	s_lshl_b64 s[34:35], s[72:73], 1
	s_add_u32 s34, s68, s34
	s_addc_u32 s35, s69, s35
	v_writelane_b32 v127, s34, 27
	s_waitcnt vmcnt(4)
	v_cmp_le_i32_e32 vcc, s70, v80
	s_nop 1
	v_cndmask_b32_e32 v80, 0, v118, vcc
	v_pk_mul_f32 v[64:65], v[80:81], v[64:65] op_sel_hi:[0,1]
	s_waitcnt vmcnt(3)
	v_cmp_eq_u32_e64 s[64:65], 1, v111
	v_pk_mul_f32 v[78:79], v[80:81], v[78:79] op_sel_hi:[0,1]
	v_pk_mul_f32 v[76:77], v[80:81], v[76:77] op_sel_hi:[0,1]
	;; [unrolled: 1-line block ×7, first 2 shown]
	v_cndmask_b32_e64 v80, v64, v65, s[64:65]
	v_cmp_eq_u32_e64 s[38:39], 2, v111
	v_cmp_eq_u32_e64 s[40:41], 3, v111
	v_cmp_eq_u32_e64 s[42:43], 4, v111
	v_cndmask_b32_e64 v80, v80, v66, s[38:39]
	v_cndmask_b32_e64 v80, v80, v67, s[40:41]
	v_cndmask_b32_e64 v80, v80, v68, s[42:43]
	v_cmp_eq_u32_e64 s[44:45], 5, v111
	v_cmp_eq_u32_e64 s[46:47], 6, v111
	v_cmp_eq_u32_e64 s[48:49], 7, v111
	v_cndmask_b32_e64 v80, v80, v69, s[44:45]
	v_cndmask_b32_e64 v80, v80, v70, s[46:47]
	;; [unrolled: 6-line block ×5, first 2 shown]
	ds_bpermute_b32 v80, v116, v80
	s_waitcnt vmcnt(2)
	v_cmp_eq_u32_e32 vcc, 1, v91
	v_cmp_eq_u32_e64 s[6:7], 2, v91
	v_cmp_eq_u32_e64 s[8:9], 3, v91
	;; [unrolled: 1-line block ×3, first 2 shown]
	s_waitcnt lgkmcnt(0)
	v_cndmask_b32_e64 v90, v65, v80, s[64:65]
	v_cndmask_b32_e64 v87, v64, v80, s[36:37]
	;; [unrolled: 1-line block ×3, first 2 shown]
	v_cndmask_b32_e32 v64, v87, v90, vcc
	v_cndmask_b32_e64 v86, v67, v80, s[40:41]
	v_cndmask_b32_e64 v64, v64, v66, s[6:7]
	;; [unrolled: 1-line block ×6, first 2 shown]
	v_cmp_eq_u32_e64 s[12:13], 5, v91
	v_cndmask_b32_e64 v83, v70, v80, s[46:47]
	v_cmp_eq_u32_e64 s[14:15], 6, v91
	v_cndmask_b32_e64 v64, v64, v84, s[12:13]
	v_cndmask_b32_e64 v82, v71, v80, s[48:49]
	v_cndmask_b32_e64 v64, v64, v83, s[14:15]
	v_cmp_eq_u32_e64 s[16:17], 7, v91
	v_cndmask_b32_e64 v81, v72, v80, s[50:51]
	v_cmp_eq_u32_e64 s[18:19], 8, v91
	v_cndmask_b32_e64 v64, v64, v82, s[16:17]
	v_cndmask_b32_e64 v73, v73, v80, s[52:53]
	v_cndmask_b32_e64 v64, v64, v81, s[18:19]
	;; [unrolled: 6-line block ×5, first 2 shown]
	v_writelane_b32 v127, s35, 28
	v_cmp_eq_u32_e64 s[34:35], 15, v91
	scratch_load_dword v80, off, off offset:64 ; 4-byte Folded Reload
	s_waitcnt vmcnt(2)
	v_cmp_eq_u32_e64 s[72:73], 9, v115
	v_cndmask_b32_e64 v64, v64, v79, s[34:35]
	ds_bpermute_b32 v89, v116, v64
	scratch_load_dword v64, off, off offset:56 ; 4-byte Folded Reload
	s_waitcnt lgkmcnt(0)
	v_cndmask_b32_e64 v65, v79, v89, s[34:35]
	v_cndmask_b32_e64 v79, v66, v89, s[6:7]
	;; [unrolled: 1-line block ×8, first 2 shown]
	v_cndmask_b32_e32 v86, v90, v89, vcc
	v_cndmask_b32_e64 v68, v77, v89, s[78:79]
	v_cndmask_b32_e64 v77, v85, v89, s[10:11]
	;; [unrolled: 1-line block ×6, first 2 shown]
	s_waitcnt vmcnt(0)
	v_cmp_le_i32_e64 s[68:69], s70, v64
	scratch_load_dword v64, off, off offset:60 ; 4-byte Folded Reload
	s_nop 0
	v_cndmask_b32_e64 v66, 0, v118, s[68:69]
	v_pk_mul_f32 v[62:63], v[66:67], v[62:63] op_sel_hi:[0,1]
	v_pk_mul_f32 v[60:61], v[66:67], v[60:61] op_sel_hi:[0,1]
	;; [unrolled: 1-line block ×8, first 2 shown]
	s_waitcnt vmcnt(0)
	v_cmp_le_i32_e64 s[68:69], s70, v64
	s_nop 1
	v_cndmask_b32_e64 v64, 0, v118, s[68:69]
	v_cmp_le_i32_e64 s[68:69], s70, v80
	scratch_load_dword v80, off, off offset:68 ; 4-byte Folded Reload
	v_pk_mul_f32 v[46:47], v[64:65], v[46:47] op_sel_hi:[0,1]
	v_cndmask_b32_e64 v66, 0, v118, s[68:69]
	v_pk_mul_f32 v[16:17], v[66:67], v[16:17] op_sel_hi:[0,1]
	v_pk_mul_f32 v[96:97], v[66:67], v[26:27] op_sel_hi:[0,1]
	;; [unrolled: 1-line block ×3, first 2 shown]
	v_cndmask_b32_e64 v26, v16, v17, s[64:65]
	v_cndmask_b32_e64 v26, v26, v18, s[38:39]
	v_pk_mul_f32 v[20:21], v[66:67], v[20:21] op_sel_hi:[0,1]
	v_cndmask_b32_e64 v26, v26, v19, s[40:41]
	v_cndmask_b32_e64 v26, v26, v20, s[42:43]
	v_pk_mul_f32 v[44:45], v[64:65], v[44:45] op_sel_hi:[0,1]
	v_pk_mul_f32 v[42:43], v[64:65], v[42:43] op_sel_hi:[0,1]
	;; [unrolled: 1-line block ×7, first 2 shown]
	v_cndmask_b32_e64 v64, v48, v49, s[64:65]
	v_pk_mul_f32 v[22:23], v[66:67], v[22:23] op_sel_hi:[0,1]
	v_cndmask_b32_e64 v26, v26, v21, s[44:45]
	v_cndmask_b32_e64 v64, v64, v50, s[38:39]
	;; [unrolled: 1-line block ×4, first 2 shown]
	v_pk_mul_f32 v[24:25], v[66:67], v[24:25] op_sel_hi:[0,1]
	v_cndmask_b32_e64 v26, v26, v23, s[48:49]
	v_cndmask_b32_e64 v64, v64, v52, s[42:43]
	;; [unrolled: 1-line block ×8, first 2 shown]
	v_pk_mul_f32 v[82:83], v[66:67], v[28:29] op_sel_hi:[0,1]
	v_cndmask_b32_e64 v26, v26, v97, s[56:57]
	v_cndmask_b32_e64 v64, v64, v56, s[50:51]
	v_cndmask_b32_e64 v26, v26, v82, s[58:59]
	v_cndmask_b32_e64 v64, v64, v57, s[52:53]
	v_pk_mul_f32 v[30:31], v[66:67], v[30:31] op_sel_hi:[0,1]
	v_cndmask_b32_e64 v26, v26, v83, s[60:61]
	v_cndmask_b32_e64 v64, v64, v58, s[54:55]
	v_cndmask_b32_e64 v26, v26, v30, s[62:63]
	v_cndmask_b32_e64 v64, v64, v59, s[56:57]
	v_cndmask_b32_e64 v26, v26, v31, s[66:67]
	v_cndmask_b32_e64 v64, v64, v60, s[58:59]
	ds_bpermute_b32 v99, v116, v26
	v_cndmask_b32_e64 v64, v64, v61, s[60:61]
	v_cndmask_b32_e64 v64, v64, v62, s[62:63]
	;; [unrolled: 1-line block ×3, first 2 shown]
	ds_bpermute_b32 v106, v116, v64
	v_cndmask_b32_e64 v64, v32, v33, s[64:65]
	v_cndmask_b32_e64 v64, v64, v34, s[38:39]
	v_cndmask_b32_e64 v64, v64, v35, s[40:41]
	v_cndmask_b32_e64 v64, v64, v36, s[42:43]
	v_cndmask_b32_e64 v64, v64, v37, s[44:45]
	v_cndmask_b32_e64 v64, v64, v38, s[46:47]
	v_cndmask_b32_e64 v64, v64, v39, s[48:49]
	v_cndmask_b32_e64 v64, v64, v40, s[50:51]
	v_cndmask_b32_e64 v64, v64, v41, s[52:53]
	v_cndmask_b32_e64 v64, v64, v42, s[54:55]
	v_cndmask_b32_e64 v64, v64, v43, s[56:57]
	v_cndmask_b32_e64 v64, v64, v44, s[58:59]
	v_cndmask_b32_e64 v64, v64, v45, s[60:61]
	v_cndmask_b32_e64 v64, v64, v46, s[62:63]
	v_cndmask_b32_e64 v64, v64, v47, s[66:67]
	ds_bpermute_b32 v105, v116, v64
	s_waitcnt lgkmcnt(1)
	v_cndmask_b32_e64 v26, v49, v106, s[64:65]
	v_cndmask_b32_e64 v27, v63, v106, s[66:67]
	;; [unrolled: 1-line block ×4, first 2 shown]
	s_waitcnt lgkmcnt(0)
	v_cndmask_b32_e64 v63, v47, v105, s[66:67]
	v_cndmask_b32_e64 v62, v46, v105, s[62:63]
	;; [unrolled: 1-line block ×10, first 2 shown]
	s_waitcnt vmcnt(0)
	v_cmp_le_i32_e64 s[68:69], s70, v80
	v_cmp_eq_u32_e64 s[70:71], 7, v115
	v_cndmask_b32_e64 v93, v96, v99, s[54:55]
	v_cndmask_b32_e64 v80, 0, v118, s[68:69]
	v_pk_mul_f32 v[0:1], v[80:81], v[0:1] op_sel_hi:[0,1]
	v_pk_mul_f32 v[100:101], v[80:81], v[6:7] op_sel_hi:[0,1]
	;; [unrolled: 1-line block ×3, first 2 shown]
	v_cndmask_b32_e64 v7, v17, v99, s[64:65]
	v_cndmask_b32_e64 v17, v0, v1, s[64:65]
	;; [unrolled: 1-line block ×3, first 2 shown]
	v_pk_mul_f32 v[4:5], v[80:81], v[4:5] op_sel_hi:[0,1]
	v_cndmask_b32_e64 v17, v17, v3, s[40:41]
	v_cndmask_b32_e64 v17, v17, v4, s[42:43]
	;; [unrolled: 1-line block ×4, first 2 shown]
	v_pk_mul_f32 v[8:9], v[80:81], v[8:9] op_sel_hi:[0,1]
	v_cndmask_b32_e64 v17, v17, v101, s[48:49]
	v_cndmask_b32_e64 v17, v17, v8, s[50:51]
	v_pk_mul_f32 v[10:11], v[80:81], v[10:11] op_sel_hi:[0,1]
	v_cndmask_b32_e64 v17, v17, v9, s[52:53]
	v_cndmask_b32_e64 v17, v17, v10, s[54:55]
	;; [unrolled: 3-line block ×4, first 2 shown]
	v_cndmask_b32_e64 v17, v17, v15, s[66:67]
	ds_bpermute_b32 v98, v116, v17
	v_cmp_eq_u32_e64 s[68:69], 0, v91
	v_cndmask_b32_e64 v6, v33, v105, s[64:65]
	v_cmp_eq_u32_e64 s[64:65], 1, v115
	v_cndmask_b32_e64 v87, v87, v89, s[68:69]
	s_waitcnt lgkmcnt(0)
	v_cndmask_b32_e64 v113, v15, v98, s[66:67]
	v_cndmask_b32_e64 v17, v87, v86, s[64:65]
	v_cmp_eq_u32_e64 s[66:67], 2, v115
	v_cndmask_b32_e64 v89, v30, v99, s[62:63]
	v_cndmask_b32_e64 v118, v14, v98, s[62:63]
	;; [unrolled: 1-line block ×3, first 2 shown]
	v_cmp_eq_u32_e64 s[62:63], 3, v115
	v_cndmask_b32_e64 v119, v13, v98, s[60:61]
	v_cmp_eq_u32_e64 s[60:61], 4, v115
	v_cndmask_b32_e64 v14, v15, v78, s[62:63]
	v_cndmask_b32_e64 v30, v60, v106, s[58:59]
	;; [unrolled: 1-line block ×6, first 2 shown]
	v_cmp_eq_u32_e64 s[58:59], 5, v115
	v_cndmask_b32_e64 v121, v11, v98, s[56:57]
	v_cmp_eq_u32_e64 s[56:57], 6, v115
	v_cndmask_b32_e64 v12, v13, v76, s[58:59]
	v_cndmask_b32_e64 v33, v58, v106, s[54:55]
	;; [unrolled: 1-line block ×9, first 2 shown]
	v_cmp_eq_u32_e64 s[52:53], 8, v115
	v_cndmask_b32_e64 v124, v8, v98, s[50:51]
	v_cndmask_b32_e64 v44, v55, v106, s[48:49]
	;; [unrolled: 1-line block ×6, first 2 shown]
	v_cmp_eq_u32_e64 s[48:49], 10, v115
	v_cndmask_b32_e64 v43, v56, v106, s[50:51]
	v_cndmask_b32_e64 v64, v40, v105, s[50:51]
	;; [unrolled: 1-line block ×4, first 2 shown]
	v_cmp_eq_u32_e64 s[50:51], 11, v115
	v_cndmask_b32_e64 v45, v54, v106, s[46:47]
	v_cndmask_b32_e64 v81, v38, v105, s[46:47]
	;; [unrolled: 1-line block ×5, first 2 shown]
	v_cmp_eq_u32_e64 s[46:47], 12, v115
	v_cndmask_b32_e64 v104, v5, v98, s[44:45]
	v_cndmask_b32_e64 v46, v52, v106, s[42:43]
	;; [unrolled: 1-line block ×6, first 2 shown]
	v_cmp_eq_u32_e64 s[42:43], 13, v115
	v_cndmask_b32_e64 v101, v53, v106, s[44:45]
	v_cndmask_b32_e64 v102, v37, v105, s[44:45]
	v_cndmask_b32_e64 v103, v21, v99, s[44:45]
	v_cndmask_b32_e64 v4, v5, v68, s[42:43]
	v_cmp_eq_u32_e64 s[44:45], 14, v115
	v_cndmask_b32_e64 v49, v50, v106, s[38:39]
	v_cndmask_b32_e64 v84, v34, v105, s[38:39]
	;; [unrolled: 1-line block ×4, first 2 shown]
	v_cmp_ne_u32_e64 s[38:39], 0, v111
	v_cndmask_b32_e64 v97, v3, v98, s[40:41]
	v_cndmask_b32_e64 v3, v4, v67, s[44:45]
	;; [unrolled: 1-line block ×3, first 2 shown]
	v_cmp_eq_u32_e64 s[38:39], 15, v115
	v_cndmask_b32_e64 v110, v19, v99, s[40:41]
	v_cndmask_b32_e64 v19, v48, v106, s[36:37]
	;; [unrolled: 1-line block ×3, first 2 shown]
	ds_bpermute_b32 v20, v116, v1
	v_cndmask_b32_e64 v47, v51, v106, s[40:41]
	v_cndmask_b32_e64 v34, v32, v105, s[36:37]
	;; [unrolled: 1-line block ×4, first 2 shown]
	s_waitcnt lgkmcnt(0)
	v_cndmask_b32_e64 v2, v67, v20, s[44:45]
	v_cndmask_b32_e64 v67, v0, v98, s[36:37]
	v_cndmask_b32_e32 v0, v19, v26, vcc
	v_cndmask_b32_e64 v0, v0, v49, s[6:7]
	v_cndmask_b32_e64 v0, v0, v47, s[8:9]
	v_cndmask_b32_e64 v0, v0, v46, s[10:11]
	v_cndmask_b32_e64 v0, v0, v101, s[12:13]
	v_cndmask_b32_e64 v0, v0, v45, s[14:15]
	v_cndmask_b32_e64 v0, v0, v44, s[16:17]
	v_cndmask_b32_e64 v0, v0, v43, s[18:19]
	v_cndmask_b32_e64 v0, v0, v42, s[20:21]
	v_cndmask_b32_e64 v0, v0, v33, s[22:23]
	v_cndmask_b32_e64 v0, v0, v31, s[74:75]
	v_cndmask_b32_e64 v0, v0, v30, s[76:77]
	v_cndmask_b32_e64 v0, v0, v29, s[78:79]
	v_cndmask_b32_e64 v0, v0, v28, s[80:81]
	v_cndmask_b32_e64 v0, v0, v27, s[34:35]
	ds_bpermute_b32 v98, v116, v0
	v_cndmask_b32_e32 v0, v34, v6, vcc
	v_cndmask_b32_e64 v0, v0, v84, s[6:7]
	v_cndmask_b32_e64 v0, v0, v83, s[8:9]
	v_cndmask_b32_e64 v0, v0, v82, s[10:11]
	v_cndmask_b32_e64 v0, v0, v102, s[12:13]
	v_cndmask_b32_e64 v0, v0, v81, s[14:15]
	v_cndmask_b32_e64 v0, v0, v80, s[16:17]
	v_cndmask_b32_e64 v0, v0, v64, s[18:19]
	v_cndmask_b32_e64 v0, v0, v41, s[20:21]
	v_cndmask_b32_e64 v0, v0, v58, s[22:23]
	v_cndmask_b32_e64 v0, v0, v59, s[74:75]
	v_cndmask_b32_e64 v0, v0, v60, s[76:77]
	v_cndmask_b32_e64 v0, v0, v61, s[78:79]
	v_cndmask_b32_e64 v0, v0, v62, s[80:81]
	v_cndmask_b32_e64 v0, v0, v63, s[34:35]
	ds_bpermute_b32 v99, v116, v0
	v_cndmask_b32_e32 v0, v50, v7, vcc
	v_cndmask_b32_e64 v0, v0, v112, s[6:7]
	v_cndmask_b32_e64 v0, v0, v110, s[8:9]
	v_cndmask_b32_e64 v0, v0, v109, s[10:11]
	v_cndmask_b32_e64 v0, v0, v103, s[12:13]
	v_cndmask_b32_e64 v0, v0, v108, s[14:15]
	v_cndmask_b32_e64 v0, v0, v107, s[16:17]
	v_cndmask_b32_e64 v0, v0, v96, s[18:19]
	v_cndmask_b32_e64 v0, v0, v57, s[20:21]
	v_cndmask_b32_e64 v0, v0, v93, s[22:23]
	v_cndmask_b32_e64 v0, v0, v92, s[74:75]
	v_cndmask_b32_e64 v0, v0, v91, s[76:77]
	v_cndmask_b32_e64 v0, v0, v90, s[78:79]
	v_cndmask_b32_e64 v0, v0, v89, s[80:81]
	v_cndmask_b32_e64 v0, v0, v85, s[34:35]
	ds_bpermute_b32 v105, v116, v0
	v_cndmask_b32_e32 v0, v67, v66, vcc
	v_cndmask_b32_e64 v0, v0, v100, s[6:7]
	v_cndmask_b32_e64 v0, v0, v97, s[8:9]
	;; [unrolled: 1-line block ×3, first 2 shown]
	s_waitcnt lgkmcnt(0)
	v_cndmask_b32_e64 v51, v85, v105, s[34:35]
	scratch_load_dword v85, off, off offset:36 ; 4-byte Folded Reload
	v_cndmask_b32_e64 v0, v0, v104, s[12:13]
	v_cndmask_b32_e64 v0, v0, v126, s[14:15]
	;; [unrolled: 1-line block ×11, first 2 shown]
	ds_bpermute_b32 v106, v116, v0
	v_cmp_eq_u32_e64 s[36:37], 0, v115
	v_cndmask_b32_e64 v3, v68, v20, s[42:43]
	v_cndmask_b32_e64 v18, v86, v20, s[64:65]
	;; [unrolled: 1-line block ×5, first 2 shown]
	s_waitcnt lgkmcnt(0)
	v_cndmask_b32_e64 v68, v113, v106, s[34:35]
	v_cndmask_b32_e64 v48, v84, v99, s[6:7]
	scratch_load_dword v84, off, off offset:44 ; 4-byte Folded Reload
	v_cndmask_b32_e64 v17, v79, v20, s[66:67]
	v_cndmask_b32_e64 v15, v78, v20, s[62:63]
	;; [unrolled: 1-line block ×37, first 2 shown]
	v_cndmask_b32_e32 v26, v26, v98, vcc
	v_cndmask_b32_e32 v89, v66, v106, vcc
	v_cndmask_b32_e64 v34, v34, v99, s[68:69]
	v_cndmask_b32_e64 v66, v50, v105, s[68:69]
	;; [unrolled: 1-line block ×10, first 2 shown]
	scratch_load_dword v104, off, off offset:48 ; 4-byte Folded Reload
	s_waitcnt vmcnt(2)
	v_cmp_eq_u32_e64 s[34:35], 1, v85
	s_nop 1
	v_cndmask_b32_e64 v21, v0, v18, s[34:35]
	v_cmp_eq_u32_e64 s[90:91], 2, v85
	v_cmp_eq_u32_e64 s[86:87], 3, v85
	;; [unrolled: 1-line block ×3, first 2 shown]
	v_cndmask_b32_e64 v22, v21, v17, s[90:91]
	v_cndmask_b32_e64 v23, v22, v15, s[86:87]
	;; [unrolled: 1-line block ×3, first 2 shown]
	v_cmp_eq_u32_e64 s[94:95], 5, v85
	v_cndmask_b32_e64 v21, v29, v98, s[78:79]
	v_cndmask_b32_e64 v22, v30, v98, s[76:77]
	v_cndmask_b32_e64 v25, v24, v13, s[94:95]
	v_cndmask_b32_e64 v24, v33, v98, s[22:23]
	v_cmp_eq_u32_e64 s[22:23], 6, v85
	v_cndmask_b32_e64 v23, v31, v98, s[74:75]
	v_cmp_eq_u32_e64 s[76:77], 13, v85
	v_cndmask_b32_e64 v27, v25, v12, s[22:23]
	v_cndmask_b32_e64 v25, v42, v98, s[20:21]
	v_cmp_eq_u32_e64 s[20:21], 7, v85
	v_cndmask_b32_e64 v42, v64, v99, s[18:19]
	v_cndmask_b32_e64 v64, v112, v105, s[6:7]
	;; [unrolled: 1-line block ×4, first 2 shown]
	v_cmp_eq_u32_e64 s[18:19], 8, v85
	v_cndmask_b32_e64 v43, v80, v99, s[16:17]
	s_nop 0
	v_cndmask_b32_e64 v29, v28, v10, s[18:19]
	v_cndmask_b32_e64 v28, v44, v98, s[16:17]
	v_cmp_eq_u32_e64 s[16:17], 9, v85
	v_cndmask_b32_e64 v44, v81, v99, s[14:15]
	s_nop 0
	v_cndmask_b32_e64 v30, v29, v9, s[16:17]
	v_cndmask_b32_e64 v29, v45, v98, s[14:15]
	;; [unrolled: 5-line block ×3, first 2 shown]
	v_cmp_eq_u32_e64 s[12:13], 11, v85
	s_nop 1
	v_cndmask_b32_e64 v32, v31, v5, s[12:13]
	v_cndmask_b32_e64 v31, v46, v98, s[10:11]
	;; [unrolled: 1-line block ×3, first 2 shown]
	v_cmp_eq_u32_e64 s[10:11], 12, v85
	s_nop 1
	v_cndmask_b32_e64 v33, v32, v4, s[10:11]
	v_cndmask_b32_e64 v65, v33, v3, s[76:77]
	;; [unrolled: 1-line block ×3, first 2 shown]
	v_cmp_eq_u32_e64 s[6:7], 14, v85
	v_cndmask_b32_e32 v49, v6, v99, vcc
	v_cndmask_b32_e64 v32, v47, v98, s[8:9]
	v_cndmask_b32_e64 v80, v65, v2, s[6:7]
	v_cndmask_b32_e32 v65, v7, v105, vcc
	v_cmp_eq_u32_e32 vcc, 15, v85
	v_cndmask_b32_e64 v47, v83, v99, s[8:9]
	v_cmp_eq_u32_e64 s[8:9], 0, v85
	v_cndmask_b32_e32 v6, v80, v1, vcc
	ds_bpermute_b32 v80, v116, v6
	s_waitcnt lgkmcnt(0)
	v_cndmask_b32_e64 v6, v8, v80, s[14:15]
	v_cndmask_b32_e64 v8, v10, v80, s[18:19]
	v_cndmask_b32_e64 v10, v12, v80, s[22:23]
	v_cndmask_b32_e64 v12, v14, v80, s[82:83]
	v_cndmask_b32_e64 v14, v17, v80, s[90:91]
	v_cndmask_b32_e64 v17, v19, v98, s[68:69]
	v_cndmask_b32_e64 v7, v9, v80, s[16:17]
	v_cndmask_b32_e64 v9, v11, v80, s[20:21]
	v_cndmask_b32_e64 v11, v13, v80, s[94:95]
	v_cndmask_b32_e64 v13, v15, v80, s[86:87]
	v_cndmask_b32_e64 v15, v18, v80, s[34:35]
	v_cndmask_b32_e64 v18, v17, v26, s[64:65]
	v_cndmask_b32_e64 v18, v18, v33, s[66:67]
	v_cndmask_b32_e64 v18, v18, v32, s[62:63]
	v_cndmask_b32_e64 v18, v18, v31, s[60:61]
	v_cndmask_b32_e64 v18, v18, v30, s[58:59]
	v_cndmask_b32_e64 v18, v18, v29, s[56:57]
	v_cndmask_b32_e64 v18, v18, v28, s[70:71]
	v_cndmask_b32_e64 v18, v18, v27, s[52:53]
	v_cndmask_b32_e64 v18, v18, v25, s[72:73]
	v_cndmask_b32_e64 v18, v18, v24, s[48:49]
	v_cndmask_b32_e64 v18, v18, v23, s[50:51]
	v_cndmask_b32_e64 v18, v18, v22, s[46:47]
	v_cndmask_b32_e64 v18, v18, v21, s[42:43]
	v_cndmask_b32_e64 v18, v18, v20, s[44:45]
	v_cndmask_b32_e64 v18, v18, v16, s[38:39]
	ds_bpermute_b32 v50, v116, v18
	v_cndmask_b32_e64 v18, v34, v49, s[64:65]
	v_cndmask_b32_e64 v18, v18, v48, s[66:67]
	;; [unrolled: 1-line block ×15, first 2 shown]
	ds_bpermute_b32 v81, v116, v18
	v_cndmask_b32_e64 v18, v66, v65, s[64:65]
	v_cndmask_b32_e64 v18, v18, v64, s[66:67]
	;; [unrolled: 1-line block ×15, first 2 shown]
	ds_bpermute_b32 v82, v116, v18
	v_cndmask_b32_e64 v18, v90, v89, s[64:65]
	v_cndmask_b32_e64 v18, v18, v87, s[66:67]
	;; [unrolled: 1-line block ×4, first 2 shown]
	s_waitcnt lgkmcnt(0)
	v_cndmask_b32_e64 v67, v51, v82, s[38:39]
	scratch_load_dword v51, off, off offset:40 ; 4-byte Folded Reload
	v_cndmask_b32_e64 v18, v18, v78, s[58:59]
	v_cndmask_b32_e64 v18, v18, v77, s[56:57]
	;; [unrolled: 1-line block ×11, first 2 shown]
	ds_bpermute_b32 v83, v116, v18
	v_cndmask_b32_e64 v0, v0, v80, s[8:9]
	v_cndmask_b32_e64 v16, v16, v50, s[38:39]
	;; [unrolled: 1-line block ×4, first 2 shown]
	s_waitcnt lgkmcnt(0)
	v_cndmask_b32_e64 v91, v68, v83, s[38:39]
	v_cndmask_b32_e64 v36, v36, v81, s[44:45]
	;; [unrolled: 1-line block ×23, first 2 shown]
	v_cndmask_b32_e32 v1, v1, v80, vcc
	v_cndmask_b32_e64 v26, v26, v50, s[64:65]
	v_cndmask_b32_e64 v49, v49, v81, s[64:65]
	;; [unrolled: 1-line block ×27, first 2 shown]
	s_waitcnt vmcnt(2)
	v_cmp_eq_u32_e64 s[64:65], 9, v84
	s_waitcnt vmcnt(0)
	v_cmp_eq_u32_e64 s[40:41], 1, v51
	s_nop 1
	v_cndmask_b32_e64 v19, v0, v15, s[40:41]
	v_cmp_eq_u32_e64 s[38:39], 2, v51
	v_cmp_eq_u32_e64 s[44:45], 3, v51
	;; [unrolled: 1-line block ×3, first 2 shown]
	v_cndmask_b32_e64 v20, v19, v14, s[38:39]
	v_cndmask_b32_e64 v19, v21, v50, s[42:43]
	;; [unrolled: 1-line block ×4, first 2 shown]
	v_cmp_eq_u32_e64 s[46:47], 4, v51
	v_cmp_eq_u32_e64 s[68:69], 7, v51
	;; [unrolled: 1-line block ×3, first 2 shown]
	v_cndmask_b32_e64 v22, v21, v12, s[46:47]
	v_cndmask_b32_e64 v21, v23, v50, s[50:51]
	v_cmp_eq_u32_e64 s[50:51], 5, v51
	v_cmp_eq_u32_e64 s[78:79], 11, v51
	;; [unrolled: 1-line block ×3, first 2 shown]
	v_cndmask_b32_e64 v23, v22, v11, s[50:51]
	v_cndmask_b32_e64 v22, v24, v50, s[48:49]
	;; [unrolled: 1-line block ×5, first 2 shown]
	v_cmp_eq_u32_e64 s[72:73], 8, v51
	v_cndmask_b32_e64 v24, v27, v50, s[52:53]
	v_cmp_eq_u32_e64 s[84:85], 13, v51
	v_cndmask_b32_e64 v27, v25, v8, s[72:73]
	v_cndmask_b32_e64 v25, v28, v50, s[70:71]
	v_cmp_eq_u32_e64 s[70:71], 9, v51
	v_cmp_eq_u32_e64 s[88:89], 14, v51
	;; [unrolled: 1-line block ×3, first 2 shown]
	v_cndmask_b32_e64 v28, v27, v7, s[70:71]
	v_cndmask_b32_e64 v27, v29, v50, s[56:57]
	;; [unrolled: 1-line block ×12, first 2 shown]
	ds_bpermute_b32 v33, v116, v32
	v_cndmask_b32_e64 v32, v17, v50, s[36:37]
	v_cndmask_b32_e64 v17, v32, v26, s[34:35]
	;; [unrolled: 1-line block ×16, first 2 shown]
	v_cndmask_b32_e32 v17, v17, v16, vcc
	ds_bpermute_b32 v80, v116, v17
	v_cndmask_b32_e64 v17, v50, v49, s[34:35]
	v_cndmask_b32_e64 v17, v17, v48, s[90:91]
	v_cndmask_b32_e64 v17, v17, v47, s[86:87]
	v_cndmask_b32_e64 v17, v17, v46, s[82:83]
	v_cndmask_b32_e64 v17, v17, v45, s[94:95]
	v_cndmask_b32_e64 v17, v17, v44, s[22:23]
	v_cndmask_b32_e64 v17, v17, v43, s[20:21]
	v_cndmask_b32_e64 v17, v17, v42, s[18:19]
	v_cndmask_b32_e64 v17, v17, v41, s[16:17]
	v_cndmask_b32_e64 v17, v17, v40, s[14:15]
	v_cndmask_b32_e64 v17, v17, v39, s[12:13]
	v_cndmask_b32_e64 v17, v17, v38, s[10:11]
	v_cndmask_b32_e64 v17, v17, v37, s[76:77]
	v_cndmask_b32_e64 v17, v17, v36, s[6:7]
	v_cndmask_b32_e32 v17, v17, v35, vcc
	ds_bpermute_b32 v81, v116, v17
	v_cndmask_b32_e64 v17, v66, v65, s[34:35]
	v_cndmask_b32_e64 v17, v17, v64, s[90:91]
	v_cndmask_b32_e64 v17, v17, v63, s[86:87]
	v_cndmask_b32_e64 v17, v17, v78, s[82:83]
	v_cndmask_b32_e64 v17, v17, v77, s[94:95]
	v_cndmask_b32_e64 v17, v17, v76, s[22:23]
	v_cndmask_b32_e64 v17, v17, v75, s[20:21]
	v_cndmask_b32_e64 v17, v17, v74, s[18:19]
	v_cndmask_b32_e64 v17, v17, v73, s[16:17]
	v_cndmask_b32_e64 v17, v17, v72, s[14:15]
	v_cndmask_b32_e64 v17, v17, v71, s[12:13]
	v_cndmask_b32_e64 v17, v17, v70, s[10:11]
	v_cndmask_b32_e64 v17, v17, v69, s[76:77]
	v_cndmask_b32_e64 v17, v17, v68, s[6:7]
	;; [unrolled: 16-line block ×3, first 2 shown]
	v_cndmask_b32_e32 v17, v17, v91, vcc
	ds_bpermute_b32 v83, v116, v17
	v_cmp_eq_u32_e64 s[60:61], 0, v51
	s_waitcnt lgkmcnt(4)
	v_cndmask_b32_e64 v1, v1, v33, s[92:93]
	v_cndmask_b32_e64 v2, v2, v33, s[88:89]
	;; [unrolled: 1-line block ×16, first 2 shown]
	s_waitcnt lgkmcnt(3)
	v_cndmask_b32_e32 v33, v16, v80, vcc
	s_waitcnt lgkmcnt(2)
	v_cndmask_b32_e32 v51, v35, v81, vcc
	;; [unrolled: 2-line block ×4, first 2 shown]
	v_cmp_eq_u32_e32 vcc, 1, v84
	v_cndmask_b32_e64 v34, v18, v80, s[6:7]
	v_cndmask_b32_e64 v52, v36, v81, s[6:7]
	v_cndmask_b32_e32 v16, v0, v15, vcc
	v_cndmask_b32_e64 v68, v68, v82, s[6:7]
	v_cndmask_b32_e64 v92, v92, v83, s[6:7]
	v_cmp_eq_u32_e64 s[6:7], 2, v84
	v_cmp_eq_u32_e64 s[36:37], 3, v84
	;; [unrolled: 1-line block ×3, first 2 shown]
	v_cndmask_b32_e64 v16, v16, v14, s[6:7]
	v_cndmask_b32_e64 v16, v16, v13, s[36:37]
	;; [unrolled: 1-line block ×3, first 2 shown]
	v_cmp_eq_u32_e64 s[52:53], 5, v84
	v_cmp_eq_u32_e64 s[56:57], 6, v84
	;; [unrolled: 1-line block ×3, first 2 shown]
	v_cndmask_b32_e64 v16, v16, v11, s[52:53]
	v_cndmask_b32_e64 v16, v16, v10, s[56:57]
	;; [unrolled: 1-line block ×3, first 2 shown]
	v_cmp_eq_u32_e64 s[62:63], 8, v84
	v_cndmask_b32_e64 v35, v19, v80, s[76:77]
	v_cndmask_b32_e64 v53, v37, v81, s[76:77]
	v_cndmask_b32_e64 v16, v16, v8, s[62:63]
	v_cndmask_b32_e64 v69, v69, v82, s[76:77]
	v_cndmask_b32_e64 v93, v93, v83, s[76:77]
	v_cndmask_b32_e64 v16, v16, v7, s[64:65]
	v_cmp_eq_u32_e64 s[76:77], 10, v84
	v_cmp_eq_u32_e64 s[66:67], 11, v84
	v_cndmask_b32_e64 v29, v29, v80, s[82:83]
	v_cndmask_b32_e64 v16, v16, v6, s[76:77]
	;; [unrolled: 1-line block ×6, first 2 shown]
	v_cmp_eq_u32_e64 s[82:83], 12, v84
	v_cndmask_b32_e64 v30, v30, v80, s[86:87]
	v_cndmask_b32_e64 v47, v47, v81, s[86:87]
	v_cndmask_b32_e64 v16, v16, v4, s[82:83]
	v_cndmask_b32_e64 v63, v63, v82, s[86:87]
	v_cndmask_b32_e64 v107, v86, v83, s[86:87]
	v_cmp_eq_u32_e64 s[86:87], 13, v84
	v_cndmask_b32_e64 v31, v31, v80, s[90:91]
	v_cndmask_b32_e64 v48, v48, v81, s[90:91]
	v_cndmask_b32_e64 v16, v16, v3, s[86:87]
	v_cndmask_b32_e64 v79, v64, v82, s[90:91]
	v_cndmask_b32_e64 v108, v87, v83, s[90:91]
	;; [unrolled: 6-line block ×3, first 2 shown]
	v_cmp_eq_u32_e64 s[94:95], 15, v84
	v_cndmask_b32_e64 v58, v42, v81, s[18:19]
	v_cndmask_b32_e64 v42, v26, v80, s[34:35]
	;; [unrolled: 1-line block ×3, first 2 shown]
	ds_bpermute_b32 v26, v116, v16
	v_cndmask_b32_e64 v32, v32, v80, s[8:9]
	v_cndmask_b32_e64 v27, v27, v80, s[22:23]
	;; [unrolled: 1-line block ×4, first 2 shown]
	s_waitcnt lgkmcnt(0)
	v_cndmask_b32_e64 v16, v3, v26, s[86:87]
	v_cndmask_b32_e64 v3, v32, v42, s[40:41]
	;; [unrolled: 1-line block ×26, first 2 shown]
	ds_bpermute_b32 v98, v116, v3
	v_cndmask_b32_e64 v3, v50, v49, s[40:41]
	v_cndmask_b32_e64 v3, v3, v48, s[38:39]
	;; [unrolled: 1-line block ×19, first 2 shown]
	ds_bpermute_b32 v99, v116, v3
	v_cndmask_b32_e64 v3, v87, v86, s[40:41]
	v_cndmask_b32_e64 v3, v3, v79, s[38:39]
	v_cndmask_b32_e64 v3, v3, v63, s[44:45]
	v_cndmask_b32_e64 v3, v3, v78, s[46:47]
	v_cndmask_b32_e64 v76, v76, v82, s[22:23]
	v_cndmask_b32_e64 v3, v3, v77, s[50:51]
	v_cndmask_b32_e64 v75, v75, v82, s[20:21]
	v_cndmask_b32_e64 v3, v3, v76, s[54:55]
	v_cndmask_b32_e64 v74, v74, v82, s[18:19]
	v_cndmask_b32_e64 v3, v3, v75, s[68:69]
	v_cndmask_b32_e64 v73, v73, v82, s[16:17]
	v_cndmask_b32_e64 v3, v3, v74, s[72:73]
	v_cndmask_b32_e64 v72, v72, v82, s[14:15]
	v_cndmask_b32_e64 v3, v3, v73, s[70:71]
	v_cndmask_b32_e64 v71, v71, v82, s[12:13]
	v_cndmask_b32_e64 v3, v3, v72, s[74:75]
	v_cndmask_b32_e64 v70, v70, v82, s[10:11]
	v_cndmask_b32_e64 v3, v3, v71, s[78:79]
	v_cndmask_b32_e64 v3, v3, v70, s[80:81]
	v_cndmask_b32_e64 v3, v3, v69, s[84:85]
	v_cndmask_b32_e64 v3, v3, v68, s[88:89]
	v_cndmask_b32_e64 v109, v89, v83, s[34:35]
	v_cndmask_b32_e64 v110, v90, v83, s[8:9]
	v_cndmask_b32_e64 v3, v3, v67, s[92:93]
	ds_bpermute_b32 v102, v116, v3
	v_cndmask_b32_e64 v3, v110, v109, s[40:41]
	v_cndmask_b32_e64 v3, v3, v108, s[38:39]
	;; [unrolled: 1-line block ×18, first 2 shown]
	v_cmp_eq_u32_e64 s[42:43], 0, v84
	v_cndmask_b32_e64 v3, v3, v118, s[80:81]
	v_cndmask_b32_e64 v1, v1, v26, s[94:95]
	;; [unrolled: 1-line block ×14, first 2 shown]
	v_cndmask_b32_e32 v15, v15, v26, vcc
	v_cndmask_b32_e64 v3, v3, v93, s[84:85]
	v_cndmask_b32_e64 v26, v0, v26, s[42:43]
	v_cmp_eq_u32_e64 s[8:9], 1, v104
	v_cndmask_b32_e64 v3, v3, v92, s[88:89]
	v_cmp_eq_u32_e64 s[10:11], 2, v104
	v_cndmask_b32_e64 v0, v26, v15, s[8:9]
	v_cndmask_b32_e64 v3, v3, v91, s[92:93]
	;; [unrolled: 1-line block ×3, first 2 shown]
	v_cmp_eq_u32_e64 s[12:13], 3, v104
	ds_bpermute_b32 v103, v116, v3
	v_cmp_eq_u32_e64 s[14:15], 4, v104
	v_cndmask_b32_e64 v0, v0, v13, s[12:13]
	v_cmp_eq_u32_e64 s[16:17], 5, v104
	v_cndmask_b32_e64 v0, v0, v12, s[14:15]
	;; [unrolled: 2-line block ×5, first 2 shown]
	s_waitcnt lgkmcnt(1)
	v_cndmask_b32_e64 v89, v67, v102, s[92:93]
	s_waitcnt lgkmcnt(0)
	v_cndmask_b32_e64 v96, v119, v103, s[78:79]
	v_cndmask_b32_e64 v46, v39, v98, s[70:71]
	;; [unrolled: 1-line block ×6, first 2 shown]
	v_cmp_eq_u32_e64 s[70:71], 9, v104
	v_cndmask_b32_e64 v64, v54, v99, s[80:81]
	v_cndmask_b32_e64 v80, v120, v103, s[74:75]
	;; [unrolled: 1-line block ×7, first 2 shown]
	v_cmp_eq_u32_e64 s[72:73], 10, v104
	v_cndmask_b32_e64 v113, v118, v103, s[80:81]
	v_cndmask_b32_e64 v45, v38, v98, s[74:75]
	v_cndmask_b32_e64 v66, v56, v99, s[74:75]
	v_cndmask_b32_e64 v118, v72, v102, s[74:75]
	v_cndmask_b32_e64 v0, v0, v19, s[72:73]
	v_cmp_eq_u32_e64 s[74:75], 11, v104
	v_cndmask_b32_e64 v112, v93, v103, s[84:85]
	v_cndmask_b32_e64 v44, v37, v98, s[78:79]
	;; [unrolled: 1-line block ×5, first 2 shown]
	v_cmp_eq_u32_e64 s[78:79], 12, v104
	v_cmp_eq_u32_e64 s[34:35], 13, v104
	v_cndmask_b32_e64 v84, v91, v103, s[92:93]
	v_cndmask_b32_e64 v0, v0, v17, s[78:79]
	;; [unrolled: 1-line block ×9, first 2 shown]
	v_cmp_eq_u32_e64 s[38:39], 14, v104
	v_cndmask_b32_e64 v94, v29, v98, s[46:47]
	v_cndmask_b32_e64 v97, v62, v99, s[46:47]
	v_cndmask_b32_e64 v100, v78, v102, s[46:47]
	v_cndmask_b32_e64 v101, v126, v103, s[46:47]
	v_cndmask_b32_e64 v0, v0, v2, s[38:39]
	v_cmp_eq_u32_e64 s[46:47], 15, v104
	v_cndmask_b32_e64 v56, v27, v98, s[54:55]
	v_cndmask_b32_e64 v33, v33, v98, s[92:93]
	;; [unrolled: 1-line block ×3, first 2 shown]
	ds_bpermute_b32 v27, v116, v0
	v_cndmask_b32_e64 v34, v34, v98, s[88:89]
	v_cndmask_b32_e64 v35, v35, v98, s[84:85]
	;; [unrolled: 1-line block ×7, first 2 shown]
	s_waitcnt lgkmcnt(0)
	v_cndmask_b32_e64 v0, v12, v27, s[14:15]
	v_cndmask_b32_e64 v12, v32, v98, s[60:61]
	scratch_load_dword v98, off, off offset:52 ; 4-byte Folded Reload
	v_cndmask_b32_e64 v11, v17, v27, s[78:79]
	v_cndmask_b32_e64 v17, v18, v27, s[74:75]
	;; [unrolled: 1-line block ×8, first 2 shown]
	v_cndmask_b32_e32 v24, v12, v3, vcc
	v_cndmask_b32_e64 v24, v24, v73, s[6:7]
	v_cndmask_b32_e64 v24, v24, v126, s[36:37]
	;; [unrolled: 1-line block ×18, first 2 shown]
	ds_bpermute_b32 v29, v116, v24
	v_cndmask_b32_e32 v24, v13, v4, vcc
	v_cndmask_b32_e64 v90, v68, v102, s[88:89]
	v_cndmask_b32_e64 v68, v59, v99, s[68:69]
	;; [unrolled: 1-line block ×27, first 2 shown]
	ds_bpermute_b32 v30, v116, v24
	v_cndmask_b32_e32 v24, v15, v5, vcc
	v_cndmask_b32_e64 v63, v63, v102, s[44:45]
	v_cndmask_b32_e64 v24, v24, v14, s[6:7]
	;; [unrolled: 1-line block ×21, first 2 shown]
	ds_bpermute_b32 v62, v116, v24
	v_cndmask_b32_e32 v24, v28, v7, vcc
	v_cndmask_b32_e64 v71, v107, v103, s[44:45]
	v_cndmask_b32_e64 v24, v24, v6, s[6:7]
	;; [unrolled: 1-line block ×17, first 2 shown]
	v_cmp_eq_u32_e64 s[40:41], 0, v104
	ds_bpermute_b32 v75, v116, v24
	s_waitcnt vmcnt(0)
	v_cmp_eq_u32_e64 s[44:45], 1, v98
	v_cndmask_b32_e64 v24, v26, v27, s[40:41]
	v_cndmask_b32_e64 v9, v2, v27, s[38:39]
	;; [unrolled: 1-line block ×3, first 2 shown]
	s_waitcnt lgkmcnt(3)
	v_cndmask_b32_e64 v31, v33, v29, s[94:95]
	v_cndmask_b32_e64 v33, v24, v16, s[44:45]
	v_cmp_eq_u32_e64 s[50:51], 2, v98
	v_cndmask_b32_e64 v47, v34, v29, s[90:91]
	v_cmp_eq_u32_e64 s[54:55], 3, v98
	v_cndmask_b32_e64 v34, v33, v2, s[50:51]
	v_cndmask_b32_e64 v61, v35, v29, s[86:87]
	;; [unrolled: 1-line block ×3, first 2 shown]
	v_cmp_eq_u32_e64 s[60:61], 4, v98
	s_waitcnt lgkmcnt(2)
	v_cndmask_b32_e64 v26, v51, v30, s[94:95]
	v_cndmask_b32_e64 v74, v44, v29, s[66:67]
	;; [unrolled: 1-line block ×4, first 2 shown]
	s_waitcnt lgkmcnt(1)
	v_cndmask_b32_e64 v35, v93, v62, s[66:67]
	s_waitcnt lgkmcnt(0)
	v_cndmask_b32_e64 v51, v96, v75, s[66:67]
	v_cmp_eq_u32_e64 s[66:67], 5, v98
	v_cmp_eq_u32_e64 s[68:69], 6, v98
	v_cndmask_b32_e64 v37, v53, v30, s[86:87]
	v_cndmask_b32_e64 v41, v40, v23, s[66:67]
	;; [unrolled: 1-line block ×7, first 2 shown]
	v_cmp_eq_u32_e64 s[64:65], 7, v98
	v_cndmask_b32_e64 v72, v43, v29, s[82:83]
	v_cndmask_b32_e64 v40, v66, v30, s[76:77]
	;; [unrolled: 1-line block ×7, first 2 shown]
	v_cmp_eq_u32_e64 s[62:63], 8, v98
	v_cndmask_b32_e64 v86, v55, v29, s[58:59]
	v_cndmask_b32_e64 v55, v121, v62, s[58:59]
	v_cndmask_b32_e64 v44, v43, v20, s[62:63]
	v_cndmask_b32_e64 v43, v68, v30, s[58:59]
	v_cndmask_b32_e64 v67, v83, v75, s[58:59]
	v_cmp_eq_u32_e64 s[58:59], 9, v98
	v_cndmask_b32_e64 v76, v45, v29, s[76:77]
	v_cndmask_b32_e64 v87, v56, v29, s[56:57]
	v_cndmask_b32_e64 v45, v44, v19, s[58:59]
	v_cndmask_b32_e64 v44, v69, v30, s[56:57]
	v_cndmask_b32_e64 v56, v122, v62, s[56:57]
	v_cndmask_b32_e64 v68, v124, v75, s[56:57]
	v_cmp_eq_u32_e64 s[56:57], 10, v98
	v_cndmask_b32_e64 v27, v89, v62, s[94:95]
	;; [unrolled: 7-line block ×3, first 2 shown]
	v_cndmask_b32_e64 v64, v80, v75, s[76:77]
	v_cndmask_b32_e64 v79, v46, v17, s[52:53]
	;; [unrolled: 1-line block ×6, first 2 shown]
	v_cmp_eq_u32_e64 s[48:49], 12, v98
	v_cndmask_b32_e64 v81, v126, v29, s[36:37]
	v_cndmask_b32_e64 v71, v71, v75, s[36:37]
	;; [unrolled: 1-line block ×5, first 2 shown]
	v_cmp_eq_u32_e64 s[36:37], 13, v98
	v_cndmask_b32_e64 v83, v73, v29, s[6:7]
	v_cndmask_b32_e64 v60, v60, v30, s[6:7]
	;; [unrolled: 1-line block ×5, first 2 shown]
	v_cmp_eq_u32_e64 s[6:7], 14, v98
	v_cndmask_b32_e64 v25, v84, v75, s[94:95]
	v_cndmask_b32_e64 v32, v90, v62, s[90:91]
	;; [unrolled: 1-line block ×4, first 2 shown]
	v_cndmask_b32_e32 v82, v3, v29, vcc
	v_cndmask_b32_e32 v84, v4, v30, vcc
	;; [unrolled: 1-line block ×4, first 2 shown]
	v_cmp_eq_u32_e32 vcc, 15, v98
	v_cndmask_b32_e64 v29, v12, v29, s[42:43]
	v_cndmask_b32_e64 v33, v91, v62, s[86:87]
	v_cndmask_b32_e32 v3, v6, v8, vcc
	ds_bpermute_b32 v91, v116, v3
	v_cndmask_b32_e64 v3, v29, v82, s[8:9]
	v_cndmask_b32_e64 v3, v3, v83, s[10:11]
	v_cndmask_b32_e64 v3, v3, v81, s[12:13]
	v_cndmask_b32_e64 v3, v3, v80, s[14:15]
	v_cndmask_b32_e64 v3, v3, v89, s[16:17]
	v_cndmask_b32_e64 v3, v3, v87, s[18:19]
	v_cndmask_b32_e64 v3, v3, v86, s[20:21]
	v_cndmask_b32_e64 v3, v3, v78, s[22:23]
	v_cndmask_b32_e64 v3, v3, v77, s[70:71]
	v_cndmask_b32_e64 v3, v3, v76, s[72:73]
	v_cndmask_b32_e64 v3, v3, v74, s[74:75]
	v_cndmask_b32_e64 v36, v52, v30, s[90:91]
	v_cndmask_b32_e64 v34, v92, v62, s[82:83]
	v_cndmask_b32_e64 v52, v118, v62, s[76:77]
	v_cndmask_b32_e64 v62, v15, v62, s[42:43]
	v_cndmask_b32_e64 v3, v3, v72, s[78:79]
	v_cndmask_b32_e64 v49, v112, v75, s[86:87]
	v_cndmask_b32_e64 v50, v113, v75, s[82:83]
	v_cndmask_b32_e64 v75, v28, v75, s[42:43]
	v_cndmask_b32_e64 v3, v3, v61, s[34:35]
	v_cndmask_b32_e64 v28, v62, v85, s[8:9]
	v_cndmask_b32_e64 v3, v3, v47, s[38:39]
	v_cndmask_b32_e64 v28, v28, v63, s[10:11]
	v_cndmask_b32_e64 v3, v3, v31, s[46:47]
	v_cndmask_b32_e64 v28, v28, v59, s[12:13]
	s_waitcnt lgkmcnt(0)
	v_cndmask_b32_e64 v12, v11, v91, s[48:49]
	v_cndmask_b32_e64 v11, v17, v91, s[52:53]
	ds_bpermute_b32 v17, v116, v3
	v_cndmask_b32_e64 v28, v28, v58, s[14:15]
	v_cndmask_b32_e64 v28, v28, v57, s[16:17]
	;; [unrolled: 1-line block ×6, first 2 shown]
	v_cndmask_b32_e32 v15, v8, v91, vcc
	v_cndmask_b32_e64 v14, v9, v91, s[6:7]
	v_cndmask_b32_e64 v13, v10, v91, s[36:37]
	;; [unrolled: 1-line block ×10, first 2 shown]
	s_waitcnt lgkmcnt(0)
	v_cndmask_b32_e64 v16, v31, v17, s[46:47]
	v_cndmask_b32_e64 v18, v47, v17, s[38:39]
	;; [unrolled: 1-line block ×39, first 2 shown]
	ds_bpermute_b32 v82, v116, v28
	v_cndmask_b32_e64 v28, v75, v90, s[8:9]
	v_cndmask_b32_e64 v0, v0, v47, s[62:63]
	;; [unrolled: 1-line block ×22, first 2 shown]
	ds_bpermute_b32 v17, v116, v17
	v_cndmask_b32_e64 v28, v28, v65, s[70:71]
	v_cndmask_b32_e32 v0, v0, v16, vcc
	v_cndmask_b32_e64 v28, v28, v64, s[72:73]
	ds_bpermute_b32 v86, v116, v0
	v_cndmask_b32_e64 v28, v28, v51, s[74:75]
	v_cndmask_b32_e64 v28, v28, v50, s[78:79]
	v_cndmask_b32_e64 v28, v28, v49, s[34:35]
	v_cndmask_b32_e64 v28, v28, v48, s[38:39]
	s_waitcnt lgkmcnt(1)
	v_cndmask_b32_e64 v84, v84, v17, s[8:9]
	v_cndmask_b32_e64 v92, v92, v17, s[40:41]
	;; [unrolled: 1-line block ×3, first 2 shown]
	s_waitcnt lgkmcnt(0)
	v_cndmask_b32_e32 v31, v16, v86, vcc
	v_cndmask_b32_e64 v60, v60, v17, s[10:11]
	v_cndmask_b32_e64 v16, v92, v84, s[44:45]
	ds_bpermute_b32 v83, v116, v28
	v_cmp_eq_u32_e64 s[42:43], 0, v98
	v_cndmask_b32_e64 v79, v79, v17, s[12:13]
	v_cndmask_b32_e64 v16, v16, v60, s[50:51]
	;; [unrolled: 1-line block ×20, first 2 shown]
	s_waitcnt lgkmcnt(0)
	v_cndmask_b32_e64 v93, v25, v83, s[46:47]
	v_cndmask_b32_e64 v25, v23, v86, s[58:59]
	;; [unrolled: 1-line block ×18, first 2 shown]
	v_cndmask_b32_e32 v16, v16, v87, vcc
	ds_bpermute_b32 v94, v116, v16
	v_cndmask_b32_e64 v30, v18, v86, s[6:7]
	v_cndmask_b32_e64 v29, v19, v86, s[36:37]
	;; [unrolled: 1-line block ×7, first 2 shown]
	s_waitcnt lgkmcnt(0)
	v_cndmask_b32_e64 v45, v37, v94, s[36:37]
	v_cndmask_b32_e64 v44, v38, v94, s[48:49]
	;; [unrolled: 1-line block ×37, first 2 shown]
	v_cndmask_b32_e32 v32, v32, v89, vcc
	v_cndmask_b32_e32 v47, v87, v94, vcc
	v_cndmask_b32_e64 v46, v36, v94, s[6:7]
	v_cndmask_b32_e64 v41, v41, v94, s[58:59]
	;; [unrolled: 1-line block ×3, first 2 shown]
	ds_bpermute_b32 v87, v116, v32
	v_cndmask_b32_e64 v35, v79, v94, s[54:55]
	v_cndmask_b32_e64 v34, v60, v94, s[50:51]
	;; [unrolled: 1-line block ×4, first 2 shown]
	scratch_load_dwordx2 v[98:99], off, off ; 8-byte Folded Reload
	scratch_load_dword v94, off, off offset:16 ; 4-byte Folded Reload
	scratch_load_dword v96, off, off offset:20 ; 4-byte Folded Reload
	;; [unrolled: 1-line block ×3, first 2 shown]
	s_waitcnt lgkmcnt(0)
	v_cndmask_b32_e32 v63, v89, v87, vcc
	v_cndmask_b32_e64 v62, v61, v87, s[6:7]
	v_cndmask_b32_e64 v61, v72, v87, s[36:37]
	;; [unrolled: 1-line block ×35, first 2 shown]
	v_cndmask_b32_e32 v48, v48, v93, vcc
	ds_bpermute_b32 v92, v116, v48
	v_cndmask_b32_e64 v57, v53, v87, s[58:59]
	v_cndmask_b32_e64 v53, v78, v87, s[66:67]
	v_readlane_b32 s80, v127, 23
	v_cndmask_b32_e64 v56, v54, v87, s[62:63]
	s_waitcnt lgkmcnt(0)
	v_cndmask_b32_e64 v78, v72, v92, s[6:7]
	v_readlane_b32 s6, v127, 27
	v_cndmask_b32_e64 v54, v77, v87, s[68:69]
	v_cndmask_b32_e64 v48, v82, v87, s[42:43]
	;; [unrolled: 1-line block ×5, first 2 shown]
	v_readlane_b32 s7, v127, 28
	v_readlane_b32 s34, v127, 10
	;; [unrolled: 1-line block ×4, first 2 shown]
	s_mov_b32 s76, 0
	s_max_i32 s77, s80, 0
	v_cndmask_b32_e64 v55, v55, v87, s[64:65]
	v_cndmask_b32_e64 v51, v81, v87, s[54:55]
	;; [unrolled: 1-line block ×4, first 2 shown]
	v_cndmask_b32_e32 v79, v93, v92, vcc
	v_cndmask_b32_e64 v76, v76, v92, s[48:49]
	v_cndmask_b32_e64 v75, v80, v92, s[52:53]
	;; [unrolled: 1-line block ×11, first 2 shown]
	s_mov_b32 s12, 0
	v_readlane_b32 s35, v127, 11
	v_readlane_b32 s37, v127, 13
	;; [unrolled: 1-line block ×6, first 2 shown]
	s_waitcnt vmcnt(3)
	v_lshl_add_u64 v[86:87], s[6:7], 0, v[98:99]
	s_mov_b64 s[6:7], 0
	v_readlane_b32 s41, v127, 19
	v_readlane_b32 s44, v127, 20
	;; [unrolled: 1-line block ×5, first 2 shown]
                                        ; implicit-def: $sgpr8_sgpr9
	s_branch .LBB124_34
.LBB124_33:                             ;   in Loop: Header=BB124_34 Depth=2
	s_or_b64 exec, exec, s[10:11]
	s_and_b64 s[10:11], exec, s[8:9]
	s_or_b64 s[6:7], s[10:11], s[6:7]
	s_andn2_b64 exec, exec, s[6:7]
	s_cbranch_execz .LBB124_36
.LBB124_34:                             ;   Parent Loop BB124_7 Depth=1
                                        ; =>  This Inner Loop Header: Depth=2
	s_and_b32 s10, s12, 2
	s_and_b32 s11, s76, 24
	s_or_b32 s10, s11, s10
	s_waitcnt vmcnt(0)
	v_or_b32_e32 v80, s10, v97
	v_add_u32_e32 v81, s77, v80
	v_cmp_gt_u32_e32 vcc, 32, v81
	s_or_b64 s[8:9], s[8:9], exec
	s_and_saveexec_b64 s[10:11], vcc
	s_cbranch_execz .LBB124_33
; %bb.35:                               ;   in Loop: Header=BB124_34 Depth=2
	s_add_i32 s13, s12, 1
	s_set_gpr_idx_on s12, gpr_idx(SRC0)
	v_mov_b32_e32 v81, v0
	s_set_gpr_idx_off
	v_cvt_f16_f32_e32 v82, v81
	s_set_gpr_idx_on s13, gpr_idx(SRC0)
	v_mov_b32_e32 v81, v0
	s_set_gpr_idx_off
	v_cvt_f16_f32_sdwa v83, v81 dst_sel:WORD_1 dst_unused:UNUSED_PAD src0_sel:DWORD
	v_mul_lo_u32 v80, v80, s25
	v_ashrrev_i32_e32 v81, 31, v80
	v_lshl_add_u64 v[80:81], v[80:81], 1, v[86:87]
	v_or_b32_e32 v82, v83, v82
	;;#ASMSTART
	global_atomic_pk_add_f16 v[80:81], v82, off
	
	;;#ASMEND
	s_set_gpr_idx_on s12, gpr_idx(SRC0)
	v_mov_b32_e32 v82, v16
	s_set_gpr_idx_off
	v_cvt_f16_f32_e32 v84, v82
	s_set_gpr_idx_on s13, gpr_idx(SRC0)
	v_mov_b32_e32 v82, v16
	s_set_gpr_idx_off
	v_cvt_f16_f32_sdwa v85, v82 dst_sel:WORD_1 dst_unused:UNUSED_PAD src0_sel:DWORD
	v_lshl_add_u64 v[82:83], v[80:81], 0, 64
	s_mov_b64 s[14:15], 0x80
	s_add_i32 s76, s76, 4
	v_or_b32_e32 v84, v85, v84
	;;#ASMSTART
	global_atomic_pk_add_f16 v[82:83], v84, off
	
	;;#ASMEND
	s_set_gpr_idx_on s12, gpr_idx(SRC0)
	v_mov_b32_e32 v82, v32
	s_set_gpr_idx_off
	v_cvt_f16_f32_e32 v84, v82
	s_set_gpr_idx_on s13, gpr_idx(SRC0)
	v_mov_b32_e32 v82, v32
	s_set_gpr_idx_off
	v_cvt_f16_f32_sdwa v85, v82 dst_sel:WORD_1 dst_unused:UNUSED_PAD src0_sel:DWORD
	v_lshl_add_u64 v[82:83], v[80:81], 0, s[14:15]
	s_mov_b64 s[14:15], 0xc0
	v_or_b32_e32 v84, v85, v84
	;;#ASMSTART
	global_atomic_pk_add_f16 v[82:83], v84, off
	
	;;#ASMEND
	s_set_gpr_idx_on s12, gpr_idx(SRC0)
	v_mov_b32_e32 v82, v48
	s_set_gpr_idx_off
	v_cvt_f16_f32_e32 v84, v82
	s_set_gpr_idx_on s13, gpr_idx(SRC0)
	v_mov_b32_e32 v82, v48
	s_set_gpr_idx_off
	v_cvt_f16_f32_sdwa v85, v82 dst_sel:WORD_1 dst_unused:UNUSED_PAD src0_sel:DWORD
	v_lshl_add_u64 v[82:83], v[80:81], 0, s[14:15]
	s_mov_b64 s[14:15], 0x100
	v_lshl_add_u64 v[80:81], v[80:81], 0, s[14:15]
	v_or_b32_e32 v84, v85, v84
	;;#ASMSTART
	global_atomic_pk_add_f16 v[82:83], v84, off
	
	;;#ASMEND
	s_set_gpr_idx_on s12, gpr_idx(SRC0)
	v_mov_b32_e32 v82, v64
	s_set_gpr_idx_off
	v_cvt_f16_f32_e32 v82, v82
	s_set_gpr_idx_on s13, gpr_idx(SRC0)
	v_mov_b32_e32 v83, v64
	s_set_gpr_idx_off
	s_add_i32 s12, s12, 2
	v_cvt_f16_f32_sdwa v83, v83 dst_sel:WORD_1 dst_unused:UNUSED_PAD src0_sel:DWORD
	s_cmp_eq_u32 s12, 16
	s_cselect_b64 s[14:15], -1, 0
	s_andn2_b64 s[8:9], s[8:9], exec
	s_and_b64 s[14:15], s[14:15], exec
	s_or_b64 s[8:9], s[8:9], s[14:15]
	v_or_b32_e32 v82, v83, v82
	;;#ASMSTART
	global_atomic_pk_add_f16 v[80:81], v82, off
	
	;;#ASMEND
	s_branch .LBB124_33
.LBB124_36:                             ;   in Loop: Header=BB124_7 Depth=1
	s_or_b64 exec, exec, s[6:7]
	scratch_load_dword v13, off, off offset:8 ; 4-byte Folded Reload
	scratch_load_dwordx2 v[14:15], off, off offset:72 ; 8-byte Folded Reload
	scratch_load_dword v16, off, off offset:88 ; 4-byte Folded Reload
	scratch_load_dword v17, off, off offset:92 ; 4-byte Folded Reload
	;; [unrolled: 1-line block ×3, first 2 shown]
	v_readlane_b32 s16, v127, 2
	v_readlane_b32 s14, v127, 0
	;; [unrolled: 1-line block ×12, first 2 shown]
.LBB124_37:                             ;   in Loop: Header=BB124_7 Depth=1
	s_or_b64 exec, exec, s[0:1]
.LBB124_38:                             ;   in Loop: Header=BB124_7 Depth=1
	s_andn2_saveexec_b64 s[0:1], s[4:5]
	s_cbranch_execz .LBB124_47
; %bb.39:                               ;   in Loop: Header=BB124_7 Depth=1
	s_mul_i32 s12, s33, 5
	v_cmp_gt_i32_e32 vcc, s12, v117
	s_and_saveexec_b64 s[4:5], vcc
	s_cbranch_execz .LBB124_46
; %bb.40:                               ;   in Loop: Header=BB124_7 Depth=1
	scratch_load_dwordx2 v[0:1], off, off offset:80 ; 8-byte Folded Reload
	s_mul_i32 s6, s72, s27
	s_ashr_i32 s7, s6, 31
	s_add_u32 s6, s18, s6
	s_addc_u32 s7, s19, s7
	s_ashr_i32 s8, s47, 31
	s_add_u32 s6, s6, s47
	s_addc_u32 s7, s7, s8
	s_waitcnt vmcnt(0)
	v_lshl_add_u64 v[0:1], s[6:7], 0, v[0:1]
	v_lshl_add_u64 v[8:9], v[0:1], 0, v[14:15]
	s_mov_b64 s[6:7], 0
	s_branch .LBB124_42
.LBB124_41:                             ;   in Loop: Header=BB124_42 Depth=2
	s_or_b64 exec, exec, s[8:9]
	v_lshl_or_b32 v12, v10, 11, v16
	;;#ASMSTART
	s_waitcnt vmcnt(1)
	;;#ASMEND
	ds_write2_b32 v12, v4, v5 offset1:32
	ds_write2_b32 v12, v6, v7 offset0:64 offset1:96
	v_add_u32_e32 v4, 0x400, v12
	v_add_u32_e32 v117, s30, v117
	;;#ASMSTART
	s_waitcnt vmcnt(0)
	;;#ASMEND
	ds_write2_b32 v4, v0, v1 offset1:32
	ds_write2_b32 v4, v2, v3 offset0:64 offset1:96
	v_add_u32_e32 v0, 1, v95
	v_add_u32_e32 v88, s30, v10
	v_cmp_le_i32_e32 vcc, s12, v117
	ds_write_b32 v11, v0 offset:12
	v_add_u32_e32 v0, 2, v95
	s_or_b64 s[6:7], vcc, s[6:7]
	v_cmp_lt_i32_e32 vcc, 14, v88
	s_nop 1
	v_cndmask_b32_e32 v95, v95, v0, vcc
	s_andn2_b64 exec, exec, s[6:7]
	s_cbranch_execz .LBB124_45
.LBB124_42:                             ;   Parent Loop BB124_7 Depth=1
                                        ; =>  This Loop Header: Depth=2
                                        ;       Child Loop BB124_44 Depth 3
	v_cmp_gt_i32_e32 vcc, 15, v88
	s_mov_b32 s8, 0x66666667
	s_nop 0
	v_cndmask_b32_e64 v0, -15, 0, vcc
	v_add_u32_e32 v10, v0, v88
	v_mul_hi_i32 v0, v117, s8
	v_lshrrev_b32_e32 v1, 31, v0
	v_ashrrev_i32_e32 v0, 1, v0
	v_add_u32_e32 v0, v0, v1
	v_lshl_add_u32 v1, v0, 2, v0
	v_sub_u32_e32 v2, v117, v1
	v_lshlrev_b32_e32 v0, 6, v0
	v_ashrrev_i32_e32 v1, 31, v0
	v_mul_lo_u32 v2, s98, v2
	v_lshl_add_u64 v[0:1], v[8:9], 0, v[0:1]
	v_ashrrev_i32_e32 v3, 31, v2
	v_lshl_add_u64 v[0:1], v[0:1], 0, v[2:3]
	v_lshlrev_b32_e32 v11, 2, v10
	;;#ASMSTART
	global_load_dwordx4 v[4:7], v[0:1], off offset:0   sc0 sc1 nt  
	global_load_dwordx4 v[0:3], v[0:1], off offset:32  sc0 sc1 nt  
	
	;;#ASMEND
	ds_read_b32 v12, v11 offset:36876
	v_add_u32_e32 v11, 0x9000, v11
	s_waitcnt lgkmcnt(0)
	v_cmp_ne_u32_e32 vcc, v12, v95
	s_and_saveexec_b64 s[8:9], vcc
	s_cbranch_execz .LBB124_41
; %bb.43:                               ;   in Loop: Header=BB124_42 Depth=2
	s_mov_b64 s[10:11], 0
.LBB124_44:                             ;   Parent Loop BB124_7 Depth=1
                                        ;     Parent Loop BB124_42 Depth=2
                                        ; =>    This Inner Loop Header: Depth=3
	;;#ASMSTART
	s_sleep 0
	;;#ASMEND
	ds_read_b32 v12, v11 offset:12
	s_waitcnt lgkmcnt(0)
	v_cmp_eq_u32_e32 vcc, v12, v95
	s_or_b64 s[10:11], vcc, s[10:11]
	s_andn2_b64 exec, exec, s[10:11]
	s_cbranch_execnz .LBB124_44
	s_branch .LBB124_41
.LBB124_45:                             ;   in Loop: Header=BB124_7 Depth=1
	s_or_b64 exec, exec, s[6:7]
.LBB124_46:                             ;   in Loop: Header=BB124_7 Depth=1
	s_or_b64 exec, exec, s[4:5]
	v_subrev_u32_e32 v117, s12, v117
.LBB124_47:                             ;   in Loop: Header=BB124_7 Depth=1
	s_or_b64 exec, exec, s[0:1]
.LBB124_48:                             ;   in Loop: Header=BB124_7 Depth=1
	s_andn2_saveexec_b64 s[0:1], s[96:97]
	s_cbranch_execz .LBB124_6
; %bb.49:                               ;   in Loop: Header=BB124_7 Depth=1
	v_cmp_gt_i32_e32 vcc, s33, v117
	s_and_saveexec_b64 s[4:5], vcc
	s_cbranch_execz .LBB124_5
; %bb.50:                               ;   in Loop: Header=BB124_7 Depth=1
	s_mul_i32 s3, s3, s26
	s_ashr_i32 s6, s3, 31
	s_add_u32 s3, s16, s3
	s_addc_u32 s7, s17, s6
	s_ashr_i32 s8, s47, 31
	s_waitcnt vmcnt(1)
	v_cmp_le_i32_e32 vcc, s80, v17
	s_add_u32 s6, s3, s47
	s_addc_u32 s7, s7, s8
	s_waitcnt vmcnt(0)
	v_cndmask_b32_e32 v0, 0, v18, vcc
	v_ashrrev_i32_e32 v1, 31, v0
	v_lshl_add_u64 v[0:1], s[6:7], 0, v[0:1]
	v_lshl_add_u64 v[8:9], v[0:1], 0, v[14:15]
	s_mov_b64 s[6:7], 0
	s_branch .LBB124_52
.LBB124_51:                             ;   in Loop: Header=BB124_52 Depth=2
	s_or_b64 exec, exec, s[8:9]
	v_lshl_add_u32 v12, v10, 11, v114
	;;#ASMSTART
	s_waitcnt vmcnt(1)
	;;#ASMEND
	ds_write2_b32 v12, v4, v5 offset1:32
	ds_write2_b32 v12, v6, v7 offset0:64 offset1:96
	v_add_u32_e32 v4, 0x400, v12
	v_add_u32_e32 v117, s29, v117
	;;#ASMSTART
	s_waitcnt vmcnt(0)
	;;#ASMEND
	ds_write2_b32 v4, v0, v1 offset1:32
	ds_write2_b32 v4, v2, v3 offset0:64 offset1:96
	v_add_u32_e32 v0, 1, v95
	v_add_u32_e32 v88, s29, v10
	v_cmp_le_i32_e32 vcc, s33, v117
	ds_write_b32 v11, v0
	v_add_u32_e32 v0, 2, v95
	s_or_b64 s[6:7], vcc, s[6:7]
	v_cmp_lt_i32_e32 vcc, 2, v88
	s_nop 1
	v_cndmask_b32_e32 v95, v95, v0, vcc
	s_andn2_b64 exec, exec, s[6:7]
	s_cbranch_execz .LBB124_4
.LBB124_52:                             ;   Parent Loop BB124_7 Depth=1
                                        ; =>  This Loop Header: Depth=2
                                        ;       Child Loop BB124_54 Depth 3
	v_cmp_gt_i32_e32 vcc, 3, v88
	s_nop 1
	v_cndmask_b32_e64 v0, -3, 0, vcc
	v_add_u32_e32 v10, v0, v88
	v_lshlrev_b32_e32 v0, 6, v117
	v_ashrrev_i32_e32 v1, 31, v0
	v_lshl_add_u64 v[0:1], v[8:9], 0, v[0:1]
	v_lshlrev_b32_e32 v11, 2, v10
	;;#ASMSTART
	global_load_dwordx4 v[4:7], v[0:1], off offset:0   
	global_load_dwordx4 v[0:3], v[0:1], off offset:32  
	
	;;#ASMEND
	ds_read_b32 v12, v11 offset:36864
	v_add_u32_e32 v11, 0x9000, v11
	s_waitcnt lgkmcnt(0)
	v_cmp_ne_u32_e32 vcc, v12, v95
	s_and_saveexec_b64 s[8:9], vcc
	s_cbranch_execz .LBB124_51
; %bb.53:                               ;   in Loop: Header=BB124_52 Depth=2
	s_mov_b64 s[10:11], 0
.LBB124_54:                             ;   Parent Loop BB124_7 Depth=1
                                        ;     Parent Loop BB124_52 Depth=2
                                        ; =>    This Inner Loop Header: Depth=3
	;;#ASMSTART
	s_sleep 0
	;;#ASMEND
	ds_read_b32 v12, v11
	s_waitcnt lgkmcnt(0)
	v_cmp_eq_u32_e32 vcc, v12, v95
	s_or_b64 s[10:11], vcc, s[10:11]
	s_andn2_b64 exec, exec, s[10:11]
	s_cbranch_execnz .LBB124_54
	s_branch .LBB124_51
.LBB124_55:
	s_endpgm
	.section	.rodata,"a",@progbits
	.p2align	6, 0x0
	.amdhsa_kernel _Z19_skinny_gemm_kernelILi1ELi5ELi3ELi32ELi4EEvPKhS1_P6__halfPKfiiiiiiii
		.amdhsa_group_segment_fixed_size 36936
		.amdhsa_private_segment_fixed_size 108
		.amdhsa_kernarg_size 64
		.amdhsa_user_sgpr_count 2
		.amdhsa_user_sgpr_dispatch_ptr 0
		.amdhsa_user_sgpr_queue_ptr 0
		.amdhsa_user_sgpr_kernarg_segment_ptr 1
		.amdhsa_user_sgpr_dispatch_id 0
		.amdhsa_user_sgpr_kernarg_preload_length 0
		.amdhsa_user_sgpr_kernarg_preload_offset 0
		.amdhsa_user_sgpr_private_segment_size 0
		.amdhsa_uses_dynamic_stack 0
		.amdhsa_enable_private_segment 1
		.amdhsa_system_sgpr_workgroup_id_x 1
		.amdhsa_system_sgpr_workgroup_id_y 0
		.amdhsa_system_sgpr_workgroup_id_z 0
		.amdhsa_system_sgpr_workgroup_info 0
		.amdhsa_system_vgpr_workitem_id 0
		.amdhsa_next_free_vgpr 128
		.amdhsa_next_free_sgpr 100
		.amdhsa_accum_offset 128
		.amdhsa_reserve_vcc 1
		.amdhsa_float_round_mode_32 0
		.amdhsa_float_round_mode_16_64 0
		.amdhsa_float_denorm_mode_32 3
		.amdhsa_float_denorm_mode_16_64 3
		.amdhsa_dx10_clamp 1
		.amdhsa_ieee_mode 1
		.amdhsa_fp16_overflow 0
		.amdhsa_tg_split 0
		.amdhsa_exception_fp_ieee_invalid_op 0
		.amdhsa_exception_fp_denorm_src 0
		.amdhsa_exception_fp_ieee_div_zero 0
		.amdhsa_exception_fp_ieee_overflow 0
		.amdhsa_exception_fp_ieee_underflow 0
		.amdhsa_exception_fp_ieee_inexact 0
		.amdhsa_exception_int_div_zero 0
	.end_amdhsa_kernel
	.section	.text._Z19_skinny_gemm_kernelILi1ELi5ELi3ELi32ELi4EEvPKhS1_P6__halfPKfiiiiiiii,"axG",@progbits,_Z19_skinny_gemm_kernelILi1ELi5ELi3ELi32ELi4EEvPKhS1_P6__halfPKfiiiiiiii,comdat
.Lfunc_end124:
	.size	_Z19_skinny_gemm_kernelILi1ELi5ELi3ELi32ELi4EEvPKhS1_P6__halfPKfiiiiiiii, .Lfunc_end124-_Z19_skinny_gemm_kernelILi1ELi5ELi3ELi32ELi4EEvPKhS1_P6__halfPKfiiiiiiii
                                        ; -- End function
	.set _Z19_skinny_gemm_kernelILi1ELi5ELi3ELi32ELi4EEvPKhS1_P6__halfPKfiiiiiiii.num_vgpr, 128
	.set _Z19_skinny_gemm_kernelILi1ELi5ELi3ELi32ELi4EEvPKhS1_P6__halfPKfiiiiiiii.num_agpr, 0
	.set _Z19_skinny_gemm_kernelILi1ELi5ELi3ELi32ELi4EEvPKhS1_P6__halfPKfiiiiiiii.numbered_sgpr, 100
	.set _Z19_skinny_gemm_kernelILi1ELi5ELi3ELi32ELi4EEvPKhS1_P6__halfPKfiiiiiiii.num_named_barrier, 0
	.set _Z19_skinny_gemm_kernelILi1ELi5ELi3ELi32ELi4EEvPKhS1_P6__halfPKfiiiiiiii.private_seg_size, 108
	.set _Z19_skinny_gemm_kernelILi1ELi5ELi3ELi32ELi4EEvPKhS1_P6__halfPKfiiiiiiii.uses_vcc, 1
	.set _Z19_skinny_gemm_kernelILi1ELi5ELi3ELi32ELi4EEvPKhS1_P6__halfPKfiiiiiiii.uses_flat_scratch, 0
	.set _Z19_skinny_gemm_kernelILi1ELi5ELi3ELi32ELi4EEvPKhS1_P6__halfPKfiiiiiiii.has_dyn_sized_stack, 0
	.set _Z19_skinny_gemm_kernelILi1ELi5ELi3ELi32ELi4EEvPKhS1_P6__halfPKfiiiiiiii.has_recursion, 0
	.set _Z19_skinny_gemm_kernelILi1ELi5ELi3ELi32ELi4EEvPKhS1_P6__halfPKfiiiiiiii.has_indirect_call, 0
	.section	.AMDGPU.csdata,"",@progbits
; Kernel info:
; codeLenInByte = 16700
; TotalNumSgprs: 106
; NumVgprs: 128
; NumAgprs: 0
; TotalNumVgprs: 128
; ScratchSize: 108
; MemoryBound: 0
; FloatMode: 240
; IeeeMode: 1
; LDSByteSize: 36936 bytes/workgroup (compile time only)
; SGPRBlocks: 13
; VGPRBlocks: 15
; NumSGPRsForWavesPerEU: 106
; NumVGPRsForWavesPerEU: 128
; AccumOffset: 128
; Occupancy: 4
; WaveLimiterHint : 0
; COMPUTE_PGM_RSRC2:SCRATCH_EN: 1
; COMPUTE_PGM_RSRC2:USER_SGPR: 2
; COMPUTE_PGM_RSRC2:TRAP_HANDLER: 0
; COMPUTE_PGM_RSRC2:TGID_X_EN: 1
; COMPUTE_PGM_RSRC2:TGID_Y_EN: 0
; COMPUTE_PGM_RSRC2:TGID_Z_EN: 0
; COMPUTE_PGM_RSRC2:TIDIG_COMP_CNT: 0
; COMPUTE_PGM_RSRC3_GFX90A:ACCUM_OFFSET: 31
; COMPUTE_PGM_RSRC3_GFX90A:TG_SPLIT: 0
	.section	.text._Z19_skinny_gemm_kernelILi1ELi5ELi4ELi16ELi4EEvPKhS1_P6__halfPKfiiiiiiii,"axG",@progbits,_Z19_skinny_gemm_kernelILi1ELi5ELi4ELi16ELi4EEvPKhS1_P6__halfPKfiiiiiiii,comdat
	.protected	_Z19_skinny_gemm_kernelILi1ELi5ELi4ELi16ELi4EEvPKhS1_P6__halfPKfiiiiiiii ; -- Begin function _Z19_skinny_gemm_kernelILi1ELi5ELi4ELi16ELi4EEvPKhS1_P6__halfPKfiiiiiiii
	.globl	_Z19_skinny_gemm_kernelILi1ELi5ELi4ELi16ELi4EEvPKhS1_P6__halfPKfiiiiiiii
	.p2align	8
	.type	_Z19_skinny_gemm_kernelILi1ELi5ELi4ELi16ELi4EEvPKhS1_P6__halfPKfiiiiiiii,@function
_Z19_skinny_gemm_kernelILi1ELi5ELi4ELi16ELi4EEvPKhS1_P6__halfPKfiiiiiiii: ; @_Z19_skinny_gemm_kernelILi1ELi5ELi4ELi16ELi4EEvPKhS1_P6__halfPKfiiiiiiii
; %bb.0:
	v_cmp_gt_u32_e32 vcc, 24, v0
	v_lshlrev_b32_e32 v1, 2, v0
	s_and_saveexec_b64 s[4:5], vcc
; %bb.1:
	v_mov_b32_e32 v2, 0
	ds_write_b32 v1, v2 offset:49152
; %bb.2:
	s_or_b64 exec, exec, s[4:5]
	s_load_dwordx8 s[20:27], s[0:1], 0x20
	s_mov_b32 s54, 0x66666667
	s_waitcnt lgkmcnt(0)
	s_barrier
	s_add_i32 s3, s20, 15
	s_ashr_i32 s5, s3, 31
	s_lshr_b32 s5, s5, 28
	s_add_i32 s4, s21, 0x4f
	s_add_i32 s3, s3, s5
	s_ashr_i32 s33, s3, 4
	s_mul_hi_i32 s3, s4, 0x66666667
	s_lshr_b32 s4, s3, 31
	s_ashr_i32 s52, s3, 5
	s_add_i32 s52, s52, s4
	s_mul_i32 s3, s52, s33
	s_mul_i32 s3, s3, s24
	s_add_i32 s4, s3, 0x12f
	s_mul_hi_i32 s4, s4, 0x6bca1af3
	s_lshr_b32 s5, s4, 31
	s_ashr_i32 s4, s4, 7
	s_add_i32 s4, s4, s5
	s_add_i32 s5, s2, 1
	s_mul_i32 s5, s4, s5
	v_cvt_f64_i32_e32 v[2:3], s3
	v_cvt_f64_u32_e32 v[4:5], s5
	v_min_f64 v[2:3], v[2:3], v[4:5]
	v_cvt_i32_f64_e32 v21, v[2:3]
	s_mul_i32 s53, s4, s2
	v_cmp_ge_i32_e32 vcc, s53, v21
	s_cbranch_vccnz .LBB125_54
; %bb.3:
	v_lshrrev_b32_e32 v2, 6, v0
	s_add_i32 s4, s26, s25
	s_load_dwordx8 s[36:43], s[0:1], 0x0
	v_cmp_le_i32_e64 s[0:1], s4, v2
	v_mov_b32_e32 v3, s25
	v_cmp_le_i32_e64 s[2:3], s25, v2
	v_mov_b32_e32 v4, s26
	v_cndmask_b32_e64 v4, 0, v4, s[0:1]
	v_cndmask_b32_e64 v3, 0, v3, s[2:3]
	s_abs_i32 s5, s24
	v_add_u32_e32 v3, v3, v4
	v_cvt_f32_u32_e32 v4, s5
	v_sub_u32_e32 v28, v2, v3
	s_ashr_i32 s6, s22, 31
	s_lshr_b32 s6, s6, 25
	v_rcp_iflag_f32_e32 v3, v4
	s_sub_i32 s9, 0, s5
	s_add_i32 s6, s22, s6
	s_ashr_i32 s6, s6, 7
	v_mul_f32_e32 v3, 0x4f7ffffe, v3
	v_cvt_u32_f32_e32 v3, v3
	s_abs_i32 s8, s6
	s_xor_b32 s7, s6, s24
	s_ashr_i32 s7, s7, 31
	v_readfirstlane_b32 s10, v3
	s_mul_i32 s9, s9, s10
	s_mul_hi_u32 s9, s10, s9
	s_add_i32 s10, s10, s9
	s_mul_hi_u32 s9, s8, s10
	s_mul_i32 s10, s9, s5
	s_sub_i32 s8, s8, s10
	s_add_i32 s10, s9, 1
	s_sub_i32 s11, s8, s5
	s_cmp_ge_u32 s8, s5
	s_cselect_b32 s9, s10, s9
	s_cselect_b32 s8, s11, s8
	s_add_i32 s10, s9, 1
	s_cmp_ge_u32 s8, s5
	s_cselect_b32 s5, s10, s9
	s_xor_b32 s5, s5, s7
	s_sub_i32 s55, s5, s7
	s_add_i32 s24, s24, -1
	s_mul_i32 s5, s55, s24
	s_add_i32 s4, s4, s27
	s_sub_i32 s56, s6, s5
	v_cmp_gt_i32_e64 s[4:5], s4, v2
	v_lshlrev_b32_e32 v2, 1, v0
	v_lshlrev_b32_e32 v3, 4, v0
	v_and_b32_e32 v1, 60, v1
	v_and_b32_e32 v2, 64, v2
	v_and_b32_e32 v4, 0x100, v3
	s_abs_i32 s57, s33
	v_or3_b32 v41, v1, v2, v4
	v_and_b32_e32 v1, 1, v0
	v_cvt_f32_u32_e32 v6, s57
	v_lshlrev_b32_e32 v2, 1, v1
	v_lshrrev_b32_e32 v4, 2, v0
	v_and_b32_e32 v20, 14, v0
	v_sub_u32_e32 v2, v0, v2
	v_and_or_b32 v42, v4, 12, v1
	v_bitop3_b32 v43, v0, 1, v0 bitop3:0xc
	v_bitop3_b32 v44, v0, 3, 1 bitop3:0x6c
	v_and_b32_e32 v24, 48, v3
	v_bfe_u32 v1, v0, 2, 4
	v_and_b32_e32 v3, 60, v0
	v_lshlrev_b32_e32 v5, 8, v0
	v_lshlrev_b32_e32 v0, 6, v0
	v_and_b32_e32 v5, 0x200, v5
	v_and_b32_e32 v0, 64, v0
	v_or3_b32 v48, v3, v5, v0
	v_rcp_iflag_f32_e32 v0, v6
	s_abs_i32 s59, s52
	v_mul_lo_u32 v26, s23, v1
	v_mul_lo_u32 v50, s22, v1
	v_cvt_f32_u32_e32 v1, s59
	v_mul_f32_e32 v0, 0x4f7ffffe, v0
	v_cvt_u32_f32_e32 v0, v0
	v_mad_u64_u32 v[22:23], s[6:7], s21, v42, v[20:21]
	v_rcp_iflag_f32_e32 v1, v1
	v_readfirstlane_b32 s7, v0
	s_sub_i32 s6, 0, s57
	s_mul_i32 s6, s6, s7
	v_mul_f32_e32 v0, 0x4f7ffffe, v1
	v_cvt_u32_f32_e32 v0, v0
	s_mul_hi_u32 s6, s7, s6
	v_add_u32_e32 v2, 1, v2
	s_add_i32 s61, s7, s6
	s_sub_i32 s6, 0, s59
	v_readfirstlane_b32 s7, v0
	v_mbcnt_lo_u32_b32 v0, -1, 0
	v_and_b32_e32 v2, 63, v2
	s_mul_i32 s6, s6, s7
	v_mbcnt_hi_u32_b32 v0, -1, v0
	s_mul_hi_u32 s6, s7, s6
	v_and_or_b32 v0, v0, 64, v2
	v_cndmask_b32_e64 v40, 0, 1, s[0:1]
	v_or_b32_e32 v45, 32, v20
	v_or_b32_e32 v46, 48, v20
	;; [unrolled: 1-line block ×3, first 2 shown]
	v_ashrrev_i32_e32 v23, 31, v22
	s_ashr_i32 s29, s21, 31
	s_mov_b32 s28, s21
	v_ashrrev_i32_e32 v27, 31, v26
	v_mov_b32_e32 v25, 0
	s_lshl_b32 s58, s23, 4
	v_bitop3_b32 v49, v4, 15, v4 bitop3:0xc
	v_or_b32_e32 v51, 0xa000, v48
	s_ashr_i32 s60, s33, 31
	s_ashr_i32 s62, s52, 31
	s_add_i32 s63, s7, s6
	s_movk_i32 s64, 0x2800
	s_mov_b64 s[30:31], 0x60
	s_mov_b64 s[34:35], 0x80
	v_lshlrev_b32_e32 v52, 2, v0
	v_not_b32_e32 v53, 19
	v_mov_b32_e32 v54, v28
	s_branch .LBB125_7
.LBB125_4:                              ;   in Loop: Header=BB125_7 Depth=1
	s_or_b64 exec, exec, s[10:11]
.LBB125_5:                              ;   in Loop: Header=BB125_7 Depth=1
	s_or_b64 exec, exec, s[8:9]
	v_subrev_u32_e32 v54, s65, v54
.LBB125_6:                              ;   in Loop: Header=BB125_7 Depth=1
	s_or_b64 exec, exec, s[6:7]
	s_add_i32 s53, s53, 1
	v_cmp_ge_i32_e32 vcc, s53, v21
	s_cbranch_vccnz .LBB125_54
.LBB125_7:                              ; =>This Loop Header: Depth=1
                                        ;     Child Loop BB125_13 Depth 2
                                        ;       Child Loop BB125_15 Depth 3
                                        ;       Child Loop BB125_18 Depth 3
	;; [unrolled: 1-line block ×6, first 2 shown]
                                        ;     Child Loop BB125_41 Depth 2
                                        ;       Child Loop BB125_43 Depth 3
                                        ;     Child Loop BB125_51 Depth 2
                                        ;       Child Loop BB125_53 Depth 3
	s_abs_i32 s7, s53
	s_mul_hi_u32 s8, s7, s61
	s_mul_i32 s9, s8, s57
	s_ashr_i32 s6, s53, 31
	s_sub_i32 s7, s7, s9
	s_xor_b32 s6, s6, s60
	s_add_i32 s9, s8, 1
	s_sub_i32 s10, s7, s57
	s_cmp_ge_u32 s7, s57
	s_cselect_b32 s8, s9, s8
	s_cselect_b32 s7, s10, s7
	s_add_i32 s9, s8, 1
	s_cmp_ge_u32 s7, s57
	s_cselect_b32 s7, s9, s8
	s_xor_b32 s7, s7, s6
	s_sub_i32 s6, s7, s6
	s_abs_i32 s8, s6
	s_mul_i32 s7, s6, s33
	s_mul_hi_u32 s9, s8, s63
	s_sub_i32 s7, s53, s7
	s_mul_i32 s10, s9, s59
	s_lshl_b32 s66, s7, 4
	s_ashr_i32 s7, s6, 31
	s_sub_i32 s8, s8, s10
	s_xor_b32 s7, s7, s62
	s_add_i32 s10, s9, 1
	s_sub_i32 s11, s8, s59
	s_cmp_ge_u32 s8, s59
	s_cselect_b32 s9, s10, s9
	s_cselect_b32 s8, s11, s8
	s_add_i32 s10, s9, 1
	s_cmp_ge_u32 s8, s59
	s_cselect_b32 s8, s10, s9
	s_xor_b32 s8, s8, s7
	s_sub_i32 s7, s8, s7
	s_mul_i32 s8, s7, s55
	s_lshl_b32 s67, s8, 7
	s_cmp_eq_u32 s7, s24
	s_cselect_b32 s65, s56, s55
	s_sub_i32 s68, s66, s20
	s_add_i32 s68, s68, 16
	s_and_saveexec_b64 s[8:9], s[2:3]
	s_xor_b64 s[44:45], exec, s[8:9]
	s_cbranch_execz .LBB125_47
; %bb.8:                                ;   in Loop: Header=BB125_7 Depth=1
	s_mul_i32 s7, s7, s52
	s_sub_i32 s6, s6, s7
	s_mulk_i32 s6, 0x50
	s_sub_i32 s47, s6, s21
	s_addk_i32 s47, 0x50
	s_max_i32 s7, s47, 0
	s_sub_i32 s46, s6, s7
	s_and_saveexec_b64 s[6:7], s[0:1]
	s_xor_b64 s[48:49], exec, s[6:7]
	s_cbranch_execz .LBB125_37
; %bb.9:                                ;   in Loop: Header=BB125_7 Depth=1
	s_and_saveexec_b64 s[50:51], s[4:5]
	s_cbranch_execz .LBB125_36
; %bb.10:                               ;   in Loop: Header=BB125_7 Depth=1
	s_waitcnt lgkmcnt(0)
	global_load_dword v55, v25, s[42:43]
	v_mov_b32_e32 v19, 0
	v_cmp_gt_i32_e32 vcc, s65, v54
	v_mov_b32_e32 v18, v19
	v_mov_b32_e32 v17, v19
	;; [unrolled: 1-line block ×19, first 2 shown]
	s_and_saveexec_b64 s[6:7], vcc
	s_cbranch_execz .LBB125_32
; %bb.11:                               ;   in Loop: Header=BB125_7 Depth=1
	v_mov_b32_e32 v0, 0
	s_mov_b64 s[8:9], 0
	v_mov_b32_e32 v1, v0
	v_mov_b32_e32 v2, v0
	v_mov_b32_e32 v3, v0
	v_mov_b32_e32 v4, v0
	v_mov_b32_e32 v5, v0
	v_mov_b32_e32 v6, v0
	v_mov_b32_e32 v7, v0
	v_mov_b32_e32 v8, v0
	v_mov_b32_e32 v9, v0
	v_mov_b32_e32 v10, v0
	v_mov_b32_e32 v11, v0
	v_mov_b32_e32 v12, v0
	v_mov_b32_e32 v13, v0
	v_mov_b32_e32 v14, v0
	v_mov_b32_e32 v15, v0
	v_mov_b32_e32 v16, v0
	v_mov_b32_e32 v17, v0
	v_mov_b32_e32 v18, v0
	v_mov_b32_e32 v19, v0
	s_branch .LBB125_13
.LBB125_12:                             ;   in Loop: Header=BB125_13 Depth=2
	s_or_b64 exec, exec, s[10:11]
	v_add_u32_e32 v37, 0x2000, v36
	ds_read2_b32 v[38:39], v37 offset1:32
	v_add_u32_e32 v54, s27, v54
	v_cmp_le_i32_e32 vcc, s65, v54
	s_or_b64 s[8:9], vcc, s[8:9]
	s_waitcnt lgkmcnt(0)
	v_mfma_f32_16x16x32_fp8_fp8 v[0:3], v[28:29], v[38:39], v[0:3]
	ds_read2_b32 v[28:29], v37 offset0:128 offset1:160
	v_add_u32_e32 v38, 0x2400, v36
	ds_read2_b32 v[36:37], v38 offset1:32
	s_waitcnt lgkmcnt(1)
	v_mfma_f32_16x16x32_fp8_fp8 v[0:3], v[34:35], v[28:29], v[0:3]
	ds_read2_b32 v[34:35], v38 offset0:128 offset1:160
	v_add_u32_e32 v28, s27, v57
	v_add_u32_e32 v29, 2, v40
	s_waitcnt lgkmcnt(1)
	v_mfma_f32_16x16x32_fp8_fp8 v[0:3], v[32:33], v[36:37], v[0:3]
	v_cmp_lt_i32_e32 vcc, 3, v28
	;;#ASMSTART
	s_waitcnt lgkmcnt(0)
	;;#ASMEND
	ds_write_b32 v56, v58 offset:49184
	s_waitcnt lgkmcnt(1)
	v_mfma_f32_16x16x32_fp8_fp8 v[0:3], v[30:31], v[34:35], v[0:3]
	v_cndmask_b32_e32 v40, v40, v29, vcc
	s_andn2_b64 exec, exec, s[8:9]
	s_cbranch_execz .LBB125_31
.LBB125_13:                             ;   Parent Loop BB125_7 Depth=1
                                        ; =>  This Loop Header: Depth=2
                                        ;       Child Loop BB125_15 Depth 3
                                        ;       Child Loop BB125_18 Depth 3
                                        ;       Child Loop BB125_21 Depth 3
                                        ;       Child Loop BB125_24 Depth 3
                                        ;       Child Loop BB125_27 Depth 3
                                        ;       Child Loop BB125_30 Depth 3
	v_cmp_gt_i32_e32 vcc, 4, v28
	s_nop 1
	v_cndmask_b32_e64 v29, -4, 0, vcc
	v_add_u32_e32 v57, v29, v28
	v_mul_lo_u32 v56, v57, 20
	ds_read_b32 v28, v56 offset:49168
	s_waitcnt lgkmcnt(0)
	v_cmp_ne_u32_e32 vcc, v28, v40
	s_and_saveexec_b64 s[10:11], vcc
	s_cbranch_execz .LBB125_16
; %bb.14:                               ;   in Loop: Header=BB125_13 Depth=2
	s_mov_b64 s[12:13], 0
.LBB125_15:                             ;   Parent Loop BB125_7 Depth=1
                                        ;     Parent Loop BB125_13 Depth=2
                                        ; =>    This Inner Loop Header: Depth=3
	;;#ASMSTART
	s_sleep 0
	;;#ASMEND
	ds_read_b32 v28, v56 offset:49168
	s_waitcnt lgkmcnt(0)
	v_cmp_eq_u32_e32 vcc, v28, v40
	s_or_b64 s[12:13], vcc, s[12:13]
	s_andn2_b64 exec, exec, s[12:13]
	s_cbranch_execnz .LBB125_15
.LBB125_16:                             ;   in Loop: Header=BB125_13 Depth=2
	s_or_b64 exec, exec, s[10:11]
	v_mul_lo_u32 v59, v57, s64
	v_or_b32_e32 v28, v41, v59
	ds_read2_b32 v[32:33], v28 offset1:32
	ds_read2_b32 v[30:31], v28 offset0:128 offset1:160
	v_add_u32_e32 v28, 0x400, v28
	v_add_u32_e32 v58, 1, v40
	ds_read2_b32 v[38:39], v28 offset1:32
	ds_read2_b32 v[36:37], v28 offset0:128 offset1:160
	;;#ASMSTART
	s_waitcnt lgkmcnt(0)
	;;#ASMEND
	ds_write_b32 v56, v58 offset:49168
	v_lshlrev_b32_e32 v28, 2, v57
	ds_read_b32 v29, v28 offset:49152
	v_add_u32_e32 v60, 0xc000, v28
	s_waitcnt lgkmcnt(0)
	v_cmp_ne_u32_e32 vcc, v29, v40
	s_and_saveexec_b64 s[10:11], vcc
	s_cbranch_execz .LBB125_19
; %bb.17:                               ;   in Loop: Header=BB125_13 Depth=2
	s_mov_b64 s[12:13], 0
.LBB125_18:                             ;   Parent Loop BB125_7 Depth=1
                                        ;     Parent Loop BB125_13 Depth=2
                                        ; =>    This Inner Loop Header: Depth=3
	;;#ASMSTART
	s_sleep 0
	;;#ASMEND
	ds_read_b32 v28, v60
	s_waitcnt lgkmcnt(0)
	v_cmp_eq_u32_e32 vcc, v28, v40
	s_or_b64 s[12:13], vcc, s[12:13]
	s_andn2_b64 exec, exec, s[12:13]
	s_cbranch_execnz .LBB125_18
.LBB125_19:                             ;   in Loop: Header=BB125_13 Depth=2
	s_or_b64 exec, exec, s[10:11]
	v_or_b32_e32 v28, 0xa000, v41
	v_lshl_add_u32 v61, v57, 11, v28
	ds_read2_b32 v[28:29], v61 offset1:32
	ds_read2_b32 v[34:35], v61 offset0:128 offset1:160
	v_add_u32_e32 v61, 0x400, v61
	s_waitcnt lgkmcnt(1)
	v_mfma_f32_16x16x32_fp8_fp8 v[16:19], v[28:29], v[32:33], v[16:19]
	ds_read2_b32 v[32:33], v61 offset1:32
	s_waitcnt lgkmcnt(1)
	v_mfma_f32_16x16x32_fp8_fp8 v[16:19], v[34:35], v[30:31], v[16:19]
	s_waitcnt lgkmcnt(0)
	v_mfma_f32_16x16x32_fp8_fp8 v[16:19], v[32:33], v[38:39], v[16:19]
	ds_read2_b32 v[30:31], v61 offset0:128 offset1:160
	ds_read_b32 v38, v56 offset:49172
	ds_write_b32 v60, v58
	s_waitcnt lgkmcnt(1)
	v_cmp_ne_u32_e32 vcc, v38, v40
	v_mfma_f32_16x16x32_fp8_fp8 v[16:19], v[30:31], v[36:37], v[16:19]
	s_and_saveexec_b64 s[10:11], vcc
	s_cbranch_execz .LBB125_22
; %bb.20:                               ;   in Loop: Header=BB125_13 Depth=2
	s_mov_b64 s[12:13], 0
.LBB125_21:                             ;   Parent Loop BB125_7 Depth=1
                                        ;     Parent Loop BB125_13 Depth=2
                                        ; =>    This Inner Loop Header: Depth=3
	;;#ASMSTART
	s_sleep 0
	;;#ASMEND
	ds_read_b32 v36, v56 offset:49172
	s_waitcnt lgkmcnt(0)
	v_cmp_eq_u32_e32 vcc, v36, v40
	s_or_b64 s[12:13], vcc, s[12:13]
	s_andn2_b64 exec, exec, s[12:13]
	s_cbranch_execnz .LBB125_21
.LBB125_22:                             ;   in Loop: Header=BB125_13 Depth=2
	s_or_b64 exec, exec, s[10:11]
	v_add_u32_e32 v36, v41, v59
	v_add_u32_e32 v37, 0x800, v36
	ds_read2_b32 v[38:39], v37 offset1:32
	s_waitcnt lgkmcnt(0)
	v_mfma_f32_16x16x32_fp8_fp8 v[12:15], v[28:29], v[38:39], v[12:15]
	ds_read2_b32 v[38:39], v37 offset0:128 offset1:160
	v_add_u32_e32 v37, 0xc00, v36
	s_waitcnt lgkmcnt(0)
	v_mfma_f32_16x16x32_fp8_fp8 v[12:15], v[34:35], v[38:39], v[12:15]
	ds_read2_b32 v[38:39], v37 offset1:32
	ds_read2_b32 v[60:61], v37 offset0:128 offset1:160
	;;#ASMSTART
	s_waitcnt lgkmcnt(0)
	;;#ASMEND
	ds_read_b32 v37, v56 offset:49176
	s_waitcnt lgkmcnt(2)
	v_mfma_f32_16x16x32_fp8_fp8 v[12:15], v[32:33], v[38:39], v[12:15]
	ds_write_b32 v56, v58 offset:49172
	s_waitcnt lgkmcnt(1)
	v_cmp_ne_u32_e32 vcc, v37, v40
	v_mfma_f32_16x16x32_fp8_fp8 v[12:15], v[30:31], v[60:61], v[12:15]
	s_and_saveexec_b64 s[10:11], vcc
	s_cbranch_execz .LBB125_25
; %bb.23:                               ;   in Loop: Header=BB125_13 Depth=2
	s_mov_b64 s[12:13], 0
.LBB125_24:                             ;   Parent Loop BB125_7 Depth=1
                                        ;     Parent Loop BB125_13 Depth=2
                                        ; =>    This Inner Loop Header: Depth=3
	;;#ASMSTART
	s_sleep 0
	;;#ASMEND
	ds_read_b32 v37, v56 offset:49176
	s_waitcnt lgkmcnt(0)
	v_cmp_eq_u32_e32 vcc, v37, v40
	s_or_b64 s[12:13], vcc, s[12:13]
	s_andn2_b64 exec, exec, s[12:13]
	s_cbranch_execnz .LBB125_24
.LBB125_25:                             ;   in Loop: Header=BB125_13 Depth=2
	s_or_b64 exec, exec, s[10:11]
	v_add_u32_e32 v37, 0x1000, v36
	ds_read2_b32 v[38:39], v37 offset1:32
	s_waitcnt lgkmcnt(0)
	v_mfma_f32_16x16x32_fp8_fp8 v[8:11], v[28:29], v[38:39], v[8:11]
	ds_read2_b32 v[38:39], v37 offset0:128 offset1:160
	v_add_u32_e32 v37, 0x1400, v36
	s_waitcnt lgkmcnt(0)
	v_mfma_f32_16x16x32_fp8_fp8 v[8:11], v[34:35], v[38:39], v[8:11]
	ds_read2_b32 v[38:39], v37 offset1:32
	ds_read2_b32 v[60:61], v37 offset0:128 offset1:160
	;;#ASMSTART
	s_waitcnt lgkmcnt(0)
	;;#ASMEND
	ds_read_b32 v37, v56 offset:49180
	s_waitcnt lgkmcnt(2)
	v_mfma_f32_16x16x32_fp8_fp8 v[8:11], v[32:33], v[38:39], v[8:11]
	ds_write_b32 v56, v58 offset:49176
	s_waitcnt lgkmcnt(1)
	v_cmp_ne_u32_e32 vcc, v37, v40
	v_mfma_f32_16x16x32_fp8_fp8 v[8:11], v[30:31], v[60:61], v[8:11]
	s_and_saveexec_b64 s[10:11], vcc
	s_cbranch_execz .LBB125_28
; %bb.26:                               ;   in Loop: Header=BB125_13 Depth=2
	s_mov_b64 s[12:13], 0
.LBB125_27:                             ;   Parent Loop BB125_7 Depth=1
                                        ;     Parent Loop BB125_13 Depth=2
                                        ; =>    This Inner Loop Header: Depth=3
	;;#ASMSTART
	s_sleep 0
	;;#ASMEND
	ds_read_b32 v37, v56 offset:49180
	s_waitcnt lgkmcnt(0)
	v_cmp_eq_u32_e32 vcc, v37, v40
	s_or_b64 s[12:13], vcc, s[12:13]
	s_andn2_b64 exec, exec, s[12:13]
	s_cbranch_execnz .LBB125_27
.LBB125_28:                             ;   in Loop: Header=BB125_13 Depth=2
	s_or_b64 exec, exec, s[10:11]
	v_add_u32_e32 v37, 0x1800, v36
	ds_read2_b32 v[38:39], v37 offset1:32
	s_waitcnt lgkmcnt(0)
	v_mfma_f32_16x16x32_fp8_fp8 v[4:7], v[28:29], v[38:39], v[4:7]
	ds_read2_b32 v[38:39], v37 offset0:128 offset1:160
	v_add_u32_e32 v37, 0x1c00, v36
	s_waitcnt lgkmcnt(0)
	v_mfma_f32_16x16x32_fp8_fp8 v[4:7], v[34:35], v[38:39], v[4:7]
	ds_read2_b32 v[38:39], v37 offset1:32
	ds_read2_b32 v[60:61], v37 offset0:128 offset1:160
	;;#ASMSTART
	s_waitcnt lgkmcnt(0)
	;;#ASMEND
	ds_read_b32 v37, v56 offset:49184
	s_waitcnt lgkmcnt(2)
	v_mfma_f32_16x16x32_fp8_fp8 v[4:7], v[32:33], v[38:39], v[4:7]
	ds_write_b32 v56, v58 offset:49180
	s_waitcnt lgkmcnt(1)
	v_cmp_ne_u32_e32 vcc, v37, v40
	v_mfma_f32_16x16x32_fp8_fp8 v[4:7], v[30:31], v[60:61], v[4:7]
	s_and_saveexec_b64 s[10:11], vcc
	s_cbranch_execz .LBB125_12
; %bb.29:                               ;   in Loop: Header=BB125_13 Depth=2
	s_mov_b64 s[12:13], 0
.LBB125_30:                             ;   Parent Loop BB125_7 Depth=1
                                        ;     Parent Loop BB125_13 Depth=2
                                        ; =>    This Inner Loop Header: Depth=3
	;;#ASMSTART
	s_sleep 0
	;;#ASMEND
	ds_read_b32 v37, v56 offset:49184
	s_waitcnt lgkmcnt(0)
	v_cmp_eq_u32_e32 vcc, v37, v40
	s_or_b64 s[12:13], vcc, s[12:13]
	s_andn2_b64 exec, exec, s[12:13]
	s_cbranch_execnz .LBB125_30
	s_branch .LBB125_12
.LBB125_31:                             ;   in Loop: Header=BB125_7 Depth=1
	s_or_b64 exec, exec, s[8:9]
.LBB125_32:                             ;   in Loop: Header=BB125_7 Depth=1
	s_or_b64 exec, exec, s[6:7]
	v_cmp_le_i32_e32 vcc, s47, v20
	v_cmp_eq_u32_e64 s[12:13], 1, v43
	v_cmp_eq_u32_e64 s[6:7], 3, v43
	s_waitcnt vmcnt(0)
	v_cndmask_b32_e32 v30, 0, v55, vcc
	v_pk_mul_f32 v[18:19], v[30:31], v[18:19] op_sel_hi:[0,1]
	v_pk_mul_f32 v[30:31], v[30:31], v[16:17] op_sel_hi:[0,1]
	v_cndmask_b32_e64 v16, v30, v31, s[12:13]
	v_cmp_eq_u32_e32 vcc, 2, v43
	v_cmp_eq_u32_e64 s[8:9], 0, v43
	v_cmp_eq_u32_e64 s[10:11], 1, v44
	v_cndmask_b32_e32 v16, v16, v18, vcc
	v_cndmask_b32_e64 v16, v16, v19, s[6:7]
	ds_bpermute_b32 v29, v52, v16
	v_cmp_le_i32_e64 s[18:19], s47, v45
	v_cmp_eq_u32_e64 s[16:17], 3, v44
	s_waitcnt lgkmcnt(0)
	v_cndmask_b32_e64 v16, v19, v29, s[6:7]
	v_cndmask_b32_e64 v19, v30, v29, s[8:9]
	v_or_b32_e32 v30, 16, v20
	v_cmp_le_i32_e64 s[14:15], s47, v30
	v_cndmask_b32_e32 v17, v18, v29, vcc
	v_cndmask_b32_e64 v18, v31, v29, s[12:13]
	v_cndmask_b32_e64 v30, 0, v55, s[14:15]
	v_pk_mul_f32 v[14:15], v[30:31], v[14:15] op_sel_hi:[0,1]
	v_pk_mul_f32 v[30:31], v[30:31], v[12:13] op_sel_hi:[0,1]
	v_cndmask_b32_e64 v12, v30, v31, s[12:13]
	v_cndmask_b32_e32 v12, v12, v14, vcc
	v_cndmask_b32_e64 v12, v12, v15, s[6:7]
	ds_bpermute_b32 v32, v52, v12
	v_cndmask_b32_e64 v29, v19, v18, s[10:11]
	v_cmp_eq_u32_e64 s[14:15], 2, v44
	s_waitcnt lgkmcnt(0)
	v_cndmask_b32_e64 v13, v15, v32, s[6:7]
	v_cndmask_b32_e64 v12, v29, v17, s[14:15]
	;; [unrolled: 1-line block ×4, first 2 shown]
	v_cndmask_b32_e32 v14, v14, v32, vcc
	v_cndmask_b32_e64 v15, v31, v32, s[12:13]
	v_pk_mul_f32 v[32:33], v[30:31], v[8:9] op_sel_hi:[0,1]
	v_pk_mul_f32 v[10:11], v[30:31], v[10:11] op_sel_hi:[0,1]
	v_cndmask_b32_e64 v8, v32, v33, s[12:13]
	v_cndmask_b32_e32 v8, v8, v10, vcc
	v_cndmask_b32_e64 v8, v8, v11, s[6:7]
	ds_bpermute_b32 v31, v52, v8
	v_cmp_le_i32_e64 s[18:19], s47, v46
	v_cndmask_b32_e64 v8, v29, v15, s[10:11]
	v_cndmask_b32_e64 v8, v8, v14, s[14:15]
	;; [unrolled: 1-line block ×3, first 2 shown]
	s_waitcnt lgkmcnt(0)
	v_cndmask_b32_e64 v9, v11, v31, s[6:7]
	v_cndmask_b32_e32 v10, v10, v31, vcc
	v_cndmask_b32_e64 v30, v33, v31, s[12:13]
	v_cndmask_b32_e64 v31, v32, v31, s[8:9]
	;; [unrolled: 1-line block ×3, first 2 shown]
	v_pk_mul_f32 v[6:7], v[32:33], v[6:7] op_sel_hi:[0,1]
	v_pk_mul_f32 v[32:33], v[32:33], v[4:5] op_sel_hi:[0,1]
	v_cndmask_b32_e64 v4, v32, v33, s[12:13]
	v_cndmask_b32_e32 v4, v4, v6, vcc
	v_cndmask_b32_e64 v4, v4, v7, s[6:7]
	ds_bpermute_b32 v11, v52, v4
	v_cmp_le_i32_e64 s[18:19], s47, v47
	v_cndmask_b32_e64 v4, v31, v30, s[10:11]
	v_cndmask_b32_e64 v4, v4, v10, s[14:15]
	;; [unrolled: 1-line block ×3, first 2 shown]
	s_waitcnt lgkmcnt(0)
	v_cndmask_b32_e64 v33, v33, v11, s[12:13]
	v_cndmask_b32_e64 v34, v32, v11, s[8:9]
	;; [unrolled: 1-line block ×3, first 2 shown]
	v_pk_mul_f32 v[38:39], v[32:33], v[0:1] op_sel_hi:[0,1]
	v_pk_mul_f32 v[36:37], v[32:33], v[2:3] op_sel_hi:[0,1]
	v_cndmask_b32_e64 v0, v38, v39, s[12:13]
	v_cndmask_b32_e32 v0, v0, v36, vcc
	v_cndmask_b32_e64 v0, v0, v37, s[6:7]
	ds_bpermute_b32 v1, v52, v0
	v_cndmask_b32_e32 v6, v6, v11, vcc
	v_cndmask_b32_e64 v0, v34, v33, s[10:11]
	v_cndmask_b32_e64 v5, v7, v11, s[6:7]
	;; [unrolled: 1-line block ×4, first 2 shown]
	s_waitcnt lgkmcnt(0)
	v_cndmask_b32_e32 v3, v36, v1, vcc
	v_cmp_ne_u32_e32 vcc, 0, v43
	ds_bpermute_b32 v7, v52, v0
	v_cndmask_b32_e64 v2, v37, v1, s[6:7]
	v_cndmask_b32_e32 v0, v39, v1, vcc
	v_cndmask_b32_e64 v1, v38, v1, s[8:9]
	v_cndmask_b32_e64 v11, v1, v0, s[10:11]
	v_cndmask_b32_e64 v11, v11, v3, s[14:15]
	v_cndmask_b32_e64 v4, v4, v9, s[16:17]
	v_cndmask_b32_e64 v11, v11, v2, s[16:17]
	ds_bpermute_b32 v12, v52, v12
	ds_bpermute_b32 v8, v52, v8
	;; [unrolled: 1-line block ×4, first 2 shown]
	s_max_i32 s6, s68, 0
	v_add_u32_e32 v32, s6, v42
	v_cmp_gt_u32_e32 vcc, 16, v32
	s_and_saveexec_b64 s[12:13], vcc
	s_cbranch_execz .LBB125_35
; %bb.33:                               ;   in Loop: Header=BB125_7 Depth=1
	v_cmp_eq_u32_e64 s[8:9], 1, v44
	v_cmp_eq_u32_e64 s[10:11], 0, v44
	v_cmp_eq_u32_e32 vcc, 3, v44
	s_waitcnt lgkmcnt(3)
	v_cndmask_b32_e64 v18, v18, v12, s[8:9]
	s_waitcnt lgkmcnt(2)
	v_cndmask_b32_e64 v15, v15, v8, s[8:9]
	;; [unrolled: 2-line block ×3, first 2 shown]
	v_cndmask_b32_e64 v33, v33, v7, s[8:9]
	s_waitcnt lgkmcnt(0)
	v_cndmask_b32_e64 v35, v0, v11, s[8:9]
	s_mul_i32 s8, s66, s21
	s_ashr_i32 s9, s8, 31
	s_lshl_b64 s[8:9], s[8:9], 1
	v_cndmask_b32_e64 v19, v19, v12, s[10:11]
	v_cndmask_b32_e64 v29, v29, v8, s[10:11]
	;; [unrolled: 1-line block ×5, first 2 shown]
	s_add_u32 s10, s40, s8
	s_addc_u32 s11, s41, s9
	s_ashr_i32 s47, s46, 31
	v_cvt_f16_f32_e32 v19, v19
	v_cvt_f16_f32_sdwa v18, v18 dst_sel:WORD_1 dst_unused:UNUSED_PAD src0_sel:DWORD
	v_cvt_f16_f32_e32 v29, v29
	v_cvt_f16_f32_sdwa v15, v15 dst_sel:WORD_1 dst_unused:UNUSED_PAD src0_sel:DWORD
	s_lshl_b64 s[8:9], s[46:47], 1
	v_cvt_f16_f32_e32 v31, v31
	v_cvt_f16_f32_sdwa v30, v30 dst_sel:WORD_1 dst_unused:UNUSED_PAD src0_sel:DWORD
	s_add_u32 s8, s10, s8
	s_addc_u32 s9, s11, s9
	v_lshl_add_u64 v[0:1], v[22:23], 1, s[8:9]
	v_or_b32_e32 v18, v18, v19
	v_or_b32_e32 v15, v15, v29
	;;#ASMSTART
	global_atomic_pk_add_f16 v[0:1], v18, off
	
	;;#ASMEND
	v_lshl_add_u64 v[18:19], v[0:1], 0, 32
	;;#ASMSTART
	global_atomic_pk_add_f16 v[18:19], v15, off
	
	;;#ASMEND
	v_or_b32_e32 v15, v30, v31
	v_lshl_add_u64 v[18:19], v[0:1], 0, 64
	;;#ASMSTART
	global_atomic_pk_add_f16 v[18:19], v15, off
	
	;;#ASMEND
	v_cvt_f16_f32_e32 v15, v34
	v_cvt_f16_f32_sdwa v29, v33 dst_sel:WORD_1 dst_unused:UNUSED_PAD src0_sel:DWORD
	v_cvt_f16_f32_e32 v30, v36
	v_cvt_f16_f32_sdwa v31, v35 dst_sel:WORD_1 dst_unused:UNUSED_PAD src0_sel:DWORD
	v_cmp_eq_u32_e64 s[6:7], 2, v44
	v_lshl_add_u64 v[18:19], v[0:1], 0, s[30:31]
	v_or_b32_e32 v15, v29, v15
	v_cmp_gt_u32_e64 s[8:9], 14, v32
	;;#ASMSTART
	global_atomic_pk_add_f16 v[18:19], v15, off
	
	;;#ASMEND
	v_lshl_add_u64 v[18:19], v[0:1], 0, s[34:35]
	v_or_b32_e32 v15, v31, v30
	;;#ASMSTART
	global_atomic_pk_add_f16 v[18:19], v15, off
	
	;;#ASMEND
	s_and_b64 exec, exec, s[8:9]
	s_cbranch_execz .LBB125_35
; %bb.34:                               ;   in Loop: Header=BB125_7 Depth=1
	v_cndmask_b32_e32 v15, v16, v12, vcc
	v_cndmask_b32_e64 v12, v17, v12, s[6:7]
	v_cndmask_b32_e32 v9, v9, v4, vcc
	v_cndmask_b32_e64 v4, v10, v4, s[6:7]
	;; [unrolled: 2-line block ×3, first 2 shown]
	v_cvt_f16_f32_e32 v7, v12
	v_cvt_f16_f32_sdwa v10, v15 dst_sel:WORD_1 dst_unused:UNUSED_PAD src0_sel:DWORD
	v_cndmask_b32_e32 v13, v13, v8, vcc
	v_cndmask_b32_e64 v8, v14, v8, s[6:7]
	v_cndmask_b32_e32 v12, v2, v11, vcc
	v_or_b32_e32 v2, v10, v7
	v_cvt_f16_f32_e32 v7, v8
	v_cvt_f16_f32_sdwa v8, v13 dst_sel:WORD_1 dst_unused:UNUSED_PAD src0_sel:DWORD
	v_cvt_f16_f32_e32 v4, v4
	v_cvt_f16_f32_sdwa v9, v9 dst_sel:WORD_1 dst_unused:UNUSED_PAD src0_sel:DWORD
	v_lshl_add_u64 v[0:1], s[28:29], 2, v[0:1]
	v_cndmask_b32_e64 v11, v3, v11, s[6:7]
	;;#ASMSTART
	global_atomic_pk_add_f16 v[0:1], v2, off
	
	;;#ASMEND
	v_lshl_add_u64 v[2:3], v[0:1], 0, 32
	v_or_b32_e32 v7, v8, v7
	v_or_b32_e32 v4, v9, v4
	;;#ASMSTART
	global_atomic_pk_add_f16 v[2:3], v7, off
	
	;;#ASMEND
	v_lshl_add_u64 v[2:3], v[0:1], 0, 64
	;;#ASMSTART
	global_atomic_pk_add_f16 v[2:3], v4, off
	
	;;#ASMEND
	v_cvt_f16_f32_e32 v4, v6
	v_cvt_f16_f32_sdwa v5, v5 dst_sel:WORD_1 dst_unused:UNUSED_PAD src0_sel:DWORD
	v_cvt_f16_f32_e32 v6, v11
	v_cvt_f16_f32_sdwa v7, v12 dst_sel:WORD_1 dst_unused:UNUSED_PAD src0_sel:DWORD
	v_lshl_add_u64 v[2:3], v[0:1], 0, s[30:31]
	v_or_b32_e32 v4, v5, v4
	;;#ASMSTART
	global_atomic_pk_add_f16 v[2:3], v4, off
	
	;;#ASMEND
	v_lshl_add_u64 v[0:1], v[0:1], 0, s[34:35]
	v_or_b32_e32 v2, v7, v6
	;;#ASMSTART
	global_atomic_pk_add_f16 v[0:1], v2, off
	
	;;#ASMEND
.LBB125_35:                             ;   in Loop: Header=BB125_7 Depth=1
	s_or_b64 exec, exec, s[12:13]
	v_subrev_u32_e32 v54, s65, v54
.LBB125_36:                             ;   in Loop: Header=BB125_7 Depth=1
	s_or_b64 exec, exec, s[50:51]
.LBB125_37:                             ;   in Loop: Header=BB125_7 Depth=1
	s_andn2_saveexec_b64 s[6:7], s[48:49]
	s_cbranch_execz .LBB125_46
; %bb.38:                               ;   in Loop: Header=BB125_7 Depth=1
	s_mul_i32 s16, s65, 5
	v_cmp_gt_i32_e32 vcc, s16, v54
	s_and_saveexec_b64 s[8:9], vcc
	s_cbranch_execz .LBB125_45
; %bb.39:                               ;   in Loop: Header=BB125_7 Depth=1
	s_mul_i32 s10, s46, s23
	s_ashr_i32 s11, s10, 31
	s_waitcnt lgkmcnt(0)
	s_add_u32 s10, s38, s10
	s_addc_u32 s11, s39, s11
	s_ashr_i32 s12, s67, 31
	s_add_u32 s10, s10, s67
	s_addc_u32 s11, s11, s12
	v_lshl_add_u64 v[0:1], s[10:11], 0, v[26:27]
	v_lshl_add_u64 v[8:9], v[0:1], 0, v[24:25]
	s_mov_b64 s[10:11], 0
	s_branch .LBB125_41
.LBB125_40:                             ;   in Loop: Header=BB125_41 Depth=2
	s_or_b64 exec, exec, s[12:13]
	v_lshl_or_b32 v12, v10, 11, v48
	;;#ASMSTART
	s_waitcnt vmcnt(1)
	;;#ASMEND
	ds_write2_b32 v12, v4, v5 offset1:32
	ds_write2_b32 v12, v6, v7 offset0:64 offset1:96
	v_add_u32_e32 v4, 0x400, v12
	v_add_u32_e32 v54, s26, v54
	;;#ASMSTART
	s_waitcnt vmcnt(0)
	;;#ASMEND
	ds_write2_b32 v4, v0, v1 offset1:32
	ds_write2_b32 v4, v2, v3 offset0:64 offset1:96
	v_add_u32_e32 v0, 1, v40
	v_add_u32_e32 v28, s26, v10
	v_cmp_le_i32_e32 vcc, s16, v54
	ds_write_b32 v11, v0 offset:16
	v_add_u32_e32 v0, 2, v40
	s_or_b64 s[10:11], vcc, s[10:11]
	v_cmp_lt_i32_e32 vcc, 19, v28
	s_nop 1
	v_cndmask_b32_e32 v40, v40, v0, vcc
	s_andn2_b64 exec, exec, s[10:11]
	s_cbranch_execz .LBB125_44
.LBB125_41:                             ;   Parent Loop BB125_7 Depth=1
                                        ; =>  This Loop Header: Depth=2
                                        ;       Child Loop BB125_43 Depth 3
	v_cmp_gt_i32_e32 vcc, 20, v28
	s_nop 1
	v_cndmask_b32_e64 v0, v53, 0, vcc
	v_add_u32_e32 v10, v0, v28
	v_mul_hi_i32 v0, v54, s54
	v_lshrrev_b32_e32 v1, 31, v0
	v_ashrrev_i32_e32 v0, 1, v0
	v_add_u32_e32 v0, v0, v1
	v_lshl_add_u32 v1, v0, 2, v0
	v_sub_u32_e32 v2, v54, v1
	v_lshlrev_b32_e32 v0, 7, v0
	v_ashrrev_i32_e32 v1, 31, v0
	v_mul_lo_u32 v2, s58, v2
	v_lshl_add_u64 v[0:1], v[8:9], 0, v[0:1]
	v_ashrrev_i32_e32 v3, 31, v2
	v_lshl_add_u64 v[0:1], v[0:1], 0, v[2:3]
	v_lshlrev_b32_e32 v11, 2, v10
	;;#ASMSTART
	global_load_dwordx4 v[4:7], v[0:1], off offset:0   sc0 sc1 nt  
	global_load_dwordx4 v[0:3], v[0:1], off offset:64  sc0 sc1 nt  
	
	;;#ASMEND
	ds_read_b32 v12, v11 offset:49168
	v_add_u32_e32 v11, 0xc000, v11
	s_waitcnt lgkmcnt(0)
	v_cmp_ne_u32_e32 vcc, v12, v40
	s_and_saveexec_b64 s[12:13], vcc
	s_cbranch_execz .LBB125_40
; %bb.42:                               ;   in Loop: Header=BB125_41 Depth=2
	s_mov_b64 s[14:15], 0
.LBB125_43:                             ;   Parent Loop BB125_7 Depth=1
                                        ;     Parent Loop BB125_41 Depth=2
                                        ; =>    This Inner Loop Header: Depth=3
	;;#ASMSTART
	s_sleep 0
	;;#ASMEND
	ds_read_b32 v12, v11 offset:16
	s_waitcnt lgkmcnt(0)
	v_cmp_eq_u32_e32 vcc, v12, v40
	s_or_b64 s[14:15], vcc, s[14:15]
	s_andn2_b64 exec, exec, s[14:15]
	s_cbranch_execnz .LBB125_43
	s_branch .LBB125_40
.LBB125_44:                             ;   in Loop: Header=BB125_7 Depth=1
	s_or_b64 exec, exec, s[10:11]
.LBB125_45:                             ;   in Loop: Header=BB125_7 Depth=1
	s_or_b64 exec, exec, s[8:9]
	v_subrev_u32_e32 v54, s16, v54
.LBB125_46:                             ;   in Loop: Header=BB125_7 Depth=1
	s_or_b64 exec, exec, s[6:7]
.LBB125_47:                             ;   in Loop: Header=BB125_7 Depth=1
	s_andn2_saveexec_b64 s[6:7], s[44:45]
	s_cbranch_execz .LBB125_6
; %bb.48:                               ;   in Loop: Header=BB125_7 Depth=1
	v_cmp_gt_i32_e32 vcc, s65, v54
	s_and_saveexec_b64 s[8:9], vcc
	s_cbranch_execz .LBB125_5
; %bb.49:                               ;   in Loop: Header=BB125_7 Depth=1
	s_mul_i32 s66, s66, s22
	s_ashr_i32 s10, s66, 31
	s_waitcnt lgkmcnt(0)
	s_add_u32 s11, s36, s66
	s_addc_u32 s12, s37, s10
	s_ashr_i32 s13, s67, 31
	v_cmp_le_i32_e32 vcc, s68, v49
	s_add_u32 s10, s11, s67
	s_addc_u32 s11, s12, s13
	v_cndmask_b32_e32 v0, 0, v50, vcc
	v_ashrrev_i32_e32 v1, 31, v0
	v_lshl_add_u64 v[0:1], s[10:11], 0, v[0:1]
	v_lshl_add_u64 v[8:9], v[0:1], 0, v[24:25]
	s_mov_b64 s[10:11], 0
	s_branch .LBB125_51
.LBB125_50:                             ;   in Loop: Header=BB125_51 Depth=2
	s_or_b64 exec, exec, s[12:13]
	v_lshl_add_u32 v12, v10, 11, v51
	;;#ASMSTART
	s_waitcnt vmcnt(1)
	;;#ASMEND
	ds_write2_b32 v12, v4, v5 offset1:32
	ds_write2_b32 v12, v6, v7 offset0:64 offset1:96
	v_add_u32_e32 v4, 0x400, v12
	v_add_u32_e32 v54, s25, v54
	;;#ASMSTART
	s_waitcnt vmcnt(0)
	;;#ASMEND
	ds_write2_b32 v4, v0, v1 offset1:32
	ds_write2_b32 v4, v2, v3 offset0:64 offset1:96
	v_add_u32_e32 v0, 1, v40
	v_add_u32_e32 v28, s25, v10
	v_cmp_le_i32_e32 vcc, s65, v54
	ds_write_b32 v11, v0
	v_add_u32_e32 v0, 2, v40
	s_or_b64 s[10:11], vcc, s[10:11]
	v_cmp_lt_i32_e32 vcc, 3, v28
	s_nop 1
	v_cndmask_b32_e32 v40, v40, v0, vcc
	s_andn2_b64 exec, exec, s[10:11]
	s_cbranch_execz .LBB125_4
.LBB125_51:                             ;   Parent Loop BB125_7 Depth=1
                                        ; =>  This Loop Header: Depth=2
                                        ;       Child Loop BB125_53 Depth 3
	v_cmp_gt_i32_e32 vcc, 4, v28
	s_nop 1
	v_cndmask_b32_e64 v0, -4, 0, vcc
	v_add_u32_e32 v10, v0, v28
	v_lshlrev_b32_e32 v0, 7, v54
	v_ashrrev_i32_e32 v1, 31, v0
	v_lshl_add_u64 v[0:1], v[8:9], 0, v[0:1]
	v_lshlrev_b32_e32 v11, 2, v10
	;;#ASMSTART
	global_load_dwordx4 v[4:7], v[0:1], off offset:0   
	global_load_dwordx4 v[0:3], v[0:1], off offset:64  
	
	;;#ASMEND
	ds_read_b32 v12, v11 offset:49152
	v_add_u32_e32 v11, 0xc000, v11
	s_waitcnt lgkmcnt(0)
	v_cmp_ne_u32_e32 vcc, v12, v40
	s_and_saveexec_b64 s[12:13], vcc
	s_cbranch_execz .LBB125_50
; %bb.52:                               ;   in Loop: Header=BB125_51 Depth=2
	s_mov_b64 s[14:15], 0
.LBB125_53:                             ;   Parent Loop BB125_7 Depth=1
                                        ;     Parent Loop BB125_51 Depth=2
                                        ; =>    This Inner Loop Header: Depth=3
	;;#ASMSTART
	s_sleep 0
	;;#ASMEND
	ds_read_b32 v12, v11
	s_waitcnt lgkmcnt(0)
	v_cmp_eq_u32_e32 vcc, v12, v40
	s_or_b64 s[14:15], vcc, s[14:15]
	s_andn2_b64 exec, exec, s[14:15]
	s_cbranch_execnz .LBB125_53
	s_branch .LBB125_50
.LBB125_54:
	s_endpgm
	.section	.rodata,"a",@progbits
	.p2align	6, 0x0
	.amdhsa_kernel _Z19_skinny_gemm_kernelILi1ELi5ELi4ELi16ELi4EEvPKhS1_P6__halfPKfiiiiiiii
		.amdhsa_group_segment_fixed_size 49248
		.amdhsa_private_segment_fixed_size 0
		.amdhsa_kernarg_size 64
		.amdhsa_user_sgpr_count 2
		.amdhsa_user_sgpr_dispatch_ptr 0
		.amdhsa_user_sgpr_queue_ptr 0
		.amdhsa_user_sgpr_kernarg_segment_ptr 1
		.amdhsa_user_sgpr_dispatch_id 0
		.amdhsa_user_sgpr_kernarg_preload_length 0
		.amdhsa_user_sgpr_kernarg_preload_offset 0
		.amdhsa_user_sgpr_private_segment_size 0
		.amdhsa_uses_dynamic_stack 0
		.amdhsa_enable_private_segment 0
		.amdhsa_system_sgpr_workgroup_id_x 1
		.amdhsa_system_sgpr_workgroup_id_y 0
		.amdhsa_system_sgpr_workgroup_id_z 0
		.amdhsa_system_sgpr_workgroup_info 0
		.amdhsa_system_vgpr_workitem_id 0
		.amdhsa_next_free_vgpr 62
		.amdhsa_next_free_sgpr 69
		.amdhsa_accum_offset 64
		.amdhsa_reserve_vcc 1
		.amdhsa_float_round_mode_32 0
		.amdhsa_float_round_mode_16_64 0
		.amdhsa_float_denorm_mode_32 3
		.amdhsa_float_denorm_mode_16_64 3
		.amdhsa_dx10_clamp 1
		.amdhsa_ieee_mode 1
		.amdhsa_fp16_overflow 0
		.amdhsa_tg_split 0
		.amdhsa_exception_fp_ieee_invalid_op 0
		.amdhsa_exception_fp_denorm_src 0
		.amdhsa_exception_fp_ieee_div_zero 0
		.amdhsa_exception_fp_ieee_overflow 0
		.amdhsa_exception_fp_ieee_underflow 0
		.amdhsa_exception_fp_ieee_inexact 0
		.amdhsa_exception_int_div_zero 0
	.end_amdhsa_kernel
	.section	.text._Z19_skinny_gemm_kernelILi1ELi5ELi4ELi16ELi4EEvPKhS1_P6__halfPKfiiiiiiii,"axG",@progbits,_Z19_skinny_gemm_kernelILi1ELi5ELi4ELi16ELi4EEvPKhS1_P6__halfPKfiiiiiiii,comdat
.Lfunc_end125:
	.size	_Z19_skinny_gemm_kernelILi1ELi5ELi4ELi16ELi4EEvPKhS1_P6__halfPKfiiiiiiii, .Lfunc_end125-_Z19_skinny_gemm_kernelILi1ELi5ELi4ELi16ELi4EEvPKhS1_P6__halfPKfiiiiiiii
                                        ; -- End function
	.set _Z19_skinny_gemm_kernelILi1ELi5ELi4ELi16ELi4EEvPKhS1_P6__halfPKfiiiiiiii.num_vgpr, 62
	.set _Z19_skinny_gemm_kernelILi1ELi5ELi4ELi16ELi4EEvPKhS1_P6__halfPKfiiiiiiii.num_agpr, 0
	.set _Z19_skinny_gemm_kernelILi1ELi5ELi4ELi16ELi4EEvPKhS1_P6__halfPKfiiiiiiii.numbered_sgpr, 69
	.set _Z19_skinny_gemm_kernelILi1ELi5ELi4ELi16ELi4EEvPKhS1_P6__halfPKfiiiiiiii.num_named_barrier, 0
	.set _Z19_skinny_gemm_kernelILi1ELi5ELi4ELi16ELi4EEvPKhS1_P6__halfPKfiiiiiiii.private_seg_size, 0
	.set _Z19_skinny_gemm_kernelILi1ELi5ELi4ELi16ELi4EEvPKhS1_P6__halfPKfiiiiiiii.uses_vcc, 1
	.set _Z19_skinny_gemm_kernelILi1ELi5ELi4ELi16ELi4EEvPKhS1_P6__halfPKfiiiiiiii.uses_flat_scratch, 0
	.set _Z19_skinny_gemm_kernelILi1ELi5ELi4ELi16ELi4EEvPKhS1_P6__halfPKfiiiiiiii.has_dyn_sized_stack, 0
	.set _Z19_skinny_gemm_kernelILi1ELi5ELi4ELi16ELi4EEvPKhS1_P6__halfPKfiiiiiiii.has_recursion, 0
	.set _Z19_skinny_gemm_kernelILi1ELi5ELi4ELi16ELi4EEvPKhS1_P6__halfPKfiiiiiiii.has_indirect_call, 0
	.section	.AMDGPU.csdata,"",@progbits
; Kernel info:
; codeLenInByte = 4568
; TotalNumSgprs: 75
; NumVgprs: 62
; NumAgprs: 0
; TotalNumVgprs: 62
; ScratchSize: 0
; MemoryBound: 0
; FloatMode: 240
; IeeeMode: 1
; LDSByteSize: 49248 bytes/workgroup (compile time only)
; SGPRBlocks: 9
; VGPRBlocks: 7
; NumSGPRsForWavesPerEU: 75
; NumVGPRsForWavesPerEU: 62
; AccumOffset: 64
; Occupancy: 8
; WaveLimiterHint : 0
; COMPUTE_PGM_RSRC2:SCRATCH_EN: 0
; COMPUTE_PGM_RSRC2:USER_SGPR: 2
; COMPUTE_PGM_RSRC2:TRAP_HANDLER: 0
; COMPUTE_PGM_RSRC2:TGID_X_EN: 1
; COMPUTE_PGM_RSRC2:TGID_Y_EN: 0
; COMPUTE_PGM_RSRC2:TGID_Z_EN: 0
; COMPUTE_PGM_RSRC2:TIDIG_COMP_CNT: 0
; COMPUTE_PGM_RSRC3_GFX90A:ACCUM_OFFSET: 15
; COMPUTE_PGM_RSRC3_GFX90A:TG_SPLIT: 0
	.section	.text._Z19_skinny_gemm_kernelILi1ELi5ELi4ELi32ELi4EEvPKhS1_P6__halfPKfiiiiiiii,"axG",@progbits,_Z19_skinny_gemm_kernelILi1ELi5ELi4ELi32ELi4EEvPKhS1_P6__halfPKfiiiiiiii,comdat
	.protected	_Z19_skinny_gemm_kernelILi1ELi5ELi4ELi32ELi4EEvPKhS1_P6__halfPKfiiiiiiii ; -- Begin function _Z19_skinny_gemm_kernelILi1ELi5ELi4ELi32ELi4EEvPKhS1_P6__halfPKfiiiiiiii
	.globl	_Z19_skinny_gemm_kernelILi1ELi5ELi4ELi32ELi4EEvPKhS1_P6__halfPKfiiiiiiii
	.p2align	8
	.type	_Z19_skinny_gemm_kernelILi1ELi5ELi4ELi32ELi4EEvPKhS1_P6__halfPKfiiiiiiii,@function
_Z19_skinny_gemm_kernelILi1ELi5ELi4ELi32ELi4EEvPKhS1_P6__halfPKfiiiiiiii: ; @_Z19_skinny_gemm_kernelILi1ELi5ELi4ELi32ELi4EEvPKhS1_P6__halfPKfiiiiiiii
; %bb.0:
	v_cmp_gt_u32_e32 vcc, 24, v0
	s_and_saveexec_b64 s[4:5], vcc
; %bb.1:
	v_lshlrev_b32_e32 v1, 2, v0
	v_mov_b32_e32 v2, 0
	ds_write_b32 v1, v2 offset:49152
; %bb.2:
	s_or_b64 exec, exec, s[4:5]
	s_load_dwordx8 s[24:31], s[0:1], 0x20
	s_waitcnt lgkmcnt(0)
	s_barrier
	s_add_i32 s3, s24, 31
	s_ashr_i32 s5, s3, 31
	s_add_i32 s4, s25, 0x9f
	s_lshr_b32 s5, s5, 27
	s_mul_hi_i32 s4, s4, 0x66666667
	s_add_i32 s3, s3, s5
	s_ashr_i32 s14, s3, 5
	s_lshr_b32 s3, s4, 31
	s_ashr_i32 s4, s4, 6
	s_add_i32 s15, s4, s3
	s_mul_i32 s3, s15, s14
	s_mul_i32 s3, s3, s28
	s_add_i32 s4, s3, 0x12f
	s_mul_hi_i32 s4, s4, 0x6bca1af3
	s_lshr_b32 s5, s4, 31
	s_ashr_i32 s4, s4, 7
	s_add_i32 s4, s4, s5
	s_add_i32 s5, s2, 1
	s_mul_i32 s5, s4, s5
	v_cvt_f64_i32_e32 v[2:3], s3
	v_cvt_f64_u32_e32 v[4:5], s5
	v_min_f64 v[2:3], v[2:3], v[4:5]
	v_cvt_i32_f64_e32 v13, v[2:3]
	s_mul_i32 s2, s4, s2
	v_cmp_ge_i32_e32 vcc, s2, v13
	s_cbranch_vccnz .LBB126_55
; %bb.3:
	s_load_dwordx8 s[16:23], s[0:1], 0x0
	v_lshrrev_b32_e32 v1, 6, v0
	s_add_i32 s0, s30, s29
	v_cmp_le_i32_e64 s[34:35], s0, v1
	v_mov_b32_e32 v2, s29
	v_cmp_le_i32_e64 s[36:37], s29, v1
	v_mov_b32_e32 v3, s30
	v_cndmask_b32_e64 v3, 0, v3, s[34:35]
	v_cndmask_b32_e64 v2, 0, v2, s[36:37]
	s_abs_i32 s1, s28
	v_add_u32_e32 v2, v2, v3
	v_cvt_f32_u32_e32 v3, s1
	v_sub_u32_e32 v88, v1, v2
	s_ashr_i32 s3, s26, 31
	s_lshr_b32 s3, s3, 26
	v_rcp_iflag_f32_e32 v2, v3
	s_sub_i32 s6, 0, s1
	s_add_i32 s3, s26, s3
	s_ashr_i32 s3, s3, 6
	v_mul_f32_e32 v2, 0x4f7ffffe, v2
	v_cvt_u32_f32_e32 v2, v2
	s_abs_i32 s5, s3
	s_xor_b32 s4, s3, s28
	s_ashr_i32 s4, s4, 31
	v_readfirstlane_b32 s7, v2
	s_mul_i32 s6, s6, s7
	s_mul_hi_u32 s6, s7, s6
	s_add_i32 s7, s7, s6
	s_mul_hi_u32 s6, s5, s7
	s_mul_i32 s7, s6, s1
	s_sub_i32 s5, s5, s7
	s_add_i32 s7, s6, 1
	s_sub_i32 s8, s5, s1
	s_cmp_ge_u32 s5, s1
	s_cselect_b32 s6, s7, s6
	s_cselect_b32 s5, s8, s5
	s_add_i32 s7, s6, 1
	s_cmp_ge_u32 s5, s1
	s_cselect_b32 s1, s7, s6
	s_add_i32 s0, s0, s31
	v_and_b32_e32 v9, 31, v0
	v_lshrrev_b32_e32 v2, 3, v0
	v_cmp_gt_i32_e64 s[42:43], s0, v1
	v_lshlrev_b32_e32 v1, 2, v9
	v_and_b32_e32 v3, 4, v2
	v_lshlrev_b32_e32 v2, 6, v3
	v_or_b32_e32 v4, 0xa000, v1
	v_and_b32_e32 v5, 1, v0
	v_or_b32_e32 v94, v4, v2
	v_or_b32_e32 v96, v1, v2
	v_lshlrev_b32_e32 v2, 1, v5
	v_sub_u32_e32 v2, v0, v2
	v_add_u32_e32 v2, 1, v2
	v_and_b32_e32 v6, 63, v2
	v_bitop3_b32 v2, v0, 1, v0 bitop3:0xc
	scratch_store_dword off, v2, off offset:24 ; 4-byte Folded Spill
	v_bitop3_b32 v2, v0, 3, 1 bitop3:0x6c
	scratch_store_dword off, v2, off offset:28 ; 4-byte Folded Spill
	;; [unrolled: 2-line block ×6, first 2 shown]
	v_bitop3_b32 v2, v0, 13, 1 bitop3:0x6c
	s_add_i32 s39, s28, -1
	scratch_store_dword off, v2, off offset:48 ; 4-byte Folded Spill
	v_bitop3_b32 v2, v0, 15, 1 bitop3:0x6c
	s_abs_i32 s28, s14
                                        ; implicit-def: $vgpr127 : SGPR spill to VGPR lane
	scratch_store_dword off, v2, off offset:52 ; 4-byte Folded Spill
	v_or_b32_e32 v2, 32, v9
	v_cvt_f32_u32_e32 v8, s28
	v_writelane_b32 v127, s14, 0
	scratch_store_dword off, v2, off offset:56 ; 4-byte Folded Spill
	v_or_b32_e32 v2, 64, v9
	v_writelane_b32 v127, s15, 1
	scratch_store_dword off, v2, off offset:60 ; 4-byte Folded Spill
	v_or_b32_e32 v2, 0x60, v9
	v_lshrrev_b32_e32 v7, 1, v0
	s_waitcnt lgkmcnt(0)
	v_writelane_b32 v127, s16, 2
	scratch_store_dword off, v2, off offset:64 ; 4-byte Folded Spill
	v_or_b32_e32 v2, 0x80, v9
	v_and_b32_e32 v14, 16, v7
	v_lshlrev_b32_e32 v7, 4, v0
	v_writelane_b32 v127, s17, 3
	scratch_store_dword off, v2, off offset:68 ; 4-byte Folded Spill
	v_and_b32_e32 v2, 30, v0
	v_and_b32_e32 v7, 0x200, v7
	v_bitop3_b32 v17, v0, 31, v0 bitop3:0xc
	v_rcp_iflag_f32_e32 v0, v8
	s_abs_i32 s99, s15
	v_writelane_b32 v127, s18, 4
	v_or_b32_e32 v16, v1, v7
	v_cvt_f32_u32_e32 v1, s99
	v_writelane_b32 v127, s19, 5
	v_writelane_b32 v127, s20, 6
	;; [unrolled: 1-line block ×3, first 2 shown]
	v_mul_f32_e32 v0, 0x4f7ffffe, v0
	v_writelane_b32 v127, s22, 8
	v_cvt_u32_f32_e32 v0, v0
	v_rcp_iflag_f32_e32 v1, v1
	v_writelane_b32 v127, s23, 9
	v_cndmask_b32_e64 v95, 0, 1, s[34:35]
	s_xor_b32 s1, s1, s4
	v_writelane_b32 v127, s34, 10
	s_sub_i32 s38, s1, s4
	s_mul_i32 s1, s38, s39
	v_writelane_b32 v127, s35, 11
	v_writelane_b32 v127, s36, 12
	s_sub_i32 s40, s3, s1
	v_readfirstlane_b32 s1, v0
	v_mul_f32_e32 v0, 0x4f7ffffe, v1
	v_writelane_b32 v127, s37, 13
	v_cvt_u32_f32_e32 v0, v0
	v_writelane_b32 v127, s38, 14
	s_sub_i32 s0, 0, s28
	v_writelane_b32 v127, s39, 15
	s_mul_i32 s0, s0, s1
	v_writelane_b32 v127, s40, 16
	s_mul_hi_u32 s0, s1, s0
	v_writelane_b32 v127, s42, 17
	s_ashr_i32 s41, s14, 31
	s_add_i32 s44, s1, s0
	s_sub_i32 s0, 0, s99
	v_readfirstlane_b32 s1, v0
	v_writelane_b32 v127, s43, 18
	s_mul_i32 s0, s0, s1
	v_mbcnt_lo_u32_b32 v0, -1, 0
	v_writelane_b32 v127, s41, 19
	s_ashr_i32 s45, s15, 31
	s_mul_hi_u32 s0, s1, s0
	v_mbcnt_hi_u32_b32 v0, -1, v0
	v_writelane_b32 v127, s44, 20
	v_mov_b32_e32 v99, 0
	v_mul_lo_u32 v10, s27, v9
	s_add_i32 s46, s1, s0
	v_and_or_b32 v0, v0, 64, v6
	v_writelane_b32 v127, s45, 21
	v_ashrrev_i32_e32 v11, 31, v10
	v_mov_b32_e32 v15, v99
	s_lshl_b32 s98, s27, 5
	v_mul_lo_u32 v18, s26, v9
	v_or_b32_e32 v114, v4, v7
	v_lshlrev_b32_e32 v98, 1, v2
	v_lshlrev_b32_e32 v116, 2, v0
	v_not_b32_e32 v19, 19
	v_mov_b32_e32 v118, v88
	v_writelane_b32 v127, s46, 22
	scratch_store_dwordx2 off, v[10:11], off offset:80 ; 8-byte Folded Spill
	scratch_store_dword off, v9, off offset:12 ; 4-byte Folded Spill
	v_or_b32_e32 v97, v5, v3
	scratch_store_dword off, v13, off offset:8 ; 4-byte Folded Spill
	scratch_store_dword off, v94, off offset:16 ; 4-byte Folded Spill
	scratch_store_dword off, v96, off offset:20 ; 4-byte Folded Spill
	scratch_store_dwordx2 off, v[14:15], off offset:72 ; 8-byte Folded Spill
	scratch_store_dword off, v16, off offset:88 ; 4-byte Folded Spill
	scratch_store_dword off, v17, off offset:92 ; 4-byte Folded Spill
	scratch_store_dword off, v18, off offset:96 ; 4-byte Folded Spill
	scratch_store_dword off, v97, off offset:100 ; 4-byte Folded Spill
	s_branch .LBB126_7
.LBB126_4:                              ;   in Loop: Header=BB126_7 Depth=1
	s_or_b64 exec, exec, s[6:7]
.LBB126_5:                              ;   in Loop: Header=BB126_7 Depth=1
	s_or_b64 exec, exec, s[4:5]
	v_subrev_u32_e32 v118, s33, v118
.LBB126_6:                              ;   in Loop: Header=BB126_7 Depth=1
	s_or_b64 exec, exec, s[0:1]
	s_add_i32 s2, s2, 1
	s_waitcnt vmcnt(4)
	v_cmp_ge_i32_e32 vcc, s2, v13
	s_cbranch_vccnz .LBB126_55
.LBB126_7:                              ; =>This Loop Header: Depth=1
                                        ;     Child Loop BB126_13 Depth 2
                                        ;       Child Loop BB126_15 Depth 3
                                        ;       Child Loop BB126_18 Depth 3
	;; [unrolled: 1-line block ×6, first 2 shown]
                                        ;     Child Loop BB126_34 Depth 2
                                        ;     Child Loop BB126_42 Depth 2
                                        ;       Child Loop BB126_44 Depth 3
                                        ;     Child Loop BB126_52 Depth 2
                                        ;       Child Loop BB126_54 Depth 3
	s_abs_i32 s1, s2
	s_mul_hi_u32 s3, s1, s44
	s_mul_i32 s4, s3, s28
	s_ashr_i32 s0, s2, 31
	s_sub_i32 s1, s1, s4
	s_xor_b32 s0, s0, s41
	s_add_i32 s4, s3, 1
	s_sub_i32 s5, s1, s28
	s_cmp_ge_u32 s1, s28
	s_cselect_b32 s3, s4, s3
	s_cselect_b32 s1, s5, s1
	s_add_i32 s4, s3, 1
	s_cmp_ge_u32 s1, s28
	s_cselect_b32 s1, s4, s3
	s_xor_b32 s1, s1, s0
	s_sub_i32 s0, s1, s0
	s_abs_i32 s4, s0
	s_mul_i32 s1, s0, s14
	s_mul_hi_u32 s5, s4, s46
	s_sub_i32 s1, s2, s1
	s_mul_i32 s6, s5, s99
	s_lshl_b32 s3, s1, 5
	s_ashr_i32 s1, s0, 31
	s_sub_i32 s4, s4, s6
	s_xor_b32 s1, s1, s45
	s_add_i32 s6, s5, 1
	s_sub_i32 s7, s4, s99
	s_cmp_ge_u32 s4, s99
	s_cselect_b32 s5, s6, s5
	s_cselect_b32 s4, s7, s4
	s_add_i32 s6, s5, 1
	s_cmp_ge_u32 s4, s99
	s_cselect_b32 s4, s6, s5
	s_xor_b32 s4, s4, s1
	s_sub_i32 s1, s4, s1
	s_mul_i32 s4, s1, s38
	s_lshl_b32 s47, s4, 6
	s_cmp_eq_u32 s1, s39
	s_cselect_b32 s33, s40, s38
	s_sub_i32 s4, s3, s24
	s_add_i32 s80, s4, 32
	s_and_saveexec_b64 s[4:5], s[36:37]
	s_xor_b64 s[96:97], exec, s[4:5]
	s_cbranch_execz .LBB126_48
; %bb.8:                                ;   in Loop: Header=BB126_7 Depth=1
	s_mul_i32 s1, s1, s15
	s_sub_i32 s0, s0, s1
	s_mulk_i32 s0, 0xa0
	s_sub_i32 s70, s0, s25
	s_addk_i32 s70, 0xa0
	s_max_i32 s1, s70, 0
	s_sub_i32 s72, s0, s1
	s_and_saveexec_b64 s[0:1], s[34:35]
	s_xor_b64 s[4:5], exec, s[0:1]
	s_cbranch_execz .LBB126_38
; %bb.9:                                ;   in Loop: Header=BB126_7 Depth=1
	s_and_saveexec_b64 s[0:1], s[42:43]
	s_cbranch_execz .LBB126_37
; %bb.10:                               ;   in Loop: Header=BB126_7 Depth=1
	global_load_dword v119, v99, s[22:23]
	v_mov_b32_e32 v79, 0
	v_cmp_gt_i32_e32 vcc, s33, v118
	v_mov_b32_e32 v78, v79
	v_mov_b32_e32 v77, v79
	;; [unrolled: 1-line block ×60, first 2 shown]
	s_waitcnt vmcnt(1)
	v_mov_b32_e32 v18, v79
	v_mov_b32_e32 v17, v79
	;; [unrolled: 1-line block ×19, first 2 shown]
	s_and_saveexec_b64 s[6:7], vcc
	s_cbranch_execz .LBB126_32
; %bb.11:                               ;   in Loop: Header=BB126_7 Depth=1
	v_mov_b32_e32 v0, 0
	s_mov_b64 s[8:9], 0
	v_mov_b32_e32 v1, v0
	v_mov_b32_e32 v2, v0
	;; [unrolled: 1-line block ×79, first 2 shown]
	s_branch .LBB126_13
.LBB126_12:                             ;   in Loop: Header=BB126_13 Depth=2
	s_or_b64 exec, exec, s[10:11]
	v_add_u32_e32 v81, 0x2000, v80
	ds_read2_b32 v[82:83], v81 offset1:32
	v_add_u32_e32 v118, s31, v118
	s_waitcnt lgkmcnt(0)
	v_mfma_f32_32x32x16_fp8_fp8 v[0:15], v[92:93], v[82:83], v[0:15]
	ds_read2_b32 v[82:83], v81 offset0:128 offset1:160
	s_waitcnt lgkmcnt(0)
	v_mfma_f32_32x32x16_fp8_fp8 v[0:15], v[90:91], v[82:83], v[0:15]
	v_add_u32_e32 v82, 0x2400, v80
	ds_read2_b32 v[80:81], v82 offset1:32
	ds_read2_b32 v[82:83], v82 offset0:128 offset1:160
	ds_write_b32 v121, v122 offset:49188
	s_waitcnt lgkmcnt(2)
	v_mfma_f32_32x32x16_fp8_fp8 v[0:15], v[88:89], v[80:81], v[0:15]
	v_add_u32_e32 v88, s31, v120
	v_add_u32_e32 v80, 2, v95
	v_cmp_lt_i32_e32 vcc, 3, v88
	s_nop 1
	v_cndmask_b32_e32 v95, v95, v80, vcc
	v_cmp_le_i32_e32 vcc, s33, v118
	s_waitcnt lgkmcnt(1)
	v_mfma_f32_32x32x16_fp8_fp8 v[0:15], v[86:87], v[82:83], v[0:15]
	s_or_b64 s[8:9], vcc, s[8:9]
	s_andn2_b64 exec, exec, s[8:9]
	s_cbranch_execz .LBB126_31
.LBB126_13:                             ;   Parent Loop BB126_7 Depth=1
                                        ; =>  This Loop Header: Depth=2
                                        ;       Child Loop BB126_15 Depth 3
                                        ;       Child Loop BB126_18 Depth 3
	;; [unrolled: 1-line block ×6, first 2 shown]
	v_cmp_gt_i32_e32 vcc, 4, v88
	s_nop 1
	v_cndmask_b32_e64 v80, -4, 0, vcc
	v_add_u32_e32 v120, v80, v88
	v_mul_lo_u32 v121, v120, 40
	ds_read_b32 v80, v121 offset:49152
	s_waitcnt lgkmcnt(0)
	v_cmp_ne_u32_e32 vcc, v80, v95
	s_and_saveexec_b64 s[10:11], vcc
	s_cbranch_execz .LBB126_16
; %bb.14:                               ;   in Loop: Header=BB126_13 Depth=2
	s_mov_b64 s[12:13], 0
.LBB126_15:                             ;   Parent Loop BB126_7 Depth=1
                                        ;     Parent Loop BB126_13 Depth=2
                                        ; =>    This Inner Loop Header: Depth=3
	;;#ASMSTART
	s_sleep 0
	;;#ASMEND
	ds_read_b32 v80, v121 offset:49152
	s_waitcnt lgkmcnt(0)
	v_cmp_eq_u32_e32 vcc, v80, v95
	s_or_b64 s[12:13], vcc, s[12:13]
	s_andn2_b64 exec, exec, s[12:13]
	s_cbranch_execnz .LBB126_15
.LBB126_16:                             ;   in Loop: Header=BB126_13 Depth=2
	s_or_b64 exec, exec, s[10:11]
	v_lshl_add_u32 v80, v120, 11, v94
	ds_read2_b32 v[92:93], v80 offset1:32
	ds_read2_b32 v[90:91], v80 offset0:128 offset1:160
	v_add_u32_e32 v80, 0x400, v80
	ds_read2_b32 v[88:89], v80 offset1:32
	ds_read_b32 v81, v121 offset:49156
	ds_read2_b32 v[86:87], v80 offset0:128 offset1:160
	v_add_u32_e32 v122, 1, v95
	ds_write_b32 v121, v122 offset:49152
	s_waitcnt lgkmcnt(2)
	v_cmp_ne_u32_e32 vcc, v81, v95
	s_and_saveexec_b64 s[10:11], vcc
	s_cbranch_execz .LBB126_19
; %bb.17:                               ;   in Loop: Header=BB126_13 Depth=2
	s_mov_b64 s[12:13], 0
.LBB126_18:                             ;   Parent Loop BB126_7 Depth=1
                                        ;     Parent Loop BB126_13 Depth=2
                                        ; =>    This Inner Loop Header: Depth=3
	;;#ASMSTART
	s_sleep 0
	;;#ASMEND
	ds_read_b32 v80, v121 offset:49156
	s_waitcnt lgkmcnt(0)
	v_cmp_eq_u32_e32 vcc, v80, v95
	s_or_b64 s[12:13], vcc, s[12:13]
	s_andn2_b64 exec, exec, s[12:13]
	s_cbranch_execnz .LBB126_18
.LBB126_19:                             ;   in Loop: Header=BB126_13 Depth=2
	s_or_b64 exec, exec, s[10:11]
	s_movk_i32 s10, 0x2800
	v_mul_lo_u32 v80, v120, s10
	v_or_b32_e32 v81, v96, v80
	ds_read2_b32 v[82:83], v81 offset1:32
	ds_write_b32 v121, v122 offset:49156
	s_waitcnt lgkmcnt(1)
	v_mfma_f32_32x32x16_fp8_fp8 v[64:79], v[92:93], v[82:83], v[64:79]
	ds_read2_b32 v[82:83], v81 offset0:128 offset1:160
	v_add_u32_e32 v81, 0x400, v81
	s_waitcnt lgkmcnt(0)
	v_mfma_f32_32x32x16_fp8_fp8 v[64:79], v[90:91], v[82:83], v[64:79]
	ds_read2_b32 v[82:83], v81 offset1:32
	s_waitcnt lgkmcnt(0)
	v_mfma_f32_32x32x16_fp8_fp8 v[64:79], v[88:89], v[82:83], v[64:79]
	ds_read2_b32 v[82:83], v81 offset0:128 offset1:160
	ds_read_b32 v81, v121 offset:49164
	s_waitcnt lgkmcnt(0)
	v_cmp_ne_u32_e32 vcc, v81, v95
	v_mfma_f32_32x32x16_fp8_fp8 v[64:79], v[86:87], v[82:83], v[64:79]
	s_and_saveexec_b64 s[10:11], vcc
	s_cbranch_execz .LBB126_22
; %bb.20:                               ;   in Loop: Header=BB126_13 Depth=2
	s_mov_b64 s[12:13], 0
.LBB126_21:                             ;   Parent Loop BB126_7 Depth=1
                                        ;     Parent Loop BB126_13 Depth=2
                                        ; =>    This Inner Loop Header: Depth=3
	;;#ASMSTART
	s_sleep 0
	;;#ASMEND
	ds_read_b32 v81, v121 offset:49164
	s_waitcnt lgkmcnt(0)
	v_cmp_eq_u32_e32 vcc, v81, v95
	s_or_b64 s[12:13], vcc, s[12:13]
	s_andn2_b64 exec, exec, s[12:13]
	s_cbranch_execnz .LBB126_21
.LBB126_22:                             ;   in Loop: Header=BB126_13 Depth=2
	s_or_b64 exec, exec, s[10:11]
	v_add_u32_e32 v80, v96, v80
	v_add_u32_e32 v81, 0x800, v80
	ds_read2_b32 v[82:83], v81 offset1:32
	ds_write_b32 v121, v122 offset:49164
	s_waitcnt lgkmcnt(1)
	v_mfma_f32_32x32x16_fp8_fp8 v[48:63], v[92:93], v[82:83], v[48:63]
	ds_read2_b32 v[82:83], v81 offset0:128 offset1:160
	v_add_u32_e32 v81, 0xc00, v80
	s_waitcnt lgkmcnt(0)
	v_mfma_f32_32x32x16_fp8_fp8 v[48:63], v[90:91], v[82:83], v[48:63]
	ds_read2_b32 v[82:83], v81 offset1:32
	s_waitcnt lgkmcnt(0)
	v_mfma_f32_32x32x16_fp8_fp8 v[48:63], v[88:89], v[82:83], v[48:63]
	ds_read2_b32 v[82:83], v81 offset0:128 offset1:160
	ds_read_b32 v81, v121 offset:49172
	s_waitcnt lgkmcnt(0)
	v_cmp_ne_u32_e32 vcc, v81, v95
	v_mfma_f32_32x32x16_fp8_fp8 v[48:63], v[86:87], v[82:83], v[48:63]
	s_and_saveexec_b64 s[10:11], vcc
	s_cbranch_execz .LBB126_25
; %bb.23:                               ;   in Loop: Header=BB126_13 Depth=2
	s_mov_b64 s[12:13], 0
.LBB126_24:                             ;   Parent Loop BB126_7 Depth=1
                                        ;     Parent Loop BB126_13 Depth=2
                                        ; =>    This Inner Loop Header: Depth=3
	;;#ASMSTART
	s_sleep 0
	;;#ASMEND
	ds_read_b32 v81, v121 offset:49172
	s_waitcnt lgkmcnt(0)
	v_cmp_eq_u32_e32 vcc, v81, v95
	s_or_b64 s[12:13], vcc, s[12:13]
	s_andn2_b64 exec, exec, s[12:13]
	s_cbranch_execnz .LBB126_24
.LBB126_25:                             ;   in Loop: Header=BB126_13 Depth=2
	s_or_b64 exec, exec, s[10:11]
	v_add_u32_e32 v81, 0x1000, v80
	ds_read2_b32 v[82:83], v81 offset1:32
	s_waitcnt lgkmcnt(0)
	v_mfma_f32_32x32x16_fp8_fp8 v[32:47], v[92:93], v[82:83], v[32:47]
	ds_read2_b32 v[82:83], v81 offset0:128 offset1:160
	v_add_u32_e32 v81, 0x1400, v80
	s_waitcnt lgkmcnt(0)
	v_mfma_f32_32x32x16_fp8_fp8 v[32:47], v[90:91], v[82:83], v[32:47]
	ds_read2_b32 v[82:83], v81 offset1:32
	s_waitcnt lgkmcnt(0)
	v_mfma_f32_32x32x16_fp8_fp8 v[32:47], v[88:89], v[82:83], v[32:47]
	ds_read_b32 v84, v121 offset:49180
	ds_read2_b32 v[82:83], v81 offset0:128 offset1:160
	ds_write_b32 v121, v122 offset:49172
	s_waitcnt lgkmcnt(2)
	v_cmp_ne_u32_e32 vcc, v84, v95
	s_waitcnt lgkmcnt(1)
	v_mfma_f32_32x32x16_fp8_fp8 v[32:47], v[86:87], v[82:83], v[32:47]
	s_and_saveexec_b64 s[10:11], vcc
	s_cbranch_execz .LBB126_28
; %bb.26:                               ;   in Loop: Header=BB126_13 Depth=2
	s_mov_b64 s[12:13], 0
.LBB126_27:                             ;   Parent Loop BB126_7 Depth=1
                                        ;     Parent Loop BB126_13 Depth=2
                                        ; =>    This Inner Loop Header: Depth=3
	;;#ASMSTART
	s_sleep 0
	;;#ASMEND
	ds_read_b32 v81, v121 offset:49180
	s_waitcnt lgkmcnt(0)
	v_cmp_eq_u32_e32 vcc, v81, v95
	s_or_b64 s[12:13], vcc, s[12:13]
	s_andn2_b64 exec, exec, s[12:13]
	s_cbranch_execnz .LBB126_27
.LBB126_28:                             ;   in Loop: Header=BB126_13 Depth=2
	s_or_b64 exec, exec, s[10:11]
	v_add_u32_e32 v81, 0x1800, v80
	ds_read2_b32 v[82:83], v81 offset1:32
	s_waitcnt lgkmcnt(0)
	v_mfma_f32_32x32x16_fp8_fp8 v[16:31], v[92:93], v[82:83], v[16:31]
	ds_read2_b32 v[82:83], v81 offset0:128 offset1:160
	v_add_u32_e32 v81, 0x1c00, v80
	s_waitcnt lgkmcnt(0)
	v_mfma_f32_32x32x16_fp8_fp8 v[16:31], v[90:91], v[82:83], v[16:31]
	ds_read2_b32 v[82:83], v81 offset1:32
	s_waitcnt lgkmcnt(0)
	v_mfma_f32_32x32x16_fp8_fp8 v[16:31], v[88:89], v[82:83], v[16:31]
	ds_read_b32 v84, v121 offset:49188
	ds_read2_b32 v[82:83], v81 offset0:128 offset1:160
	ds_write_b32 v121, v122 offset:49180
	s_waitcnt lgkmcnt(2)
	v_cmp_ne_u32_e32 vcc, v84, v95
	s_waitcnt lgkmcnt(1)
	v_mfma_f32_32x32x16_fp8_fp8 v[16:31], v[86:87], v[82:83], v[16:31]
	s_and_saveexec_b64 s[10:11], vcc
	s_cbranch_execz .LBB126_12
; %bb.29:                               ;   in Loop: Header=BB126_13 Depth=2
	s_mov_b64 s[12:13], 0
.LBB126_30:                             ;   Parent Loop BB126_7 Depth=1
                                        ;     Parent Loop BB126_13 Depth=2
                                        ; =>    This Inner Loop Header: Depth=3
	;;#ASMSTART
	s_sleep 0
	;;#ASMEND
	ds_read_b32 v81, v121 offset:49188
	s_waitcnt lgkmcnt(0)
	v_cmp_eq_u32_e32 vcc, v81, v95
	s_or_b64 s[12:13], vcc, s[12:13]
	s_andn2_b64 exec, exec, s[12:13]
	s_cbranch_execnz .LBB126_30
	s_branch .LBB126_12
.LBB126_31:                             ;   in Loop: Header=BB126_7 Depth=1
	s_or_b64 exec, exec, s[8:9]
.LBB126_32:                             ;   in Loop: Header=BB126_7 Depth=1
	v_writelane_b32 v127, s80, 23
	v_writelane_b32 v127, s47, 24
	s_or_b64 exec, exec, s[6:7]
	scratch_load_dword v80, off, off offset:12 ; 4-byte Folded Reload
	scratch_load_dword v111, off, off offset:24 ; 4-byte Folded Reload
	;; [unrolled: 1-line block ×4, first 2 shown]
	s_mul_i32 s6, s3, s25
	s_ashr_i32 s7, s6, 31
	s_lshl_b64 s[6:7], s[6:7], 1
	s_add_u32 s68, s20, s6
	s_addc_u32 s69, s21, s7
	s_mov_b32 s34, s72
	s_ashr_i32 s73, s72, 31
	v_writelane_b32 v127, s34, 25
	scratch_store_dwordx2 off, v[98:99], off ; 8-byte Folded Spill
	v_subrev_u32_e32 v118, s33, v118
	v_writelane_b32 v127, s35, 26
	s_lshl_b64 s[34:35], s[72:73], 1
	s_add_u32 s34, s68, s34
	s_addc_u32 s35, s69, s35
	v_writelane_b32 v127, s34, 27
	s_waitcnt vmcnt(4)
	v_cmp_le_i32_e32 vcc, s70, v80
	s_nop 1
	v_cndmask_b32_e32 v80, 0, v119, vcc
	v_pk_mul_f32 v[64:65], v[80:81], v[64:65] op_sel_hi:[0,1]
	s_waitcnt vmcnt(3)
	v_cmp_eq_u32_e64 s[64:65], 1, v111
	v_pk_mul_f32 v[78:79], v[80:81], v[78:79] op_sel_hi:[0,1]
	v_pk_mul_f32 v[76:77], v[80:81], v[76:77] op_sel_hi:[0,1]
	;; [unrolled: 1-line block ×7, first 2 shown]
	v_cndmask_b32_e64 v80, v64, v65, s[64:65]
	v_cmp_eq_u32_e64 s[38:39], 2, v111
	v_cmp_eq_u32_e64 s[40:41], 3, v111
	v_cmp_eq_u32_e64 s[42:43], 4, v111
	v_cndmask_b32_e64 v80, v80, v66, s[38:39]
	v_cndmask_b32_e64 v80, v80, v67, s[40:41]
	v_cndmask_b32_e64 v80, v80, v68, s[42:43]
	v_cmp_eq_u32_e64 s[44:45], 5, v111
	v_cmp_eq_u32_e64 s[46:47], 6, v111
	v_cmp_eq_u32_e64 s[48:49], 7, v111
	v_cndmask_b32_e64 v80, v80, v69, s[44:45]
	v_cndmask_b32_e64 v80, v80, v70, s[46:47]
	;; [unrolled: 6-line block ×5, first 2 shown]
	ds_bpermute_b32 v80, v116, v80
	s_waitcnt vmcnt(2)
	v_cmp_eq_u32_e32 vcc, 1, v91
	v_cmp_eq_u32_e64 s[6:7], 2, v91
	v_cmp_eq_u32_e64 s[8:9], 3, v91
	;; [unrolled: 1-line block ×3, first 2 shown]
	s_waitcnt lgkmcnt(0)
	v_cndmask_b32_e64 v90, v65, v80, s[64:65]
	v_cndmask_b32_e64 v87, v64, v80, s[36:37]
	;; [unrolled: 1-line block ×3, first 2 shown]
	v_cndmask_b32_e32 v64, v87, v90, vcc
	v_cndmask_b32_e64 v86, v67, v80, s[40:41]
	v_cndmask_b32_e64 v64, v64, v66, s[6:7]
	;; [unrolled: 1-line block ×6, first 2 shown]
	v_cmp_eq_u32_e64 s[12:13], 5, v91
	v_cndmask_b32_e64 v83, v70, v80, s[46:47]
	v_cmp_eq_u32_e64 s[14:15], 6, v91
	v_cndmask_b32_e64 v64, v64, v84, s[12:13]
	v_cndmask_b32_e64 v82, v71, v80, s[48:49]
	v_cndmask_b32_e64 v64, v64, v83, s[14:15]
	v_cmp_eq_u32_e64 s[16:17], 7, v91
	v_cndmask_b32_e64 v81, v72, v80, s[50:51]
	v_cmp_eq_u32_e64 s[18:19], 8, v91
	v_cndmask_b32_e64 v64, v64, v82, s[16:17]
	v_cndmask_b32_e64 v73, v73, v80, s[52:53]
	v_cndmask_b32_e64 v64, v64, v81, s[18:19]
	;; [unrolled: 6-line block ×5, first 2 shown]
	v_writelane_b32 v127, s35, 28
	v_cmp_eq_u32_e64 s[34:35], 15, v91
	scratch_load_dword v80, off, off offset:64 ; 4-byte Folded Reload
	s_waitcnt vmcnt(2)
	v_cmp_eq_u32_e64 s[72:73], 9, v115
	v_cndmask_b32_e64 v64, v64, v79, s[34:35]
	ds_bpermute_b32 v89, v116, v64
	scratch_load_dword v64, off, off offset:56 ; 4-byte Folded Reload
	s_waitcnt lgkmcnt(0)
	v_cndmask_b32_e64 v65, v79, v89, s[34:35]
	v_cndmask_b32_e64 v79, v66, v89, s[6:7]
	;; [unrolled: 1-line block ×8, first 2 shown]
	v_cndmask_b32_e32 v86, v90, v89, vcc
	v_cndmask_b32_e64 v68, v77, v89, s[78:79]
	v_cndmask_b32_e64 v77, v85, v89, s[10:11]
	;; [unrolled: 1-line block ×6, first 2 shown]
	s_waitcnt vmcnt(0)
	v_cmp_le_i32_e64 s[68:69], s70, v64
	scratch_load_dword v64, off, off offset:60 ; 4-byte Folded Reload
	s_nop 0
	v_cndmask_b32_e64 v66, 0, v119, s[68:69]
	v_pk_mul_f32 v[62:63], v[66:67], v[62:63] op_sel_hi:[0,1]
	v_pk_mul_f32 v[60:61], v[66:67], v[60:61] op_sel_hi:[0,1]
	;; [unrolled: 1-line block ×8, first 2 shown]
	s_waitcnt vmcnt(0)
	v_cmp_le_i32_e64 s[68:69], s70, v64
	s_nop 1
	v_cndmask_b32_e64 v64, 0, v119, s[68:69]
	v_cmp_le_i32_e64 s[68:69], s70, v80
	scratch_load_dword v80, off, off offset:68 ; 4-byte Folded Reload
	v_pk_mul_f32 v[46:47], v[64:65], v[46:47] op_sel_hi:[0,1]
	v_cndmask_b32_e64 v66, 0, v119, s[68:69]
	v_pk_mul_f32 v[16:17], v[66:67], v[16:17] op_sel_hi:[0,1]
	v_pk_mul_f32 v[96:97], v[66:67], v[26:27] op_sel_hi:[0,1]
	;; [unrolled: 1-line block ×3, first 2 shown]
	v_cndmask_b32_e64 v26, v16, v17, s[64:65]
	v_cndmask_b32_e64 v26, v26, v18, s[38:39]
	v_pk_mul_f32 v[20:21], v[66:67], v[20:21] op_sel_hi:[0,1]
	v_cndmask_b32_e64 v26, v26, v19, s[40:41]
	v_cndmask_b32_e64 v26, v26, v20, s[42:43]
	v_pk_mul_f32 v[44:45], v[64:65], v[44:45] op_sel_hi:[0,1]
	v_pk_mul_f32 v[42:43], v[64:65], v[42:43] op_sel_hi:[0,1]
	;; [unrolled: 1-line block ×7, first 2 shown]
	v_cndmask_b32_e64 v64, v48, v49, s[64:65]
	v_pk_mul_f32 v[22:23], v[66:67], v[22:23] op_sel_hi:[0,1]
	v_cndmask_b32_e64 v26, v26, v21, s[44:45]
	v_cndmask_b32_e64 v64, v64, v50, s[38:39]
	;; [unrolled: 1-line block ×4, first 2 shown]
	v_pk_mul_f32 v[24:25], v[66:67], v[24:25] op_sel_hi:[0,1]
	v_cndmask_b32_e64 v26, v26, v23, s[48:49]
	v_cndmask_b32_e64 v64, v64, v52, s[42:43]
	;; [unrolled: 1-line block ×8, first 2 shown]
	v_pk_mul_f32 v[82:83], v[66:67], v[28:29] op_sel_hi:[0,1]
	v_cndmask_b32_e64 v26, v26, v97, s[56:57]
	v_cndmask_b32_e64 v64, v64, v56, s[50:51]
	;; [unrolled: 1-line block ×4, first 2 shown]
	v_pk_mul_f32 v[30:31], v[66:67], v[30:31] op_sel_hi:[0,1]
	v_cndmask_b32_e64 v26, v26, v83, s[60:61]
	v_cndmask_b32_e64 v64, v64, v58, s[54:55]
	;; [unrolled: 1-line block ×6, first 2 shown]
	ds_bpermute_b32 v99, v116, v26
	v_cndmask_b32_e64 v64, v64, v61, s[60:61]
	v_cndmask_b32_e64 v64, v64, v62, s[62:63]
	;; [unrolled: 1-line block ×3, first 2 shown]
	ds_bpermute_b32 v117, v116, v64
	v_cndmask_b32_e64 v64, v32, v33, s[64:65]
	v_cndmask_b32_e64 v64, v64, v34, s[38:39]
	;; [unrolled: 1-line block ×15, first 2 shown]
	ds_bpermute_b32 v106, v116, v64
	s_waitcnt lgkmcnt(1)
	v_cndmask_b32_e64 v26, v49, v117, s[64:65]
	v_cndmask_b32_e64 v27, v63, v117, s[66:67]
	;; [unrolled: 1-line block ×4, first 2 shown]
	s_waitcnt lgkmcnt(0)
	v_cndmask_b32_e64 v63, v47, v106, s[66:67]
	v_cndmask_b32_e64 v62, v46, v106, s[62:63]
	;; [unrolled: 1-line block ×10, first 2 shown]
	s_waitcnt vmcnt(0)
	v_cmp_le_i32_e64 s[68:69], s70, v80
	v_cmp_eq_u32_e64 s[70:71], 7, v115
	v_cndmask_b32_e64 v96, v23, v99, s[48:49]
	v_cndmask_b32_e64 v80, 0, v119, s[68:69]
	v_pk_mul_f32 v[0:1], v[80:81], v[0:1] op_sel_hi:[0,1]
	v_pk_mul_f32 v[100:101], v[80:81], v[6:7] op_sel_hi:[0,1]
	;; [unrolled: 1-line block ×3, first 2 shown]
	v_cndmask_b32_e64 v7, v17, v99, s[64:65]
	v_cndmask_b32_e64 v17, v0, v1, s[64:65]
	;; [unrolled: 1-line block ×3, first 2 shown]
	v_pk_mul_f32 v[4:5], v[80:81], v[4:5] op_sel_hi:[0,1]
	v_cndmask_b32_e64 v17, v17, v3, s[40:41]
	v_cndmask_b32_e64 v17, v17, v4, s[42:43]
	;; [unrolled: 1-line block ×4, first 2 shown]
	v_pk_mul_f32 v[8:9], v[80:81], v[8:9] op_sel_hi:[0,1]
	v_cndmask_b32_e64 v17, v17, v101, s[48:49]
	v_cndmask_b32_e64 v17, v17, v8, s[50:51]
	v_pk_mul_f32 v[10:11], v[80:81], v[10:11] op_sel_hi:[0,1]
	v_cndmask_b32_e64 v17, v17, v9, s[52:53]
	v_cndmask_b32_e64 v17, v17, v10, s[54:55]
	v_pk_mul_f32 v[12:13], v[80:81], v[12:13] op_sel_hi:[0,1]
	v_cndmask_b32_e64 v17, v17, v11, s[56:57]
	v_cndmask_b32_e64 v17, v17, v12, s[58:59]
	v_pk_mul_f32 v[14:15], v[80:81], v[14:15] op_sel_hi:[0,1]
	v_cndmask_b32_e64 v17, v17, v13, s[60:61]
	v_cndmask_b32_e64 v17, v17, v14, s[62:63]
	v_cndmask_b32_e64 v17, v17, v15, s[66:67]
	ds_bpermute_b32 v98, v116, v17
	v_cmp_eq_u32_e64 s[68:69], 0, v91
	v_cndmask_b32_e64 v6, v33, v106, s[64:65]
	v_cmp_eq_u32_e64 s[64:65], 1, v115
	v_cndmask_b32_e64 v87, v87, v89, s[68:69]
	s_waitcnt lgkmcnt(0)
	v_cndmask_b32_e64 v112, v15, v98, s[66:67]
	v_cndmask_b32_e64 v17, v87, v86, s[64:65]
	v_cmp_eq_u32_e64 s[66:67], 2, v115
	v_cndmask_b32_e64 v89, v30, v99, s[62:63]
	v_cndmask_b32_e64 v113, v14, v98, s[62:63]
	;; [unrolled: 1-line block ×3, first 2 shown]
	v_cmp_eq_u32_e64 s[62:63], 3, v115
	v_cndmask_b32_e64 v119, v13, v98, s[60:61]
	v_cmp_eq_u32_e64 s[60:61], 4, v115
	v_cndmask_b32_e64 v14, v15, v78, s[62:63]
	v_cndmask_b32_e64 v30, v60, v117, s[58:59]
	;; [unrolled: 1-line block ×6, first 2 shown]
	v_cmp_eq_u32_e64 s[58:59], 5, v115
	v_cndmask_b32_e64 v121, v11, v98, s[56:57]
	v_cmp_eq_u32_e64 s[56:57], 6, v115
	v_cndmask_b32_e64 v12, v13, v76, s[58:59]
	v_cndmask_b32_e64 v33, v58, v117, s[54:55]
	;; [unrolled: 1-line block ×9, first 2 shown]
	v_cmp_eq_u32_e64 s[52:53], 8, v115
	v_cndmask_b32_e64 v124, v8, v98, s[50:51]
	v_cndmask_b32_e64 v44, v55, v117, s[48:49]
	;; [unrolled: 1-line block ×6, first 2 shown]
	v_cmp_eq_u32_e64 s[48:49], 10, v115
	v_cndmask_b32_e64 v43, v56, v117, s[50:51]
	v_cndmask_b32_e64 v64, v40, v106, s[50:51]
	;; [unrolled: 1-line block ×4, first 2 shown]
	v_cmp_eq_u32_e64 s[50:51], 11, v115
	v_cndmask_b32_e64 v45, v54, v117, s[46:47]
	v_cndmask_b32_e64 v81, v38, v106, s[46:47]
	;; [unrolled: 1-line block ×5, first 2 shown]
	v_cmp_eq_u32_e64 s[46:47], 12, v115
	v_cndmask_b32_e64 v105, v5, v98, s[44:45]
	v_cndmask_b32_e64 v46, v52, v117, s[42:43]
	;; [unrolled: 1-line block ×6, first 2 shown]
	v_cmp_eq_u32_e64 s[42:43], 13, v115
	v_cndmask_b32_e64 v102, v53, v117, s[44:45]
	v_cndmask_b32_e64 v103, v37, v106, s[44:45]
	;; [unrolled: 1-line block ×4, first 2 shown]
	v_cmp_eq_u32_e64 s[44:45], 14, v115
	v_cndmask_b32_e64 v49, v50, v117, s[38:39]
	v_cndmask_b32_e64 v84, v34, v106, s[38:39]
	;; [unrolled: 1-line block ×4, first 2 shown]
	v_cmp_ne_u32_e64 s[38:39], 0, v111
	v_cndmask_b32_e64 v100, v3, v98, s[40:41]
	v_cndmask_b32_e64 v3, v4, v67, s[44:45]
	v_cndmask_b32_e64 v66, v1, v98, s[38:39]
	v_cmp_eq_u32_e64 s[38:39], 15, v115
	v_cndmask_b32_e64 v109, v19, v99, s[40:41]
	v_cndmask_b32_e64 v19, v48, v117, s[36:37]
	;; [unrolled: 1-line block ×3, first 2 shown]
	ds_bpermute_b32 v20, v116, v1
	v_cndmask_b32_e64 v47, v51, v117, s[40:41]
	v_cndmask_b32_e64 v34, v32, v106, s[36:37]
	;; [unrolled: 1-line block ×4, first 2 shown]
	s_waitcnt lgkmcnt(0)
	v_cndmask_b32_e64 v2, v67, v20, s[44:45]
	v_cndmask_b32_e64 v67, v0, v98, s[36:37]
	v_cndmask_b32_e32 v0, v19, v26, vcc
	v_cndmask_b32_e64 v0, v0, v49, s[6:7]
	v_cndmask_b32_e64 v0, v0, v47, s[8:9]
	v_cndmask_b32_e64 v0, v0, v46, s[10:11]
	v_cndmask_b32_e64 v0, v0, v102, s[12:13]
	v_cndmask_b32_e64 v0, v0, v45, s[14:15]
	v_cndmask_b32_e64 v0, v0, v44, s[16:17]
	v_cndmask_b32_e64 v0, v0, v43, s[18:19]
	v_cndmask_b32_e64 v0, v0, v42, s[20:21]
	v_cndmask_b32_e64 v0, v0, v33, s[22:23]
	v_cndmask_b32_e64 v0, v0, v31, s[74:75]
	v_cndmask_b32_e64 v0, v0, v30, s[76:77]
	v_cndmask_b32_e64 v0, v0, v29, s[78:79]
	v_cndmask_b32_e64 v0, v0, v28, s[80:81]
	v_cndmask_b32_e64 v0, v0, v27, s[34:35]
	ds_bpermute_b32 v98, v116, v0
	v_cndmask_b32_e32 v0, v34, v6, vcc
	v_cndmask_b32_e64 v0, v0, v84, s[6:7]
	v_cndmask_b32_e64 v0, v0, v83, s[8:9]
	v_cndmask_b32_e64 v0, v0, v82, s[10:11]
	v_cndmask_b32_e64 v0, v0, v103, s[12:13]
	v_cndmask_b32_e64 v0, v0, v81, s[14:15]
	v_cndmask_b32_e64 v0, v0, v80, s[16:17]
	v_cndmask_b32_e64 v0, v0, v64, s[18:19]
	v_cndmask_b32_e64 v0, v0, v41, s[20:21]
	v_cndmask_b32_e64 v0, v0, v58, s[22:23]
	v_cndmask_b32_e64 v0, v0, v59, s[74:75]
	v_cndmask_b32_e64 v0, v0, v60, s[76:77]
	v_cndmask_b32_e64 v0, v0, v61, s[78:79]
	v_cndmask_b32_e64 v0, v0, v62, s[80:81]
	v_cndmask_b32_e64 v0, v0, v63, s[34:35]
	ds_bpermute_b32 v99, v116, v0
	;; [unrolled: 16-line block ×3, first 2 shown]
	v_cndmask_b32_e32 v0, v67, v66, vcc
	v_cndmask_b32_e64 v0, v0, v101, s[6:7]
	v_cndmask_b32_e64 v0, v0, v100, s[8:9]
	;; [unrolled: 1-line block ×3, first 2 shown]
	s_waitcnt lgkmcnt(0)
	v_cndmask_b32_e64 v51, v85, v106, s[34:35]
	scratch_load_dword v85, off, off offset:36 ; 4-byte Folded Reload
	v_cndmask_b32_e64 v0, v0, v105, s[12:13]
	v_cndmask_b32_e64 v0, v0, v126, s[14:15]
	;; [unrolled: 1-line block ×11, first 2 shown]
	ds_bpermute_b32 v117, v116, v0
	v_cmp_eq_u32_e64 s[36:37], 0, v115
	v_cndmask_b32_e64 v3, v68, v20, s[42:43]
	v_cndmask_b32_e64 v15, v78, v20, s[62:63]
	v_cndmask_b32_e64 v18, v86, v20, s[64:65]
	v_cndmask_b32_e64 v0, v87, v20, s[36:37]
	v_cndmask_b32_e64 v16, v27, v98, s[34:35]
	v_cndmask_b32_e64 v35, v63, v99, s[34:35]
	s_waitcnt lgkmcnt(0)
	v_cndmask_b32_e64 v68, v112, v117, s[34:35]
	v_cndmask_b32_e64 v78, v105, v117, s[12:13]
	scratch_load_dword v105, off, off offset:48 ; 4-byte Folded Reload
	v_cndmask_b32_e64 v17, v79, v20, s[66:67]
	v_cndmask_b32_e64 v14, v77, v20, s[60:61]
	;; [unrolled: 1-line block ×36, first 2 shown]
	v_cndmask_b32_e32 v26, v26, v98, vcc
	v_cndmask_b32_e32 v89, v66, v117, vcc
	v_cndmask_b32_e64 v34, v34, v99, s[68:69]
	v_cndmask_b32_e64 v66, v50, v106, s[68:69]
	;; [unrolled: 1-line block ×10, first 2 shown]
	s_waitcnt vmcnt(1)
	v_cmp_eq_u32_e64 s[34:35], 1, v85
	s_nop 1
	v_cndmask_b32_e64 v21, v0, v18, s[34:35]
	v_cmp_eq_u32_e64 s[90:91], 2, v85
	v_cmp_eq_u32_e64 s[86:87], 3, v85
	;; [unrolled: 1-line block ×3, first 2 shown]
	v_cndmask_b32_e64 v22, v21, v17, s[90:91]
	v_cndmask_b32_e64 v23, v22, v15, s[86:87]
	;; [unrolled: 1-line block ×3, first 2 shown]
	v_cmp_eq_u32_e64 s[94:95], 5, v85
	v_cndmask_b32_e64 v21, v29, v98, s[78:79]
	v_cndmask_b32_e64 v22, v30, v98, s[76:77]
	v_cndmask_b32_e64 v25, v24, v13, s[94:95]
	v_cndmask_b32_e64 v24, v33, v98, s[22:23]
	v_cmp_eq_u32_e64 s[22:23], 6, v85
	v_cndmask_b32_e64 v23, v31, v98, s[74:75]
	v_cmp_eq_u32_e64 s[76:77], 13, v85
	v_cndmask_b32_e64 v27, v25, v12, s[22:23]
	v_cndmask_b32_e64 v25, v42, v98, s[20:21]
	v_cmp_eq_u32_e64 s[20:21], 7, v85
	v_cndmask_b32_e64 v42, v64, v99, s[18:19]
	v_cndmask_b32_e64 v64, v110, v106, s[6:7]
	;; [unrolled: 1-line block ×4, first 2 shown]
	v_cmp_eq_u32_e64 s[18:19], 8, v85
	v_cndmask_b32_e64 v43, v80, v99, s[16:17]
	s_nop 0
	v_cndmask_b32_e64 v29, v28, v10, s[18:19]
	v_cndmask_b32_e64 v28, v44, v98, s[16:17]
	v_cmp_eq_u32_e64 s[16:17], 9, v85
	v_cndmask_b32_e64 v44, v81, v99, s[14:15]
	s_nop 0
	v_cndmask_b32_e64 v30, v29, v9, s[16:17]
	v_cndmask_b32_e64 v29, v45, v98, s[14:15]
	;; [unrolled: 5-line block ×3, first 2 shown]
	v_cmp_eq_u32_e64 s[12:13], 11, v85
	s_nop 1
	v_cndmask_b32_e64 v32, v31, v5, s[12:13]
	v_cndmask_b32_e64 v31, v46, v98, s[10:11]
	;; [unrolled: 1-line block ×3, first 2 shown]
	v_cmp_eq_u32_e64 s[10:11], 12, v85
	s_nop 1
	v_cndmask_b32_e64 v33, v32, v4, s[10:11]
	v_cndmask_b32_e64 v65, v33, v3, s[76:77]
	;; [unrolled: 1-line block ×3, first 2 shown]
	v_cmp_eq_u32_e64 s[6:7], 14, v85
	v_cndmask_b32_e32 v49, v6, v99, vcc
	v_cndmask_b32_e64 v32, v47, v98, s[8:9]
	v_cndmask_b32_e64 v80, v65, v2, s[6:7]
	v_cndmask_b32_e32 v65, v7, v106, vcc
	v_cmp_eq_u32_e32 vcc, 15, v85
	v_cndmask_b32_e64 v47, v83, v99, s[8:9]
	v_cmp_eq_u32_e64 s[8:9], 0, v85
	v_cndmask_b32_e32 v6, v80, v1, vcc
	ds_bpermute_b32 v80, v116, v6
	scratch_load_dword v85, off, off offset:44 ; 4-byte Folded Reload
	s_waitcnt lgkmcnt(0)
	v_cndmask_b32_e64 v6, v8, v80, s[14:15]
	v_cndmask_b32_e64 v8, v10, v80, s[18:19]
	;; [unrolled: 1-line block ×26, first 2 shown]
	ds_bpermute_b32 v50, v116, v18
	v_cndmask_b32_e64 v18, v34, v49, s[64:65]
	v_cndmask_b32_e64 v18, v18, v48, s[66:67]
	;; [unrolled: 1-line block ×15, first 2 shown]
	ds_bpermute_b32 v81, v116, v18
	v_cndmask_b32_e64 v18, v66, v65, s[64:65]
	v_cndmask_b32_e64 v18, v18, v64, s[66:67]
	;; [unrolled: 1-line block ×15, first 2 shown]
	ds_bpermute_b32 v82, v116, v18
	v_cndmask_b32_e64 v18, v90, v89, s[64:65]
	v_cndmask_b32_e64 v18, v18, v87, s[66:67]
	;; [unrolled: 1-line block ×4, first 2 shown]
	s_waitcnt lgkmcnt(0)
	v_cndmask_b32_e64 v67, v51, v82, s[38:39]
	scratch_load_dword v51, off, off offset:40 ; 4-byte Folded Reload
	v_cndmask_b32_e64 v18, v18, v78, s[58:59]
	v_cndmask_b32_e64 v18, v18, v77, s[56:57]
	;; [unrolled: 1-line block ×11, first 2 shown]
	ds_bpermute_b32 v83, v116, v18
	v_cndmask_b32_e64 v0, v0, v80, s[8:9]
	v_cndmask_b32_e64 v16, v16, v50, s[38:39]
	;; [unrolled: 1-line block ×4, first 2 shown]
	s_waitcnt lgkmcnt(0)
	v_cndmask_b32_e64 v91, v68, v83, s[38:39]
	v_cndmask_b32_e64 v36, v36, v81, s[44:45]
	;; [unrolled: 1-line block ×23, first 2 shown]
	v_cndmask_b32_e32 v1, v1, v80, vcc
	v_cndmask_b32_e64 v26, v26, v50, s[64:65]
	v_cndmask_b32_e64 v49, v49, v81, s[64:65]
	;; [unrolled: 1-line block ×27, first 2 shown]
	s_waitcnt vmcnt(1)
	v_cmp_eq_u32_e64 s[64:65], 9, v85
	s_waitcnt vmcnt(0)
	v_cmp_eq_u32_e64 s[40:41], 1, v51
	s_nop 1
	v_cndmask_b32_e64 v19, v0, v15, s[40:41]
	v_cmp_eq_u32_e64 s[38:39], 2, v51
	v_cmp_eq_u32_e64 s[44:45], 3, v51
	;; [unrolled: 1-line block ×3, first 2 shown]
	v_cndmask_b32_e64 v20, v19, v14, s[38:39]
	v_cndmask_b32_e64 v19, v21, v50, s[42:43]
	;; [unrolled: 1-line block ×4, first 2 shown]
	v_cmp_eq_u32_e64 s[46:47], 4, v51
	v_cmp_eq_u32_e64 s[68:69], 7, v51
	;; [unrolled: 1-line block ×3, first 2 shown]
	v_cndmask_b32_e64 v22, v21, v12, s[46:47]
	v_cndmask_b32_e64 v21, v23, v50, s[50:51]
	v_cmp_eq_u32_e64 s[50:51], 5, v51
	v_cmp_eq_u32_e64 s[78:79], 11, v51
	;; [unrolled: 1-line block ×3, first 2 shown]
	v_cndmask_b32_e64 v23, v22, v11, s[50:51]
	v_cndmask_b32_e64 v22, v24, v50, s[48:49]
	;; [unrolled: 1-line block ×5, first 2 shown]
	v_cmp_eq_u32_e64 s[72:73], 8, v51
	v_cndmask_b32_e64 v24, v27, v50, s[52:53]
	v_cmp_eq_u32_e64 s[84:85], 13, v51
	v_cndmask_b32_e64 v27, v25, v8, s[72:73]
	v_cndmask_b32_e64 v25, v28, v50, s[70:71]
	v_cmp_eq_u32_e64 s[70:71], 9, v51
	v_cmp_eq_u32_e64 s[88:89], 14, v51
	;; [unrolled: 1-line block ×3, first 2 shown]
	v_cndmask_b32_e64 v28, v27, v7, s[70:71]
	v_cndmask_b32_e64 v27, v29, v50, s[56:57]
	;; [unrolled: 1-line block ×12, first 2 shown]
	ds_bpermute_b32 v33, v116, v32
	v_cndmask_b32_e64 v32, v17, v50, s[36:37]
	v_cndmask_b32_e64 v17, v32, v26, s[34:35]
	;; [unrolled: 1-line block ×16, first 2 shown]
	v_cndmask_b32_e32 v17, v17, v16, vcc
	ds_bpermute_b32 v80, v116, v17
	v_cndmask_b32_e64 v17, v50, v49, s[34:35]
	v_cndmask_b32_e64 v17, v17, v48, s[90:91]
	v_cndmask_b32_e64 v17, v17, v47, s[86:87]
	v_cndmask_b32_e64 v17, v17, v46, s[82:83]
	v_cndmask_b32_e64 v17, v17, v45, s[94:95]
	v_cndmask_b32_e64 v17, v17, v44, s[22:23]
	v_cndmask_b32_e64 v17, v17, v43, s[20:21]
	v_cndmask_b32_e64 v17, v17, v42, s[18:19]
	v_cndmask_b32_e64 v17, v17, v41, s[16:17]
	v_cndmask_b32_e64 v17, v17, v40, s[14:15]
	v_cndmask_b32_e64 v17, v17, v39, s[12:13]
	v_cndmask_b32_e64 v17, v17, v38, s[10:11]
	v_cndmask_b32_e64 v17, v17, v37, s[76:77]
	v_cndmask_b32_e64 v17, v17, v36, s[6:7]
	v_cndmask_b32_e32 v17, v17, v35, vcc
	ds_bpermute_b32 v81, v116, v17
	v_cndmask_b32_e64 v17, v66, v65, s[34:35]
	v_cndmask_b32_e64 v17, v17, v64, s[90:91]
	v_cndmask_b32_e64 v17, v17, v63, s[86:87]
	v_cndmask_b32_e64 v17, v17, v78, s[82:83]
	v_cndmask_b32_e64 v17, v17, v77, s[94:95]
	v_cndmask_b32_e64 v17, v17, v76, s[22:23]
	v_cndmask_b32_e64 v17, v17, v75, s[20:21]
	v_cndmask_b32_e64 v17, v17, v74, s[18:19]
	v_cndmask_b32_e64 v17, v17, v73, s[16:17]
	v_cndmask_b32_e64 v17, v17, v72, s[14:15]
	v_cndmask_b32_e64 v17, v17, v71, s[12:13]
	v_cndmask_b32_e64 v17, v17, v70, s[10:11]
	v_cndmask_b32_e64 v17, v17, v69, s[76:77]
	v_cndmask_b32_e64 v17, v17, v68, s[6:7]
	;; [unrolled: 16-line block ×3, first 2 shown]
	v_cndmask_b32_e32 v17, v17, v91, vcc
	ds_bpermute_b32 v83, v116, v17
	v_cmp_eq_u32_e64 s[60:61], 0, v51
	s_waitcnt lgkmcnt(4)
	v_cndmask_b32_e64 v1, v1, v33, s[92:93]
	v_cndmask_b32_e64 v2, v2, v33, s[88:89]
	;; [unrolled: 1-line block ×16, first 2 shown]
	s_waitcnt lgkmcnt(3)
	v_cndmask_b32_e32 v33, v16, v80, vcc
	s_waitcnt lgkmcnt(2)
	v_cndmask_b32_e32 v51, v35, v81, vcc
	;; [unrolled: 2-line block ×4, first 2 shown]
	v_cmp_eq_u32_e32 vcc, 1, v85
	v_cndmask_b32_e64 v34, v18, v80, s[6:7]
	v_cndmask_b32_e64 v52, v36, v81, s[6:7]
	v_cndmask_b32_e32 v16, v0, v15, vcc
	v_cndmask_b32_e64 v68, v68, v82, s[6:7]
	v_cndmask_b32_e64 v92, v92, v83, s[6:7]
	v_cmp_eq_u32_e64 s[6:7], 2, v85
	v_cmp_eq_u32_e64 s[36:37], 3, v85
	;; [unrolled: 1-line block ×3, first 2 shown]
	v_cndmask_b32_e64 v16, v16, v14, s[6:7]
	v_cndmask_b32_e64 v16, v16, v13, s[36:37]
	;; [unrolled: 1-line block ×3, first 2 shown]
	v_cmp_eq_u32_e64 s[52:53], 5, v85
	v_cmp_eq_u32_e64 s[56:57], 6, v85
	;; [unrolled: 1-line block ×3, first 2 shown]
	v_cndmask_b32_e64 v16, v16, v11, s[52:53]
	v_cndmask_b32_e64 v16, v16, v10, s[56:57]
	;; [unrolled: 1-line block ×3, first 2 shown]
	v_cmp_eq_u32_e64 s[62:63], 8, v85
	v_cndmask_b32_e64 v35, v19, v80, s[76:77]
	v_cndmask_b32_e64 v53, v37, v81, s[76:77]
	;; [unrolled: 1-line block ×6, first 2 shown]
	v_cmp_eq_u32_e64 s[76:77], 10, v85
	v_cmp_eq_u32_e64 s[66:67], 11, v85
	v_cndmask_b32_e64 v29, v29, v80, s[82:83]
	v_cndmask_b32_e64 v16, v16, v6, s[76:77]
	;; [unrolled: 1-line block ×6, first 2 shown]
	v_cmp_eq_u32_e64 s[82:83], 12, v85
	v_cndmask_b32_e64 v30, v30, v80, s[86:87]
	v_cndmask_b32_e64 v47, v47, v81, s[86:87]
	v_cndmask_b32_e64 v16, v16, v4, s[82:83]
	v_cndmask_b32_e64 v63, v63, v82, s[86:87]
	v_cndmask_b32_e64 v108, v86, v83, s[86:87]
	v_cmp_eq_u32_e64 s[86:87], 13, v85
	v_cndmask_b32_e64 v31, v31, v80, s[90:91]
	v_cndmask_b32_e64 v48, v48, v81, s[90:91]
	v_cndmask_b32_e64 v16, v16, v3, s[86:87]
	v_cndmask_b32_e64 v79, v64, v82, s[90:91]
	v_cndmask_b32_e64 v109, v87, v83, s[90:91]
	;; [unrolled: 6-line block ×3, first 2 shown]
	v_cmp_eq_u32_e64 s[94:95], 15, v85
	v_cndmask_b32_e64 v58, v42, v81, s[18:19]
	v_cndmask_b32_e64 v42, v26, v80, s[34:35]
	;; [unrolled: 1-line block ×3, first 2 shown]
	ds_bpermute_b32 v26, v116, v16
	v_cndmask_b32_e64 v32, v32, v80, s[8:9]
	v_cndmask_b32_e64 v27, v27, v80, s[22:23]
	;; [unrolled: 1-line block ×4, first 2 shown]
	s_waitcnt lgkmcnt(0)
	v_cndmask_b32_e64 v16, v3, v26, s[86:87]
	v_cndmask_b32_e64 v3, v32, v42, s[40:41]
	;; [unrolled: 1-line block ×26, first 2 shown]
	ds_bpermute_b32 v98, v116, v3
	v_cndmask_b32_e64 v3, v50, v49, s[40:41]
	v_cndmask_b32_e64 v3, v3, v48, s[38:39]
	;; [unrolled: 1-line block ×19, first 2 shown]
	ds_bpermute_b32 v99, v116, v3
	v_cndmask_b32_e64 v3, v87, v86, s[40:41]
	v_cndmask_b32_e64 v3, v3, v79, s[38:39]
	;; [unrolled: 1-line block ×24, first 2 shown]
	ds_bpermute_b32 v103, v116, v3
	v_cndmask_b32_e64 v3, v84, v110, s[40:41]
	v_cndmask_b32_e64 v3, v3, v109, s[38:39]
	;; [unrolled: 1-line block ×18, first 2 shown]
	v_cmp_eq_u32_e64 s[42:43], 0, v85
	v_cndmask_b32_e64 v3, v3, v119, s[80:81]
	v_cndmask_b32_e64 v1, v1, v26, s[94:95]
	v_cndmask_b32_e64 v2, v2, v26, s[90:91]
	v_cndmask_b32_e64 v17, v4, v26, s[82:83]
	v_cndmask_b32_e64 v18, v5, v26, s[66:67]
	v_cndmask_b32_e64 v19, v6, v26, s[76:77]
	v_cndmask_b32_e64 v20, v7, v26, s[64:65]
	v_cndmask_b32_e64 v21, v8, v26, s[62:63]
	v_cndmask_b32_e64 v22, v9, v26, s[58:59]
	v_cndmask_b32_e64 v23, v10, v26, s[56:57]
	v_cndmask_b32_e64 v24, v11, v26, s[52:53]
	v_cndmask_b32_e64 v12, v12, v26, s[48:49]
	v_cndmask_b32_e64 v13, v13, v26, s[36:37]
	v_cndmask_b32_e64 v25, v14, v26, s[6:7]
	v_cndmask_b32_e32 v15, v15, v26, vcc
	v_cndmask_b32_e64 v3, v3, v93, s[84:85]
	v_cndmask_b32_e64 v26, v0, v26, s[42:43]
	v_cmp_eq_u32_e64 s[8:9], 1, v105
	v_cndmask_b32_e64 v3, v3, v92, s[88:89]
	v_cmp_eq_u32_e64 s[10:11], 2, v105
	v_cndmask_b32_e64 v0, v26, v15, s[8:9]
	v_cndmask_b32_e64 v3, v3, v91, s[92:93]
	;; [unrolled: 1-line block ×3, first 2 shown]
	v_cmp_eq_u32_e64 s[12:13], 3, v105
	ds_bpermute_b32 v104, v116, v3
	v_cmp_eq_u32_e64 s[14:15], 4, v105
	v_cndmask_b32_e64 v0, v0, v13, s[12:13]
	v_cmp_eq_u32_e64 s[16:17], 5, v105
	v_cndmask_b32_e64 v0, v0, v12, s[14:15]
	;; [unrolled: 2-line block ×5, first 2 shown]
	s_waitcnt lgkmcnt(1)
	v_cndmask_b32_e64 v89, v67, v103, s[92:93]
	s_waitcnt lgkmcnt(0)
	v_cndmask_b32_e64 v80, v120, v104, s[78:79]
	v_cndmask_b32_e64 v46, v39, v98, s[70:71]
	;; [unrolled: 1-line block ×6, first 2 shown]
	v_cmp_eq_u32_e64 s[70:71], 9, v105
	v_cndmask_b32_e64 v64, v54, v99, s[80:81]
	v_cndmask_b32_e64 v81, v121, v104, s[74:75]
	;; [unrolled: 1-line block ×7, first 2 shown]
	v_cmp_eq_u32_e64 s[72:73], 10, v105
	v_cndmask_b32_e64 v96, v119, v104, s[80:81]
	v_cndmask_b32_e64 v45, v38, v98, s[74:75]
	;; [unrolled: 1-line block ×5, first 2 shown]
	v_cmp_eq_u32_e64 s[74:75], 11, v105
	v_cndmask_b32_e64 v113, v93, v104, s[84:85]
	v_cndmask_b32_e64 v44, v37, v98, s[78:79]
	;; [unrolled: 1-line block ×5, first 2 shown]
	v_cmp_eq_u32_e64 s[78:79], 12, v105
	v_cmp_eq_u32_e64 s[34:35], 13, v105
	v_cndmask_b32_e64 v85, v91, v104, s[92:93]
	v_cndmask_b32_e64 v0, v0, v17, s[78:79]
	;; [unrolled: 1-line block ×9, first 2 shown]
	v_cmp_eq_u32_e64 s[38:39], 14, v105
	v_cndmask_b32_e64 v97, v29, v98, s[46:47]
	v_cndmask_b32_e64 v100, v62, v99, s[46:47]
	v_cndmask_b32_e64 v101, v78, v103, s[46:47]
	v_cndmask_b32_e64 v102, v107, v104, s[46:47]
	v_cndmask_b32_e64 v0, v0, v2, s[38:39]
	v_cmp_eq_u32_e64 s[46:47], 15, v105
	v_cndmask_b32_e64 v56, v27, v98, s[54:55]
	v_cndmask_b32_e64 v33, v33, v98, s[92:93]
	;; [unrolled: 1-line block ×3, first 2 shown]
	ds_bpermute_b32 v27, v116, v0
	v_cndmask_b32_e64 v34, v34, v98, s[88:89]
	v_cndmask_b32_e64 v35, v35, v98, s[84:85]
	;; [unrolled: 1-line block ×7, first 2 shown]
	s_waitcnt lgkmcnt(0)
	v_cndmask_b32_e64 v0, v12, v27, s[14:15]
	v_cndmask_b32_e64 v12, v32, v98, s[60:61]
	scratch_load_dword v98, off, off offset:52 ; 4-byte Folded Reload
	v_cndmask_b32_e64 v11, v17, v27, s[78:79]
	v_cndmask_b32_e64 v17, v18, v27, s[74:75]
	v_cndmask_b32_e64 v18, v19, v27, s[72:73]
	v_cndmask_b32_e64 v19, v20, v27, s[70:71]
	v_cndmask_b32_e64 v20, v21, v27, s[22:23]
	v_cndmask_b32_e64 v21, v22, v27, s[20:21]
	v_cndmask_b32_e64 v22, v23, v27, s[18:19]
	v_cndmask_b32_e64 v23, v24, v27, s[16:17]
	v_cndmask_b32_e32 v24, v12, v3, vcc
	v_cndmask_b32_e64 v24, v24, v73, s[6:7]
	v_cndmask_b32_e64 v24, v24, v107, s[36:37]
	;; [unrolled: 1-line block ×18, first 2 shown]
	ds_bpermute_b32 v29, v116, v24
	v_cndmask_b32_e32 v24, v13, v4, vcc
	v_cndmask_b32_e64 v90, v68, v103, s[88:89]
	v_cndmask_b32_e64 v68, v59, v99, s[68:69]
	v_cndmask_b32_e64 v59, v47, v99, s[44:45]
	v_cndmask_b32_e64 v24, v24, v60, s[6:7]
	v_cndmask_b32_e64 v24, v24, v59, s[36:37]
	v_cndmask_b32_e64 v112, v92, v104, s[88:89]
	v_cndmask_b32_e64 v92, v70, v103, s[80:81]
	v_cndmask_b32_e64 v70, v61, v99, s[50:51]
	v_cndmask_b32_e64 v24, v24, v100, s[48:49]
	v_cndmask_b32_e64 v24, v24, v70, s[52:53]
	v_cndmask_b32_e64 v24, v24, v69, s[56:57]
	v_cndmask_b32_e64 v24, v24, v68, s[58:59]
	v_cndmask_b32_e64 v24, v24, v58, s[62:63]
	v_cndmask_b32_e64 v24, v24, v67, s[64:65]
	v_cndmask_b32_e64 v24, v24, v66, s[76:77]
	v_cndmask_b32_e64 v24, v24, v65, s[66:67]
	v_cndmask_b32_e64 v53, v53, v99, s[84:85]
	v_cndmask_b32_e64 v24, v24, v64, s[82:83]
	v_cndmask_b32_e64 v52, v52, v99, s[88:89]
	v_cndmask_b32_e64 v24, v24, v53, s[86:87]
	v_cndmask_b32_e64 v51, v51, v99, s[92:93]
	v_cndmask_b32_e64 v24, v24, v52, s[90:91]
	v_cndmask_b32_e64 v5, v86, v103, s[40:41]
	v_cndmask_b32_e64 v10, v16, v27, s[34:35]
	v_cndmask_b32_e64 v16, v15, v27, s[8:9]
	v_cndmask_b32_e64 v15, v87, v103, s[60:61]
	v_cndmask_b32_e64 v24, v24, v51, s[94:95]
	ds_bpermute_b32 v30, v116, v24
	v_cndmask_b32_e32 v24, v15, v5, vcc
	v_cndmask_b32_e64 v63, v63, v103, s[44:45]
	v_cndmask_b32_e64 v24, v24, v14, s[6:7]
	;; [unrolled: 1-line block ×21, first 2 shown]
	ds_bpermute_b32 v62, v116, v24
	v_cndmask_b32_e32 v24, v28, v7, vcc
	v_cndmask_b32_e64 v71, v108, v104, s[44:45]
	v_cndmask_b32_e64 v24, v24, v6, s[6:7]
	;; [unrolled: 1-line block ×17, first 2 shown]
	v_cmp_eq_u32_e64 s[40:41], 0, v105
	ds_bpermute_b32 v75, v116, v24
	s_waitcnt vmcnt(0)
	v_cmp_eq_u32_e64 s[44:45], 1, v98
	v_cndmask_b32_e64 v24, v26, v27, s[40:41]
	v_cndmask_b32_e64 v9, v2, v27, s[38:39]
	;; [unrolled: 1-line block ×3, first 2 shown]
	s_waitcnt lgkmcnt(3)
	v_cndmask_b32_e64 v31, v33, v29, s[94:95]
	v_cndmask_b32_e64 v33, v24, v16, s[44:45]
	v_cmp_eq_u32_e64 s[50:51], 2, v98
	v_cndmask_b32_e64 v47, v34, v29, s[90:91]
	v_cmp_eq_u32_e64 s[54:55], 3, v98
	v_cndmask_b32_e64 v34, v33, v2, s[50:51]
	v_cndmask_b32_e64 v61, v35, v29, s[86:87]
	;; [unrolled: 1-line block ×3, first 2 shown]
	v_cmp_eq_u32_e64 s[60:61], 4, v98
	s_waitcnt lgkmcnt(2)
	v_cndmask_b32_e64 v26, v51, v30, s[94:95]
	v_cndmask_b32_e64 v74, v44, v29, s[66:67]
	;; [unrolled: 1-line block ×4, first 2 shown]
	s_waitcnt lgkmcnt(1)
	v_cndmask_b32_e64 v35, v93, v62, s[66:67]
	s_waitcnt lgkmcnt(0)
	v_cndmask_b32_e64 v51, v80, v75, s[66:67]
	v_cmp_eq_u32_e64 s[66:67], 5, v98
	v_cmp_eq_u32_e64 s[68:69], 6, v98
	v_cndmask_b32_e64 v37, v53, v30, s[86:87]
	v_cndmask_b32_e64 v41, v40, v23, s[66:67]
	;; [unrolled: 1-line block ×7, first 2 shown]
	v_cmp_eq_u32_e64 s[64:65], 7, v98
	v_cndmask_b32_e64 v72, v43, v29, s[82:83]
	v_cndmask_b32_e64 v40, v66, v30, s[76:77]
	;; [unrolled: 1-line block ×7, first 2 shown]
	v_cmp_eq_u32_e64 s[62:63], 8, v98
	v_cndmask_b32_e64 v86, v55, v29, s[58:59]
	v_cndmask_b32_e64 v55, v122, v62, s[58:59]
	v_cndmask_b32_e64 v44, v43, v20, s[62:63]
	v_cndmask_b32_e64 v43, v68, v30, s[58:59]
	v_cndmask_b32_e64 v67, v94, v75, s[58:59]
	v_cmp_eq_u32_e64 s[58:59], 9, v98
	v_cndmask_b32_e64 v76, v45, v29, s[76:77]
	v_cndmask_b32_e64 v87, v56, v29, s[56:57]
	v_cndmask_b32_e64 v45, v44, v19, s[58:59]
	v_cndmask_b32_e64 v44, v69, v30, s[56:57]
	v_cndmask_b32_e64 v56, v123, v62, s[56:57]
	v_cndmask_b32_e64 v68, v125, v75, s[56:57]
	v_cmp_eq_u32_e64 s[56:57], 10, v98
	v_cndmask_b32_e64 v27, v89, v62, s[94:95]
	;; [unrolled: 7-line block ×3, first 2 shown]
	v_cndmask_b32_e64 v58, v101, v62, s[48:49]
	v_cndmask_b32_e64 v79, v46, v17, s[52:53]
	;; [unrolled: 1-line block ×4, first 2 shown]
	v_cmp_eq_u32_e64 s[48:49], 12, v98
	v_cndmask_b32_e64 v38, v64, v30, s[82:83]
	v_cndmask_b32_e64 v64, v81, v75, s[76:77]
	;; [unrolled: 1-line block ×7, first 2 shown]
	v_cmp_eq_u32_e64 s[36:37], 13, v98
	v_cndmask_b32_e64 v83, v73, v29, s[6:7]
	v_cndmask_b32_e64 v60, v60, v30, s[6:7]
	;; [unrolled: 1-line block ×5, first 2 shown]
	v_cmp_eq_u32_e64 s[6:7], 14, v98
	v_cndmask_b32_e64 v25, v85, v75, s[94:95]
	v_cndmask_b32_e64 v32, v90, v62, s[90:91]
	;; [unrolled: 1-line block ×3, first 2 shown]
	v_cndmask_b32_e32 v82, v3, v29, vcc
	v_cndmask_b32_e32 v84, v4, v30, vcc
	;; [unrolled: 1-line block ×4, first 2 shown]
	v_cmp_eq_u32_e32 vcc, 15, v98
	v_cndmask_b32_e64 v29, v12, v29, s[42:43]
	v_cndmask_b32_e64 v33, v91, v62, s[86:87]
	v_cndmask_b32_e32 v3, v6, v8, vcc
	ds_bpermute_b32 v91, v116, v3
	v_cndmask_b32_e64 v3, v29, v82, s[8:9]
	v_cndmask_b32_e64 v3, v3, v83, s[10:11]
	;; [unrolled: 1-line block ×26, first 2 shown]
	s_waitcnt lgkmcnt(0)
	v_cndmask_b32_e64 v12, v11, v91, s[48:49]
	v_cndmask_b32_e64 v11, v17, v91, s[52:53]
	ds_bpermute_b32 v17, v116, v3
	v_cndmask_b32_e64 v28, v28, v58, s[14:15]
	v_cndmask_b32_e64 v28, v28, v57, s[16:17]
	;; [unrolled: 1-line block ×6, first 2 shown]
	v_cndmask_b32_e32 v15, v8, v91, vcc
	v_cndmask_b32_e64 v14, v9, v91, s[6:7]
	v_cndmask_b32_e64 v13, v10, v91, s[36:37]
	;; [unrolled: 1-line block ×10, first 2 shown]
	s_waitcnt lgkmcnt(0)
	v_cndmask_b32_e64 v16, v31, v17, s[46:47]
	v_cndmask_b32_e64 v18, v47, v17, s[38:39]
	;; [unrolled: 1-line block ×39, first 2 shown]
	ds_bpermute_b32 v82, v116, v28
	v_cndmask_b32_e64 v28, v75, v90, s[8:9]
	v_cndmask_b32_e64 v0, v0, v47, s[62:63]
	;; [unrolled: 1-line block ×22, first 2 shown]
	ds_bpermute_b32 v17, v116, v17
	v_cndmask_b32_e64 v28, v28, v65, s[70:71]
	v_cndmask_b32_e32 v0, v0, v16, vcc
	v_cndmask_b32_e64 v28, v28, v64, s[72:73]
	ds_bpermute_b32 v86, v116, v0
	v_cndmask_b32_e64 v28, v28, v51, s[74:75]
	v_cndmask_b32_e64 v28, v28, v50, s[78:79]
	;; [unrolled: 1-line block ×4, first 2 shown]
	s_waitcnt lgkmcnt(1)
	v_cndmask_b32_e64 v84, v84, v17, s[8:9]
	v_cndmask_b32_e64 v92, v92, v17, s[40:41]
	;; [unrolled: 1-line block ×3, first 2 shown]
	s_waitcnt lgkmcnt(0)
	v_cndmask_b32_e32 v31, v16, v86, vcc
	v_cndmask_b32_e64 v60, v60, v17, s[10:11]
	v_cndmask_b32_e64 v16, v92, v84, s[44:45]
	ds_bpermute_b32 v83, v116, v28
	v_cmp_eq_u32_e64 s[42:43], 0, v98
	v_cndmask_b32_e64 v79, v79, v17, s[12:13]
	v_cndmask_b32_e64 v16, v16, v60, s[50:51]
	;; [unrolled: 1-line block ×20, first 2 shown]
	s_waitcnt lgkmcnt(0)
	v_cndmask_b32_e64 v93, v25, v83, s[46:47]
	v_cndmask_b32_e64 v25, v23, v86, s[58:59]
	;; [unrolled: 1-line block ×18, first 2 shown]
	v_cndmask_b32_e32 v16, v16, v87, vcc
	ds_bpermute_b32 v94, v116, v16
	v_cndmask_b32_e64 v30, v18, v86, s[6:7]
	v_cndmask_b32_e64 v29, v19, v86, s[36:37]
	v_cndmask_b32_e64 v24, v47, v86, s[62:63]
	v_cndmask_b32_e64 v19, v77, v86, s[54:55]
	v_cndmask_b32_e64 v18, v78, v86, s[50:51]
	v_cndmask_b32_e64 v17, v80, v86, s[44:45]
	v_cndmask_b32_e64 v16, v81, v86, s[42:43]
	s_waitcnt lgkmcnt(0)
	v_cndmask_b32_e64 v45, v37, v94, s[36:37]
	v_cndmask_b32_e64 v44, v38, v94, s[48:49]
	;; [unrolled: 1-line block ×37, first 2 shown]
	v_cndmask_b32_e32 v32, v32, v89, vcc
	v_cndmask_b32_e32 v47, v87, v94, vcc
	v_cndmask_b32_e64 v46, v36, v94, s[6:7]
	v_cndmask_b32_e64 v41, v41, v94, s[58:59]
	;; [unrolled: 1-line block ×3, first 2 shown]
	ds_bpermute_b32 v87, v116, v32
	v_cndmask_b32_e64 v35, v79, v94, s[54:55]
	v_cndmask_b32_e64 v34, v60, v94, s[50:51]
	;; [unrolled: 1-line block ×4, first 2 shown]
	scratch_load_dwordx2 v[98:99], off, off ; 8-byte Folded Reload
	scratch_load_dword v94, off, off offset:16 ; 4-byte Folded Reload
	scratch_load_dword v96, off, off offset:20 ; 4-byte Folded Reload
	;; [unrolled: 1-line block ×3, first 2 shown]
	s_waitcnt lgkmcnt(0)
	v_cndmask_b32_e32 v63, v89, v87, vcc
	v_cndmask_b32_e64 v62, v61, v87, s[6:7]
	v_cndmask_b32_e64 v61, v72, v87, s[36:37]
	;; [unrolled: 1-line block ×35, first 2 shown]
	v_cndmask_b32_e32 v48, v48, v93, vcc
	ds_bpermute_b32 v92, v116, v48
	v_cndmask_b32_e64 v57, v53, v87, s[58:59]
	v_cndmask_b32_e64 v53, v78, v87, s[66:67]
	v_readlane_b32 s80, v127, 23
	v_cndmask_b32_e64 v56, v54, v87, s[62:63]
	s_waitcnt lgkmcnt(0)
	v_cndmask_b32_e64 v78, v72, v92, s[6:7]
	v_readlane_b32 s6, v127, 27
	v_cndmask_b32_e64 v54, v77, v87, s[68:69]
	v_cndmask_b32_e64 v48, v82, v87, s[42:43]
	;; [unrolled: 1-line block ×5, first 2 shown]
	v_readlane_b32 s7, v127, 28
	v_readlane_b32 s34, v127, 10
	;; [unrolled: 1-line block ×4, first 2 shown]
	s_mov_b32 s76, 0
	s_max_i32 s77, s80, 0
	v_cndmask_b32_e64 v55, v55, v87, s[64:65]
	v_cndmask_b32_e64 v51, v81, v87, s[54:55]
	;; [unrolled: 1-line block ×4, first 2 shown]
	v_cndmask_b32_e32 v79, v93, v92, vcc
	v_cndmask_b32_e64 v76, v76, v92, s[48:49]
	v_cndmask_b32_e64 v75, v80, v92, s[52:53]
	;; [unrolled: 1-line block ×11, first 2 shown]
	s_mov_b32 s12, 0
	v_readlane_b32 s35, v127, 11
	v_readlane_b32 s37, v127, 13
	;; [unrolled: 1-line block ×6, first 2 shown]
	s_waitcnt vmcnt(3)
	v_lshl_add_u64 v[86:87], s[6:7], 0, v[98:99]
	s_mov_b64 s[6:7], 0
	v_readlane_b32 s41, v127, 19
	v_readlane_b32 s44, v127, 20
	;; [unrolled: 1-line block ×5, first 2 shown]
                                        ; implicit-def: $sgpr8_sgpr9
	s_branch .LBB126_34
.LBB126_33:                             ;   in Loop: Header=BB126_34 Depth=2
	s_or_b64 exec, exec, s[10:11]
	s_and_b64 s[10:11], exec, s[8:9]
	s_or_b64 s[6:7], s[10:11], s[6:7]
	s_andn2_b64 exec, exec, s[6:7]
	s_cbranch_execz .LBB126_36
.LBB126_34:                             ;   Parent Loop BB126_7 Depth=1
                                        ; =>  This Inner Loop Header: Depth=2
	s_and_b32 s10, s12, 2
	s_and_b32 s11, s76, 24
	s_or_b32 s10, s11, s10
	s_waitcnt vmcnt(0)
	v_or_b32_e32 v80, s10, v97
	v_add_u32_e32 v81, s77, v80
	v_cmp_gt_u32_e32 vcc, 32, v81
	s_or_b64 s[8:9], s[8:9], exec
	s_and_saveexec_b64 s[10:11], vcc
	s_cbranch_execz .LBB126_33
; %bb.35:                               ;   in Loop: Header=BB126_34 Depth=2
	s_add_i32 s13, s12, 1
	s_set_gpr_idx_on s12, gpr_idx(SRC0)
	v_mov_b32_e32 v81, v0
	s_set_gpr_idx_off
	v_cvt_f16_f32_e32 v82, v81
	s_set_gpr_idx_on s13, gpr_idx(SRC0)
	v_mov_b32_e32 v81, v0
	s_set_gpr_idx_off
	v_cvt_f16_f32_sdwa v83, v81 dst_sel:WORD_1 dst_unused:UNUSED_PAD src0_sel:DWORD
	v_mul_lo_u32 v80, v80, s25
	v_ashrrev_i32_e32 v81, 31, v80
	v_lshl_add_u64 v[80:81], v[80:81], 1, v[86:87]
	v_or_b32_e32 v82, v83, v82
	;;#ASMSTART
	global_atomic_pk_add_f16 v[80:81], v82, off
	
	;;#ASMEND
	s_set_gpr_idx_on s12, gpr_idx(SRC0)
	v_mov_b32_e32 v82, v16
	s_set_gpr_idx_off
	v_cvt_f16_f32_e32 v84, v82
	s_set_gpr_idx_on s13, gpr_idx(SRC0)
	v_mov_b32_e32 v82, v16
	s_set_gpr_idx_off
	v_cvt_f16_f32_sdwa v85, v82 dst_sel:WORD_1 dst_unused:UNUSED_PAD src0_sel:DWORD
	v_lshl_add_u64 v[82:83], v[80:81], 0, 64
	s_mov_b64 s[14:15], 0x80
	s_add_i32 s76, s76, 4
	v_or_b32_e32 v84, v85, v84
	;;#ASMSTART
	global_atomic_pk_add_f16 v[82:83], v84, off
	
	;;#ASMEND
	s_set_gpr_idx_on s12, gpr_idx(SRC0)
	v_mov_b32_e32 v82, v32
	s_set_gpr_idx_off
	v_cvt_f16_f32_e32 v84, v82
	s_set_gpr_idx_on s13, gpr_idx(SRC0)
	v_mov_b32_e32 v82, v32
	s_set_gpr_idx_off
	v_cvt_f16_f32_sdwa v85, v82 dst_sel:WORD_1 dst_unused:UNUSED_PAD src0_sel:DWORD
	v_lshl_add_u64 v[82:83], v[80:81], 0, s[14:15]
	s_mov_b64 s[14:15], 0xc0
	v_or_b32_e32 v84, v85, v84
	;;#ASMSTART
	global_atomic_pk_add_f16 v[82:83], v84, off
	
	;;#ASMEND
	s_set_gpr_idx_on s12, gpr_idx(SRC0)
	v_mov_b32_e32 v82, v48
	s_set_gpr_idx_off
	v_cvt_f16_f32_e32 v84, v82
	s_set_gpr_idx_on s13, gpr_idx(SRC0)
	v_mov_b32_e32 v82, v48
	s_set_gpr_idx_off
	v_cvt_f16_f32_sdwa v85, v82 dst_sel:WORD_1 dst_unused:UNUSED_PAD src0_sel:DWORD
	v_lshl_add_u64 v[82:83], v[80:81], 0, s[14:15]
	s_mov_b64 s[14:15], 0x100
	v_lshl_add_u64 v[80:81], v[80:81], 0, s[14:15]
	v_or_b32_e32 v84, v85, v84
	;;#ASMSTART
	global_atomic_pk_add_f16 v[82:83], v84, off
	
	;;#ASMEND
	s_set_gpr_idx_on s12, gpr_idx(SRC0)
	v_mov_b32_e32 v82, v64
	s_set_gpr_idx_off
	v_cvt_f16_f32_e32 v82, v82
	s_set_gpr_idx_on s13, gpr_idx(SRC0)
	v_mov_b32_e32 v83, v64
	s_set_gpr_idx_off
	s_add_i32 s12, s12, 2
	v_cvt_f16_f32_sdwa v83, v83 dst_sel:WORD_1 dst_unused:UNUSED_PAD src0_sel:DWORD
	s_cmp_eq_u32 s12, 16
	s_cselect_b64 s[14:15], -1, 0
	s_andn2_b64 s[8:9], s[8:9], exec
	s_and_b64 s[14:15], s[14:15], exec
	s_or_b64 s[8:9], s[8:9], s[14:15]
	v_or_b32_e32 v82, v83, v82
	;;#ASMSTART
	global_atomic_pk_add_f16 v[80:81], v82, off
	
	;;#ASMEND
	s_branch .LBB126_33
.LBB126_36:                             ;   in Loop: Header=BB126_7 Depth=1
	s_or_b64 exec, exec, s[6:7]
	scratch_load_dword v13, off, off offset:8 ; 4-byte Folded Reload
	scratch_load_dwordx2 v[14:15], off, off offset:72 ; 8-byte Folded Reload
	scratch_load_dword v16, off, off offset:88 ; 4-byte Folded Reload
	scratch_load_dword v17, off, off offset:92 ; 4-byte Folded Reload
	;; [unrolled: 1-line block ×3, first 2 shown]
	v_readlane_b32 s16, v127, 2
	v_readlane_b32 s14, v127, 0
	v_readlane_b32 s15, v127, 1
	v_readlane_b32 s17, v127, 3
	v_readlane_b32 s18, v127, 4
	v_readlane_b32 s19, v127, 5
	v_readlane_b32 s20, v127, 6
	v_readlane_b32 s21, v127, 7
	v_readlane_b32 s22, v127, 8
	v_readlane_b32 s23, v127, 9
	v_readlane_b32 s72, v127, 25
	v_not_b32_e32 v19, 19
	v_readlane_b32 s73, v127, 26
.LBB126_37:                             ;   in Loop: Header=BB126_7 Depth=1
	s_or_b64 exec, exec, s[0:1]
.LBB126_38:                             ;   in Loop: Header=BB126_7 Depth=1
	s_andn2_saveexec_b64 s[0:1], s[4:5]
	s_cbranch_execz .LBB126_47
; %bb.39:                               ;   in Loop: Header=BB126_7 Depth=1
	s_mul_i32 s12, s33, 5
	v_cmp_gt_i32_e32 vcc, s12, v118
	s_and_saveexec_b64 s[4:5], vcc
	s_cbranch_execz .LBB126_46
; %bb.40:                               ;   in Loop: Header=BB126_7 Depth=1
	scratch_load_dwordx2 v[0:1], off, off offset:80 ; 8-byte Folded Reload
	s_mul_i32 s6, s72, s27
	s_ashr_i32 s7, s6, 31
	s_add_u32 s6, s18, s6
	s_addc_u32 s7, s19, s7
	s_ashr_i32 s8, s47, 31
	s_add_u32 s6, s6, s47
	s_addc_u32 s7, s7, s8
	s_waitcnt vmcnt(0)
	v_lshl_add_u64 v[0:1], s[6:7], 0, v[0:1]
	v_lshl_add_u64 v[8:9], v[0:1], 0, v[14:15]
	s_mov_b64 s[6:7], 0
	s_branch .LBB126_42
.LBB126_41:                             ;   in Loop: Header=BB126_42 Depth=2
	s_or_b64 exec, exec, s[8:9]
	v_lshl_or_b32 v12, v10, 11, v16
	;;#ASMSTART
	s_waitcnt vmcnt(1)
	;;#ASMEND
	ds_write2_b32 v12, v4, v5 offset1:32
	ds_write2_b32 v12, v6, v7 offset0:64 offset1:96
	v_add_u32_e32 v4, 0x400, v12
	v_add_u32_e32 v118, s30, v118
	;;#ASMSTART
	s_waitcnt vmcnt(0)
	;;#ASMEND
	ds_write2_b32 v4, v0, v1 offset1:32
	ds_write2_b32 v4, v2, v3 offset0:64 offset1:96
	v_add_u32_e32 v0, 1, v95
	v_add_u32_e32 v88, s30, v10
	v_cmp_le_i32_e32 vcc, s12, v118
	ds_write_b32 v11, v0 offset:16
	v_add_u32_e32 v0, 2, v95
	s_or_b64 s[6:7], vcc, s[6:7]
	v_cmp_lt_i32_e32 vcc, 19, v88
	s_nop 1
	v_cndmask_b32_e32 v95, v95, v0, vcc
	s_andn2_b64 exec, exec, s[6:7]
	s_cbranch_execz .LBB126_45
.LBB126_42:                             ;   Parent Loop BB126_7 Depth=1
                                        ; =>  This Loop Header: Depth=2
                                        ;       Child Loop BB126_44 Depth 3
	v_cmp_gt_i32_e32 vcc, 20, v88
	s_mov_b32 s8, 0x66666667
	s_nop 0
	v_cndmask_b32_e64 v0, v19, 0, vcc
	v_add_u32_e32 v10, v0, v88
	v_mul_hi_i32 v0, v118, s8
	v_lshrrev_b32_e32 v1, 31, v0
	v_ashrrev_i32_e32 v0, 1, v0
	v_add_u32_e32 v0, v0, v1
	v_lshl_add_u32 v1, v0, 2, v0
	v_sub_u32_e32 v2, v118, v1
	v_lshlrev_b32_e32 v0, 6, v0
	v_ashrrev_i32_e32 v1, 31, v0
	v_mul_lo_u32 v2, s98, v2
	v_lshl_add_u64 v[0:1], v[8:9], 0, v[0:1]
	v_ashrrev_i32_e32 v3, 31, v2
	v_lshl_add_u64 v[0:1], v[0:1], 0, v[2:3]
	v_lshlrev_b32_e32 v11, 2, v10
	;;#ASMSTART
	global_load_dwordx4 v[4:7], v[0:1], off offset:0   sc0 sc1 nt  
	global_load_dwordx4 v[0:3], v[0:1], off offset:32  sc0 sc1 nt  
	
	;;#ASMEND
	ds_read_b32 v12, v11 offset:49168
	v_add_u32_e32 v11, 0xc000, v11
	s_waitcnt lgkmcnt(0)
	v_cmp_ne_u32_e32 vcc, v12, v95
	s_and_saveexec_b64 s[8:9], vcc
	s_cbranch_execz .LBB126_41
; %bb.43:                               ;   in Loop: Header=BB126_42 Depth=2
	s_mov_b64 s[10:11], 0
.LBB126_44:                             ;   Parent Loop BB126_7 Depth=1
                                        ;     Parent Loop BB126_42 Depth=2
                                        ; =>    This Inner Loop Header: Depth=3
	;;#ASMSTART
	s_sleep 0
	;;#ASMEND
	ds_read_b32 v12, v11 offset:16
	s_waitcnt lgkmcnt(0)
	v_cmp_eq_u32_e32 vcc, v12, v95
	s_or_b64 s[10:11], vcc, s[10:11]
	s_andn2_b64 exec, exec, s[10:11]
	s_cbranch_execnz .LBB126_44
	s_branch .LBB126_41
.LBB126_45:                             ;   in Loop: Header=BB126_7 Depth=1
	s_or_b64 exec, exec, s[6:7]
.LBB126_46:                             ;   in Loop: Header=BB126_7 Depth=1
	s_or_b64 exec, exec, s[4:5]
	v_subrev_u32_e32 v118, s12, v118
.LBB126_47:                             ;   in Loop: Header=BB126_7 Depth=1
	s_or_b64 exec, exec, s[0:1]
.LBB126_48:                             ;   in Loop: Header=BB126_7 Depth=1
	s_andn2_saveexec_b64 s[0:1], s[96:97]
	s_cbranch_execz .LBB126_6
; %bb.49:                               ;   in Loop: Header=BB126_7 Depth=1
	v_cmp_gt_i32_e32 vcc, s33, v118
	s_and_saveexec_b64 s[4:5], vcc
	s_cbranch_execz .LBB126_5
; %bb.50:                               ;   in Loop: Header=BB126_7 Depth=1
	s_mul_i32 s3, s3, s26
	s_ashr_i32 s6, s3, 31
	s_add_u32 s3, s16, s3
	s_addc_u32 s7, s17, s6
	s_ashr_i32 s8, s47, 31
	s_waitcnt vmcnt(1)
	v_cmp_le_i32_e32 vcc, s80, v17
	s_add_u32 s6, s3, s47
	s_addc_u32 s7, s7, s8
	s_waitcnt vmcnt(0)
	v_cndmask_b32_e32 v0, 0, v18, vcc
	v_ashrrev_i32_e32 v1, 31, v0
	v_lshl_add_u64 v[0:1], s[6:7], 0, v[0:1]
	v_lshl_add_u64 v[8:9], v[0:1], 0, v[14:15]
	s_mov_b64 s[6:7], 0
	s_branch .LBB126_52
.LBB126_51:                             ;   in Loop: Header=BB126_52 Depth=2
	s_or_b64 exec, exec, s[8:9]
	v_lshl_add_u32 v12, v10, 11, v114
	;;#ASMSTART
	s_waitcnt vmcnt(1)
	;;#ASMEND
	ds_write2_b32 v12, v4, v5 offset1:32
	ds_write2_b32 v12, v6, v7 offset0:64 offset1:96
	v_add_u32_e32 v4, 0x400, v12
	v_add_u32_e32 v118, s29, v118
	;;#ASMSTART
	s_waitcnt vmcnt(0)
	;;#ASMEND
	ds_write2_b32 v4, v0, v1 offset1:32
	ds_write2_b32 v4, v2, v3 offset0:64 offset1:96
	v_add_u32_e32 v0, 1, v95
	v_add_u32_e32 v88, s29, v10
	v_cmp_le_i32_e32 vcc, s33, v118
	ds_write_b32 v11, v0
	v_add_u32_e32 v0, 2, v95
	s_or_b64 s[6:7], vcc, s[6:7]
	v_cmp_lt_i32_e32 vcc, 3, v88
	s_nop 1
	v_cndmask_b32_e32 v95, v95, v0, vcc
	s_andn2_b64 exec, exec, s[6:7]
	s_cbranch_execz .LBB126_4
.LBB126_52:                             ;   Parent Loop BB126_7 Depth=1
                                        ; =>  This Loop Header: Depth=2
                                        ;       Child Loop BB126_54 Depth 3
	v_cmp_gt_i32_e32 vcc, 4, v88
	s_nop 1
	v_cndmask_b32_e64 v0, -4, 0, vcc
	v_add_u32_e32 v10, v0, v88
	v_lshlrev_b32_e32 v0, 6, v118
	v_ashrrev_i32_e32 v1, 31, v0
	v_lshl_add_u64 v[0:1], v[8:9], 0, v[0:1]
	v_lshlrev_b32_e32 v11, 2, v10
	;;#ASMSTART
	global_load_dwordx4 v[4:7], v[0:1], off offset:0   
	global_load_dwordx4 v[0:3], v[0:1], off offset:32  
	
	;;#ASMEND
	ds_read_b32 v12, v11 offset:49152
	v_add_u32_e32 v11, 0xc000, v11
	s_waitcnt lgkmcnt(0)
	v_cmp_ne_u32_e32 vcc, v12, v95
	s_and_saveexec_b64 s[8:9], vcc
	s_cbranch_execz .LBB126_51
; %bb.53:                               ;   in Loop: Header=BB126_52 Depth=2
	s_mov_b64 s[10:11], 0
.LBB126_54:                             ;   Parent Loop BB126_7 Depth=1
                                        ;     Parent Loop BB126_52 Depth=2
                                        ; =>    This Inner Loop Header: Depth=3
	;;#ASMSTART
	s_sleep 0
	;;#ASMEND
	ds_read_b32 v12, v11
	s_waitcnt lgkmcnt(0)
	v_cmp_eq_u32_e32 vcc, v12, v95
	s_or_b64 s[10:11], vcc, s[10:11]
	s_andn2_b64 exec, exec, s[10:11]
	s_cbranch_execnz .LBB126_54
	s_branch .LBB126_51
.LBB126_55:
	s_endpgm
	.section	.rodata,"a",@progbits
	.p2align	6, 0x0
	.amdhsa_kernel _Z19_skinny_gemm_kernelILi1ELi5ELi4ELi32ELi4EEvPKhS1_P6__halfPKfiiiiiiii
		.amdhsa_group_segment_fixed_size 49248
		.amdhsa_private_segment_fixed_size 108
		.amdhsa_kernarg_size 64
		.amdhsa_user_sgpr_count 2
		.amdhsa_user_sgpr_dispatch_ptr 0
		.amdhsa_user_sgpr_queue_ptr 0
		.amdhsa_user_sgpr_kernarg_segment_ptr 1
		.amdhsa_user_sgpr_dispatch_id 0
		.amdhsa_user_sgpr_kernarg_preload_length 0
		.amdhsa_user_sgpr_kernarg_preload_offset 0
		.amdhsa_user_sgpr_private_segment_size 0
		.amdhsa_uses_dynamic_stack 0
		.amdhsa_enable_private_segment 1
		.amdhsa_system_sgpr_workgroup_id_x 1
		.amdhsa_system_sgpr_workgroup_id_y 0
		.amdhsa_system_sgpr_workgroup_id_z 0
		.amdhsa_system_sgpr_workgroup_info 0
		.amdhsa_system_vgpr_workitem_id 0
		.amdhsa_next_free_vgpr 128
		.amdhsa_next_free_sgpr 100
		.amdhsa_accum_offset 128
		.amdhsa_reserve_vcc 1
		.amdhsa_float_round_mode_32 0
		.amdhsa_float_round_mode_16_64 0
		.amdhsa_float_denorm_mode_32 3
		.amdhsa_float_denorm_mode_16_64 3
		.amdhsa_dx10_clamp 1
		.amdhsa_ieee_mode 1
		.amdhsa_fp16_overflow 0
		.amdhsa_tg_split 0
		.amdhsa_exception_fp_ieee_invalid_op 0
		.amdhsa_exception_fp_denorm_src 0
		.amdhsa_exception_fp_ieee_div_zero 0
		.amdhsa_exception_fp_ieee_overflow 0
		.amdhsa_exception_fp_ieee_underflow 0
		.amdhsa_exception_fp_ieee_inexact 0
		.amdhsa_exception_int_div_zero 0
	.end_amdhsa_kernel
	.section	.text._Z19_skinny_gemm_kernelILi1ELi5ELi4ELi32ELi4EEvPKhS1_P6__halfPKfiiiiiiii,"axG",@progbits,_Z19_skinny_gemm_kernelILi1ELi5ELi4ELi32ELi4EEvPKhS1_P6__halfPKfiiiiiiii,comdat
.Lfunc_end126:
	.size	_Z19_skinny_gemm_kernelILi1ELi5ELi4ELi32ELi4EEvPKhS1_P6__halfPKfiiiiiiii, .Lfunc_end126-_Z19_skinny_gemm_kernelILi1ELi5ELi4ELi32ELi4EEvPKhS1_P6__halfPKfiiiiiiii
                                        ; -- End function
	.set _Z19_skinny_gemm_kernelILi1ELi5ELi4ELi32ELi4EEvPKhS1_P6__halfPKfiiiiiiii.num_vgpr, 128
	.set _Z19_skinny_gemm_kernelILi1ELi5ELi4ELi32ELi4EEvPKhS1_P6__halfPKfiiiiiiii.num_agpr, 0
	.set _Z19_skinny_gemm_kernelILi1ELi5ELi4ELi32ELi4EEvPKhS1_P6__halfPKfiiiiiiii.numbered_sgpr, 100
	.set _Z19_skinny_gemm_kernelILi1ELi5ELi4ELi32ELi4EEvPKhS1_P6__halfPKfiiiiiiii.num_named_barrier, 0
	.set _Z19_skinny_gemm_kernelILi1ELi5ELi4ELi32ELi4EEvPKhS1_P6__halfPKfiiiiiiii.private_seg_size, 108
	.set _Z19_skinny_gemm_kernelILi1ELi5ELi4ELi32ELi4EEvPKhS1_P6__halfPKfiiiiiiii.uses_vcc, 1
	.set _Z19_skinny_gemm_kernelILi1ELi5ELi4ELi32ELi4EEvPKhS1_P6__halfPKfiiiiiiii.uses_flat_scratch, 0
	.set _Z19_skinny_gemm_kernelILi1ELi5ELi4ELi32ELi4EEvPKhS1_P6__halfPKfiiiiiiii.has_dyn_sized_stack, 0
	.set _Z19_skinny_gemm_kernelILi1ELi5ELi4ELi32ELi4EEvPKhS1_P6__halfPKfiiiiiiii.has_recursion, 0
	.set _Z19_skinny_gemm_kernelILi1ELi5ELi4ELi32ELi4EEvPKhS1_P6__halfPKfiiiiiiii.has_indirect_call, 0
	.section	.AMDGPU.csdata,"",@progbits
; Kernel info:
; codeLenInByte = 16708
; TotalNumSgprs: 106
; NumVgprs: 128
; NumAgprs: 0
; TotalNumVgprs: 128
; ScratchSize: 108
; MemoryBound: 0
; FloatMode: 240
; IeeeMode: 1
; LDSByteSize: 49248 bytes/workgroup (compile time only)
; SGPRBlocks: 13
; VGPRBlocks: 15
; NumSGPRsForWavesPerEU: 106
; NumVGPRsForWavesPerEU: 128
; AccumOffset: 128
; Occupancy: 4
; WaveLimiterHint : 0
; COMPUTE_PGM_RSRC2:SCRATCH_EN: 1
; COMPUTE_PGM_RSRC2:USER_SGPR: 2
; COMPUTE_PGM_RSRC2:TRAP_HANDLER: 0
; COMPUTE_PGM_RSRC2:TGID_X_EN: 1
; COMPUTE_PGM_RSRC2:TGID_Y_EN: 0
; COMPUTE_PGM_RSRC2:TGID_Z_EN: 0
; COMPUTE_PGM_RSRC2:TIDIG_COMP_CNT: 0
; COMPUTE_PGM_RSRC3_GFX90A:ACCUM_OFFSET: 31
; COMPUTE_PGM_RSRC3_GFX90A:TG_SPLIT: 0
	.section	.text._Z19_skinny_gemm_kernelILi1ELi5ELi5ELi16ELi4EEvPKhS1_P6__halfPKfiiiiiiii,"axG",@progbits,_Z19_skinny_gemm_kernelILi1ELi5ELi5ELi16ELi4EEvPKhS1_P6__halfPKfiiiiiiii,comdat
	.protected	_Z19_skinny_gemm_kernelILi1ELi5ELi5ELi16ELi4EEvPKhS1_P6__halfPKfiiiiiiii ; -- Begin function _Z19_skinny_gemm_kernelILi1ELi5ELi5ELi16ELi4EEvPKhS1_P6__halfPKfiiiiiiii
	.globl	_Z19_skinny_gemm_kernelILi1ELi5ELi5ELi16ELi4EEvPKhS1_P6__halfPKfiiiiiiii
	.p2align	8
	.type	_Z19_skinny_gemm_kernelILi1ELi5ELi5ELi16ELi4EEvPKhS1_P6__halfPKfiiiiiiii,@function
_Z19_skinny_gemm_kernelILi1ELi5ELi5ELi16ELi4EEvPKhS1_P6__halfPKfiiiiiiii: ; @_Z19_skinny_gemm_kernelILi1ELi5ELi5ELi16ELi4EEvPKhS1_P6__halfPKfiiiiiiii
; %bb.0:
	v_cmp_gt_u32_e32 vcc, 30, v0
	v_lshlrev_b32_e32 v1, 2, v0
	s_and_saveexec_b64 s[4:5], vcc
; %bb.1:
	v_mov_b32_e32 v2, 0
	ds_write_b32 v1, v2 offset:61440
; %bb.2:
	s_or_b64 exec, exec, s[4:5]
	s_load_dwordx8 s[20:27], s[0:1], 0x20
	s_mov_b32 s54, 0x66666667
	s_waitcnt lgkmcnt(0)
	s_barrier
	s_add_i32 s3, s20, 15
	s_ashr_i32 s5, s3, 31
	s_lshr_b32 s5, s5, 28
	s_add_i32 s4, s21, 0x4f
	s_add_i32 s3, s3, s5
	s_ashr_i32 s33, s3, 4
	s_mul_hi_i32 s3, s4, 0x66666667
	s_lshr_b32 s4, s3, 31
	s_ashr_i32 s52, s3, 5
	s_add_i32 s52, s52, s4
	s_mul_i32 s3, s52, s33
	s_mul_i32 s3, s3, s24
	s_add_i32 s4, s3, 0x12f
	s_mul_hi_i32 s4, s4, 0x6bca1af3
	s_lshr_b32 s5, s4, 31
	s_ashr_i32 s4, s4, 7
	s_add_i32 s4, s4, s5
	s_add_i32 s5, s2, 1
	s_mul_i32 s5, s4, s5
	v_cvt_f64_i32_e32 v[2:3], s3
	v_cvt_f64_u32_e32 v[4:5], s5
	v_min_f64 v[2:3], v[2:3], v[4:5]
	v_cvt_i32_f64_e32 v21, v[2:3]
	s_mul_i32 s53, s4, s2
	v_cmp_ge_i32_e32 vcc, s53, v21
	s_cbranch_vccnz .LBB127_54
; %bb.3:
	v_lshrrev_b32_e32 v2, 6, v0
	s_add_i32 s4, s26, s25
	s_load_dwordx8 s[36:43], s[0:1], 0x0
	v_cmp_le_i32_e64 s[0:1], s4, v2
	v_mov_b32_e32 v3, s25
	v_cmp_le_i32_e64 s[2:3], s25, v2
	v_mov_b32_e32 v4, s26
	v_cndmask_b32_e64 v4, 0, v4, s[0:1]
	v_cndmask_b32_e64 v3, 0, v3, s[2:3]
	s_abs_i32 s5, s24
	v_add_u32_e32 v3, v3, v4
	v_cvt_f32_u32_e32 v4, s5
	v_sub_u32_e32 v28, v2, v3
	s_ashr_i32 s6, s22, 31
	s_lshr_b32 s6, s6, 25
	v_rcp_iflag_f32_e32 v3, v4
	s_sub_i32 s9, 0, s5
	s_add_i32 s6, s22, s6
	s_ashr_i32 s6, s6, 7
	v_mul_f32_e32 v3, 0x4f7ffffe, v3
	v_cvt_u32_f32_e32 v3, v3
	s_abs_i32 s8, s6
	s_xor_b32 s7, s6, s24
	s_ashr_i32 s7, s7, 31
	v_readfirstlane_b32 s10, v3
	s_mul_i32 s9, s9, s10
	s_mul_hi_u32 s9, s10, s9
	s_add_i32 s10, s10, s9
	s_mul_hi_u32 s9, s8, s10
	s_mul_i32 s10, s9, s5
	s_sub_i32 s8, s8, s10
	s_add_i32 s10, s9, 1
	s_sub_i32 s11, s8, s5
	s_cmp_ge_u32 s8, s5
	s_cselect_b32 s9, s10, s9
	s_cselect_b32 s8, s11, s8
	s_add_i32 s10, s9, 1
	s_cmp_ge_u32 s8, s5
	s_cselect_b32 s5, s10, s9
	s_xor_b32 s5, s5, s7
	s_sub_i32 s55, s5, s7
	s_add_i32 s24, s24, -1
	s_mul_i32 s5, s55, s24
	s_add_i32 s4, s4, s27
	s_sub_i32 s56, s6, s5
	v_cmp_gt_i32_e64 s[4:5], s4, v2
	v_lshlrev_b32_e32 v2, 1, v0
	v_lshlrev_b32_e32 v3, 4, v0
	v_and_b32_e32 v1, 60, v1
	v_and_b32_e32 v2, 64, v2
	;; [unrolled: 1-line block ×3, first 2 shown]
	s_abs_i32 s57, s33
	v_or3_b32 v41, v1, v2, v4
	v_and_b32_e32 v1, 1, v0
	v_cvt_f32_u32_e32 v6, s57
	v_lshlrev_b32_e32 v2, 1, v1
	v_lshrrev_b32_e32 v4, 2, v0
	v_and_b32_e32 v20, 14, v0
	v_sub_u32_e32 v2, v0, v2
	v_and_or_b32 v42, v4, 12, v1
	v_bitop3_b32 v43, v0, 1, v0 bitop3:0xc
	v_bitop3_b32 v44, v0, 3, 1 bitop3:0x6c
	v_and_b32_e32 v24, 48, v3
	v_bfe_u32 v1, v0, 2, 4
	v_and_b32_e32 v3, 60, v0
	v_lshlrev_b32_e32 v5, 8, v0
	v_lshlrev_b32_e32 v0, 6, v0
	v_and_b32_e32 v5, 0x200, v5
	v_and_b32_e32 v0, 64, v0
	v_or3_b32 v48, v3, v5, v0
	v_rcp_iflag_f32_e32 v0, v6
	s_abs_i32 s59, s52
	v_mul_lo_u32 v26, s23, v1
	v_mul_lo_u32 v50, s22, v1
	v_cvt_f32_u32_e32 v1, s59
	v_mul_f32_e32 v0, 0x4f7ffffe, v0
	v_cvt_u32_f32_e32 v0, v0
	v_mad_u64_u32 v[22:23], s[6:7], s21, v42, v[20:21]
	v_rcp_iflag_f32_e32 v1, v1
	v_readfirstlane_b32 s7, v0
	s_sub_i32 s6, 0, s57
	s_mul_i32 s6, s6, s7
	v_mul_f32_e32 v0, 0x4f7ffffe, v1
	v_cvt_u32_f32_e32 v0, v0
	s_mul_hi_u32 s6, s7, s6
	v_add_u32_e32 v2, 1, v2
	s_add_i32 s61, s7, s6
	s_sub_i32 s6, 0, s59
	v_readfirstlane_b32 s7, v0
	v_mbcnt_lo_u32_b32 v0, -1, 0
	v_and_b32_e32 v2, 63, v2
	s_mul_i32 s6, s6, s7
	v_mbcnt_hi_u32_b32 v0, -1, v0
	s_mul_hi_u32 s6, s7, s6
	v_and_or_b32 v0, v0, 64, v2
	v_cndmask_b32_e64 v40, 0, 1, s[0:1]
	v_or_b32_e32 v45, 32, v20
	v_or_b32_e32 v46, 48, v20
	;; [unrolled: 1-line block ×3, first 2 shown]
	v_ashrrev_i32_e32 v23, 31, v22
	s_ashr_i32 s29, s21, 31
	s_mov_b32 s28, s21
	v_ashrrev_i32_e32 v27, 31, v26
	v_mov_b32_e32 v25, 0
	s_lshl_b32 s58, s23, 4
	v_bitop3_b32 v49, v4, 15, v4 bitop3:0xc
	v_or_b32_e32 v51, 0xc800, v48
	s_ashr_i32 s60, s33, 31
	s_ashr_i32 s62, s52, 31
	s_add_i32 s63, s7, s6
	s_movk_i32 s64, 0x2800
	s_mov_b64 s[30:31], 0x60
	s_mov_b64 s[34:35], 0x80
	v_lshlrev_b32_e32 v52, 2, v0
	v_not_b32_e32 v53, 24
	v_mov_b32_e32 v54, v28
	s_branch .LBB127_7
.LBB127_4:                              ;   in Loop: Header=BB127_7 Depth=1
	s_or_b64 exec, exec, s[10:11]
.LBB127_5:                              ;   in Loop: Header=BB127_7 Depth=1
	s_or_b64 exec, exec, s[8:9]
	v_subrev_u32_e32 v54, s65, v54
.LBB127_6:                              ;   in Loop: Header=BB127_7 Depth=1
	s_or_b64 exec, exec, s[6:7]
	s_add_i32 s53, s53, 1
	v_cmp_ge_i32_e32 vcc, s53, v21
	s_cbranch_vccnz .LBB127_54
.LBB127_7:                              ; =>This Loop Header: Depth=1
                                        ;     Child Loop BB127_13 Depth 2
                                        ;       Child Loop BB127_15 Depth 3
                                        ;       Child Loop BB127_18 Depth 3
	;; [unrolled: 1-line block ×6, first 2 shown]
                                        ;     Child Loop BB127_41 Depth 2
                                        ;       Child Loop BB127_43 Depth 3
                                        ;     Child Loop BB127_51 Depth 2
                                        ;       Child Loop BB127_53 Depth 3
	s_abs_i32 s7, s53
	s_mul_hi_u32 s8, s7, s61
	s_mul_i32 s9, s8, s57
	s_ashr_i32 s6, s53, 31
	s_sub_i32 s7, s7, s9
	s_xor_b32 s6, s6, s60
	s_add_i32 s9, s8, 1
	s_sub_i32 s10, s7, s57
	s_cmp_ge_u32 s7, s57
	s_cselect_b32 s8, s9, s8
	s_cselect_b32 s7, s10, s7
	s_add_i32 s9, s8, 1
	s_cmp_ge_u32 s7, s57
	s_cselect_b32 s7, s9, s8
	s_xor_b32 s7, s7, s6
	s_sub_i32 s6, s7, s6
	s_abs_i32 s8, s6
	s_mul_i32 s7, s6, s33
	s_mul_hi_u32 s9, s8, s63
	s_sub_i32 s7, s53, s7
	s_mul_i32 s10, s9, s59
	s_lshl_b32 s66, s7, 4
	s_ashr_i32 s7, s6, 31
	s_sub_i32 s8, s8, s10
	s_xor_b32 s7, s7, s62
	s_add_i32 s10, s9, 1
	s_sub_i32 s11, s8, s59
	s_cmp_ge_u32 s8, s59
	s_cselect_b32 s9, s10, s9
	s_cselect_b32 s8, s11, s8
	s_add_i32 s10, s9, 1
	s_cmp_ge_u32 s8, s59
	s_cselect_b32 s8, s10, s9
	s_xor_b32 s8, s8, s7
	s_sub_i32 s7, s8, s7
	s_mul_i32 s8, s7, s55
	s_lshl_b32 s67, s8, 7
	s_cmp_eq_u32 s7, s24
	s_cselect_b32 s65, s56, s55
	s_sub_i32 s68, s66, s20
	s_add_i32 s68, s68, 16
	s_and_saveexec_b64 s[8:9], s[2:3]
	s_xor_b64 s[44:45], exec, s[8:9]
	s_cbranch_execz .LBB127_47
; %bb.8:                                ;   in Loop: Header=BB127_7 Depth=1
	s_mul_i32 s7, s7, s52
	s_sub_i32 s6, s6, s7
	s_mulk_i32 s6, 0x50
	s_sub_i32 s47, s6, s21
	s_addk_i32 s47, 0x50
	s_max_i32 s7, s47, 0
	s_sub_i32 s46, s6, s7
	s_and_saveexec_b64 s[6:7], s[0:1]
	s_xor_b64 s[48:49], exec, s[6:7]
	s_cbranch_execz .LBB127_37
; %bb.9:                                ;   in Loop: Header=BB127_7 Depth=1
	s_and_saveexec_b64 s[50:51], s[4:5]
	s_cbranch_execz .LBB127_36
; %bb.10:                               ;   in Loop: Header=BB127_7 Depth=1
	s_waitcnt lgkmcnt(0)
	global_load_dword v55, v25, s[42:43]
	v_mov_b32_e32 v19, 0
	v_cmp_gt_i32_e32 vcc, s65, v54
	v_mov_b32_e32 v18, v19
	v_mov_b32_e32 v17, v19
	;; [unrolled: 1-line block ×19, first 2 shown]
	s_and_saveexec_b64 s[6:7], vcc
	s_cbranch_execz .LBB127_32
; %bb.11:                               ;   in Loop: Header=BB127_7 Depth=1
	v_mov_b32_e32 v0, 0
	s_mov_b64 s[8:9], 0
	v_mov_b32_e32 v1, v0
	v_mov_b32_e32 v2, v0
	;; [unrolled: 1-line block ×19, first 2 shown]
	s_branch .LBB127_13
.LBB127_12:                             ;   in Loop: Header=BB127_13 Depth=2
	s_or_b64 exec, exec, s[10:11]
	v_add_u32_e32 v37, 0x2000, v36
	ds_read2_b32 v[38:39], v37 offset1:32
	v_add_u32_e32 v54, s27, v54
	v_cmp_le_i32_e32 vcc, s65, v54
	s_or_b64 s[8:9], vcc, s[8:9]
	s_waitcnt lgkmcnt(0)
	v_mfma_f32_16x16x32_fp8_fp8 v[0:3], v[28:29], v[38:39], v[0:3]
	ds_read2_b32 v[28:29], v37 offset0:128 offset1:160
	v_add_u32_e32 v38, 0x2400, v36
	ds_read2_b32 v[36:37], v38 offset1:32
	s_waitcnt lgkmcnt(1)
	v_mfma_f32_16x16x32_fp8_fp8 v[0:3], v[34:35], v[28:29], v[0:3]
	ds_read2_b32 v[34:35], v38 offset0:128 offset1:160
	v_add_u32_e32 v28, s27, v57
	v_add_u32_e32 v29, 2, v40
	s_waitcnt lgkmcnt(1)
	v_mfma_f32_16x16x32_fp8_fp8 v[0:3], v[32:33], v[36:37], v[0:3]
	v_cmp_lt_i32_e32 vcc, 4, v28
	;;#ASMSTART
	s_waitcnt lgkmcnt(0)
	;;#ASMEND
	ds_write_b32 v56, v58 offset:61476
	s_waitcnt lgkmcnt(1)
	v_mfma_f32_16x16x32_fp8_fp8 v[0:3], v[30:31], v[34:35], v[0:3]
	v_cndmask_b32_e32 v40, v40, v29, vcc
	s_andn2_b64 exec, exec, s[8:9]
	s_cbranch_execz .LBB127_31
.LBB127_13:                             ;   Parent Loop BB127_7 Depth=1
                                        ; =>  This Loop Header: Depth=2
                                        ;       Child Loop BB127_15 Depth 3
                                        ;       Child Loop BB127_18 Depth 3
	;; [unrolled: 1-line block ×6, first 2 shown]
	v_cmp_gt_i32_e32 vcc, 5, v28
	s_nop 1
	v_cndmask_b32_e64 v29, -5, 0, vcc
	v_add_u32_e32 v57, v29, v28
	v_mul_lo_u32 v56, v57, 20
	ds_read_b32 v28, v56 offset:61460
	s_waitcnt lgkmcnt(0)
	v_cmp_ne_u32_e32 vcc, v28, v40
	s_and_saveexec_b64 s[10:11], vcc
	s_cbranch_execz .LBB127_16
; %bb.14:                               ;   in Loop: Header=BB127_13 Depth=2
	s_mov_b64 s[12:13], 0
.LBB127_15:                             ;   Parent Loop BB127_7 Depth=1
                                        ;     Parent Loop BB127_13 Depth=2
                                        ; =>    This Inner Loop Header: Depth=3
	;;#ASMSTART
	s_sleep 0
	;;#ASMEND
	ds_read_b32 v28, v56 offset:61460
	s_waitcnt lgkmcnt(0)
	v_cmp_eq_u32_e32 vcc, v28, v40
	s_or_b64 s[12:13], vcc, s[12:13]
	s_andn2_b64 exec, exec, s[12:13]
	s_cbranch_execnz .LBB127_15
.LBB127_16:                             ;   in Loop: Header=BB127_13 Depth=2
	s_or_b64 exec, exec, s[10:11]
	v_mul_lo_u32 v59, v57, s64
	v_or_b32_e32 v28, v41, v59
	ds_read2_b32 v[32:33], v28 offset1:32
	ds_read2_b32 v[30:31], v28 offset0:128 offset1:160
	v_add_u32_e32 v28, 0x400, v28
	ds_read2_b32 v[38:39], v28 offset1:32
	ds_read2_b32 v[36:37], v28 offset0:128 offset1:160
	v_lshlrev_b32_e32 v28, 2, v57
	;;#ASMSTART
	s_waitcnt lgkmcnt(0)
	;;#ASMEND
	ds_read_b32 v29, v28 offset:61440
	v_add_u32_e32 v58, 1, v40
	v_add_u32_e32 v60, 0xf000, v28
	ds_write_b32 v56, v58 offset:61460
	s_waitcnt lgkmcnt(1)
	v_cmp_ne_u32_e32 vcc, v29, v40
	s_and_saveexec_b64 s[10:11], vcc
	s_cbranch_execz .LBB127_19
; %bb.17:                               ;   in Loop: Header=BB127_13 Depth=2
	s_mov_b64 s[12:13], 0
.LBB127_18:                             ;   Parent Loop BB127_7 Depth=1
                                        ;     Parent Loop BB127_13 Depth=2
                                        ; =>    This Inner Loop Header: Depth=3
	;;#ASMSTART
	s_sleep 0
	;;#ASMEND
	ds_read_b32 v28, v60
	s_waitcnt lgkmcnt(0)
	v_cmp_eq_u32_e32 vcc, v28, v40
	s_or_b64 s[12:13], vcc, s[12:13]
	s_andn2_b64 exec, exec, s[12:13]
	s_cbranch_execnz .LBB127_18
.LBB127_19:                             ;   in Loop: Header=BB127_13 Depth=2
	s_or_b64 exec, exec, s[10:11]
	v_or_b32_e32 v28, 0xc800, v41
	v_lshl_add_u32 v61, v57, 11, v28
	ds_read2_b32 v[28:29], v61 offset1:32
	ds_read2_b32 v[34:35], v61 offset0:128 offset1:160
	v_add_u32_e32 v61, 0x400, v61
	s_waitcnt lgkmcnt(1)
	v_mfma_f32_16x16x32_fp8_fp8 v[16:19], v[28:29], v[32:33], v[16:19]
	ds_read2_b32 v[32:33], v61 offset1:32
	s_waitcnt lgkmcnt(1)
	v_mfma_f32_16x16x32_fp8_fp8 v[16:19], v[34:35], v[30:31], v[16:19]
	s_waitcnt lgkmcnt(0)
	v_mfma_f32_16x16x32_fp8_fp8 v[16:19], v[32:33], v[38:39], v[16:19]
	ds_read2_b32 v[30:31], v61 offset0:128 offset1:160
	ds_read_b32 v38, v56 offset:61464
	ds_write_b32 v60, v58
	s_waitcnt lgkmcnt(1)
	v_cmp_ne_u32_e32 vcc, v38, v40
	v_mfma_f32_16x16x32_fp8_fp8 v[16:19], v[30:31], v[36:37], v[16:19]
	s_and_saveexec_b64 s[10:11], vcc
	s_cbranch_execz .LBB127_22
; %bb.20:                               ;   in Loop: Header=BB127_13 Depth=2
	s_mov_b64 s[12:13], 0
.LBB127_21:                             ;   Parent Loop BB127_7 Depth=1
                                        ;     Parent Loop BB127_13 Depth=2
                                        ; =>    This Inner Loop Header: Depth=3
	;;#ASMSTART
	s_sleep 0
	;;#ASMEND
	ds_read_b32 v36, v56 offset:61464
	s_waitcnt lgkmcnt(0)
	v_cmp_eq_u32_e32 vcc, v36, v40
	s_or_b64 s[12:13], vcc, s[12:13]
	s_andn2_b64 exec, exec, s[12:13]
	s_cbranch_execnz .LBB127_21
.LBB127_22:                             ;   in Loop: Header=BB127_13 Depth=2
	s_or_b64 exec, exec, s[10:11]
	v_add_u32_e32 v36, v41, v59
	v_add_u32_e32 v37, 0x800, v36
	ds_read2_b32 v[38:39], v37 offset1:32
	s_waitcnt lgkmcnt(0)
	v_mfma_f32_16x16x32_fp8_fp8 v[12:15], v[28:29], v[38:39], v[12:15]
	ds_read2_b32 v[38:39], v37 offset0:128 offset1:160
	v_add_u32_e32 v37, 0xc00, v36
	s_waitcnt lgkmcnt(0)
	v_mfma_f32_16x16x32_fp8_fp8 v[12:15], v[34:35], v[38:39], v[12:15]
	ds_read2_b32 v[38:39], v37 offset1:32
	ds_read2_b32 v[60:61], v37 offset0:128 offset1:160
	;;#ASMSTART
	s_waitcnt lgkmcnt(0)
	;;#ASMEND
	ds_read_b32 v37, v56 offset:61468
	s_waitcnt lgkmcnt(2)
	v_mfma_f32_16x16x32_fp8_fp8 v[12:15], v[32:33], v[38:39], v[12:15]
	ds_write_b32 v56, v58 offset:61464
	s_waitcnt lgkmcnt(1)
	v_cmp_ne_u32_e32 vcc, v37, v40
	v_mfma_f32_16x16x32_fp8_fp8 v[12:15], v[30:31], v[60:61], v[12:15]
	s_and_saveexec_b64 s[10:11], vcc
	s_cbranch_execz .LBB127_25
; %bb.23:                               ;   in Loop: Header=BB127_13 Depth=2
	s_mov_b64 s[12:13], 0
.LBB127_24:                             ;   Parent Loop BB127_7 Depth=1
                                        ;     Parent Loop BB127_13 Depth=2
                                        ; =>    This Inner Loop Header: Depth=3
	;;#ASMSTART
	s_sleep 0
	;;#ASMEND
	ds_read_b32 v37, v56 offset:61468
	s_waitcnt lgkmcnt(0)
	v_cmp_eq_u32_e32 vcc, v37, v40
	s_or_b64 s[12:13], vcc, s[12:13]
	s_andn2_b64 exec, exec, s[12:13]
	s_cbranch_execnz .LBB127_24
.LBB127_25:                             ;   in Loop: Header=BB127_13 Depth=2
	s_or_b64 exec, exec, s[10:11]
	v_add_u32_e32 v37, 0x1000, v36
	ds_read2_b32 v[38:39], v37 offset1:32
	s_waitcnt lgkmcnt(0)
	v_mfma_f32_16x16x32_fp8_fp8 v[8:11], v[28:29], v[38:39], v[8:11]
	ds_read2_b32 v[38:39], v37 offset0:128 offset1:160
	v_add_u32_e32 v37, 0x1400, v36
	s_waitcnt lgkmcnt(0)
	v_mfma_f32_16x16x32_fp8_fp8 v[8:11], v[34:35], v[38:39], v[8:11]
	ds_read2_b32 v[38:39], v37 offset1:32
	ds_read2_b32 v[60:61], v37 offset0:128 offset1:160
	;;#ASMSTART
	s_waitcnt lgkmcnt(0)
	;;#ASMEND
	ds_read_b32 v37, v56 offset:61472
	s_waitcnt lgkmcnt(2)
	v_mfma_f32_16x16x32_fp8_fp8 v[8:11], v[32:33], v[38:39], v[8:11]
	ds_write_b32 v56, v58 offset:61468
	s_waitcnt lgkmcnt(1)
	v_cmp_ne_u32_e32 vcc, v37, v40
	v_mfma_f32_16x16x32_fp8_fp8 v[8:11], v[30:31], v[60:61], v[8:11]
	s_and_saveexec_b64 s[10:11], vcc
	s_cbranch_execz .LBB127_28
; %bb.26:                               ;   in Loop: Header=BB127_13 Depth=2
	s_mov_b64 s[12:13], 0
.LBB127_27:                             ;   Parent Loop BB127_7 Depth=1
                                        ;     Parent Loop BB127_13 Depth=2
                                        ; =>    This Inner Loop Header: Depth=3
	;;#ASMSTART
	s_sleep 0
	;;#ASMEND
	ds_read_b32 v37, v56 offset:61472
	s_waitcnt lgkmcnt(0)
	v_cmp_eq_u32_e32 vcc, v37, v40
	s_or_b64 s[12:13], vcc, s[12:13]
	s_andn2_b64 exec, exec, s[12:13]
	s_cbranch_execnz .LBB127_27
.LBB127_28:                             ;   in Loop: Header=BB127_13 Depth=2
	s_or_b64 exec, exec, s[10:11]
	v_add_u32_e32 v37, 0x1800, v36
	ds_read2_b32 v[38:39], v37 offset1:32
	s_waitcnt lgkmcnt(0)
	v_mfma_f32_16x16x32_fp8_fp8 v[4:7], v[28:29], v[38:39], v[4:7]
	ds_read2_b32 v[38:39], v37 offset0:128 offset1:160
	v_add_u32_e32 v37, 0x1c00, v36
	s_waitcnt lgkmcnt(0)
	v_mfma_f32_16x16x32_fp8_fp8 v[4:7], v[34:35], v[38:39], v[4:7]
	ds_read2_b32 v[38:39], v37 offset1:32
	ds_read2_b32 v[60:61], v37 offset0:128 offset1:160
	;;#ASMSTART
	s_waitcnt lgkmcnt(0)
	;;#ASMEND
	ds_read_b32 v37, v56 offset:61476
	s_waitcnt lgkmcnt(2)
	v_mfma_f32_16x16x32_fp8_fp8 v[4:7], v[32:33], v[38:39], v[4:7]
	ds_write_b32 v56, v58 offset:61472
	s_waitcnt lgkmcnt(1)
	v_cmp_ne_u32_e32 vcc, v37, v40
	v_mfma_f32_16x16x32_fp8_fp8 v[4:7], v[30:31], v[60:61], v[4:7]
	s_and_saveexec_b64 s[10:11], vcc
	s_cbranch_execz .LBB127_12
; %bb.29:                               ;   in Loop: Header=BB127_13 Depth=2
	s_mov_b64 s[12:13], 0
.LBB127_30:                             ;   Parent Loop BB127_7 Depth=1
                                        ;     Parent Loop BB127_13 Depth=2
                                        ; =>    This Inner Loop Header: Depth=3
	;;#ASMSTART
	s_sleep 0
	;;#ASMEND
	ds_read_b32 v37, v56 offset:61476
	s_waitcnt lgkmcnt(0)
	v_cmp_eq_u32_e32 vcc, v37, v40
	s_or_b64 s[12:13], vcc, s[12:13]
	s_andn2_b64 exec, exec, s[12:13]
	s_cbranch_execnz .LBB127_30
	s_branch .LBB127_12
.LBB127_31:                             ;   in Loop: Header=BB127_7 Depth=1
	s_or_b64 exec, exec, s[8:9]
.LBB127_32:                             ;   in Loop: Header=BB127_7 Depth=1
	s_or_b64 exec, exec, s[6:7]
	v_cmp_le_i32_e32 vcc, s47, v20
	v_cmp_eq_u32_e64 s[12:13], 1, v43
	v_cmp_eq_u32_e64 s[6:7], 3, v43
	s_waitcnt vmcnt(0)
	v_cndmask_b32_e32 v30, 0, v55, vcc
	v_pk_mul_f32 v[18:19], v[30:31], v[18:19] op_sel_hi:[0,1]
	v_pk_mul_f32 v[30:31], v[30:31], v[16:17] op_sel_hi:[0,1]
	v_cndmask_b32_e64 v16, v30, v31, s[12:13]
	v_cmp_eq_u32_e32 vcc, 2, v43
	v_cmp_eq_u32_e64 s[8:9], 0, v43
	v_cmp_eq_u32_e64 s[10:11], 1, v44
	v_cndmask_b32_e32 v16, v16, v18, vcc
	v_cndmask_b32_e64 v16, v16, v19, s[6:7]
	ds_bpermute_b32 v29, v52, v16
	v_cmp_le_i32_e64 s[18:19], s47, v45
	v_cmp_eq_u32_e64 s[16:17], 3, v44
	s_waitcnt lgkmcnt(0)
	v_cndmask_b32_e64 v16, v19, v29, s[6:7]
	v_cndmask_b32_e64 v19, v30, v29, s[8:9]
	v_or_b32_e32 v30, 16, v20
	v_cmp_le_i32_e64 s[14:15], s47, v30
	v_cndmask_b32_e32 v17, v18, v29, vcc
	v_cndmask_b32_e64 v18, v31, v29, s[12:13]
	v_cndmask_b32_e64 v30, 0, v55, s[14:15]
	v_pk_mul_f32 v[14:15], v[30:31], v[14:15] op_sel_hi:[0,1]
	v_pk_mul_f32 v[30:31], v[30:31], v[12:13] op_sel_hi:[0,1]
	v_cndmask_b32_e64 v12, v30, v31, s[12:13]
	v_cndmask_b32_e32 v12, v12, v14, vcc
	v_cndmask_b32_e64 v12, v12, v15, s[6:7]
	ds_bpermute_b32 v32, v52, v12
	v_cndmask_b32_e64 v29, v19, v18, s[10:11]
	v_cmp_eq_u32_e64 s[14:15], 2, v44
	s_waitcnt lgkmcnt(0)
	v_cndmask_b32_e64 v13, v15, v32, s[6:7]
	v_cndmask_b32_e64 v12, v29, v17, s[14:15]
	;; [unrolled: 1-line block ×4, first 2 shown]
	v_cndmask_b32_e32 v14, v14, v32, vcc
	v_cndmask_b32_e64 v15, v31, v32, s[12:13]
	v_pk_mul_f32 v[32:33], v[30:31], v[8:9] op_sel_hi:[0,1]
	v_pk_mul_f32 v[10:11], v[30:31], v[10:11] op_sel_hi:[0,1]
	v_cndmask_b32_e64 v8, v32, v33, s[12:13]
	v_cndmask_b32_e32 v8, v8, v10, vcc
	v_cndmask_b32_e64 v8, v8, v11, s[6:7]
	ds_bpermute_b32 v31, v52, v8
	v_cmp_le_i32_e64 s[18:19], s47, v46
	v_cndmask_b32_e64 v8, v29, v15, s[10:11]
	v_cndmask_b32_e64 v8, v8, v14, s[14:15]
	;; [unrolled: 1-line block ×3, first 2 shown]
	s_waitcnt lgkmcnt(0)
	v_cndmask_b32_e64 v9, v11, v31, s[6:7]
	v_cndmask_b32_e32 v10, v10, v31, vcc
	v_cndmask_b32_e64 v30, v33, v31, s[12:13]
	v_cndmask_b32_e64 v31, v32, v31, s[8:9]
	;; [unrolled: 1-line block ×3, first 2 shown]
	v_pk_mul_f32 v[6:7], v[32:33], v[6:7] op_sel_hi:[0,1]
	v_pk_mul_f32 v[32:33], v[32:33], v[4:5] op_sel_hi:[0,1]
	v_cndmask_b32_e64 v4, v32, v33, s[12:13]
	v_cndmask_b32_e32 v4, v4, v6, vcc
	v_cndmask_b32_e64 v4, v4, v7, s[6:7]
	ds_bpermute_b32 v11, v52, v4
	v_cmp_le_i32_e64 s[18:19], s47, v47
	v_cndmask_b32_e64 v4, v31, v30, s[10:11]
	v_cndmask_b32_e64 v4, v4, v10, s[14:15]
	;; [unrolled: 1-line block ×3, first 2 shown]
	s_waitcnt lgkmcnt(0)
	v_cndmask_b32_e64 v33, v33, v11, s[12:13]
	v_cndmask_b32_e64 v34, v32, v11, s[8:9]
	;; [unrolled: 1-line block ×3, first 2 shown]
	v_pk_mul_f32 v[38:39], v[32:33], v[0:1] op_sel_hi:[0,1]
	v_pk_mul_f32 v[36:37], v[32:33], v[2:3] op_sel_hi:[0,1]
	v_cndmask_b32_e64 v0, v38, v39, s[12:13]
	v_cndmask_b32_e32 v0, v0, v36, vcc
	v_cndmask_b32_e64 v0, v0, v37, s[6:7]
	ds_bpermute_b32 v1, v52, v0
	v_cndmask_b32_e32 v6, v6, v11, vcc
	v_cndmask_b32_e64 v0, v34, v33, s[10:11]
	v_cndmask_b32_e64 v5, v7, v11, s[6:7]
	;; [unrolled: 1-line block ×4, first 2 shown]
	s_waitcnt lgkmcnt(0)
	v_cndmask_b32_e32 v3, v36, v1, vcc
	v_cmp_ne_u32_e32 vcc, 0, v43
	ds_bpermute_b32 v7, v52, v0
	v_cndmask_b32_e64 v2, v37, v1, s[6:7]
	v_cndmask_b32_e32 v0, v39, v1, vcc
	v_cndmask_b32_e64 v1, v38, v1, s[8:9]
	v_cndmask_b32_e64 v11, v1, v0, s[10:11]
	;; [unrolled: 1-line block ×5, first 2 shown]
	ds_bpermute_b32 v12, v52, v12
	ds_bpermute_b32 v8, v52, v8
	;; [unrolled: 1-line block ×4, first 2 shown]
	s_max_i32 s6, s68, 0
	v_add_u32_e32 v32, s6, v42
	v_cmp_gt_u32_e32 vcc, 16, v32
	s_and_saveexec_b64 s[12:13], vcc
	s_cbranch_execz .LBB127_35
; %bb.33:                               ;   in Loop: Header=BB127_7 Depth=1
	v_cmp_eq_u32_e64 s[8:9], 1, v44
	v_cmp_eq_u32_e64 s[10:11], 0, v44
	v_cmp_eq_u32_e32 vcc, 3, v44
	s_waitcnt lgkmcnt(3)
	v_cndmask_b32_e64 v18, v18, v12, s[8:9]
	s_waitcnt lgkmcnt(2)
	v_cndmask_b32_e64 v15, v15, v8, s[8:9]
	;; [unrolled: 2-line block ×3, first 2 shown]
	v_cndmask_b32_e64 v33, v33, v7, s[8:9]
	s_waitcnt lgkmcnt(0)
	v_cndmask_b32_e64 v35, v0, v11, s[8:9]
	s_mul_i32 s8, s66, s21
	s_ashr_i32 s9, s8, 31
	s_lshl_b64 s[8:9], s[8:9], 1
	v_cndmask_b32_e64 v19, v19, v12, s[10:11]
	v_cndmask_b32_e64 v29, v29, v8, s[10:11]
	;; [unrolled: 1-line block ×5, first 2 shown]
	s_add_u32 s10, s40, s8
	s_addc_u32 s11, s41, s9
	s_ashr_i32 s47, s46, 31
	v_cvt_f16_f32_e32 v19, v19
	v_cvt_f16_f32_sdwa v18, v18 dst_sel:WORD_1 dst_unused:UNUSED_PAD src0_sel:DWORD
	v_cvt_f16_f32_e32 v29, v29
	v_cvt_f16_f32_sdwa v15, v15 dst_sel:WORD_1 dst_unused:UNUSED_PAD src0_sel:DWORD
	s_lshl_b64 s[8:9], s[46:47], 1
	v_cvt_f16_f32_e32 v31, v31
	v_cvt_f16_f32_sdwa v30, v30 dst_sel:WORD_1 dst_unused:UNUSED_PAD src0_sel:DWORD
	s_add_u32 s8, s10, s8
	s_addc_u32 s9, s11, s9
	v_lshl_add_u64 v[0:1], v[22:23], 1, s[8:9]
	v_or_b32_e32 v18, v18, v19
	v_or_b32_e32 v15, v15, v29
	;;#ASMSTART
	global_atomic_pk_add_f16 v[0:1], v18, off
	
	;;#ASMEND
	v_lshl_add_u64 v[18:19], v[0:1], 0, 32
	;;#ASMSTART
	global_atomic_pk_add_f16 v[18:19], v15, off
	
	;;#ASMEND
	v_or_b32_e32 v15, v30, v31
	v_lshl_add_u64 v[18:19], v[0:1], 0, 64
	;;#ASMSTART
	global_atomic_pk_add_f16 v[18:19], v15, off
	
	;;#ASMEND
	v_cvt_f16_f32_e32 v15, v34
	v_cvt_f16_f32_sdwa v29, v33 dst_sel:WORD_1 dst_unused:UNUSED_PAD src0_sel:DWORD
	v_cvt_f16_f32_e32 v30, v36
	v_cvt_f16_f32_sdwa v31, v35 dst_sel:WORD_1 dst_unused:UNUSED_PAD src0_sel:DWORD
	v_cmp_eq_u32_e64 s[6:7], 2, v44
	v_lshl_add_u64 v[18:19], v[0:1], 0, s[30:31]
	v_or_b32_e32 v15, v29, v15
	v_cmp_gt_u32_e64 s[8:9], 14, v32
	;;#ASMSTART
	global_atomic_pk_add_f16 v[18:19], v15, off
	
	;;#ASMEND
	v_lshl_add_u64 v[18:19], v[0:1], 0, s[34:35]
	v_or_b32_e32 v15, v31, v30
	;;#ASMSTART
	global_atomic_pk_add_f16 v[18:19], v15, off
	
	;;#ASMEND
	s_and_b64 exec, exec, s[8:9]
	s_cbranch_execz .LBB127_35
; %bb.34:                               ;   in Loop: Header=BB127_7 Depth=1
	v_cndmask_b32_e32 v15, v16, v12, vcc
	v_cndmask_b32_e64 v12, v17, v12, s[6:7]
	v_cndmask_b32_e32 v9, v9, v4, vcc
	v_cndmask_b32_e64 v4, v10, v4, s[6:7]
	;; [unrolled: 2-line block ×3, first 2 shown]
	v_cvt_f16_f32_e32 v7, v12
	v_cvt_f16_f32_sdwa v10, v15 dst_sel:WORD_1 dst_unused:UNUSED_PAD src0_sel:DWORD
	v_cndmask_b32_e32 v13, v13, v8, vcc
	v_cndmask_b32_e64 v8, v14, v8, s[6:7]
	v_cndmask_b32_e32 v12, v2, v11, vcc
	v_or_b32_e32 v2, v10, v7
	v_cvt_f16_f32_e32 v7, v8
	v_cvt_f16_f32_sdwa v8, v13 dst_sel:WORD_1 dst_unused:UNUSED_PAD src0_sel:DWORD
	v_cvt_f16_f32_e32 v4, v4
	v_cvt_f16_f32_sdwa v9, v9 dst_sel:WORD_1 dst_unused:UNUSED_PAD src0_sel:DWORD
	v_lshl_add_u64 v[0:1], s[28:29], 2, v[0:1]
	v_cndmask_b32_e64 v11, v3, v11, s[6:7]
	;;#ASMSTART
	global_atomic_pk_add_f16 v[0:1], v2, off
	
	;;#ASMEND
	v_lshl_add_u64 v[2:3], v[0:1], 0, 32
	v_or_b32_e32 v7, v8, v7
	v_or_b32_e32 v4, v9, v4
	;;#ASMSTART
	global_atomic_pk_add_f16 v[2:3], v7, off
	
	;;#ASMEND
	v_lshl_add_u64 v[2:3], v[0:1], 0, 64
	;;#ASMSTART
	global_atomic_pk_add_f16 v[2:3], v4, off
	
	;;#ASMEND
	v_cvt_f16_f32_e32 v4, v6
	v_cvt_f16_f32_sdwa v5, v5 dst_sel:WORD_1 dst_unused:UNUSED_PAD src0_sel:DWORD
	v_cvt_f16_f32_e32 v6, v11
	v_cvt_f16_f32_sdwa v7, v12 dst_sel:WORD_1 dst_unused:UNUSED_PAD src0_sel:DWORD
	v_lshl_add_u64 v[2:3], v[0:1], 0, s[30:31]
	v_or_b32_e32 v4, v5, v4
	;;#ASMSTART
	global_atomic_pk_add_f16 v[2:3], v4, off
	
	;;#ASMEND
	v_lshl_add_u64 v[0:1], v[0:1], 0, s[34:35]
	v_or_b32_e32 v2, v7, v6
	;;#ASMSTART
	global_atomic_pk_add_f16 v[0:1], v2, off
	
	;;#ASMEND
.LBB127_35:                             ;   in Loop: Header=BB127_7 Depth=1
	s_or_b64 exec, exec, s[12:13]
	v_subrev_u32_e32 v54, s65, v54
.LBB127_36:                             ;   in Loop: Header=BB127_7 Depth=1
	s_or_b64 exec, exec, s[50:51]
.LBB127_37:                             ;   in Loop: Header=BB127_7 Depth=1
	s_andn2_saveexec_b64 s[6:7], s[48:49]
	s_cbranch_execz .LBB127_46
; %bb.38:                               ;   in Loop: Header=BB127_7 Depth=1
	s_mul_i32 s16, s65, 5
	v_cmp_gt_i32_e32 vcc, s16, v54
	s_and_saveexec_b64 s[8:9], vcc
	s_cbranch_execz .LBB127_45
; %bb.39:                               ;   in Loop: Header=BB127_7 Depth=1
	s_mul_i32 s10, s46, s23
	s_ashr_i32 s11, s10, 31
	s_waitcnt lgkmcnt(0)
	s_add_u32 s10, s38, s10
	s_addc_u32 s11, s39, s11
	s_ashr_i32 s12, s67, 31
	s_add_u32 s10, s10, s67
	s_addc_u32 s11, s11, s12
	v_lshl_add_u64 v[0:1], s[10:11], 0, v[26:27]
	v_lshl_add_u64 v[8:9], v[0:1], 0, v[24:25]
	s_mov_b64 s[10:11], 0
	s_branch .LBB127_41
.LBB127_40:                             ;   in Loop: Header=BB127_41 Depth=2
	s_or_b64 exec, exec, s[12:13]
	v_lshl_or_b32 v12, v10, 11, v48
	;;#ASMSTART
	s_waitcnt vmcnt(1)
	;;#ASMEND
	ds_write2_b32 v12, v4, v5 offset1:32
	ds_write2_b32 v12, v6, v7 offset0:64 offset1:96
	v_add_u32_e32 v4, 0x400, v12
	v_add_u32_e32 v54, s26, v54
	;;#ASMSTART
	s_waitcnt vmcnt(0)
	;;#ASMEND
	ds_write2_b32 v4, v0, v1 offset1:32
	ds_write2_b32 v4, v2, v3 offset0:64 offset1:96
	v_add_u32_e32 v0, 1, v40
	v_add_u32_e32 v28, s26, v10
	v_cmp_le_i32_e32 vcc, s16, v54
	ds_write_b32 v11, v0 offset:20
	v_add_u32_e32 v0, 2, v40
	s_or_b64 s[10:11], vcc, s[10:11]
	v_cmp_lt_i32_e32 vcc, 24, v28
	s_nop 1
	v_cndmask_b32_e32 v40, v40, v0, vcc
	s_andn2_b64 exec, exec, s[10:11]
	s_cbranch_execz .LBB127_44
.LBB127_41:                             ;   Parent Loop BB127_7 Depth=1
                                        ; =>  This Loop Header: Depth=2
                                        ;       Child Loop BB127_43 Depth 3
	v_cmp_gt_i32_e32 vcc, 25, v28
	s_nop 1
	v_cndmask_b32_e64 v0, v53, 0, vcc
	v_add_u32_e32 v10, v0, v28
	v_mul_hi_i32 v0, v54, s54
	v_lshrrev_b32_e32 v1, 31, v0
	v_ashrrev_i32_e32 v0, 1, v0
	v_add_u32_e32 v0, v0, v1
	v_lshl_add_u32 v1, v0, 2, v0
	v_sub_u32_e32 v2, v54, v1
	v_lshlrev_b32_e32 v0, 7, v0
	v_ashrrev_i32_e32 v1, 31, v0
	v_mul_lo_u32 v2, s58, v2
	v_lshl_add_u64 v[0:1], v[8:9], 0, v[0:1]
	v_ashrrev_i32_e32 v3, 31, v2
	v_lshl_add_u64 v[0:1], v[0:1], 0, v[2:3]
	v_lshlrev_b32_e32 v11, 2, v10
	;;#ASMSTART
	global_load_dwordx4 v[4:7], v[0:1], off offset:0   sc0 sc1 nt  
	global_load_dwordx4 v[0:3], v[0:1], off offset:64  sc0 sc1 nt  
	
	;;#ASMEND
	ds_read_b32 v12, v11 offset:61460
	v_add_u32_e32 v11, 0xf000, v11
	s_waitcnt lgkmcnt(0)
	v_cmp_ne_u32_e32 vcc, v12, v40
	s_and_saveexec_b64 s[12:13], vcc
	s_cbranch_execz .LBB127_40
; %bb.42:                               ;   in Loop: Header=BB127_41 Depth=2
	s_mov_b64 s[14:15], 0
.LBB127_43:                             ;   Parent Loop BB127_7 Depth=1
                                        ;     Parent Loop BB127_41 Depth=2
                                        ; =>    This Inner Loop Header: Depth=3
	;;#ASMSTART
	s_sleep 0
	;;#ASMEND
	ds_read_b32 v12, v11 offset:20
	s_waitcnt lgkmcnt(0)
	v_cmp_eq_u32_e32 vcc, v12, v40
	s_or_b64 s[14:15], vcc, s[14:15]
	s_andn2_b64 exec, exec, s[14:15]
	s_cbranch_execnz .LBB127_43
	s_branch .LBB127_40
.LBB127_44:                             ;   in Loop: Header=BB127_7 Depth=1
	s_or_b64 exec, exec, s[10:11]
.LBB127_45:                             ;   in Loop: Header=BB127_7 Depth=1
	s_or_b64 exec, exec, s[8:9]
	v_subrev_u32_e32 v54, s16, v54
.LBB127_46:                             ;   in Loop: Header=BB127_7 Depth=1
	s_or_b64 exec, exec, s[6:7]
.LBB127_47:                             ;   in Loop: Header=BB127_7 Depth=1
	s_andn2_saveexec_b64 s[6:7], s[44:45]
	s_cbranch_execz .LBB127_6
; %bb.48:                               ;   in Loop: Header=BB127_7 Depth=1
	v_cmp_gt_i32_e32 vcc, s65, v54
	s_and_saveexec_b64 s[8:9], vcc
	s_cbranch_execz .LBB127_5
; %bb.49:                               ;   in Loop: Header=BB127_7 Depth=1
	s_mul_i32 s66, s66, s22
	s_ashr_i32 s10, s66, 31
	s_waitcnt lgkmcnt(0)
	s_add_u32 s11, s36, s66
	s_addc_u32 s12, s37, s10
	s_ashr_i32 s13, s67, 31
	v_cmp_le_i32_e32 vcc, s68, v49
	s_add_u32 s10, s11, s67
	s_addc_u32 s11, s12, s13
	v_cndmask_b32_e32 v0, 0, v50, vcc
	v_ashrrev_i32_e32 v1, 31, v0
	v_lshl_add_u64 v[0:1], s[10:11], 0, v[0:1]
	v_lshl_add_u64 v[8:9], v[0:1], 0, v[24:25]
	s_mov_b64 s[10:11], 0
	s_branch .LBB127_51
.LBB127_50:                             ;   in Loop: Header=BB127_51 Depth=2
	s_or_b64 exec, exec, s[12:13]
	v_lshl_add_u32 v12, v10, 11, v51
	;;#ASMSTART
	s_waitcnt vmcnt(1)
	;;#ASMEND
	ds_write2_b32 v12, v4, v5 offset1:32
	ds_write2_b32 v12, v6, v7 offset0:64 offset1:96
	v_add_u32_e32 v4, 0x400, v12
	v_add_u32_e32 v54, s25, v54
	;;#ASMSTART
	s_waitcnt vmcnt(0)
	;;#ASMEND
	ds_write2_b32 v4, v0, v1 offset1:32
	ds_write2_b32 v4, v2, v3 offset0:64 offset1:96
	v_add_u32_e32 v0, 1, v40
	v_add_u32_e32 v28, s25, v10
	v_cmp_le_i32_e32 vcc, s65, v54
	ds_write_b32 v11, v0
	v_add_u32_e32 v0, 2, v40
	s_or_b64 s[10:11], vcc, s[10:11]
	v_cmp_lt_i32_e32 vcc, 4, v28
	s_nop 1
	v_cndmask_b32_e32 v40, v40, v0, vcc
	s_andn2_b64 exec, exec, s[10:11]
	s_cbranch_execz .LBB127_4
.LBB127_51:                             ;   Parent Loop BB127_7 Depth=1
                                        ; =>  This Loop Header: Depth=2
                                        ;       Child Loop BB127_53 Depth 3
	v_cmp_gt_i32_e32 vcc, 5, v28
	s_nop 1
	v_cndmask_b32_e64 v0, -5, 0, vcc
	v_add_u32_e32 v10, v0, v28
	v_lshlrev_b32_e32 v0, 7, v54
	v_ashrrev_i32_e32 v1, 31, v0
	v_lshl_add_u64 v[0:1], v[8:9], 0, v[0:1]
	v_lshlrev_b32_e32 v11, 2, v10
	;;#ASMSTART
	global_load_dwordx4 v[4:7], v[0:1], off offset:0   
	global_load_dwordx4 v[0:3], v[0:1], off offset:64  
	
	;;#ASMEND
	ds_read_b32 v12, v11 offset:61440
	v_add_u32_e32 v11, 0xf000, v11
	s_waitcnt lgkmcnt(0)
	v_cmp_ne_u32_e32 vcc, v12, v40
	s_and_saveexec_b64 s[12:13], vcc
	s_cbranch_execz .LBB127_50
; %bb.52:                               ;   in Loop: Header=BB127_51 Depth=2
	s_mov_b64 s[14:15], 0
.LBB127_53:                             ;   Parent Loop BB127_7 Depth=1
                                        ;     Parent Loop BB127_51 Depth=2
                                        ; =>    This Inner Loop Header: Depth=3
	;;#ASMSTART
	s_sleep 0
	;;#ASMEND
	ds_read_b32 v12, v11
	s_waitcnt lgkmcnt(0)
	v_cmp_eq_u32_e32 vcc, v12, v40
	s_or_b64 s[14:15], vcc, s[14:15]
	s_andn2_b64 exec, exec, s[14:15]
	s_cbranch_execnz .LBB127_53
	s_branch .LBB127_50
.LBB127_54:
	s_endpgm
	.section	.rodata,"a",@progbits
	.p2align	6, 0x0
	.amdhsa_kernel _Z19_skinny_gemm_kernelILi1ELi5ELi5ELi16ELi4EEvPKhS1_P6__halfPKfiiiiiiii
		.amdhsa_group_segment_fixed_size 61560
		.amdhsa_private_segment_fixed_size 0
		.amdhsa_kernarg_size 64
		.amdhsa_user_sgpr_count 2
		.amdhsa_user_sgpr_dispatch_ptr 0
		.amdhsa_user_sgpr_queue_ptr 0
		.amdhsa_user_sgpr_kernarg_segment_ptr 1
		.amdhsa_user_sgpr_dispatch_id 0
		.amdhsa_user_sgpr_kernarg_preload_length 0
		.amdhsa_user_sgpr_kernarg_preload_offset 0
		.amdhsa_user_sgpr_private_segment_size 0
		.amdhsa_uses_dynamic_stack 0
		.amdhsa_enable_private_segment 0
		.amdhsa_system_sgpr_workgroup_id_x 1
		.amdhsa_system_sgpr_workgroup_id_y 0
		.amdhsa_system_sgpr_workgroup_id_z 0
		.amdhsa_system_sgpr_workgroup_info 0
		.amdhsa_system_vgpr_workitem_id 0
		.amdhsa_next_free_vgpr 62
		.amdhsa_next_free_sgpr 69
		.amdhsa_accum_offset 64
		.amdhsa_reserve_vcc 1
		.amdhsa_float_round_mode_32 0
		.amdhsa_float_round_mode_16_64 0
		.amdhsa_float_denorm_mode_32 3
		.amdhsa_float_denorm_mode_16_64 3
		.amdhsa_dx10_clamp 1
		.amdhsa_ieee_mode 1
		.amdhsa_fp16_overflow 0
		.amdhsa_tg_split 0
		.amdhsa_exception_fp_ieee_invalid_op 0
		.amdhsa_exception_fp_denorm_src 0
		.amdhsa_exception_fp_ieee_div_zero 0
		.amdhsa_exception_fp_ieee_overflow 0
		.amdhsa_exception_fp_ieee_underflow 0
		.amdhsa_exception_fp_ieee_inexact 0
		.amdhsa_exception_int_div_zero 0
	.end_amdhsa_kernel
	.section	.text._Z19_skinny_gemm_kernelILi1ELi5ELi5ELi16ELi4EEvPKhS1_P6__halfPKfiiiiiiii,"axG",@progbits,_Z19_skinny_gemm_kernelILi1ELi5ELi5ELi16ELi4EEvPKhS1_P6__halfPKfiiiiiiii,comdat
.Lfunc_end127:
	.size	_Z19_skinny_gemm_kernelILi1ELi5ELi5ELi16ELi4EEvPKhS1_P6__halfPKfiiiiiiii, .Lfunc_end127-_Z19_skinny_gemm_kernelILi1ELi5ELi5ELi16ELi4EEvPKhS1_P6__halfPKfiiiiiiii
                                        ; -- End function
	.set _Z19_skinny_gemm_kernelILi1ELi5ELi5ELi16ELi4EEvPKhS1_P6__halfPKfiiiiiiii.num_vgpr, 62
	.set _Z19_skinny_gemm_kernelILi1ELi5ELi5ELi16ELi4EEvPKhS1_P6__halfPKfiiiiiiii.num_agpr, 0
	.set _Z19_skinny_gemm_kernelILi1ELi5ELi5ELi16ELi4EEvPKhS1_P6__halfPKfiiiiiiii.numbered_sgpr, 69
	.set _Z19_skinny_gemm_kernelILi1ELi5ELi5ELi16ELi4EEvPKhS1_P6__halfPKfiiiiiiii.num_named_barrier, 0
	.set _Z19_skinny_gemm_kernelILi1ELi5ELi5ELi16ELi4EEvPKhS1_P6__halfPKfiiiiiiii.private_seg_size, 0
	.set _Z19_skinny_gemm_kernelILi1ELi5ELi5ELi16ELi4EEvPKhS1_P6__halfPKfiiiiiiii.uses_vcc, 1
	.set _Z19_skinny_gemm_kernelILi1ELi5ELi5ELi16ELi4EEvPKhS1_P6__halfPKfiiiiiiii.uses_flat_scratch, 0
	.set _Z19_skinny_gemm_kernelILi1ELi5ELi5ELi16ELi4EEvPKhS1_P6__halfPKfiiiiiiii.has_dyn_sized_stack, 0
	.set _Z19_skinny_gemm_kernelILi1ELi5ELi5ELi16ELi4EEvPKhS1_P6__halfPKfiiiiiiii.has_recursion, 0
	.set _Z19_skinny_gemm_kernelILi1ELi5ELi5ELi16ELi4EEvPKhS1_P6__halfPKfiiiiiiii.has_indirect_call, 0
	.section	.AMDGPU.csdata,"",@progbits
; Kernel info:
; codeLenInByte = 4568
; TotalNumSgprs: 75
; NumVgprs: 62
; NumAgprs: 0
; TotalNumVgprs: 62
; ScratchSize: 0
; MemoryBound: 0
; FloatMode: 240
; IeeeMode: 1
; LDSByteSize: 61560 bytes/workgroup (compile time only)
; SGPRBlocks: 9
; VGPRBlocks: 7
; NumSGPRsForWavesPerEU: 75
; NumVGPRsForWavesPerEU: 62
; AccumOffset: 64
; Occupancy: 8
; WaveLimiterHint : 0
; COMPUTE_PGM_RSRC2:SCRATCH_EN: 0
; COMPUTE_PGM_RSRC2:USER_SGPR: 2
; COMPUTE_PGM_RSRC2:TRAP_HANDLER: 0
; COMPUTE_PGM_RSRC2:TGID_X_EN: 1
; COMPUTE_PGM_RSRC2:TGID_Y_EN: 0
; COMPUTE_PGM_RSRC2:TGID_Z_EN: 0
; COMPUTE_PGM_RSRC2:TIDIG_COMP_CNT: 0
; COMPUTE_PGM_RSRC3_GFX90A:ACCUM_OFFSET: 15
; COMPUTE_PGM_RSRC3_GFX90A:TG_SPLIT: 0
	.section	.text._Z19_skinny_gemm_kernelILi1ELi5ELi5ELi32ELi4EEvPKhS1_P6__halfPKfiiiiiiii,"axG",@progbits,_Z19_skinny_gemm_kernelILi1ELi5ELi5ELi32ELi4EEvPKhS1_P6__halfPKfiiiiiiii,comdat
	.protected	_Z19_skinny_gemm_kernelILi1ELi5ELi5ELi32ELi4EEvPKhS1_P6__halfPKfiiiiiiii ; -- Begin function _Z19_skinny_gemm_kernelILi1ELi5ELi5ELi32ELi4EEvPKhS1_P6__halfPKfiiiiiiii
	.globl	_Z19_skinny_gemm_kernelILi1ELi5ELi5ELi32ELi4EEvPKhS1_P6__halfPKfiiiiiiii
	.p2align	8
	.type	_Z19_skinny_gemm_kernelILi1ELi5ELi5ELi32ELi4EEvPKhS1_P6__halfPKfiiiiiiii,@function
_Z19_skinny_gemm_kernelILi1ELi5ELi5ELi32ELi4EEvPKhS1_P6__halfPKfiiiiiiii: ; @_Z19_skinny_gemm_kernelILi1ELi5ELi5ELi32ELi4EEvPKhS1_P6__halfPKfiiiiiiii
; %bb.0:
	v_cmp_gt_u32_e32 vcc, 30, v0
	s_and_saveexec_b64 s[4:5], vcc
; %bb.1:
	v_lshlrev_b32_e32 v1, 2, v0
	v_mov_b32_e32 v2, 0
	ds_write_b32 v1, v2 offset:61440
; %bb.2:
	s_or_b64 exec, exec, s[4:5]
	s_load_dwordx8 s[24:31], s[0:1], 0x20
	s_waitcnt lgkmcnt(0)
	s_barrier
	s_add_i32 s3, s24, 31
	s_ashr_i32 s5, s3, 31
	s_add_i32 s4, s25, 0x9f
	s_lshr_b32 s5, s5, 27
	s_mul_hi_i32 s4, s4, 0x66666667
	s_add_i32 s3, s3, s5
	s_ashr_i32 s14, s3, 5
	s_lshr_b32 s3, s4, 31
	s_ashr_i32 s4, s4, 6
	s_add_i32 s15, s4, s3
	s_mul_i32 s3, s15, s14
	s_mul_i32 s3, s3, s28
	s_add_i32 s4, s3, 0x12f
	s_mul_hi_i32 s4, s4, 0x6bca1af3
	s_lshr_b32 s5, s4, 31
	s_ashr_i32 s4, s4, 7
	s_add_i32 s4, s4, s5
	s_add_i32 s5, s2, 1
	s_mul_i32 s5, s4, s5
	v_cvt_f64_i32_e32 v[2:3], s3
	v_cvt_f64_u32_e32 v[4:5], s5
	v_min_f64 v[2:3], v[2:3], v[4:5]
	v_cvt_i32_f64_e32 v13, v[2:3]
	s_mul_i32 s2, s4, s2
	v_cmp_ge_i32_e32 vcc, s2, v13
	s_cbranch_vccnz .LBB128_55
; %bb.3:
	s_load_dwordx8 s[16:23], s[0:1], 0x0
	v_lshrrev_b32_e32 v1, 6, v0
	s_add_i32 s0, s30, s29
	v_cmp_le_i32_e64 s[34:35], s0, v1
	v_mov_b32_e32 v2, s29
	v_cmp_le_i32_e64 s[36:37], s29, v1
	v_mov_b32_e32 v3, s30
	v_cndmask_b32_e64 v3, 0, v3, s[34:35]
	v_cndmask_b32_e64 v2, 0, v2, s[36:37]
	s_abs_i32 s1, s28
	v_add_u32_e32 v2, v2, v3
	v_cvt_f32_u32_e32 v3, s1
	v_sub_u32_e32 v88, v1, v2
	s_ashr_i32 s3, s26, 31
	s_lshr_b32 s3, s3, 26
	v_rcp_iflag_f32_e32 v2, v3
	s_sub_i32 s6, 0, s1
	s_add_i32 s3, s26, s3
	s_ashr_i32 s3, s3, 6
	v_mul_f32_e32 v2, 0x4f7ffffe, v2
	v_cvt_u32_f32_e32 v2, v2
	s_abs_i32 s5, s3
	s_xor_b32 s4, s3, s28
	s_ashr_i32 s4, s4, 31
	v_readfirstlane_b32 s7, v2
	s_mul_i32 s6, s6, s7
	s_mul_hi_u32 s6, s7, s6
	s_add_i32 s7, s7, s6
	s_mul_hi_u32 s6, s5, s7
	s_mul_i32 s7, s6, s1
	s_sub_i32 s5, s5, s7
	s_add_i32 s7, s6, 1
	s_sub_i32 s8, s5, s1
	s_cmp_ge_u32 s5, s1
	s_cselect_b32 s6, s7, s6
	s_cselect_b32 s5, s8, s5
	s_add_i32 s7, s6, 1
	s_cmp_ge_u32 s5, s1
	s_cselect_b32 s1, s7, s6
	s_add_i32 s0, s0, s31
	v_and_b32_e32 v9, 31, v0
	v_lshrrev_b32_e32 v2, 3, v0
	v_cmp_gt_i32_e64 s[42:43], s0, v1
	v_lshlrev_b32_e32 v1, 2, v9
	v_and_b32_e32 v3, 4, v2
	v_lshlrev_b32_e32 v2, 6, v3
	v_or_b32_e32 v4, 0xc800, v1
	v_and_b32_e32 v5, 1, v0
	v_or_b32_e32 v94, v4, v2
	v_or_b32_e32 v96, v1, v2
	v_lshlrev_b32_e32 v2, 1, v5
	v_sub_u32_e32 v2, v0, v2
	v_add_u32_e32 v2, 1, v2
	v_and_b32_e32 v6, 63, v2
	v_bitop3_b32 v2, v0, 1, v0 bitop3:0xc
	scratch_store_dword off, v2, off offset:24 ; 4-byte Folded Spill
	v_bitop3_b32 v2, v0, 3, 1 bitop3:0x6c
	scratch_store_dword off, v2, off offset:28 ; 4-byte Folded Spill
	;; [unrolled: 2-line block ×6, first 2 shown]
	v_bitop3_b32 v2, v0, 13, 1 bitop3:0x6c
	s_add_i32 s39, s28, -1
	scratch_store_dword off, v2, off offset:48 ; 4-byte Folded Spill
	v_bitop3_b32 v2, v0, 15, 1 bitop3:0x6c
	s_abs_i32 s28, s14
                                        ; implicit-def: $vgpr127 : SGPR spill to VGPR lane
	scratch_store_dword off, v2, off offset:52 ; 4-byte Folded Spill
	v_or_b32_e32 v2, 32, v9
	v_cvt_f32_u32_e32 v8, s28
	v_writelane_b32 v127, s14, 0
	scratch_store_dword off, v2, off offset:56 ; 4-byte Folded Spill
	v_or_b32_e32 v2, 64, v9
	v_writelane_b32 v127, s15, 1
	scratch_store_dword off, v2, off offset:60 ; 4-byte Folded Spill
	v_or_b32_e32 v2, 0x60, v9
	v_lshrrev_b32_e32 v7, 1, v0
	s_waitcnt lgkmcnt(0)
	v_writelane_b32 v127, s16, 2
	scratch_store_dword off, v2, off offset:64 ; 4-byte Folded Spill
	v_or_b32_e32 v2, 0x80, v9
	v_and_b32_e32 v14, 16, v7
	v_lshlrev_b32_e32 v7, 4, v0
	v_writelane_b32 v127, s17, 3
	scratch_store_dword off, v2, off offset:68 ; 4-byte Folded Spill
	v_and_b32_e32 v2, 30, v0
	v_and_b32_e32 v7, 0x200, v7
	v_bitop3_b32 v17, v0, 31, v0 bitop3:0xc
	v_rcp_iflag_f32_e32 v0, v8
	s_abs_i32 s99, s15
	v_writelane_b32 v127, s18, 4
	v_or_b32_e32 v16, v1, v7
	v_cvt_f32_u32_e32 v1, s99
	v_writelane_b32 v127, s19, 5
	v_writelane_b32 v127, s20, 6
	;; [unrolled: 1-line block ×3, first 2 shown]
	v_mul_f32_e32 v0, 0x4f7ffffe, v0
	v_writelane_b32 v127, s22, 8
	v_cvt_u32_f32_e32 v0, v0
	v_rcp_iflag_f32_e32 v1, v1
	v_writelane_b32 v127, s23, 9
	v_cndmask_b32_e64 v95, 0, 1, s[34:35]
	s_xor_b32 s1, s1, s4
	v_writelane_b32 v127, s34, 10
	s_sub_i32 s38, s1, s4
	s_mul_i32 s1, s38, s39
	v_writelane_b32 v127, s35, 11
	v_writelane_b32 v127, s36, 12
	s_sub_i32 s40, s3, s1
	v_readfirstlane_b32 s1, v0
	v_mul_f32_e32 v0, 0x4f7ffffe, v1
	v_writelane_b32 v127, s37, 13
	v_cvt_u32_f32_e32 v0, v0
	v_writelane_b32 v127, s38, 14
	s_sub_i32 s0, 0, s28
	v_writelane_b32 v127, s39, 15
	s_mul_i32 s0, s0, s1
	v_writelane_b32 v127, s40, 16
	s_mul_hi_u32 s0, s1, s0
	v_writelane_b32 v127, s42, 17
	s_ashr_i32 s41, s14, 31
	s_add_i32 s44, s1, s0
	s_sub_i32 s0, 0, s99
	v_readfirstlane_b32 s1, v0
	v_writelane_b32 v127, s43, 18
	s_mul_i32 s0, s0, s1
	v_mbcnt_lo_u32_b32 v0, -1, 0
	v_writelane_b32 v127, s41, 19
	s_ashr_i32 s45, s15, 31
	s_mul_hi_u32 s0, s1, s0
	v_mbcnt_hi_u32_b32 v0, -1, v0
	v_writelane_b32 v127, s44, 20
	v_mov_b32_e32 v99, 0
	v_mul_lo_u32 v10, s27, v9
	s_add_i32 s46, s1, s0
	v_and_or_b32 v0, v0, 64, v6
	v_writelane_b32 v127, s45, 21
	v_ashrrev_i32_e32 v11, 31, v10
	v_mov_b32_e32 v15, v99
	s_lshl_b32 s98, s27, 5
	v_mul_lo_u32 v18, s26, v9
	v_or_b32_e32 v114, v4, v7
	v_lshlrev_b32_e32 v98, 1, v2
	v_lshlrev_b32_e32 v116, 2, v0
	v_not_b32_e32 v19, 24
	v_mov_b32_e32 v118, v88
	v_writelane_b32 v127, s46, 22
	scratch_store_dwordx2 off, v[10:11], off offset:80 ; 8-byte Folded Spill
	scratch_store_dword off, v9, off offset:12 ; 4-byte Folded Spill
	v_or_b32_e32 v97, v5, v3
	scratch_store_dword off, v13, off offset:8 ; 4-byte Folded Spill
	scratch_store_dword off, v94, off offset:16 ; 4-byte Folded Spill
	;; [unrolled: 1-line block ×3, first 2 shown]
	scratch_store_dwordx2 off, v[14:15], off offset:72 ; 8-byte Folded Spill
	scratch_store_dword off, v16, off offset:88 ; 4-byte Folded Spill
	scratch_store_dword off, v17, off offset:92 ; 4-byte Folded Spill
	;; [unrolled: 1-line block ×4, first 2 shown]
	s_branch .LBB128_7
.LBB128_4:                              ;   in Loop: Header=BB128_7 Depth=1
	s_or_b64 exec, exec, s[6:7]
.LBB128_5:                              ;   in Loop: Header=BB128_7 Depth=1
	s_or_b64 exec, exec, s[4:5]
	v_subrev_u32_e32 v118, s33, v118
.LBB128_6:                              ;   in Loop: Header=BB128_7 Depth=1
	s_or_b64 exec, exec, s[0:1]
	s_add_i32 s2, s2, 1
	s_waitcnt vmcnt(4)
	v_cmp_ge_i32_e32 vcc, s2, v13
	s_cbranch_vccnz .LBB128_55
.LBB128_7:                              ; =>This Loop Header: Depth=1
                                        ;     Child Loop BB128_13 Depth 2
                                        ;       Child Loop BB128_15 Depth 3
                                        ;       Child Loop BB128_18 Depth 3
                                        ;       Child Loop BB128_21 Depth 3
                                        ;       Child Loop BB128_24 Depth 3
                                        ;       Child Loop BB128_27 Depth 3
                                        ;       Child Loop BB128_30 Depth 3
                                        ;     Child Loop BB128_34 Depth 2
                                        ;     Child Loop BB128_42 Depth 2
                                        ;       Child Loop BB128_44 Depth 3
                                        ;     Child Loop BB128_52 Depth 2
                                        ;       Child Loop BB128_54 Depth 3
	s_abs_i32 s1, s2
	s_mul_hi_u32 s3, s1, s44
	s_mul_i32 s4, s3, s28
	s_ashr_i32 s0, s2, 31
	s_sub_i32 s1, s1, s4
	s_xor_b32 s0, s0, s41
	s_add_i32 s4, s3, 1
	s_sub_i32 s5, s1, s28
	s_cmp_ge_u32 s1, s28
	s_cselect_b32 s3, s4, s3
	s_cselect_b32 s1, s5, s1
	s_add_i32 s4, s3, 1
	s_cmp_ge_u32 s1, s28
	s_cselect_b32 s1, s4, s3
	s_xor_b32 s1, s1, s0
	s_sub_i32 s0, s1, s0
	s_abs_i32 s4, s0
	s_mul_i32 s1, s0, s14
	s_mul_hi_u32 s5, s4, s46
	s_sub_i32 s1, s2, s1
	s_mul_i32 s6, s5, s99
	s_lshl_b32 s3, s1, 5
	s_ashr_i32 s1, s0, 31
	s_sub_i32 s4, s4, s6
	s_xor_b32 s1, s1, s45
	s_add_i32 s6, s5, 1
	s_sub_i32 s7, s4, s99
	s_cmp_ge_u32 s4, s99
	s_cselect_b32 s5, s6, s5
	s_cselect_b32 s4, s7, s4
	s_add_i32 s6, s5, 1
	s_cmp_ge_u32 s4, s99
	s_cselect_b32 s4, s6, s5
	s_xor_b32 s4, s4, s1
	s_sub_i32 s1, s4, s1
	s_mul_i32 s4, s1, s38
	s_lshl_b32 s47, s4, 6
	s_cmp_eq_u32 s1, s39
	s_cselect_b32 s33, s40, s38
	s_sub_i32 s4, s3, s24
	s_add_i32 s80, s4, 32
	s_and_saveexec_b64 s[4:5], s[36:37]
	s_xor_b64 s[96:97], exec, s[4:5]
	s_cbranch_execz .LBB128_48
; %bb.8:                                ;   in Loop: Header=BB128_7 Depth=1
	s_mul_i32 s1, s1, s15
	s_sub_i32 s0, s0, s1
	s_mulk_i32 s0, 0xa0
	s_sub_i32 s70, s0, s25
	s_addk_i32 s70, 0xa0
	s_max_i32 s1, s70, 0
	s_sub_i32 s72, s0, s1
	s_and_saveexec_b64 s[0:1], s[34:35]
	s_xor_b64 s[4:5], exec, s[0:1]
	s_cbranch_execz .LBB128_38
; %bb.9:                                ;   in Loop: Header=BB128_7 Depth=1
	s_and_saveexec_b64 s[0:1], s[42:43]
	s_cbranch_execz .LBB128_37
; %bb.10:                               ;   in Loop: Header=BB128_7 Depth=1
	global_load_dword v119, v99, s[22:23]
	v_mov_b32_e32 v79, 0
	v_cmp_gt_i32_e32 vcc, s33, v118
	v_mov_b32_e32 v78, v79
	v_mov_b32_e32 v77, v79
	;; [unrolled: 1-line block ×60, first 2 shown]
	s_waitcnt vmcnt(1)
	v_mov_b32_e32 v18, v79
	v_mov_b32_e32 v17, v79
	;; [unrolled: 1-line block ×19, first 2 shown]
	s_and_saveexec_b64 s[6:7], vcc
	s_cbranch_execz .LBB128_32
; %bb.11:                               ;   in Loop: Header=BB128_7 Depth=1
	v_mov_b32_e32 v0, 0
	s_mov_b64 s[8:9], 0
	v_mov_b32_e32 v1, v0
	v_mov_b32_e32 v2, v0
	;; [unrolled: 1-line block ×79, first 2 shown]
	s_branch .LBB128_13
.LBB128_12:                             ;   in Loop: Header=BB128_13 Depth=2
	s_or_b64 exec, exec, s[10:11]
	v_add_u32_e32 v81, 0x2000, v80
	ds_read2_b32 v[82:83], v81 offset1:32
	v_add_u32_e32 v118, s31, v118
	s_waitcnt lgkmcnt(0)
	v_mfma_f32_32x32x16_fp8_fp8 v[0:15], v[92:93], v[82:83], v[0:15]
	ds_read2_b32 v[82:83], v81 offset0:128 offset1:160
	s_waitcnt lgkmcnt(0)
	v_mfma_f32_32x32x16_fp8_fp8 v[0:15], v[90:91], v[82:83], v[0:15]
	v_add_u32_e32 v82, 0x2400, v80
	ds_read2_b32 v[80:81], v82 offset1:32
	ds_read2_b32 v[82:83], v82 offset0:128 offset1:160
	ds_write_b32 v121, v122 offset:61476
	s_waitcnt lgkmcnt(2)
	v_mfma_f32_32x32x16_fp8_fp8 v[0:15], v[88:89], v[80:81], v[0:15]
	v_add_u32_e32 v88, s31, v120
	v_add_u32_e32 v80, 2, v95
	v_cmp_lt_i32_e32 vcc, 4, v88
	s_nop 1
	v_cndmask_b32_e32 v95, v95, v80, vcc
	v_cmp_le_i32_e32 vcc, s33, v118
	s_waitcnt lgkmcnt(1)
	v_mfma_f32_32x32x16_fp8_fp8 v[0:15], v[86:87], v[82:83], v[0:15]
	s_or_b64 s[8:9], vcc, s[8:9]
	s_andn2_b64 exec, exec, s[8:9]
	s_cbranch_execz .LBB128_31
.LBB128_13:                             ;   Parent Loop BB128_7 Depth=1
                                        ; =>  This Loop Header: Depth=2
                                        ;       Child Loop BB128_15 Depth 3
                                        ;       Child Loop BB128_18 Depth 3
	;; [unrolled: 1-line block ×6, first 2 shown]
	v_cmp_gt_i32_e32 vcc, 5, v88
	s_nop 1
	v_cndmask_b32_e64 v80, -5, 0, vcc
	v_add_u32_e32 v120, v80, v88
	v_mul_lo_u32 v121, v120, 40
	ds_read_b32 v80, v121 offset:61440
	s_waitcnt lgkmcnt(0)
	v_cmp_ne_u32_e32 vcc, v80, v95
	s_and_saveexec_b64 s[10:11], vcc
	s_cbranch_execz .LBB128_16
; %bb.14:                               ;   in Loop: Header=BB128_13 Depth=2
	s_mov_b64 s[12:13], 0
.LBB128_15:                             ;   Parent Loop BB128_7 Depth=1
                                        ;     Parent Loop BB128_13 Depth=2
                                        ; =>    This Inner Loop Header: Depth=3
	;;#ASMSTART
	s_sleep 0
	;;#ASMEND
	ds_read_b32 v80, v121 offset:61440
	s_waitcnt lgkmcnt(0)
	v_cmp_eq_u32_e32 vcc, v80, v95
	s_or_b64 s[12:13], vcc, s[12:13]
	s_andn2_b64 exec, exec, s[12:13]
	s_cbranch_execnz .LBB128_15
.LBB128_16:                             ;   in Loop: Header=BB128_13 Depth=2
	s_or_b64 exec, exec, s[10:11]
	v_lshl_add_u32 v80, v120, 11, v94
	ds_read2_b32 v[92:93], v80 offset1:32
	ds_read2_b32 v[90:91], v80 offset0:128 offset1:160
	v_add_u32_e32 v80, 0x400, v80
	ds_read2_b32 v[88:89], v80 offset1:32
	ds_read_b32 v81, v121 offset:61444
	ds_read2_b32 v[86:87], v80 offset0:128 offset1:160
	v_add_u32_e32 v122, 1, v95
	ds_write_b32 v121, v122 offset:61440
	s_waitcnt lgkmcnt(2)
	v_cmp_ne_u32_e32 vcc, v81, v95
	s_and_saveexec_b64 s[10:11], vcc
	s_cbranch_execz .LBB128_19
; %bb.17:                               ;   in Loop: Header=BB128_13 Depth=2
	s_mov_b64 s[12:13], 0
.LBB128_18:                             ;   Parent Loop BB128_7 Depth=1
                                        ;     Parent Loop BB128_13 Depth=2
                                        ; =>    This Inner Loop Header: Depth=3
	;;#ASMSTART
	s_sleep 0
	;;#ASMEND
	ds_read_b32 v80, v121 offset:61444
	s_waitcnt lgkmcnt(0)
	v_cmp_eq_u32_e32 vcc, v80, v95
	s_or_b64 s[12:13], vcc, s[12:13]
	s_andn2_b64 exec, exec, s[12:13]
	s_cbranch_execnz .LBB128_18
.LBB128_19:                             ;   in Loop: Header=BB128_13 Depth=2
	s_or_b64 exec, exec, s[10:11]
	s_movk_i32 s10, 0x2800
	v_mul_lo_u32 v80, v120, s10
	v_or_b32_e32 v81, v96, v80
	ds_read2_b32 v[82:83], v81 offset1:32
	ds_write_b32 v121, v122 offset:61444
	s_waitcnt lgkmcnt(1)
	v_mfma_f32_32x32x16_fp8_fp8 v[64:79], v[92:93], v[82:83], v[64:79]
	ds_read2_b32 v[82:83], v81 offset0:128 offset1:160
	v_add_u32_e32 v81, 0x400, v81
	s_waitcnt lgkmcnt(0)
	v_mfma_f32_32x32x16_fp8_fp8 v[64:79], v[90:91], v[82:83], v[64:79]
	ds_read2_b32 v[82:83], v81 offset1:32
	s_waitcnt lgkmcnt(0)
	v_mfma_f32_32x32x16_fp8_fp8 v[64:79], v[88:89], v[82:83], v[64:79]
	ds_read2_b32 v[82:83], v81 offset0:128 offset1:160
	ds_read_b32 v81, v121 offset:61452
	s_waitcnt lgkmcnt(0)
	v_cmp_ne_u32_e32 vcc, v81, v95
	v_mfma_f32_32x32x16_fp8_fp8 v[64:79], v[86:87], v[82:83], v[64:79]
	s_and_saveexec_b64 s[10:11], vcc
	s_cbranch_execz .LBB128_22
; %bb.20:                               ;   in Loop: Header=BB128_13 Depth=2
	s_mov_b64 s[12:13], 0
.LBB128_21:                             ;   Parent Loop BB128_7 Depth=1
                                        ;     Parent Loop BB128_13 Depth=2
                                        ; =>    This Inner Loop Header: Depth=3
	;;#ASMSTART
	s_sleep 0
	;;#ASMEND
	ds_read_b32 v81, v121 offset:61452
	s_waitcnt lgkmcnt(0)
	v_cmp_eq_u32_e32 vcc, v81, v95
	s_or_b64 s[12:13], vcc, s[12:13]
	s_andn2_b64 exec, exec, s[12:13]
	s_cbranch_execnz .LBB128_21
.LBB128_22:                             ;   in Loop: Header=BB128_13 Depth=2
	s_or_b64 exec, exec, s[10:11]
	v_add_u32_e32 v80, v96, v80
	v_add_u32_e32 v81, 0x800, v80
	ds_read2_b32 v[82:83], v81 offset1:32
	ds_write_b32 v121, v122 offset:61452
	s_waitcnt lgkmcnt(1)
	v_mfma_f32_32x32x16_fp8_fp8 v[48:63], v[92:93], v[82:83], v[48:63]
	ds_read2_b32 v[82:83], v81 offset0:128 offset1:160
	v_add_u32_e32 v81, 0xc00, v80
	s_waitcnt lgkmcnt(0)
	v_mfma_f32_32x32x16_fp8_fp8 v[48:63], v[90:91], v[82:83], v[48:63]
	ds_read2_b32 v[82:83], v81 offset1:32
	s_waitcnt lgkmcnt(0)
	v_mfma_f32_32x32x16_fp8_fp8 v[48:63], v[88:89], v[82:83], v[48:63]
	ds_read2_b32 v[82:83], v81 offset0:128 offset1:160
	ds_read_b32 v81, v121 offset:61460
	s_waitcnt lgkmcnt(0)
	v_cmp_ne_u32_e32 vcc, v81, v95
	v_mfma_f32_32x32x16_fp8_fp8 v[48:63], v[86:87], v[82:83], v[48:63]
	s_and_saveexec_b64 s[10:11], vcc
	s_cbranch_execz .LBB128_25
; %bb.23:                               ;   in Loop: Header=BB128_13 Depth=2
	s_mov_b64 s[12:13], 0
.LBB128_24:                             ;   Parent Loop BB128_7 Depth=1
                                        ;     Parent Loop BB128_13 Depth=2
                                        ; =>    This Inner Loop Header: Depth=3
	;;#ASMSTART
	s_sleep 0
	;;#ASMEND
	ds_read_b32 v81, v121 offset:61460
	s_waitcnt lgkmcnt(0)
	v_cmp_eq_u32_e32 vcc, v81, v95
	s_or_b64 s[12:13], vcc, s[12:13]
	s_andn2_b64 exec, exec, s[12:13]
	s_cbranch_execnz .LBB128_24
.LBB128_25:                             ;   in Loop: Header=BB128_13 Depth=2
	s_or_b64 exec, exec, s[10:11]
	v_add_u32_e32 v81, 0x1000, v80
	ds_read2_b32 v[82:83], v81 offset1:32
	s_waitcnt lgkmcnt(0)
	v_mfma_f32_32x32x16_fp8_fp8 v[32:47], v[92:93], v[82:83], v[32:47]
	ds_read2_b32 v[82:83], v81 offset0:128 offset1:160
	v_add_u32_e32 v81, 0x1400, v80
	s_waitcnt lgkmcnt(0)
	v_mfma_f32_32x32x16_fp8_fp8 v[32:47], v[90:91], v[82:83], v[32:47]
	ds_read2_b32 v[82:83], v81 offset1:32
	s_waitcnt lgkmcnt(0)
	v_mfma_f32_32x32x16_fp8_fp8 v[32:47], v[88:89], v[82:83], v[32:47]
	ds_read_b32 v84, v121 offset:61468
	ds_read2_b32 v[82:83], v81 offset0:128 offset1:160
	ds_write_b32 v121, v122 offset:61460
	s_waitcnt lgkmcnt(2)
	v_cmp_ne_u32_e32 vcc, v84, v95
	s_waitcnt lgkmcnt(1)
	v_mfma_f32_32x32x16_fp8_fp8 v[32:47], v[86:87], v[82:83], v[32:47]
	s_and_saveexec_b64 s[10:11], vcc
	s_cbranch_execz .LBB128_28
; %bb.26:                               ;   in Loop: Header=BB128_13 Depth=2
	s_mov_b64 s[12:13], 0
.LBB128_27:                             ;   Parent Loop BB128_7 Depth=1
                                        ;     Parent Loop BB128_13 Depth=2
                                        ; =>    This Inner Loop Header: Depth=3
	;;#ASMSTART
	s_sleep 0
	;;#ASMEND
	ds_read_b32 v81, v121 offset:61468
	s_waitcnt lgkmcnt(0)
	v_cmp_eq_u32_e32 vcc, v81, v95
	s_or_b64 s[12:13], vcc, s[12:13]
	s_andn2_b64 exec, exec, s[12:13]
	s_cbranch_execnz .LBB128_27
.LBB128_28:                             ;   in Loop: Header=BB128_13 Depth=2
	s_or_b64 exec, exec, s[10:11]
	v_add_u32_e32 v81, 0x1800, v80
	ds_read2_b32 v[82:83], v81 offset1:32
	s_waitcnt lgkmcnt(0)
	v_mfma_f32_32x32x16_fp8_fp8 v[16:31], v[92:93], v[82:83], v[16:31]
	ds_read2_b32 v[82:83], v81 offset0:128 offset1:160
	v_add_u32_e32 v81, 0x1c00, v80
	s_waitcnt lgkmcnt(0)
	v_mfma_f32_32x32x16_fp8_fp8 v[16:31], v[90:91], v[82:83], v[16:31]
	ds_read2_b32 v[82:83], v81 offset1:32
	s_waitcnt lgkmcnt(0)
	v_mfma_f32_32x32x16_fp8_fp8 v[16:31], v[88:89], v[82:83], v[16:31]
	ds_read_b32 v84, v121 offset:61476
	ds_read2_b32 v[82:83], v81 offset0:128 offset1:160
	ds_write_b32 v121, v122 offset:61468
	s_waitcnt lgkmcnt(2)
	v_cmp_ne_u32_e32 vcc, v84, v95
	s_waitcnt lgkmcnt(1)
	v_mfma_f32_32x32x16_fp8_fp8 v[16:31], v[86:87], v[82:83], v[16:31]
	s_and_saveexec_b64 s[10:11], vcc
	s_cbranch_execz .LBB128_12
; %bb.29:                               ;   in Loop: Header=BB128_13 Depth=2
	s_mov_b64 s[12:13], 0
.LBB128_30:                             ;   Parent Loop BB128_7 Depth=1
                                        ;     Parent Loop BB128_13 Depth=2
                                        ; =>    This Inner Loop Header: Depth=3
	;;#ASMSTART
	s_sleep 0
	;;#ASMEND
	ds_read_b32 v81, v121 offset:61476
	s_waitcnt lgkmcnt(0)
	v_cmp_eq_u32_e32 vcc, v81, v95
	s_or_b64 s[12:13], vcc, s[12:13]
	s_andn2_b64 exec, exec, s[12:13]
	s_cbranch_execnz .LBB128_30
	s_branch .LBB128_12
.LBB128_31:                             ;   in Loop: Header=BB128_7 Depth=1
	s_or_b64 exec, exec, s[8:9]
.LBB128_32:                             ;   in Loop: Header=BB128_7 Depth=1
	v_writelane_b32 v127, s80, 23
	v_writelane_b32 v127, s47, 24
	s_or_b64 exec, exec, s[6:7]
	scratch_load_dword v80, off, off offset:12 ; 4-byte Folded Reload
	scratch_load_dword v111, off, off offset:24 ; 4-byte Folded Reload
	;; [unrolled: 1-line block ×4, first 2 shown]
	s_mul_i32 s6, s3, s25
	s_ashr_i32 s7, s6, 31
	s_lshl_b64 s[6:7], s[6:7], 1
	s_add_u32 s68, s20, s6
	s_addc_u32 s69, s21, s7
	s_mov_b32 s34, s72
	s_ashr_i32 s73, s72, 31
	v_writelane_b32 v127, s34, 25
	scratch_store_dwordx2 off, v[98:99], off ; 8-byte Folded Spill
	v_subrev_u32_e32 v118, s33, v118
	v_writelane_b32 v127, s35, 26
	s_lshl_b64 s[34:35], s[72:73], 1
	s_add_u32 s34, s68, s34
	s_addc_u32 s35, s69, s35
	v_writelane_b32 v127, s34, 27
	s_waitcnt vmcnt(4)
	v_cmp_le_i32_e32 vcc, s70, v80
	s_nop 1
	v_cndmask_b32_e32 v80, 0, v119, vcc
	v_pk_mul_f32 v[64:65], v[80:81], v[64:65] op_sel_hi:[0,1]
	s_waitcnt vmcnt(3)
	v_cmp_eq_u32_e64 s[64:65], 1, v111
	v_pk_mul_f32 v[78:79], v[80:81], v[78:79] op_sel_hi:[0,1]
	v_pk_mul_f32 v[76:77], v[80:81], v[76:77] op_sel_hi:[0,1]
	;; [unrolled: 1-line block ×7, first 2 shown]
	v_cndmask_b32_e64 v80, v64, v65, s[64:65]
	v_cmp_eq_u32_e64 s[38:39], 2, v111
	v_cmp_eq_u32_e64 s[40:41], 3, v111
	v_cmp_eq_u32_e64 s[42:43], 4, v111
	v_cndmask_b32_e64 v80, v80, v66, s[38:39]
	v_cndmask_b32_e64 v80, v80, v67, s[40:41]
	v_cndmask_b32_e64 v80, v80, v68, s[42:43]
	v_cmp_eq_u32_e64 s[44:45], 5, v111
	v_cmp_eq_u32_e64 s[46:47], 6, v111
	v_cmp_eq_u32_e64 s[48:49], 7, v111
	v_cndmask_b32_e64 v80, v80, v69, s[44:45]
	v_cndmask_b32_e64 v80, v80, v70, s[46:47]
	v_cndmask_b32_e64 v80, v80, v71, s[48:49]
	v_cmp_eq_u32_e64 s[50:51], 8, v111
	v_cmp_eq_u32_e64 s[52:53], 9, v111
	v_cmp_eq_u32_e64 s[54:55], 10, v111
	v_cndmask_b32_e64 v80, v80, v72, s[50:51]
	v_cndmask_b32_e64 v80, v80, v73, s[52:53]
	v_cndmask_b32_e64 v80, v80, v74, s[54:55]
	v_cmp_eq_u32_e64 s[56:57], 11, v111
	v_cmp_eq_u32_e64 s[58:59], 12, v111
	v_cmp_eq_u32_e64 s[60:61], 13, v111
	v_cndmask_b32_e64 v80, v80, v75, s[56:57]
	v_cndmask_b32_e64 v80, v80, v76, s[58:59]
	v_cndmask_b32_e64 v80, v80, v77, s[60:61]
	v_cmp_eq_u32_e64 s[62:63], 14, v111
	v_cmp_eq_u32_e64 s[66:67], 15, v111
	v_cmp_eq_u32_e64 s[36:37], 0, v111
	v_cndmask_b32_e64 v80, v80, v78, s[62:63]
	v_cndmask_b32_e64 v80, v80, v79, s[66:67]
	ds_bpermute_b32 v80, v116, v80
	s_waitcnt vmcnt(2)
	v_cmp_eq_u32_e32 vcc, 1, v91
	v_cmp_eq_u32_e64 s[6:7], 2, v91
	v_cmp_eq_u32_e64 s[8:9], 3, v91
	;; [unrolled: 1-line block ×3, first 2 shown]
	s_waitcnt lgkmcnt(0)
	v_cndmask_b32_e64 v90, v65, v80, s[64:65]
	v_cndmask_b32_e64 v87, v64, v80, s[36:37]
	;; [unrolled: 1-line block ×3, first 2 shown]
	v_cndmask_b32_e32 v64, v87, v90, vcc
	v_cndmask_b32_e64 v86, v67, v80, s[40:41]
	v_cndmask_b32_e64 v64, v64, v66, s[6:7]
	;; [unrolled: 1-line block ×6, first 2 shown]
	v_cmp_eq_u32_e64 s[12:13], 5, v91
	v_cndmask_b32_e64 v83, v70, v80, s[46:47]
	v_cmp_eq_u32_e64 s[14:15], 6, v91
	v_cndmask_b32_e64 v64, v64, v84, s[12:13]
	v_cndmask_b32_e64 v82, v71, v80, s[48:49]
	v_cndmask_b32_e64 v64, v64, v83, s[14:15]
	v_cmp_eq_u32_e64 s[16:17], 7, v91
	v_cndmask_b32_e64 v81, v72, v80, s[50:51]
	v_cmp_eq_u32_e64 s[18:19], 8, v91
	v_cndmask_b32_e64 v64, v64, v82, s[16:17]
	v_cndmask_b32_e64 v73, v73, v80, s[52:53]
	v_cndmask_b32_e64 v64, v64, v81, s[18:19]
	;; [unrolled: 6-line block ×5, first 2 shown]
	v_writelane_b32 v127, s35, 28
	v_cmp_eq_u32_e64 s[34:35], 15, v91
	scratch_load_dword v80, off, off offset:64 ; 4-byte Folded Reload
	s_waitcnt vmcnt(2)
	v_cmp_eq_u32_e64 s[72:73], 9, v115
	v_cndmask_b32_e64 v64, v64, v79, s[34:35]
	ds_bpermute_b32 v89, v116, v64
	scratch_load_dword v64, off, off offset:56 ; 4-byte Folded Reload
	s_waitcnt lgkmcnt(0)
	v_cndmask_b32_e64 v65, v79, v89, s[34:35]
	v_cndmask_b32_e64 v79, v66, v89, s[6:7]
	;; [unrolled: 1-line block ×8, first 2 shown]
	v_cndmask_b32_e32 v86, v90, v89, vcc
	v_cndmask_b32_e64 v68, v77, v89, s[78:79]
	v_cndmask_b32_e64 v77, v85, v89, s[10:11]
	;; [unrolled: 1-line block ×6, first 2 shown]
	s_waitcnt vmcnt(0)
	v_cmp_le_i32_e64 s[68:69], s70, v64
	scratch_load_dword v64, off, off offset:60 ; 4-byte Folded Reload
	s_nop 0
	v_cndmask_b32_e64 v66, 0, v119, s[68:69]
	v_pk_mul_f32 v[62:63], v[66:67], v[62:63] op_sel_hi:[0,1]
	v_pk_mul_f32 v[60:61], v[66:67], v[60:61] op_sel_hi:[0,1]
	;; [unrolled: 1-line block ×8, first 2 shown]
	s_waitcnt vmcnt(0)
	v_cmp_le_i32_e64 s[68:69], s70, v64
	s_nop 1
	v_cndmask_b32_e64 v64, 0, v119, s[68:69]
	v_cmp_le_i32_e64 s[68:69], s70, v80
	scratch_load_dword v80, off, off offset:68 ; 4-byte Folded Reload
	v_pk_mul_f32 v[46:47], v[64:65], v[46:47] op_sel_hi:[0,1]
	v_cndmask_b32_e64 v66, 0, v119, s[68:69]
	v_pk_mul_f32 v[16:17], v[66:67], v[16:17] op_sel_hi:[0,1]
	v_pk_mul_f32 v[96:97], v[66:67], v[26:27] op_sel_hi:[0,1]
	;; [unrolled: 1-line block ×3, first 2 shown]
	v_cndmask_b32_e64 v26, v16, v17, s[64:65]
	v_cndmask_b32_e64 v26, v26, v18, s[38:39]
	v_pk_mul_f32 v[20:21], v[66:67], v[20:21] op_sel_hi:[0,1]
	v_cndmask_b32_e64 v26, v26, v19, s[40:41]
	v_cndmask_b32_e64 v26, v26, v20, s[42:43]
	v_pk_mul_f32 v[44:45], v[64:65], v[44:45] op_sel_hi:[0,1]
	v_pk_mul_f32 v[42:43], v[64:65], v[42:43] op_sel_hi:[0,1]
	;; [unrolled: 1-line block ×7, first 2 shown]
	v_cndmask_b32_e64 v64, v48, v49, s[64:65]
	v_pk_mul_f32 v[22:23], v[66:67], v[22:23] op_sel_hi:[0,1]
	v_cndmask_b32_e64 v26, v26, v21, s[44:45]
	v_cndmask_b32_e64 v64, v64, v50, s[38:39]
	;; [unrolled: 1-line block ×4, first 2 shown]
	v_pk_mul_f32 v[24:25], v[66:67], v[24:25] op_sel_hi:[0,1]
	v_cndmask_b32_e64 v26, v26, v23, s[48:49]
	v_cndmask_b32_e64 v64, v64, v52, s[42:43]
	;; [unrolled: 1-line block ×8, first 2 shown]
	v_pk_mul_f32 v[82:83], v[66:67], v[28:29] op_sel_hi:[0,1]
	v_cndmask_b32_e64 v26, v26, v97, s[56:57]
	v_cndmask_b32_e64 v64, v64, v56, s[50:51]
	;; [unrolled: 1-line block ×4, first 2 shown]
	v_pk_mul_f32 v[30:31], v[66:67], v[30:31] op_sel_hi:[0,1]
	v_cndmask_b32_e64 v26, v26, v83, s[60:61]
	v_cndmask_b32_e64 v64, v64, v58, s[54:55]
	;; [unrolled: 1-line block ×6, first 2 shown]
	ds_bpermute_b32 v99, v116, v26
	v_cndmask_b32_e64 v64, v64, v61, s[60:61]
	v_cndmask_b32_e64 v64, v64, v62, s[62:63]
	;; [unrolled: 1-line block ×3, first 2 shown]
	ds_bpermute_b32 v117, v116, v64
	v_cndmask_b32_e64 v64, v32, v33, s[64:65]
	v_cndmask_b32_e64 v64, v64, v34, s[38:39]
	;; [unrolled: 1-line block ×15, first 2 shown]
	ds_bpermute_b32 v106, v116, v64
	s_waitcnt lgkmcnt(1)
	v_cndmask_b32_e64 v26, v49, v117, s[64:65]
	v_cndmask_b32_e64 v27, v63, v117, s[66:67]
	v_cndmask_b32_e64 v85, v31, v99, s[66:67]
	v_cndmask_b32_e64 v28, v62, v117, s[62:63]
	s_waitcnt lgkmcnt(0)
	v_cndmask_b32_e64 v63, v47, v106, s[66:67]
	v_cndmask_b32_e64 v62, v46, v106, s[62:63]
	;; [unrolled: 1-line block ×10, first 2 shown]
	s_waitcnt vmcnt(0)
	v_cmp_le_i32_e64 s[68:69], s70, v80
	v_cmp_eq_u32_e64 s[70:71], 7, v115
	v_cndmask_b32_e64 v96, v23, v99, s[48:49]
	v_cndmask_b32_e64 v80, 0, v119, s[68:69]
	v_pk_mul_f32 v[0:1], v[80:81], v[0:1] op_sel_hi:[0,1]
	v_pk_mul_f32 v[100:101], v[80:81], v[6:7] op_sel_hi:[0,1]
	;; [unrolled: 1-line block ×3, first 2 shown]
	v_cndmask_b32_e64 v7, v17, v99, s[64:65]
	v_cndmask_b32_e64 v17, v0, v1, s[64:65]
	;; [unrolled: 1-line block ×3, first 2 shown]
	v_pk_mul_f32 v[4:5], v[80:81], v[4:5] op_sel_hi:[0,1]
	v_cndmask_b32_e64 v17, v17, v3, s[40:41]
	v_cndmask_b32_e64 v17, v17, v4, s[42:43]
	;; [unrolled: 1-line block ×4, first 2 shown]
	v_pk_mul_f32 v[8:9], v[80:81], v[8:9] op_sel_hi:[0,1]
	v_cndmask_b32_e64 v17, v17, v101, s[48:49]
	v_cndmask_b32_e64 v17, v17, v8, s[50:51]
	v_pk_mul_f32 v[10:11], v[80:81], v[10:11] op_sel_hi:[0,1]
	v_cndmask_b32_e64 v17, v17, v9, s[52:53]
	v_cndmask_b32_e64 v17, v17, v10, s[54:55]
	;; [unrolled: 3-line block ×4, first 2 shown]
	v_cndmask_b32_e64 v17, v17, v15, s[66:67]
	ds_bpermute_b32 v98, v116, v17
	v_cmp_eq_u32_e64 s[68:69], 0, v91
	v_cndmask_b32_e64 v6, v33, v106, s[64:65]
	v_cmp_eq_u32_e64 s[64:65], 1, v115
	v_cndmask_b32_e64 v87, v87, v89, s[68:69]
	s_waitcnt lgkmcnt(0)
	v_cndmask_b32_e64 v112, v15, v98, s[66:67]
	v_cndmask_b32_e64 v17, v87, v86, s[64:65]
	v_cmp_eq_u32_e64 s[66:67], 2, v115
	v_cndmask_b32_e64 v89, v30, v99, s[62:63]
	v_cndmask_b32_e64 v113, v14, v98, s[62:63]
	;; [unrolled: 1-line block ×3, first 2 shown]
	v_cmp_eq_u32_e64 s[62:63], 3, v115
	v_cndmask_b32_e64 v119, v13, v98, s[60:61]
	v_cmp_eq_u32_e64 s[60:61], 4, v115
	v_cndmask_b32_e64 v14, v15, v78, s[62:63]
	v_cndmask_b32_e64 v30, v60, v117, s[58:59]
	;; [unrolled: 1-line block ×6, first 2 shown]
	v_cmp_eq_u32_e64 s[58:59], 5, v115
	v_cndmask_b32_e64 v121, v11, v98, s[56:57]
	v_cmp_eq_u32_e64 s[56:57], 6, v115
	v_cndmask_b32_e64 v12, v13, v76, s[58:59]
	v_cndmask_b32_e64 v33, v58, v117, s[54:55]
	;; [unrolled: 1-line block ×9, first 2 shown]
	v_cmp_eq_u32_e64 s[52:53], 8, v115
	v_cndmask_b32_e64 v124, v8, v98, s[50:51]
	v_cndmask_b32_e64 v44, v55, v117, s[48:49]
	;; [unrolled: 1-line block ×6, first 2 shown]
	v_cmp_eq_u32_e64 s[48:49], 10, v115
	v_cndmask_b32_e64 v43, v56, v117, s[50:51]
	v_cndmask_b32_e64 v64, v40, v106, s[50:51]
	;; [unrolled: 1-line block ×4, first 2 shown]
	v_cmp_eq_u32_e64 s[50:51], 11, v115
	v_cndmask_b32_e64 v45, v54, v117, s[46:47]
	v_cndmask_b32_e64 v81, v38, v106, s[46:47]
	;; [unrolled: 1-line block ×5, first 2 shown]
	v_cmp_eq_u32_e64 s[46:47], 12, v115
	v_cndmask_b32_e64 v105, v5, v98, s[44:45]
	v_cndmask_b32_e64 v46, v52, v117, s[42:43]
	;; [unrolled: 1-line block ×6, first 2 shown]
	v_cmp_eq_u32_e64 s[42:43], 13, v115
	v_cndmask_b32_e64 v102, v53, v117, s[44:45]
	v_cndmask_b32_e64 v103, v37, v106, s[44:45]
	v_cndmask_b32_e64 v104, v21, v99, s[44:45]
	v_cndmask_b32_e64 v4, v5, v68, s[42:43]
	v_cmp_eq_u32_e64 s[44:45], 14, v115
	v_cndmask_b32_e64 v49, v50, v117, s[38:39]
	v_cndmask_b32_e64 v84, v34, v106, s[38:39]
	;; [unrolled: 1-line block ×4, first 2 shown]
	v_cmp_ne_u32_e64 s[38:39], 0, v111
	v_cndmask_b32_e64 v100, v3, v98, s[40:41]
	v_cndmask_b32_e64 v3, v4, v67, s[44:45]
	;; [unrolled: 1-line block ×3, first 2 shown]
	v_cmp_eq_u32_e64 s[38:39], 15, v115
	v_cndmask_b32_e64 v109, v19, v99, s[40:41]
	v_cndmask_b32_e64 v19, v48, v117, s[36:37]
	v_cndmask_b32_e64 v1, v3, v65, s[38:39]
	ds_bpermute_b32 v20, v116, v1
	v_cndmask_b32_e64 v47, v51, v117, s[40:41]
	v_cndmask_b32_e64 v34, v32, v106, s[36:37]
	;; [unrolled: 1-line block ×4, first 2 shown]
	s_waitcnt lgkmcnt(0)
	v_cndmask_b32_e64 v2, v67, v20, s[44:45]
	v_cndmask_b32_e64 v67, v0, v98, s[36:37]
	v_cndmask_b32_e32 v0, v19, v26, vcc
	v_cndmask_b32_e64 v0, v0, v49, s[6:7]
	v_cndmask_b32_e64 v0, v0, v47, s[8:9]
	v_cndmask_b32_e64 v0, v0, v46, s[10:11]
	v_cndmask_b32_e64 v0, v0, v102, s[12:13]
	v_cndmask_b32_e64 v0, v0, v45, s[14:15]
	v_cndmask_b32_e64 v0, v0, v44, s[16:17]
	v_cndmask_b32_e64 v0, v0, v43, s[18:19]
	v_cndmask_b32_e64 v0, v0, v42, s[20:21]
	v_cndmask_b32_e64 v0, v0, v33, s[22:23]
	v_cndmask_b32_e64 v0, v0, v31, s[74:75]
	v_cndmask_b32_e64 v0, v0, v30, s[76:77]
	v_cndmask_b32_e64 v0, v0, v29, s[78:79]
	v_cndmask_b32_e64 v0, v0, v28, s[80:81]
	v_cndmask_b32_e64 v0, v0, v27, s[34:35]
	ds_bpermute_b32 v98, v116, v0
	v_cndmask_b32_e32 v0, v34, v6, vcc
	v_cndmask_b32_e64 v0, v0, v84, s[6:7]
	v_cndmask_b32_e64 v0, v0, v83, s[8:9]
	v_cndmask_b32_e64 v0, v0, v82, s[10:11]
	v_cndmask_b32_e64 v0, v0, v103, s[12:13]
	v_cndmask_b32_e64 v0, v0, v81, s[14:15]
	v_cndmask_b32_e64 v0, v0, v80, s[16:17]
	v_cndmask_b32_e64 v0, v0, v64, s[18:19]
	v_cndmask_b32_e64 v0, v0, v41, s[20:21]
	v_cndmask_b32_e64 v0, v0, v58, s[22:23]
	v_cndmask_b32_e64 v0, v0, v59, s[74:75]
	v_cndmask_b32_e64 v0, v0, v60, s[76:77]
	v_cndmask_b32_e64 v0, v0, v61, s[78:79]
	v_cndmask_b32_e64 v0, v0, v62, s[80:81]
	v_cndmask_b32_e64 v0, v0, v63, s[34:35]
	ds_bpermute_b32 v99, v116, v0
	;; [unrolled: 16-line block ×3, first 2 shown]
	v_cndmask_b32_e32 v0, v67, v66, vcc
	v_cndmask_b32_e64 v0, v0, v101, s[6:7]
	v_cndmask_b32_e64 v0, v0, v100, s[8:9]
	;; [unrolled: 1-line block ×3, first 2 shown]
	s_waitcnt lgkmcnt(0)
	v_cndmask_b32_e64 v51, v85, v106, s[34:35]
	scratch_load_dword v85, off, off offset:36 ; 4-byte Folded Reload
	v_cndmask_b32_e64 v0, v0, v105, s[12:13]
	v_cndmask_b32_e64 v0, v0, v126, s[14:15]
	;; [unrolled: 1-line block ×11, first 2 shown]
	ds_bpermute_b32 v117, v116, v0
	v_cmp_eq_u32_e64 s[36:37], 0, v115
	v_cndmask_b32_e64 v3, v68, v20, s[42:43]
	v_cndmask_b32_e64 v15, v78, v20, s[62:63]
	;; [unrolled: 1-line block ×6, first 2 shown]
	s_waitcnt lgkmcnt(0)
	v_cndmask_b32_e64 v68, v112, v117, s[34:35]
	v_cndmask_b32_e64 v78, v105, v117, s[12:13]
	scratch_load_dword v105, off, off offset:48 ; 4-byte Folded Reload
	v_cndmask_b32_e64 v17, v79, v20, s[66:67]
	v_cndmask_b32_e64 v14, v77, v20, s[60:61]
	;; [unrolled: 1-line block ×36, first 2 shown]
	v_cndmask_b32_e32 v26, v26, v98, vcc
	v_cndmask_b32_e32 v89, v66, v117, vcc
	v_cndmask_b32_e64 v34, v34, v99, s[68:69]
	v_cndmask_b32_e64 v66, v50, v106, s[68:69]
	;; [unrolled: 1-line block ×10, first 2 shown]
	s_waitcnt vmcnt(1)
	v_cmp_eq_u32_e64 s[34:35], 1, v85
	s_nop 1
	v_cndmask_b32_e64 v21, v0, v18, s[34:35]
	v_cmp_eq_u32_e64 s[90:91], 2, v85
	v_cmp_eq_u32_e64 s[86:87], 3, v85
	;; [unrolled: 1-line block ×3, first 2 shown]
	v_cndmask_b32_e64 v22, v21, v17, s[90:91]
	v_cndmask_b32_e64 v23, v22, v15, s[86:87]
	;; [unrolled: 1-line block ×3, first 2 shown]
	v_cmp_eq_u32_e64 s[94:95], 5, v85
	v_cndmask_b32_e64 v21, v29, v98, s[78:79]
	v_cndmask_b32_e64 v22, v30, v98, s[76:77]
	;; [unrolled: 1-line block ×4, first 2 shown]
	v_cmp_eq_u32_e64 s[22:23], 6, v85
	v_cndmask_b32_e64 v23, v31, v98, s[74:75]
	v_cmp_eq_u32_e64 s[76:77], 13, v85
	v_cndmask_b32_e64 v27, v25, v12, s[22:23]
	v_cndmask_b32_e64 v25, v42, v98, s[20:21]
	v_cmp_eq_u32_e64 s[20:21], 7, v85
	v_cndmask_b32_e64 v42, v64, v99, s[18:19]
	v_cndmask_b32_e64 v64, v110, v106, s[6:7]
	;; [unrolled: 1-line block ×4, first 2 shown]
	v_cmp_eq_u32_e64 s[18:19], 8, v85
	v_cndmask_b32_e64 v43, v80, v99, s[16:17]
	s_nop 0
	v_cndmask_b32_e64 v29, v28, v10, s[18:19]
	v_cndmask_b32_e64 v28, v44, v98, s[16:17]
	v_cmp_eq_u32_e64 s[16:17], 9, v85
	v_cndmask_b32_e64 v44, v81, v99, s[14:15]
	s_nop 0
	v_cndmask_b32_e64 v30, v29, v9, s[16:17]
	v_cndmask_b32_e64 v29, v45, v98, s[14:15]
	;; [unrolled: 5-line block ×3, first 2 shown]
	v_cmp_eq_u32_e64 s[12:13], 11, v85
	s_nop 1
	v_cndmask_b32_e64 v32, v31, v5, s[12:13]
	v_cndmask_b32_e64 v31, v46, v98, s[10:11]
	;; [unrolled: 1-line block ×3, first 2 shown]
	v_cmp_eq_u32_e64 s[10:11], 12, v85
	s_nop 1
	v_cndmask_b32_e64 v33, v32, v4, s[10:11]
	v_cndmask_b32_e64 v65, v33, v3, s[76:77]
	;; [unrolled: 1-line block ×3, first 2 shown]
	v_cmp_eq_u32_e64 s[6:7], 14, v85
	v_cndmask_b32_e32 v49, v6, v99, vcc
	v_cndmask_b32_e64 v32, v47, v98, s[8:9]
	v_cndmask_b32_e64 v80, v65, v2, s[6:7]
	v_cndmask_b32_e32 v65, v7, v106, vcc
	v_cmp_eq_u32_e32 vcc, 15, v85
	v_cndmask_b32_e64 v47, v83, v99, s[8:9]
	v_cmp_eq_u32_e64 s[8:9], 0, v85
	v_cndmask_b32_e32 v6, v80, v1, vcc
	ds_bpermute_b32 v80, v116, v6
	scratch_load_dword v85, off, off offset:44 ; 4-byte Folded Reload
	s_waitcnt lgkmcnt(0)
	v_cndmask_b32_e64 v6, v8, v80, s[14:15]
	v_cndmask_b32_e64 v8, v10, v80, s[18:19]
	;; [unrolled: 1-line block ×26, first 2 shown]
	ds_bpermute_b32 v50, v116, v18
	v_cndmask_b32_e64 v18, v34, v49, s[64:65]
	v_cndmask_b32_e64 v18, v18, v48, s[66:67]
	;; [unrolled: 1-line block ×15, first 2 shown]
	ds_bpermute_b32 v81, v116, v18
	v_cndmask_b32_e64 v18, v66, v65, s[64:65]
	v_cndmask_b32_e64 v18, v18, v64, s[66:67]
	;; [unrolled: 1-line block ×15, first 2 shown]
	ds_bpermute_b32 v82, v116, v18
	v_cndmask_b32_e64 v18, v90, v89, s[64:65]
	v_cndmask_b32_e64 v18, v18, v87, s[66:67]
	;; [unrolled: 1-line block ×4, first 2 shown]
	s_waitcnt lgkmcnt(0)
	v_cndmask_b32_e64 v67, v51, v82, s[38:39]
	scratch_load_dword v51, off, off offset:40 ; 4-byte Folded Reload
	v_cndmask_b32_e64 v18, v18, v78, s[58:59]
	v_cndmask_b32_e64 v18, v18, v77, s[56:57]
	;; [unrolled: 1-line block ×11, first 2 shown]
	ds_bpermute_b32 v83, v116, v18
	v_cndmask_b32_e64 v0, v0, v80, s[8:9]
	v_cndmask_b32_e64 v16, v16, v50, s[38:39]
	;; [unrolled: 1-line block ×4, first 2 shown]
	s_waitcnt lgkmcnt(0)
	v_cndmask_b32_e64 v91, v68, v83, s[38:39]
	v_cndmask_b32_e64 v36, v36, v81, s[44:45]
	;; [unrolled: 1-line block ×23, first 2 shown]
	v_cndmask_b32_e32 v1, v1, v80, vcc
	v_cndmask_b32_e64 v26, v26, v50, s[64:65]
	v_cndmask_b32_e64 v49, v49, v81, s[64:65]
	;; [unrolled: 1-line block ×27, first 2 shown]
	s_waitcnt vmcnt(1)
	v_cmp_eq_u32_e64 s[64:65], 9, v85
	s_waitcnt vmcnt(0)
	v_cmp_eq_u32_e64 s[40:41], 1, v51
	s_nop 1
	v_cndmask_b32_e64 v19, v0, v15, s[40:41]
	v_cmp_eq_u32_e64 s[38:39], 2, v51
	v_cmp_eq_u32_e64 s[44:45], 3, v51
	;; [unrolled: 1-line block ×3, first 2 shown]
	v_cndmask_b32_e64 v20, v19, v14, s[38:39]
	v_cndmask_b32_e64 v19, v21, v50, s[42:43]
	;; [unrolled: 1-line block ×4, first 2 shown]
	v_cmp_eq_u32_e64 s[46:47], 4, v51
	v_cmp_eq_u32_e64 s[68:69], 7, v51
	;; [unrolled: 1-line block ×3, first 2 shown]
	v_cndmask_b32_e64 v22, v21, v12, s[46:47]
	v_cndmask_b32_e64 v21, v23, v50, s[50:51]
	v_cmp_eq_u32_e64 s[50:51], 5, v51
	v_cmp_eq_u32_e64 s[78:79], 11, v51
	;; [unrolled: 1-line block ×3, first 2 shown]
	v_cndmask_b32_e64 v23, v22, v11, s[50:51]
	v_cndmask_b32_e64 v22, v24, v50, s[48:49]
	;; [unrolled: 1-line block ×5, first 2 shown]
	v_cmp_eq_u32_e64 s[72:73], 8, v51
	v_cndmask_b32_e64 v24, v27, v50, s[52:53]
	v_cmp_eq_u32_e64 s[84:85], 13, v51
	v_cndmask_b32_e64 v27, v25, v8, s[72:73]
	v_cndmask_b32_e64 v25, v28, v50, s[70:71]
	v_cmp_eq_u32_e64 s[70:71], 9, v51
	v_cmp_eq_u32_e64 s[88:89], 14, v51
	;; [unrolled: 1-line block ×3, first 2 shown]
	v_cndmask_b32_e64 v28, v27, v7, s[70:71]
	v_cndmask_b32_e64 v27, v29, v50, s[56:57]
	;; [unrolled: 1-line block ×12, first 2 shown]
	ds_bpermute_b32 v33, v116, v32
	v_cndmask_b32_e64 v32, v17, v50, s[36:37]
	v_cndmask_b32_e64 v17, v32, v26, s[34:35]
	;; [unrolled: 1-line block ×16, first 2 shown]
	v_cndmask_b32_e32 v17, v17, v16, vcc
	ds_bpermute_b32 v80, v116, v17
	v_cndmask_b32_e64 v17, v50, v49, s[34:35]
	v_cndmask_b32_e64 v17, v17, v48, s[90:91]
	v_cndmask_b32_e64 v17, v17, v47, s[86:87]
	v_cndmask_b32_e64 v17, v17, v46, s[82:83]
	v_cndmask_b32_e64 v17, v17, v45, s[94:95]
	v_cndmask_b32_e64 v17, v17, v44, s[22:23]
	v_cndmask_b32_e64 v17, v17, v43, s[20:21]
	v_cndmask_b32_e64 v17, v17, v42, s[18:19]
	v_cndmask_b32_e64 v17, v17, v41, s[16:17]
	v_cndmask_b32_e64 v17, v17, v40, s[14:15]
	v_cndmask_b32_e64 v17, v17, v39, s[12:13]
	v_cndmask_b32_e64 v17, v17, v38, s[10:11]
	v_cndmask_b32_e64 v17, v17, v37, s[76:77]
	v_cndmask_b32_e64 v17, v17, v36, s[6:7]
	v_cndmask_b32_e32 v17, v17, v35, vcc
	ds_bpermute_b32 v81, v116, v17
	v_cndmask_b32_e64 v17, v66, v65, s[34:35]
	v_cndmask_b32_e64 v17, v17, v64, s[90:91]
	v_cndmask_b32_e64 v17, v17, v63, s[86:87]
	v_cndmask_b32_e64 v17, v17, v78, s[82:83]
	v_cndmask_b32_e64 v17, v17, v77, s[94:95]
	v_cndmask_b32_e64 v17, v17, v76, s[22:23]
	v_cndmask_b32_e64 v17, v17, v75, s[20:21]
	v_cndmask_b32_e64 v17, v17, v74, s[18:19]
	v_cndmask_b32_e64 v17, v17, v73, s[16:17]
	v_cndmask_b32_e64 v17, v17, v72, s[14:15]
	v_cndmask_b32_e64 v17, v17, v71, s[12:13]
	v_cndmask_b32_e64 v17, v17, v70, s[10:11]
	v_cndmask_b32_e64 v17, v17, v69, s[76:77]
	v_cndmask_b32_e64 v17, v17, v68, s[6:7]
	;; [unrolled: 16-line block ×3, first 2 shown]
	v_cndmask_b32_e32 v17, v17, v91, vcc
	ds_bpermute_b32 v83, v116, v17
	v_cmp_eq_u32_e64 s[60:61], 0, v51
	s_waitcnt lgkmcnt(4)
	v_cndmask_b32_e64 v1, v1, v33, s[92:93]
	v_cndmask_b32_e64 v2, v2, v33, s[88:89]
	;; [unrolled: 1-line block ×16, first 2 shown]
	s_waitcnt lgkmcnt(3)
	v_cndmask_b32_e32 v33, v16, v80, vcc
	s_waitcnt lgkmcnt(2)
	v_cndmask_b32_e32 v51, v35, v81, vcc
	s_waitcnt lgkmcnt(1)
	v_cndmask_b32_e32 v67, v67, v82, vcc
	s_waitcnt lgkmcnt(0)
	v_cndmask_b32_e32 v91, v91, v83, vcc
	v_cmp_eq_u32_e32 vcc, 1, v85
	v_cndmask_b32_e64 v34, v18, v80, s[6:7]
	v_cndmask_b32_e64 v52, v36, v81, s[6:7]
	v_cndmask_b32_e32 v16, v0, v15, vcc
	v_cndmask_b32_e64 v68, v68, v82, s[6:7]
	v_cndmask_b32_e64 v92, v92, v83, s[6:7]
	v_cmp_eq_u32_e64 s[6:7], 2, v85
	v_cmp_eq_u32_e64 s[36:37], 3, v85
	;; [unrolled: 1-line block ×3, first 2 shown]
	v_cndmask_b32_e64 v16, v16, v14, s[6:7]
	v_cndmask_b32_e64 v16, v16, v13, s[36:37]
	;; [unrolled: 1-line block ×3, first 2 shown]
	v_cmp_eq_u32_e64 s[52:53], 5, v85
	v_cmp_eq_u32_e64 s[56:57], 6, v85
	;; [unrolled: 1-line block ×3, first 2 shown]
	v_cndmask_b32_e64 v16, v16, v11, s[52:53]
	v_cndmask_b32_e64 v16, v16, v10, s[56:57]
	;; [unrolled: 1-line block ×3, first 2 shown]
	v_cmp_eq_u32_e64 s[62:63], 8, v85
	v_cndmask_b32_e64 v35, v19, v80, s[76:77]
	v_cndmask_b32_e64 v53, v37, v81, s[76:77]
	;; [unrolled: 1-line block ×6, first 2 shown]
	v_cmp_eq_u32_e64 s[76:77], 10, v85
	v_cmp_eq_u32_e64 s[66:67], 11, v85
	v_cndmask_b32_e64 v29, v29, v80, s[82:83]
	v_cndmask_b32_e64 v16, v16, v6, s[76:77]
	;; [unrolled: 1-line block ×6, first 2 shown]
	v_cmp_eq_u32_e64 s[82:83], 12, v85
	v_cndmask_b32_e64 v30, v30, v80, s[86:87]
	v_cndmask_b32_e64 v47, v47, v81, s[86:87]
	v_cndmask_b32_e64 v16, v16, v4, s[82:83]
	v_cndmask_b32_e64 v63, v63, v82, s[86:87]
	v_cndmask_b32_e64 v108, v86, v83, s[86:87]
	v_cmp_eq_u32_e64 s[86:87], 13, v85
	v_cndmask_b32_e64 v31, v31, v80, s[90:91]
	v_cndmask_b32_e64 v48, v48, v81, s[90:91]
	v_cndmask_b32_e64 v16, v16, v3, s[86:87]
	v_cndmask_b32_e64 v79, v64, v82, s[90:91]
	v_cndmask_b32_e64 v109, v87, v83, s[90:91]
	;; [unrolled: 6-line block ×3, first 2 shown]
	v_cmp_eq_u32_e64 s[94:95], 15, v85
	v_cndmask_b32_e64 v58, v42, v81, s[18:19]
	v_cndmask_b32_e64 v42, v26, v80, s[34:35]
	;; [unrolled: 1-line block ×3, first 2 shown]
	ds_bpermute_b32 v26, v116, v16
	v_cndmask_b32_e64 v32, v32, v80, s[8:9]
	v_cndmask_b32_e64 v27, v27, v80, s[22:23]
	;; [unrolled: 1-line block ×4, first 2 shown]
	s_waitcnt lgkmcnt(0)
	v_cndmask_b32_e64 v16, v3, v26, s[86:87]
	v_cndmask_b32_e64 v3, v32, v42, s[40:41]
	;; [unrolled: 1-line block ×26, first 2 shown]
	ds_bpermute_b32 v98, v116, v3
	v_cndmask_b32_e64 v3, v50, v49, s[40:41]
	v_cndmask_b32_e64 v3, v3, v48, s[38:39]
	;; [unrolled: 1-line block ×19, first 2 shown]
	ds_bpermute_b32 v99, v116, v3
	v_cndmask_b32_e64 v3, v87, v86, s[40:41]
	v_cndmask_b32_e64 v3, v3, v79, s[38:39]
	;; [unrolled: 1-line block ×24, first 2 shown]
	ds_bpermute_b32 v103, v116, v3
	v_cndmask_b32_e64 v3, v84, v110, s[40:41]
	v_cndmask_b32_e64 v3, v3, v109, s[38:39]
	;; [unrolled: 1-line block ×18, first 2 shown]
	v_cmp_eq_u32_e64 s[42:43], 0, v85
	v_cndmask_b32_e64 v3, v3, v119, s[80:81]
	v_cndmask_b32_e64 v1, v1, v26, s[94:95]
	;; [unrolled: 1-line block ×14, first 2 shown]
	v_cndmask_b32_e32 v15, v15, v26, vcc
	v_cndmask_b32_e64 v3, v3, v93, s[84:85]
	v_cndmask_b32_e64 v26, v0, v26, s[42:43]
	v_cmp_eq_u32_e64 s[8:9], 1, v105
	v_cndmask_b32_e64 v3, v3, v92, s[88:89]
	v_cmp_eq_u32_e64 s[10:11], 2, v105
	v_cndmask_b32_e64 v0, v26, v15, s[8:9]
	v_cndmask_b32_e64 v3, v3, v91, s[92:93]
	;; [unrolled: 1-line block ×3, first 2 shown]
	v_cmp_eq_u32_e64 s[12:13], 3, v105
	ds_bpermute_b32 v104, v116, v3
	v_cmp_eq_u32_e64 s[14:15], 4, v105
	v_cndmask_b32_e64 v0, v0, v13, s[12:13]
	v_cmp_eq_u32_e64 s[16:17], 5, v105
	v_cndmask_b32_e64 v0, v0, v12, s[14:15]
	;; [unrolled: 2-line block ×5, first 2 shown]
	s_waitcnt lgkmcnt(1)
	v_cndmask_b32_e64 v89, v67, v103, s[92:93]
	s_waitcnt lgkmcnt(0)
	v_cndmask_b32_e64 v80, v120, v104, s[78:79]
	v_cndmask_b32_e64 v46, v39, v98, s[70:71]
	;; [unrolled: 1-line block ×6, first 2 shown]
	v_cmp_eq_u32_e64 s[70:71], 9, v105
	v_cndmask_b32_e64 v64, v54, v99, s[80:81]
	v_cndmask_b32_e64 v81, v121, v104, s[74:75]
	;; [unrolled: 1-line block ×7, first 2 shown]
	v_cmp_eq_u32_e64 s[72:73], 10, v105
	v_cndmask_b32_e64 v96, v119, v104, s[80:81]
	v_cndmask_b32_e64 v45, v38, v98, s[74:75]
	;; [unrolled: 1-line block ×5, first 2 shown]
	v_cmp_eq_u32_e64 s[74:75], 11, v105
	v_cndmask_b32_e64 v113, v93, v104, s[84:85]
	v_cndmask_b32_e64 v44, v37, v98, s[78:79]
	v_cndmask_b32_e64 v65, v55, v99, s[78:79]
	v_cndmask_b32_e64 v93, v71, v103, s[78:79]
	v_cndmask_b32_e64 v0, v0, v18, s[74:75]
	v_cmp_eq_u32_e64 s[78:79], 12, v105
	v_cmp_eq_u32_e64 s[34:35], 13, v105
	v_cndmask_b32_e64 v85, v91, v104, s[92:93]
	v_cndmask_b32_e64 v0, v0, v17, s[78:79]
	;; [unrolled: 1-line block ×9, first 2 shown]
	v_cmp_eq_u32_e64 s[38:39], 14, v105
	v_cndmask_b32_e64 v97, v29, v98, s[46:47]
	v_cndmask_b32_e64 v100, v62, v99, s[46:47]
	;; [unrolled: 1-line block ×5, first 2 shown]
	v_cmp_eq_u32_e64 s[46:47], 15, v105
	v_cndmask_b32_e64 v56, v27, v98, s[54:55]
	v_cndmask_b32_e64 v33, v33, v98, s[92:93]
	;; [unrolled: 1-line block ×3, first 2 shown]
	ds_bpermute_b32 v27, v116, v0
	v_cndmask_b32_e64 v34, v34, v98, s[88:89]
	v_cndmask_b32_e64 v35, v35, v98, s[84:85]
	;; [unrolled: 1-line block ×7, first 2 shown]
	s_waitcnt lgkmcnt(0)
	v_cndmask_b32_e64 v0, v12, v27, s[14:15]
	v_cndmask_b32_e64 v12, v32, v98, s[60:61]
	scratch_load_dword v98, off, off offset:52 ; 4-byte Folded Reload
	v_cndmask_b32_e64 v11, v17, v27, s[78:79]
	v_cndmask_b32_e64 v17, v18, v27, s[74:75]
	;; [unrolled: 1-line block ×8, first 2 shown]
	v_cndmask_b32_e32 v24, v12, v3, vcc
	v_cndmask_b32_e64 v24, v24, v73, s[6:7]
	v_cndmask_b32_e64 v24, v24, v107, s[36:37]
	;; [unrolled: 1-line block ×18, first 2 shown]
	ds_bpermute_b32 v29, v116, v24
	v_cndmask_b32_e32 v24, v13, v4, vcc
	v_cndmask_b32_e64 v90, v68, v103, s[88:89]
	v_cndmask_b32_e64 v68, v59, v99, s[68:69]
	;; [unrolled: 1-line block ×27, first 2 shown]
	ds_bpermute_b32 v30, v116, v24
	v_cndmask_b32_e32 v24, v15, v5, vcc
	v_cndmask_b32_e64 v63, v63, v103, s[44:45]
	v_cndmask_b32_e64 v24, v24, v14, s[6:7]
	;; [unrolled: 1-line block ×21, first 2 shown]
	ds_bpermute_b32 v62, v116, v24
	v_cndmask_b32_e32 v24, v28, v7, vcc
	v_cndmask_b32_e64 v71, v108, v104, s[44:45]
	v_cndmask_b32_e64 v24, v24, v6, s[6:7]
	;; [unrolled: 1-line block ×17, first 2 shown]
	v_cmp_eq_u32_e64 s[40:41], 0, v105
	ds_bpermute_b32 v75, v116, v24
	s_waitcnt vmcnt(0)
	v_cmp_eq_u32_e64 s[44:45], 1, v98
	v_cndmask_b32_e64 v24, v26, v27, s[40:41]
	v_cndmask_b32_e64 v9, v2, v27, s[38:39]
	;; [unrolled: 1-line block ×3, first 2 shown]
	s_waitcnt lgkmcnt(3)
	v_cndmask_b32_e64 v31, v33, v29, s[94:95]
	v_cndmask_b32_e64 v33, v24, v16, s[44:45]
	v_cmp_eq_u32_e64 s[50:51], 2, v98
	v_cndmask_b32_e64 v47, v34, v29, s[90:91]
	v_cmp_eq_u32_e64 s[54:55], 3, v98
	v_cndmask_b32_e64 v34, v33, v2, s[50:51]
	v_cndmask_b32_e64 v61, v35, v29, s[86:87]
	;; [unrolled: 1-line block ×3, first 2 shown]
	v_cmp_eq_u32_e64 s[60:61], 4, v98
	s_waitcnt lgkmcnt(2)
	v_cndmask_b32_e64 v26, v51, v30, s[94:95]
	v_cndmask_b32_e64 v74, v44, v29, s[66:67]
	;; [unrolled: 1-line block ×4, first 2 shown]
	s_waitcnt lgkmcnt(1)
	v_cndmask_b32_e64 v35, v93, v62, s[66:67]
	s_waitcnt lgkmcnt(0)
	v_cndmask_b32_e64 v51, v80, v75, s[66:67]
	v_cmp_eq_u32_e64 s[66:67], 5, v98
	v_cmp_eq_u32_e64 s[68:69], 6, v98
	v_cndmask_b32_e64 v37, v53, v30, s[86:87]
	v_cndmask_b32_e64 v41, v40, v23, s[66:67]
	;; [unrolled: 1-line block ×7, first 2 shown]
	v_cmp_eq_u32_e64 s[64:65], 7, v98
	v_cndmask_b32_e64 v72, v43, v29, s[82:83]
	v_cndmask_b32_e64 v40, v66, v30, s[76:77]
	v_cndmask_b32_e64 v43, v42, v21, s[64:65]
	v_cndmask_b32_e64 v78, v54, v29, s[62:63]
	v_cndmask_b32_e64 v42, v58, v30, s[62:63]
	v_cndmask_b32_e64 v54, v121, v62, s[62:63]
	v_cndmask_b32_e64 v66, v83, v75, s[62:63]
	v_cmp_eq_u32_e64 s[62:63], 8, v98
	v_cndmask_b32_e64 v86, v55, v29, s[58:59]
	v_cndmask_b32_e64 v55, v122, v62, s[58:59]
	v_cndmask_b32_e64 v44, v43, v20, s[62:63]
	v_cndmask_b32_e64 v43, v68, v30, s[58:59]
	v_cndmask_b32_e64 v67, v94, v75, s[58:59]
	v_cmp_eq_u32_e64 s[58:59], 9, v98
	v_cndmask_b32_e64 v76, v45, v29, s[76:77]
	v_cndmask_b32_e64 v87, v56, v29, s[56:57]
	v_cndmask_b32_e64 v45, v44, v19, s[58:59]
	v_cndmask_b32_e64 v44, v69, v30, s[56:57]
	v_cndmask_b32_e64 v56, v123, v62, s[56:57]
	v_cndmask_b32_e64 v68, v125, v75, s[56:57]
	v_cmp_eq_u32_e64 s[56:57], 10, v98
	v_cndmask_b32_e64 v27, v89, v62, s[94:95]
	;; [unrolled: 7-line block ×3, first 2 shown]
	v_cndmask_b32_e64 v58, v101, v62, s[48:49]
	v_cndmask_b32_e64 v79, v46, v17, s[52:53]
	;; [unrolled: 1-line block ×4, first 2 shown]
	v_cmp_eq_u32_e64 s[48:49], 12, v98
	v_cndmask_b32_e64 v38, v64, v30, s[82:83]
	v_cndmask_b32_e64 v64, v81, v75, s[76:77]
	;; [unrolled: 1-line block ×7, first 2 shown]
	v_cmp_eq_u32_e64 s[36:37], 13, v98
	v_cndmask_b32_e64 v83, v73, v29, s[6:7]
	v_cndmask_b32_e64 v60, v60, v30, s[6:7]
	;; [unrolled: 1-line block ×5, first 2 shown]
	v_cmp_eq_u32_e64 s[6:7], 14, v98
	v_cndmask_b32_e64 v25, v85, v75, s[94:95]
	v_cndmask_b32_e64 v32, v90, v62, s[90:91]
	;; [unrolled: 1-line block ×3, first 2 shown]
	v_cndmask_b32_e32 v82, v3, v29, vcc
	v_cndmask_b32_e32 v84, v4, v30, vcc
	;; [unrolled: 1-line block ×4, first 2 shown]
	v_cmp_eq_u32_e32 vcc, 15, v98
	v_cndmask_b32_e64 v29, v12, v29, s[42:43]
	v_cndmask_b32_e64 v33, v91, v62, s[86:87]
	v_cndmask_b32_e32 v3, v6, v8, vcc
	ds_bpermute_b32 v91, v116, v3
	v_cndmask_b32_e64 v3, v29, v82, s[8:9]
	v_cndmask_b32_e64 v3, v3, v83, s[10:11]
	;; [unrolled: 1-line block ×26, first 2 shown]
	s_waitcnt lgkmcnt(0)
	v_cndmask_b32_e64 v12, v11, v91, s[48:49]
	v_cndmask_b32_e64 v11, v17, v91, s[52:53]
	ds_bpermute_b32 v17, v116, v3
	v_cndmask_b32_e64 v28, v28, v58, s[14:15]
	v_cndmask_b32_e64 v28, v28, v57, s[16:17]
	;; [unrolled: 1-line block ×6, first 2 shown]
	v_cndmask_b32_e32 v15, v8, v91, vcc
	v_cndmask_b32_e64 v14, v9, v91, s[6:7]
	v_cndmask_b32_e64 v13, v10, v91, s[36:37]
	;; [unrolled: 1-line block ×10, first 2 shown]
	s_waitcnt lgkmcnt(0)
	v_cndmask_b32_e64 v16, v31, v17, s[46:47]
	v_cndmask_b32_e64 v18, v47, v17, s[38:39]
	;; [unrolled: 1-line block ×39, first 2 shown]
	ds_bpermute_b32 v82, v116, v28
	v_cndmask_b32_e64 v28, v75, v90, s[8:9]
	v_cndmask_b32_e64 v0, v0, v47, s[62:63]
	;; [unrolled: 1-line block ×22, first 2 shown]
	ds_bpermute_b32 v17, v116, v17
	v_cndmask_b32_e64 v28, v28, v65, s[70:71]
	v_cndmask_b32_e32 v0, v0, v16, vcc
	v_cndmask_b32_e64 v28, v28, v64, s[72:73]
	ds_bpermute_b32 v86, v116, v0
	v_cndmask_b32_e64 v28, v28, v51, s[74:75]
	v_cndmask_b32_e64 v28, v28, v50, s[78:79]
	;; [unrolled: 1-line block ×4, first 2 shown]
	s_waitcnt lgkmcnt(1)
	v_cndmask_b32_e64 v84, v84, v17, s[8:9]
	v_cndmask_b32_e64 v92, v92, v17, s[40:41]
	;; [unrolled: 1-line block ×3, first 2 shown]
	s_waitcnt lgkmcnt(0)
	v_cndmask_b32_e32 v31, v16, v86, vcc
	v_cndmask_b32_e64 v60, v60, v17, s[10:11]
	v_cndmask_b32_e64 v16, v92, v84, s[44:45]
	ds_bpermute_b32 v83, v116, v28
	v_cmp_eq_u32_e64 s[42:43], 0, v98
	v_cndmask_b32_e64 v79, v79, v17, s[12:13]
	v_cndmask_b32_e64 v16, v16, v60, s[50:51]
	;; [unrolled: 1-line block ×20, first 2 shown]
	s_waitcnt lgkmcnt(0)
	v_cndmask_b32_e64 v93, v25, v83, s[46:47]
	v_cndmask_b32_e64 v25, v23, v86, s[58:59]
	;; [unrolled: 1-line block ×18, first 2 shown]
	v_cndmask_b32_e32 v16, v16, v87, vcc
	ds_bpermute_b32 v94, v116, v16
	v_cndmask_b32_e64 v30, v18, v86, s[6:7]
	v_cndmask_b32_e64 v29, v19, v86, s[36:37]
	;; [unrolled: 1-line block ×7, first 2 shown]
	s_waitcnt lgkmcnt(0)
	v_cndmask_b32_e64 v45, v37, v94, s[36:37]
	v_cndmask_b32_e64 v44, v38, v94, s[48:49]
	;; [unrolled: 1-line block ×37, first 2 shown]
	v_cndmask_b32_e32 v32, v32, v89, vcc
	v_cndmask_b32_e32 v47, v87, v94, vcc
	v_cndmask_b32_e64 v46, v36, v94, s[6:7]
	v_cndmask_b32_e64 v41, v41, v94, s[58:59]
	;; [unrolled: 1-line block ×3, first 2 shown]
	ds_bpermute_b32 v87, v116, v32
	v_cndmask_b32_e64 v35, v79, v94, s[54:55]
	v_cndmask_b32_e64 v34, v60, v94, s[50:51]
	;; [unrolled: 1-line block ×4, first 2 shown]
	scratch_load_dwordx2 v[98:99], off, off ; 8-byte Folded Reload
	scratch_load_dword v94, off, off offset:16 ; 4-byte Folded Reload
	scratch_load_dword v96, off, off offset:20 ; 4-byte Folded Reload
	;; [unrolled: 1-line block ×3, first 2 shown]
	s_waitcnt lgkmcnt(0)
	v_cndmask_b32_e32 v63, v89, v87, vcc
	v_cndmask_b32_e64 v62, v61, v87, s[6:7]
	v_cndmask_b32_e64 v61, v72, v87, s[36:37]
	;; [unrolled: 1-line block ×35, first 2 shown]
	v_cndmask_b32_e32 v48, v48, v93, vcc
	ds_bpermute_b32 v92, v116, v48
	v_cndmask_b32_e64 v57, v53, v87, s[58:59]
	v_cndmask_b32_e64 v53, v78, v87, s[66:67]
	v_readlane_b32 s80, v127, 23
	v_cndmask_b32_e64 v56, v54, v87, s[62:63]
	s_waitcnt lgkmcnt(0)
	v_cndmask_b32_e64 v78, v72, v92, s[6:7]
	v_readlane_b32 s6, v127, 27
	v_cndmask_b32_e64 v54, v77, v87, s[68:69]
	v_cndmask_b32_e64 v48, v82, v87, s[42:43]
	;; [unrolled: 1-line block ×5, first 2 shown]
	v_readlane_b32 s7, v127, 28
	v_readlane_b32 s34, v127, 10
	;; [unrolled: 1-line block ×4, first 2 shown]
	s_mov_b32 s76, 0
	s_max_i32 s77, s80, 0
	v_cndmask_b32_e64 v55, v55, v87, s[64:65]
	v_cndmask_b32_e64 v51, v81, v87, s[54:55]
	;; [unrolled: 1-line block ×4, first 2 shown]
	v_cndmask_b32_e32 v79, v93, v92, vcc
	v_cndmask_b32_e64 v76, v76, v92, s[48:49]
	v_cndmask_b32_e64 v75, v80, v92, s[52:53]
	v_cndmask_b32_e64 v73, v65, v92, s[58:59]
	v_cndmask_b32_e64 v72, v66, v92, s[62:63]
	v_cndmask_b32_e64 v71, v67, v92, s[64:65]
	v_cndmask_b32_e64 v70, v68, v92, s[68:69]
	v_cndmask_b32_e64 v69, v69, v92, s[66:67]
	v_cndmask_b32_e64 v68, v84, v92, s[60:61]
	v_cndmask_b32_e64 v67, v89, v92, s[54:55]
	v_cndmask_b32_e64 v66, v91, v92, s[50:51]
	v_cndmask_b32_e64 v65, v90, v92, s[44:45]
	s_mov_b32 s12, 0
	v_readlane_b32 s35, v127, 11
	v_readlane_b32 s37, v127, 13
	;; [unrolled: 1-line block ×6, first 2 shown]
	s_waitcnt vmcnt(3)
	v_lshl_add_u64 v[86:87], s[6:7], 0, v[98:99]
	s_mov_b64 s[6:7], 0
	v_readlane_b32 s41, v127, 19
	v_readlane_b32 s44, v127, 20
	;; [unrolled: 1-line block ×5, first 2 shown]
                                        ; implicit-def: $sgpr8_sgpr9
	s_branch .LBB128_34
.LBB128_33:                             ;   in Loop: Header=BB128_34 Depth=2
	s_or_b64 exec, exec, s[10:11]
	s_and_b64 s[10:11], exec, s[8:9]
	s_or_b64 s[6:7], s[10:11], s[6:7]
	s_andn2_b64 exec, exec, s[6:7]
	s_cbranch_execz .LBB128_36
.LBB128_34:                             ;   Parent Loop BB128_7 Depth=1
                                        ; =>  This Inner Loop Header: Depth=2
	s_and_b32 s10, s12, 2
	s_and_b32 s11, s76, 24
	s_or_b32 s10, s11, s10
	s_waitcnt vmcnt(0)
	v_or_b32_e32 v80, s10, v97
	v_add_u32_e32 v81, s77, v80
	v_cmp_gt_u32_e32 vcc, 32, v81
	s_or_b64 s[8:9], s[8:9], exec
	s_and_saveexec_b64 s[10:11], vcc
	s_cbranch_execz .LBB128_33
; %bb.35:                               ;   in Loop: Header=BB128_34 Depth=2
	s_add_i32 s13, s12, 1
	s_set_gpr_idx_on s12, gpr_idx(SRC0)
	v_mov_b32_e32 v81, v0
	s_set_gpr_idx_off
	v_cvt_f16_f32_e32 v82, v81
	s_set_gpr_idx_on s13, gpr_idx(SRC0)
	v_mov_b32_e32 v81, v0
	s_set_gpr_idx_off
	v_cvt_f16_f32_sdwa v83, v81 dst_sel:WORD_1 dst_unused:UNUSED_PAD src0_sel:DWORD
	v_mul_lo_u32 v80, v80, s25
	v_ashrrev_i32_e32 v81, 31, v80
	v_lshl_add_u64 v[80:81], v[80:81], 1, v[86:87]
	v_or_b32_e32 v82, v83, v82
	;;#ASMSTART
	global_atomic_pk_add_f16 v[80:81], v82, off
	
	;;#ASMEND
	s_set_gpr_idx_on s12, gpr_idx(SRC0)
	v_mov_b32_e32 v82, v16
	s_set_gpr_idx_off
	v_cvt_f16_f32_e32 v84, v82
	s_set_gpr_idx_on s13, gpr_idx(SRC0)
	v_mov_b32_e32 v82, v16
	s_set_gpr_idx_off
	v_cvt_f16_f32_sdwa v85, v82 dst_sel:WORD_1 dst_unused:UNUSED_PAD src0_sel:DWORD
	v_lshl_add_u64 v[82:83], v[80:81], 0, 64
	s_mov_b64 s[14:15], 0x80
	s_add_i32 s76, s76, 4
	v_or_b32_e32 v84, v85, v84
	;;#ASMSTART
	global_atomic_pk_add_f16 v[82:83], v84, off
	
	;;#ASMEND
	s_set_gpr_idx_on s12, gpr_idx(SRC0)
	v_mov_b32_e32 v82, v32
	s_set_gpr_idx_off
	v_cvt_f16_f32_e32 v84, v82
	s_set_gpr_idx_on s13, gpr_idx(SRC0)
	v_mov_b32_e32 v82, v32
	s_set_gpr_idx_off
	v_cvt_f16_f32_sdwa v85, v82 dst_sel:WORD_1 dst_unused:UNUSED_PAD src0_sel:DWORD
	v_lshl_add_u64 v[82:83], v[80:81], 0, s[14:15]
	s_mov_b64 s[14:15], 0xc0
	v_or_b32_e32 v84, v85, v84
	;;#ASMSTART
	global_atomic_pk_add_f16 v[82:83], v84, off
	
	;;#ASMEND
	s_set_gpr_idx_on s12, gpr_idx(SRC0)
	v_mov_b32_e32 v82, v48
	s_set_gpr_idx_off
	v_cvt_f16_f32_e32 v84, v82
	s_set_gpr_idx_on s13, gpr_idx(SRC0)
	v_mov_b32_e32 v82, v48
	s_set_gpr_idx_off
	v_cvt_f16_f32_sdwa v85, v82 dst_sel:WORD_1 dst_unused:UNUSED_PAD src0_sel:DWORD
	v_lshl_add_u64 v[82:83], v[80:81], 0, s[14:15]
	s_mov_b64 s[14:15], 0x100
	v_lshl_add_u64 v[80:81], v[80:81], 0, s[14:15]
	v_or_b32_e32 v84, v85, v84
	;;#ASMSTART
	global_atomic_pk_add_f16 v[82:83], v84, off
	
	;;#ASMEND
	s_set_gpr_idx_on s12, gpr_idx(SRC0)
	v_mov_b32_e32 v82, v64
	s_set_gpr_idx_off
	v_cvt_f16_f32_e32 v82, v82
	s_set_gpr_idx_on s13, gpr_idx(SRC0)
	v_mov_b32_e32 v83, v64
	s_set_gpr_idx_off
	s_add_i32 s12, s12, 2
	v_cvt_f16_f32_sdwa v83, v83 dst_sel:WORD_1 dst_unused:UNUSED_PAD src0_sel:DWORD
	s_cmp_eq_u32 s12, 16
	s_cselect_b64 s[14:15], -1, 0
	s_andn2_b64 s[8:9], s[8:9], exec
	s_and_b64 s[14:15], s[14:15], exec
	s_or_b64 s[8:9], s[8:9], s[14:15]
	v_or_b32_e32 v82, v83, v82
	;;#ASMSTART
	global_atomic_pk_add_f16 v[80:81], v82, off
	
	;;#ASMEND
	s_branch .LBB128_33
.LBB128_36:                             ;   in Loop: Header=BB128_7 Depth=1
	s_or_b64 exec, exec, s[6:7]
	scratch_load_dword v13, off, off offset:8 ; 4-byte Folded Reload
	scratch_load_dwordx2 v[14:15], off, off offset:72 ; 8-byte Folded Reload
	scratch_load_dword v16, off, off offset:88 ; 4-byte Folded Reload
	scratch_load_dword v17, off, off offset:92 ; 4-byte Folded Reload
	;; [unrolled: 1-line block ×3, first 2 shown]
	v_readlane_b32 s16, v127, 2
	v_readlane_b32 s14, v127, 0
	v_readlane_b32 s15, v127, 1
	v_readlane_b32 s17, v127, 3
	v_readlane_b32 s18, v127, 4
	v_readlane_b32 s19, v127, 5
	v_readlane_b32 s20, v127, 6
	v_readlane_b32 s21, v127, 7
	v_readlane_b32 s22, v127, 8
	v_readlane_b32 s23, v127, 9
	v_readlane_b32 s72, v127, 25
	v_not_b32_e32 v19, 24
	v_readlane_b32 s73, v127, 26
.LBB128_37:                             ;   in Loop: Header=BB128_7 Depth=1
	s_or_b64 exec, exec, s[0:1]
.LBB128_38:                             ;   in Loop: Header=BB128_7 Depth=1
	s_andn2_saveexec_b64 s[0:1], s[4:5]
	s_cbranch_execz .LBB128_47
; %bb.39:                               ;   in Loop: Header=BB128_7 Depth=1
	s_mul_i32 s12, s33, 5
	v_cmp_gt_i32_e32 vcc, s12, v118
	s_and_saveexec_b64 s[4:5], vcc
	s_cbranch_execz .LBB128_46
; %bb.40:                               ;   in Loop: Header=BB128_7 Depth=1
	scratch_load_dwordx2 v[0:1], off, off offset:80 ; 8-byte Folded Reload
	s_mul_i32 s6, s72, s27
	s_ashr_i32 s7, s6, 31
	s_add_u32 s6, s18, s6
	s_addc_u32 s7, s19, s7
	s_ashr_i32 s8, s47, 31
	s_add_u32 s6, s6, s47
	s_addc_u32 s7, s7, s8
	s_waitcnt vmcnt(0)
	v_lshl_add_u64 v[0:1], s[6:7], 0, v[0:1]
	v_lshl_add_u64 v[8:9], v[0:1], 0, v[14:15]
	s_mov_b64 s[6:7], 0
	s_branch .LBB128_42
.LBB128_41:                             ;   in Loop: Header=BB128_42 Depth=2
	s_or_b64 exec, exec, s[8:9]
	v_lshl_or_b32 v12, v10, 11, v16
	;;#ASMSTART
	s_waitcnt vmcnt(1)
	;;#ASMEND
	ds_write2_b32 v12, v4, v5 offset1:32
	ds_write2_b32 v12, v6, v7 offset0:64 offset1:96
	v_add_u32_e32 v4, 0x400, v12
	v_add_u32_e32 v118, s30, v118
	;;#ASMSTART
	s_waitcnt vmcnt(0)
	;;#ASMEND
	ds_write2_b32 v4, v0, v1 offset1:32
	ds_write2_b32 v4, v2, v3 offset0:64 offset1:96
	v_add_u32_e32 v0, 1, v95
	v_add_u32_e32 v88, s30, v10
	v_cmp_le_i32_e32 vcc, s12, v118
	ds_write_b32 v11, v0 offset:20
	v_add_u32_e32 v0, 2, v95
	s_or_b64 s[6:7], vcc, s[6:7]
	v_cmp_lt_i32_e32 vcc, 24, v88
	s_nop 1
	v_cndmask_b32_e32 v95, v95, v0, vcc
	s_andn2_b64 exec, exec, s[6:7]
	s_cbranch_execz .LBB128_45
.LBB128_42:                             ;   Parent Loop BB128_7 Depth=1
                                        ; =>  This Loop Header: Depth=2
                                        ;       Child Loop BB128_44 Depth 3
	v_cmp_gt_i32_e32 vcc, 25, v88
	s_mov_b32 s8, 0x66666667
	s_nop 0
	v_cndmask_b32_e64 v0, v19, 0, vcc
	v_add_u32_e32 v10, v0, v88
	v_mul_hi_i32 v0, v118, s8
	v_lshrrev_b32_e32 v1, 31, v0
	v_ashrrev_i32_e32 v0, 1, v0
	v_add_u32_e32 v0, v0, v1
	v_lshl_add_u32 v1, v0, 2, v0
	v_sub_u32_e32 v2, v118, v1
	v_lshlrev_b32_e32 v0, 6, v0
	v_ashrrev_i32_e32 v1, 31, v0
	v_mul_lo_u32 v2, s98, v2
	v_lshl_add_u64 v[0:1], v[8:9], 0, v[0:1]
	v_ashrrev_i32_e32 v3, 31, v2
	v_lshl_add_u64 v[0:1], v[0:1], 0, v[2:3]
	v_lshlrev_b32_e32 v11, 2, v10
	;;#ASMSTART
	global_load_dwordx4 v[4:7], v[0:1], off offset:0   sc0 sc1 nt  
	global_load_dwordx4 v[0:3], v[0:1], off offset:32  sc0 sc1 nt  
	
	;;#ASMEND
	ds_read_b32 v12, v11 offset:61460
	v_add_u32_e32 v11, 0xf000, v11
	s_waitcnt lgkmcnt(0)
	v_cmp_ne_u32_e32 vcc, v12, v95
	s_and_saveexec_b64 s[8:9], vcc
	s_cbranch_execz .LBB128_41
; %bb.43:                               ;   in Loop: Header=BB128_42 Depth=2
	s_mov_b64 s[10:11], 0
.LBB128_44:                             ;   Parent Loop BB128_7 Depth=1
                                        ;     Parent Loop BB128_42 Depth=2
                                        ; =>    This Inner Loop Header: Depth=3
	;;#ASMSTART
	s_sleep 0
	;;#ASMEND
	ds_read_b32 v12, v11 offset:20
	s_waitcnt lgkmcnt(0)
	v_cmp_eq_u32_e32 vcc, v12, v95
	s_or_b64 s[10:11], vcc, s[10:11]
	s_andn2_b64 exec, exec, s[10:11]
	s_cbranch_execnz .LBB128_44
	s_branch .LBB128_41
.LBB128_45:                             ;   in Loop: Header=BB128_7 Depth=1
	s_or_b64 exec, exec, s[6:7]
.LBB128_46:                             ;   in Loop: Header=BB128_7 Depth=1
	s_or_b64 exec, exec, s[4:5]
	v_subrev_u32_e32 v118, s12, v118
.LBB128_47:                             ;   in Loop: Header=BB128_7 Depth=1
	s_or_b64 exec, exec, s[0:1]
.LBB128_48:                             ;   in Loop: Header=BB128_7 Depth=1
	s_andn2_saveexec_b64 s[0:1], s[96:97]
	s_cbranch_execz .LBB128_6
; %bb.49:                               ;   in Loop: Header=BB128_7 Depth=1
	v_cmp_gt_i32_e32 vcc, s33, v118
	s_and_saveexec_b64 s[4:5], vcc
	s_cbranch_execz .LBB128_5
; %bb.50:                               ;   in Loop: Header=BB128_7 Depth=1
	s_mul_i32 s3, s3, s26
	s_ashr_i32 s6, s3, 31
	s_add_u32 s3, s16, s3
	s_addc_u32 s7, s17, s6
	s_ashr_i32 s8, s47, 31
	s_waitcnt vmcnt(1)
	v_cmp_le_i32_e32 vcc, s80, v17
	s_add_u32 s6, s3, s47
	s_addc_u32 s7, s7, s8
	s_waitcnt vmcnt(0)
	v_cndmask_b32_e32 v0, 0, v18, vcc
	v_ashrrev_i32_e32 v1, 31, v0
	v_lshl_add_u64 v[0:1], s[6:7], 0, v[0:1]
	v_lshl_add_u64 v[8:9], v[0:1], 0, v[14:15]
	s_mov_b64 s[6:7], 0
	s_branch .LBB128_52
.LBB128_51:                             ;   in Loop: Header=BB128_52 Depth=2
	s_or_b64 exec, exec, s[8:9]
	v_lshl_add_u32 v12, v10, 11, v114
	;;#ASMSTART
	s_waitcnt vmcnt(1)
	;;#ASMEND
	ds_write2_b32 v12, v4, v5 offset1:32
	ds_write2_b32 v12, v6, v7 offset0:64 offset1:96
	v_add_u32_e32 v4, 0x400, v12
	v_add_u32_e32 v118, s29, v118
	;;#ASMSTART
	s_waitcnt vmcnt(0)
	;;#ASMEND
	ds_write2_b32 v4, v0, v1 offset1:32
	ds_write2_b32 v4, v2, v3 offset0:64 offset1:96
	v_add_u32_e32 v0, 1, v95
	v_add_u32_e32 v88, s29, v10
	v_cmp_le_i32_e32 vcc, s33, v118
	ds_write_b32 v11, v0
	v_add_u32_e32 v0, 2, v95
	s_or_b64 s[6:7], vcc, s[6:7]
	v_cmp_lt_i32_e32 vcc, 4, v88
	s_nop 1
	v_cndmask_b32_e32 v95, v95, v0, vcc
	s_andn2_b64 exec, exec, s[6:7]
	s_cbranch_execz .LBB128_4
.LBB128_52:                             ;   Parent Loop BB128_7 Depth=1
                                        ; =>  This Loop Header: Depth=2
                                        ;       Child Loop BB128_54 Depth 3
	v_cmp_gt_i32_e32 vcc, 5, v88
	s_nop 1
	v_cndmask_b32_e64 v0, -5, 0, vcc
	v_add_u32_e32 v10, v0, v88
	v_lshlrev_b32_e32 v0, 6, v118
	v_ashrrev_i32_e32 v1, 31, v0
	v_lshl_add_u64 v[0:1], v[8:9], 0, v[0:1]
	v_lshlrev_b32_e32 v11, 2, v10
	;;#ASMSTART
	global_load_dwordx4 v[4:7], v[0:1], off offset:0   
	global_load_dwordx4 v[0:3], v[0:1], off offset:32  
	
	;;#ASMEND
	ds_read_b32 v12, v11 offset:61440
	v_add_u32_e32 v11, 0xf000, v11
	s_waitcnt lgkmcnt(0)
	v_cmp_ne_u32_e32 vcc, v12, v95
	s_and_saveexec_b64 s[8:9], vcc
	s_cbranch_execz .LBB128_51
; %bb.53:                               ;   in Loop: Header=BB128_52 Depth=2
	s_mov_b64 s[10:11], 0
.LBB128_54:                             ;   Parent Loop BB128_7 Depth=1
                                        ;     Parent Loop BB128_52 Depth=2
                                        ; =>    This Inner Loop Header: Depth=3
	;;#ASMSTART
	s_sleep 0
	;;#ASMEND
	ds_read_b32 v12, v11
	s_waitcnt lgkmcnt(0)
	v_cmp_eq_u32_e32 vcc, v12, v95
	s_or_b64 s[10:11], vcc, s[10:11]
	s_andn2_b64 exec, exec, s[10:11]
	s_cbranch_execnz .LBB128_54
	s_branch .LBB128_51
.LBB128_55:
	s_endpgm
	.section	.rodata,"a",@progbits
	.p2align	6, 0x0
	.amdhsa_kernel _Z19_skinny_gemm_kernelILi1ELi5ELi5ELi32ELi4EEvPKhS1_P6__halfPKfiiiiiiii
		.amdhsa_group_segment_fixed_size 61560
		.amdhsa_private_segment_fixed_size 108
		.amdhsa_kernarg_size 64
		.amdhsa_user_sgpr_count 2
		.amdhsa_user_sgpr_dispatch_ptr 0
		.amdhsa_user_sgpr_queue_ptr 0
		.amdhsa_user_sgpr_kernarg_segment_ptr 1
		.amdhsa_user_sgpr_dispatch_id 0
		.amdhsa_user_sgpr_kernarg_preload_length 0
		.amdhsa_user_sgpr_kernarg_preload_offset 0
		.amdhsa_user_sgpr_private_segment_size 0
		.amdhsa_uses_dynamic_stack 0
		.amdhsa_enable_private_segment 1
		.amdhsa_system_sgpr_workgroup_id_x 1
		.amdhsa_system_sgpr_workgroup_id_y 0
		.amdhsa_system_sgpr_workgroup_id_z 0
		.amdhsa_system_sgpr_workgroup_info 0
		.amdhsa_system_vgpr_workitem_id 0
		.amdhsa_next_free_vgpr 128
		.amdhsa_next_free_sgpr 100
		.amdhsa_accum_offset 128
		.amdhsa_reserve_vcc 1
		.amdhsa_float_round_mode_32 0
		.amdhsa_float_round_mode_16_64 0
		.amdhsa_float_denorm_mode_32 3
		.amdhsa_float_denorm_mode_16_64 3
		.amdhsa_dx10_clamp 1
		.amdhsa_ieee_mode 1
		.amdhsa_fp16_overflow 0
		.amdhsa_tg_split 0
		.amdhsa_exception_fp_ieee_invalid_op 0
		.amdhsa_exception_fp_denorm_src 0
		.amdhsa_exception_fp_ieee_div_zero 0
		.amdhsa_exception_fp_ieee_overflow 0
		.amdhsa_exception_fp_ieee_underflow 0
		.amdhsa_exception_fp_ieee_inexact 0
		.amdhsa_exception_int_div_zero 0
	.end_amdhsa_kernel
	.section	.text._Z19_skinny_gemm_kernelILi1ELi5ELi5ELi32ELi4EEvPKhS1_P6__halfPKfiiiiiiii,"axG",@progbits,_Z19_skinny_gemm_kernelILi1ELi5ELi5ELi32ELi4EEvPKhS1_P6__halfPKfiiiiiiii,comdat
.Lfunc_end128:
	.size	_Z19_skinny_gemm_kernelILi1ELi5ELi5ELi32ELi4EEvPKhS1_P6__halfPKfiiiiiiii, .Lfunc_end128-_Z19_skinny_gemm_kernelILi1ELi5ELi5ELi32ELi4EEvPKhS1_P6__halfPKfiiiiiiii
                                        ; -- End function
	.set _Z19_skinny_gemm_kernelILi1ELi5ELi5ELi32ELi4EEvPKhS1_P6__halfPKfiiiiiiii.num_vgpr, 128
	.set _Z19_skinny_gemm_kernelILi1ELi5ELi5ELi32ELi4EEvPKhS1_P6__halfPKfiiiiiiii.num_agpr, 0
	.set _Z19_skinny_gemm_kernelILi1ELi5ELi5ELi32ELi4EEvPKhS1_P6__halfPKfiiiiiiii.numbered_sgpr, 100
	.set _Z19_skinny_gemm_kernelILi1ELi5ELi5ELi32ELi4EEvPKhS1_P6__halfPKfiiiiiiii.num_named_barrier, 0
	.set _Z19_skinny_gemm_kernelILi1ELi5ELi5ELi32ELi4EEvPKhS1_P6__halfPKfiiiiiiii.private_seg_size, 108
	.set _Z19_skinny_gemm_kernelILi1ELi5ELi5ELi32ELi4EEvPKhS1_P6__halfPKfiiiiiiii.uses_vcc, 1
	.set _Z19_skinny_gemm_kernelILi1ELi5ELi5ELi32ELi4EEvPKhS1_P6__halfPKfiiiiiiii.uses_flat_scratch, 0
	.set _Z19_skinny_gemm_kernelILi1ELi5ELi5ELi32ELi4EEvPKhS1_P6__halfPKfiiiiiiii.has_dyn_sized_stack, 0
	.set _Z19_skinny_gemm_kernelILi1ELi5ELi5ELi32ELi4EEvPKhS1_P6__halfPKfiiiiiiii.has_recursion, 0
	.set _Z19_skinny_gemm_kernelILi1ELi5ELi5ELi32ELi4EEvPKhS1_P6__halfPKfiiiiiiii.has_indirect_call, 0
	.section	.AMDGPU.csdata,"",@progbits
; Kernel info:
; codeLenInByte = 16708
; TotalNumSgprs: 106
; NumVgprs: 128
; NumAgprs: 0
; TotalNumVgprs: 128
; ScratchSize: 108
; MemoryBound: 0
; FloatMode: 240
; IeeeMode: 1
; LDSByteSize: 61560 bytes/workgroup (compile time only)
; SGPRBlocks: 13
; VGPRBlocks: 15
; NumSGPRsForWavesPerEU: 106
; NumVGPRsForWavesPerEU: 128
; AccumOffset: 128
; Occupancy: 4
; WaveLimiterHint : 0
; COMPUTE_PGM_RSRC2:SCRATCH_EN: 1
; COMPUTE_PGM_RSRC2:USER_SGPR: 2
; COMPUTE_PGM_RSRC2:TRAP_HANDLER: 0
; COMPUTE_PGM_RSRC2:TGID_X_EN: 1
; COMPUTE_PGM_RSRC2:TGID_Y_EN: 0
; COMPUTE_PGM_RSRC2:TGID_Z_EN: 0
; COMPUTE_PGM_RSRC2:TIDIG_COMP_CNT: 0
; COMPUTE_PGM_RSRC3_GFX90A:ACCUM_OFFSET: 31
; COMPUTE_PGM_RSRC3_GFX90A:TG_SPLIT: 0
	.section	.text._Z19_skinny_gemm_kernelILi1ELi6ELi1ELi8ELi4EEvPKhS1_P6__halfPKfiiiiiiii,"axG",@progbits,_Z19_skinny_gemm_kernelILi1ELi6ELi1ELi8ELi4EEvPKhS1_P6__halfPKfiiiiiiii,comdat
	.protected	_Z19_skinny_gemm_kernelILi1ELi6ELi1ELi8ELi4EEvPKhS1_P6__halfPKfiiiiiiii ; -- Begin function _Z19_skinny_gemm_kernelILi1ELi6ELi1ELi8ELi4EEvPKhS1_P6__halfPKfiiiiiiii
	.globl	_Z19_skinny_gemm_kernelILi1ELi6ELi1ELi8ELi4EEvPKhS1_P6__halfPKfiiiiiiii
	.p2align	8
	.type	_Z19_skinny_gemm_kernelILi1ELi6ELi1ELi8ELi4EEvPKhS1_P6__halfPKfiiiiiiii,@function
_Z19_skinny_gemm_kernelILi1ELi6ELi1ELi8ELi4EEvPKhS1_P6__halfPKfiiiiiiii: ; @_Z19_skinny_gemm_kernelILi1ELi6ELi1ELi8ELi4EEvPKhS1_P6__halfPKfiiiiiiii
; %bb.0:
	v_cmp_gt_u32_e32 vcc, 7, v0
	v_lshlrev_b32_e32 v1, 2, v0
	s_and_saveexec_b64 s[4:5], vcc
; %bb.1:
	v_mov_b32_e32 v2, 0
	ds_write_b32 v1, v2 offset:26624
; %bb.2:
	s_or_b64 exec, exec, s[4:5]
	s_load_dwordx8 s[12:19], s[0:1], 0x20
	s_mov_b32 s50, 0x2aaaaaab
	s_waitcnt lgkmcnt(0)
	s_barrier
	s_add_i32 s3, s12, 7
	s_ashr_i32 s5, s3, 31
	s_lshr_b32 s5, s5, 29
	s_add_i32 s4, s13, 0x5f
	s_add_i32 s3, s3, s5
	s_ashr_i32 s33, s3, 3
	s_mul_hi_i32 s3, s4, 0x2aaaaaab
	s_lshr_b32 s4, s3, 31
	s_ashr_i32 s48, s3, 4
	s_add_i32 s48, s48, s4
	s_mul_i32 s3, s48, s33
	s_mul_i32 s3, s3, s16
	s_add_i32 s4, s3, 0x12f
	s_mul_hi_i32 s4, s4, 0x6bca1af3
	s_lshr_b32 s5, s4, 31
	s_ashr_i32 s4, s4, 7
	s_add_i32 s4, s4, s5
	s_add_i32 s5, s2, 1
	s_mul_i32 s5, s4, s5
	v_cvt_f64_i32_e32 v[2:3], s3
	v_cvt_f64_u32_e32 v[4:5], s5
	v_min_f64 v[2:3], v[2:3], v[4:5]
	v_cvt_i32_f64_e32 v25, v[2:3]
	s_mul_i32 s49, s4, s2
	v_cmp_ge_i32_e32 vcc, s49, v25
	s_cbranch_vccnz .LBB129_56
; %bb.3:
	v_lshrrev_b32_e32 v2, 6, v0
	s_add_i32 s4, s18, s17
	s_load_dwordx8 s[20:27], s[0:1], 0x0
	v_cmp_le_i32_e64 s[0:1], s4, v2
	v_mov_b32_e32 v3, s17
	v_cmp_le_i32_e64 s[2:3], s17, v2
	v_mov_b32_e32 v4, s18
	v_cndmask_b32_e64 v4, 0, v4, s[0:1]
	v_cndmask_b32_e64 v3, 0, v3, s[2:3]
	s_abs_i32 s5, s16
	v_add_u32_e32 v3, v3, v4
	v_cvt_f32_u32_e32 v4, s5
	v_sub_u32_e32 v38, v2, v3
	s_ashr_i32 s6, s14, 31
	s_lshr_b32 s6, s6, 24
	v_rcp_iflag_f32_e32 v3, v4
	s_sub_i32 s9, 0, s5
	s_add_i32 s6, s14, s6
	s_ashr_i32 s6, s6, 8
	v_mul_f32_e32 v3, 0x4f7ffffe, v3
	v_cvt_u32_f32_e32 v3, v3
	s_abs_i32 s8, s6
	s_xor_b32 s7, s6, s16
	s_ashr_i32 s7, s7, 31
	v_readfirstlane_b32 s10, v3
	s_mul_i32 s9, s9, s10
	s_mul_hi_u32 s9, s10, s9
	s_add_i32 s10, s10, s9
	s_mul_hi_u32 s9, s8, s10
	s_mul_i32 s10, s9, s5
	s_sub_i32 s8, s8, s10
	s_add_i32 s10, s9, 1
	s_sub_i32 s11, s8, s5
	s_cmp_ge_u32 s8, s5
	s_cselect_b32 s9, s10, s9
	s_cselect_b32 s8, s11, s8
	s_add_i32 s10, s9, 1
	s_cmp_ge_u32 s8, s5
	s_cselect_b32 s5, s10, s9
	s_xor_b32 s5, s5, s7
	s_sub_i32 s51, s5, s7
	s_add_i32 s16, s16, -1
	s_mul_i32 s5, s51, s16
	s_add_i32 s4, s4, s19
	s_sub_i32 s52, s6, s5
	v_cmp_gt_i32_e64 s[4:5], s4, v2
	v_and_b32_e32 v2, 1, v0
	v_lshlrev_b32_e32 v3, 1, v0
	v_and_b32_e32 v3, 0x7c, v3
	v_lshlrev_b32_e32 v4, 8, v2
	v_lshlrev_b32_e32 v5, 4, v0
	s_movk_i32 s53, 0x6000
	s_movk_i32 s6, 0x7c
	v_and_b32_e32 v6, 0x200, v5
	v_or3_b32 v46, v3, v4, s53
	v_lshrrev_b32_e32 v3, 3, v0
	v_cmp_eq_u32_e32 vcc, 0, v2
	v_and_or_b32 v47, v1, s6, v6
	v_lshlrev_b32_e32 v1, 1, v2
	v_and_or_b32 v2, v3, 6, v2
	v_sub_u32_e32 v52, 8, v2
	v_mul_lo_u32 v26, s13, v2
	v_bfe_u32 v2, v0, 2, 4
	v_lshlrev_b32_e32 v4, 8, v0
	v_lshlrev_b32_e32 v6, 6, v0
	v_mul_lo_u32 v32, s15, v2
	v_and_b32_e32 v2, 60, v0
	v_and_b32_e32 v4, 0x200, v4
	;; [unrolled: 1-line block ×3, first 2 shown]
	s_abs_i32 s55, s33
	v_or3_b32 v53, v2, v4, v6
	v_cvt_f32_u32_e32 v6, s55
	v_lshlrev_b32_e32 v4, 7, v0
	v_and_b32_e32 v24, 14, v0
	v_bitop3_b32 v48, v0, 1, v0 bitop3:0xc
	v_sub_u32_e32 v1, v0, v1
	v_bfe_u32 v2, v0, 3, 3
	v_and_b32_e32 v4, 0x200, v4
	v_lshlrev_b32_e32 v0, 5, v0
	v_lshl_or_b32 v4, v2, 2, v4
	v_and_b32_e32 v0, 0x60, v0
	v_or3_b32 v54, v4, v0, s53
	v_rcp_iflag_f32_e32 v0, v6
	s_abs_i32 s56, s48
	v_mul_lo_u32 v56, s14, v2
	v_cvt_f32_u32_e32 v2, s56
	v_mul_f32_e32 v0, 0x4f7ffffe, v0
	v_cvt_u32_f32_e32 v0, v0
	s_sub_i32 s6, 0, s55
	v_rcp_iflag_f32_e32 v2, v2
	v_add_u32_e32 v1, 1, v1
	v_readfirstlane_b32 s7, v0
	s_mul_i32 s6, s6, s7
	v_mul_f32_e32 v0, 0x4f7ffffe, v2
	v_cvt_u32_f32_e32 v0, v0
	s_mul_hi_u32 s6, s7, s6
	s_add_i32 s58, s7, s6
	s_sub_i32 s6, 0, s56
	v_readfirstlane_b32 s7, v0
	v_mbcnt_lo_u32_b32 v0, -1, 0
	v_and_b32_e32 v1, 63, v1
	s_mul_i32 s6, s6, s7
	v_mbcnt_hi_u32_b32 v0, -1, v0
	v_mov_b32_e32 v7, 0xeeee
	v_mov_b32_e32 v8, 0x4444
	;; [unrolled: 1-line block ×3, first 2 shown]
	s_mul_hi_u32 s6, s7, s6
	v_and_or_b32 v0, v0, 64, v1
	v_cndmask_b32_e64 v44, 0, 1, s[0:1]
	s_mov_b32 s29, 0
	v_cndmask_b32_e32 v45, v7, v8, vcc
	v_or_b32_e32 v49, 48, v24
	v_or_b32_e32 v50, 64, v24
	v_or_b32_e32 v51, 0x50, v24
	v_ashrrev_i32_e32 v27, 31, v26
	v_and_b32_e32 v30, 48, v5
	v_ashrrev_i32_e32 v33, 31, v32
	v_mov_b32_e32 v31, v29
	s_lshl_b32 s54, s15, 4
	v_bitop3_b32 v55, v3, 7, v3 bitop3:0xc
	v_and_b32_e32 v34, 0x70, v5
	v_mov_b32_e32 v35, v29
	s_lshl_b32 s28, s17, 8
	s_ashr_i32 s57, s33, 31
	s_ashr_i32 s59, s48, 31
	s_add_i32 s60, s7, s6
	s_mov_b64 s[30:31], 0x60
	s_mov_b64 s[34:35], 0x80
	;; [unrolled: 1-line block ×3, first 2 shown]
	v_lshlrev_b32_e32 v57, 2, v0
	v_mov_b32_e32 v58, v38
	s_branch .LBB129_7
.LBB129_4:                              ;   in Loop: Header=BB129_7 Depth=1
	s_or_b64 exec, exec, s[10:11]
.LBB129_5:                              ;   in Loop: Header=BB129_7 Depth=1
	s_or_b64 exec, exec, s[8:9]
	v_subrev_u32_e32 v58, s61, v58
.LBB129_6:                              ;   in Loop: Header=BB129_7 Depth=1
	s_or_b64 exec, exec, s[6:7]
	s_add_i32 s49, s49, 1
	v_cmp_ge_i32_e32 vcc, s49, v25
	s_cbranch_vccnz .LBB129_56
.LBB129_7:                              ; =>This Loop Header: Depth=1
                                        ;     Child Loop BB129_13 Depth 2
                                        ;       Child Loop BB129_15 Depth 3
                                        ;       Child Loop BB129_18 Depth 3
                                        ;       Child Loop BB129_21 Depth 3
                                        ;       Child Loop BB129_24 Depth 3
                                        ;       Child Loop BB129_27 Depth 3
                                        ;       Child Loop BB129_30 Depth 3
                                        ;       Child Loop BB129_33 Depth 3
                                        ;     Child Loop BB129_43 Depth 2
                                        ;       Child Loop BB129_45 Depth 3
                                        ;     Child Loop BB129_53 Depth 2
                                        ;       Child Loop BB129_55 Depth 3
	s_abs_i32 s7, s49
	s_mul_hi_u32 s8, s7, s58
	s_mul_i32 s9, s8, s55
	s_ashr_i32 s6, s49, 31
	s_sub_i32 s7, s7, s9
	s_xor_b32 s6, s6, s57
	s_add_i32 s9, s8, 1
	s_sub_i32 s10, s7, s55
	s_cmp_ge_u32 s7, s55
	s_cselect_b32 s8, s9, s8
	s_cselect_b32 s7, s10, s7
	s_add_i32 s9, s8, 1
	s_cmp_ge_u32 s7, s55
	s_cselect_b32 s7, s9, s8
	s_xor_b32 s7, s7, s6
	s_sub_i32 s6, s7, s6
	s_abs_i32 s8, s6
	s_mul_i32 s7, s6, s33
	s_mul_hi_u32 s9, s8, s60
	s_sub_i32 s7, s49, s7
	s_mul_i32 s10, s9, s56
	s_lshl_b32 s62, s7, 3
	s_ashr_i32 s7, s6, 31
	s_sub_i32 s8, s8, s10
	s_xor_b32 s7, s7, s59
	s_add_i32 s10, s9, 1
	s_sub_i32 s11, s8, s56
	s_cmp_ge_u32 s8, s56
	s_cselect_b32 s9, s10, s9
	s_cselect_b32 s8, s11, s8
	s_add_i32 s10, s9, 1
	s_cmp_ge_u32 s8, s56
	s_cselect_b32 s8, s10, s9
	s_xor_b32 s8, s8, s7
	s_sub_i32 s7, s8, s7
	s_mul_i32 s8, s7, s51
	s_lshl_b32 s63, s8, 8
	s_cmp_eq_u32 s7, s16
	s_cselect_b32 s61, s52, s51
	s_sub_i32 s64, s62, s12
	s_add_i32 s64, s64, 8
	s_and_saveexec_b64 s[8:9], s[2:3]
	s_xor_b64 s[38:39], exec, s[8:9]
	s_cbranch_execz .LBB129_49
; %bb.8:                                ;   in Loop: Header=BB129_7 Depth=1
	s_mul_i32 s7, s7, s48
	s_sub_i32 s6, s6, s7
	s_mulk_i32 s6, 0x60
	s_sub_i32 s41, s6, s13
	s_addk_i32 s41, 0x60
	s_max_i32 s7, s41, 0
	s_sub_i32 s40, s6, s7
	s_and_saveexec_b64 s[6:7], s[0:1]
	s_xor_b64 s[42:43], exec, s[6:7]
	s_cbranch_execz .LBB129_39
; %bb.9:                                ;   in Loop: Header=BB129_7 Depth=1
	s_and_saveexec_b64 s[44:45], s[4:5]
	s_cbranch_execz .LBB129_38
; %bb.10:                               ;   in Loop: Header=BB129_7 Depth=1
	s_waitcnt lgkmcnt(0)
	global_load_dword v28, v29, s[26:27]
	v_mov_b32_e32 v23, 0
	v_cmp_gt_i32_e32 vcc, s61, v58
	v_mov_b32_e32 v22, v23
	v_mov_b32_e32 v21, v23
	;; [unrolled: 1-line block ×23, first 2 shown]
	s_and_saveexec_b64 s[6:7], vcc
	s_cbranch_execz .LBB129_35
; %bb.11:                               ;   in Loop: Header=BB129_7 Depth=1
	v_mov_b32_e32 v0, 0
	s_mov_b64 s[8:9], 0
	v_mov_b32_e32 v1, v0
	v_mov_b32_e32 v2, v0
	;; [unrolled: 1-line block ×23, first 2 shown]
	s_branch .LBB129_13
.LBB129_12:                             ;   in Loop: Header=BB129_13 Depth=2
	s_or_b64 exec, exec, s[10:11]
	v_add_u32_e32 v63, 0x5000, v62
	ds_read2_b32 v[64:65], v63 offset1:32
	ds_read2_b32 v[66:67], v63 offset0:64 offset1:96
	v_add_u32_e32 v63, 0x5400, v62
	ds_read2_b32 v[68:69], v63 offset1:32
	ds_read2_b32 v[70:71], v63 offset0:64 offset1:96
	v_add_u32_e32 v58, s19, v58
	v_cmp_le_i32_e32 vcc, s61, v58
	s_waitcnt lgkmcnt(2)
	v_smfmac_f32_16x16x64_fp8_fp8 v[0:3], v[42:43], v[64:67], v45 cbsz:7 abid:1
	v_add_u32_e32 v42, 0x5800, v62
	ds_read2_b32 v[64:65], v42 offset1:32
	ds_read2_b32 v[66:67], v42 offset0:64 offset1:96
	v_add_u32_e32 v42, 0x5c00, v62
	s_waitcnt lgkmcnt(2)
	v_smfmac_f32_16x16x64_fp8_fp8 v[0:3], v[40:41], v[68:71], v45 cbsz:7 abid:1
	ds_read2_b32 v[40:41], v42 offset1:32
	ds_read2_b32 v[42:43], v42 offset0:64 offset1:96
	s_or_b64 s[8:9], vcc, s[8:9]
	ds_write_b32 v61, v60 offset:26648
	s_waitcnt lgkmcnt(3)
	v_smfmac_f32_16x16x64_fp8_fp8 v[0:3], v[38:39], v[64:67], v45 cbsz:7 abid:1
	v_add_u32_e32 v38, s19, v59
	v_add_u32_e32 v39, 2, v44
	v_cmp_lt_i32_e32 vcc, 0, v38
	s_waitcnt lgkmcnt(1)
	v_smfmac_f32_16x16x64_fp8_fp8 v[0:3], v[36:37], v[40:43], v45 cbsz:7 abid:1
	v_cndmask_b32_e32 v44, v44, v39, vcc
	s_andn2_b64 exec, exec, s[8:9]
	s_cbranch_execz .LBB129_34
.LBB129_13:                             ;   Parent Loop BB129_7 Depth=1
                                        ; =>  This Loop Header: Depth=2
                                        ;       Child Loop BB129_15 Depth 3
                                        ;       Child Loop BB129_18 Depth 3
	;; [unrolled: 1-line block ×7, first 2 shown]
	v_cmp_lt_i32_e32 vcc, 0, v38
	s_nop 1
	v_subbrev_co_u32_e32 v59, vcc, 0, v38, vcc
	v_lshlrev_b32_e32 v36, 2, v59
	ds_read_b32 v37, v36 offset:26624
	v_add_u32_e32 v61, 0x6800, v36
	s_waitcnt lgkmcnt(0)
	v_cmp_ne_u32_e32 vcc, v37, v44
	s_and_saveexec_b64 s[10:11], vcc
	s_cbranch_execz .LBB129_16
; %bb.14:                               ;   in Loop: Header=BB129_13 Depth=2
	s_mov_b64 s[46:47], 0
.LBB129_15:                             ;   Parent Loop BB129_7 Depth=1
                                        ;     Parent Loop BB129_13 Depth=2
                                        ; =>    This Inner Loop Header: Depth=3
	;;#ASMSTART
	s_sleep 0
	;;#ASMEND
	ds_read_b32 v36, v61
	s_waitcnt lgkmcnt(0)
	v_cmp_eq_u32_e32 vcc, v36, v44
	s_or_b64 s[46:47], vcc, s[46:47]
	s_andn2_b64 exec, exec, s[46:47]
	s_cbranch_execnz .LBB129_15
.LBB129_16:                             ;   in Loop: Header=BB129_13 Depth=2
	s_or_b64 exec, exec, s[10:11]
	v_lshl_add_u32 v36, v59, 11, v46
	ds_read2_b32 v[42:43], v36 offset1:32
	ds_read2_b32 v[40:41], v36 offset0:128 offset1:160
	v_add_u32_e32 v36, 0x400, v36
	v_add_u32_e32 v60, 1, v44
	ds_read2_b32 v[38:39], v36 offset1:32
	ds_read2_b32 v[36:37], v36 offset0:128 offset1:160
	;;#ASMSTART
	s_waitcnt lgkmcnt(0)
	;;#ASMEND
	ds_write_b32 v61, v60
	v_mul_lo_u32 v61, v59, 24
	ds_read_b32 v62, v61 offset:26628
	s_waitcnt lgkmcnt(0)
	v_cmp_ne_u32_e32 vcc, v62, v44
	s_and_saveexec_b64 s[10:11], vcc
	s_cbranch_execz .LBB129_19
; %bb.17:                               ;   in Loop: Header=BB129_13 Depth=2
	s_mov_b64 s[46:47], 0
.LBB129_18:                             ;   Parent Loop BB129_7 Depth=1
                                        ;     Parent Loop BB129_13 Depth=2
                                        ; =>    This Inner Loop Header: Depth=3
	;;#ASMSTART
	s_sleep 0
	;;#ASMEND
	ds_read_b32 v62, v61 offset:26628
	s_waitcnt lgkmcnt(0)
	v_cmp_eq_u32_e32 vcc, v62, v44
	s_or_b64 s[46:47], vcc, s[46:47]
	s_andn2_b64 exec, exec, s[46:47]
	s_cbranch_execnz .LBB129_18
.LBB129_19:                             ;   in Loop: Header=BB129_13 Depth=2
	s_or_b64 exec, exec, s[10:11]
	v_mul_lo_u32 v62, v59, s53
	v_or_b32_e32 v62, v47, v62
	ds_read2_b32 v[64:65], v62 offset1:32
	ds_read2_b32 v[66:67], v62 offset0:64 offset1:96
	v_add_u32_e32 v63, 0x400, v62
	ds_read2_b32 v[68:69], v63 offset1:32
	ds_read2_b32 v[70:71], v63 offset0:64 offset1:96
	v_add_u32_e32 v63, 0x800, v62
	s_waitcnt lgkmcnt(2)
	v_smfmac_f32_16x16x64_fp8_fp8 v[20:23], v[42:43], v[64:67], v45 cbsz:7 abid:1
	ds_read2_b32 v[64:65], v63 offset1:32
	ds_read2_b32 v[66:67], v63 offset0:64 offset1:96
	v_add_u32_e32 v63, 0xc00, v62
	s_waitcnt lgkmcnt(2)
	v_smfmac_f32_16x16x64_fp8_fp8 v[20:23], v[40:41], v[68:71], v45 cbsz:7 abid:1
	ds_read2_b32 v[68:69], v63 offset1:32
	ds_read2_b32 v[70:71], v63 offset0:64 offset1:96
	ds_read_b32 v63, v61 offset:26632
	ds_write_b32 v61, v60 offset:26628
	s_waitcnt lgkmcnt(4)
	v_smfmac_f32_16x16x64_fp8_fp8 v[20:23], v[38:39], v[64:67], v45 cbsz:7 abid:1
	s_waitcnt lgkmcnt(1)
	v_cmp_ne_u32_e32 vcc, v63, v44
	v_smfmac_f32_16x16x64_fp8_fp8 v[20:23], v[36:37], v[68:71], v45 cbsz:7 abid:1
	s_and_saveexec_b64 s[10:11], vcc
	s_cbranch_execz .LBB129_22
; %bb.20:                               ;   in Loop: Header=BB129_13 Depth=2
	s_mov_b64 s[46:47], 0
.LBB129_21:                             ;   Parent Loop BB129_7 Depth=1
                                        ;     Parent Loop BB129_13 Depth=2
                                        ; =>    This Inner Loop Header: Depth=3
	;;#ASMSTART
	s_sleep 0
	;;#ASMEND
	ds_read_b32 v63, v61 offset:26632
	s_waitcnt lgkmcnt(0)
	v_cmp_eq_u32_e32 vcc, v63, v44
	s_or_b64 s[46:47], vcc, s[46:47]
	s_andn2_b64 exec, exec, s[46:47]
	s_cbranch_execnz .LBB129_21
.LBB129_22:                             ;   in Loop: Header=BB129_13 Depth=2
	s_or_b64 exec, exec, s[10:11]
	v_add_u32_e32 v63, 0x1000, v62
	ds_read2_b32 v[64:65], v63 offset1:32
	ds_read2_b32 v[66:67], v63 offset0:64 offset1:96
	v_add_u32_e32 v63, 0x1400, v62
	ds_read2_b32 v[68:69], v63 offset1:32
	ds_read2_b32 v[70:71], v63 offset0:64 offset1:96
	v_add_u32_e32 v63, 0x1800, v62
	s_waitcnt lgkmcnt(2)
	v_smfmac_f32_16x16x64_fp8_fp8 v[16:19], v[42:43], v[64:67], v45 cbsz:7 abid:1
	ds_read2_b32 v[64:65], v63 offset1:32
	ds_read2_b32 v[66:67], v63 offset0:64 offset1:96
	v_add_u32_e32 v63, 0x1c00, v62
	s_waitcnt lgkmcnt(2)
	v_smfmac_f32_16x16x64_fp8_fp8 v[16:19], v[40:41], v[68:71], v45 cbsz:7 abid:1
	ds_read2_b32 v[68:69], v63 offset1:32
	ds_read2_b32 v[70:71], v63 offset0:64 offset1:96
	ds_read_b32 v63, v61 offset:26636
	ds_write_b32 v61, v60 offset:26632
	s_waitcnt lgkmcnt(4)
	v_smfmac_f32_16x16x64_fp8_fp8 v[16:19], v[38:39], v[64:67], v45 cbsz:7 abid:1
	s_waitcnt lgkmcnt(1)
	v_cmp_ne_u32_e32 vcc, v63, v44
	v_smfmac_f32_16x16x64_fp8_fp8 v[16:19], v[36:37], v[68:71], v45 cbsz:7 abid:1
	s_and_saveexec_b64 s[10:11], vcc
	s_cbranch_execz .LBB129_25
; %bb.23:                               ;   in Loop: Header=BB129_13 Depth=2
	s_mov_b64 s[46:47], 0
.LBB129_24:                             ;   Parent Loop BB129_7 Depth=1
                                        ;     Parent Loop BB129_13 Depth=2
                                        ; =>    This Inner Loop Header: Depth=3
	;;#ASMSTART
	s_sleep 0
	;;#ASMEND
	ds_read_b32 v63, v61 offset:26636
	s_waitcnt lgkmcnt(0)
	v_cmp_eq_u32_e32 vcc, v63, v44
	s_or_b64 s[46:47], vcc, s[46:47]
	s_andn2_b64 exec, exec, s[46:47]
	s_cbranch_execnz .LBB129_24
.LBB129_25:                             ;   in Loop: Header=BB129_13 Depth=2
	s_or_b64 exec, exec, s[10:11]
	v_add_u32_e32 v63, 0x2000, v62
	;; [unrolled: 41-line block ×4, first 2 shown]
	ds_read2_b32 v[64:65], v63 offset1:32
	ds_read2_b32 v[66:67], v63 offset0:64 offset1:96
	v_add_u32_e32 v63, 0x4400, v62
	ds_read2_b32 v[68:69], v63 offset1:32
	ds_read2_b32 v[70:71], v63 offset0:64 offset1:96
	v_add_u32_e32 v63, 0x4800, v62
	s_waitcnt lgkmcnt(2)
	v_smfmac_f32_16x16x64_fp8_fp8 v[4:7], v[42:43], v[64:67], v45 cbsz:7 abid:1
	ds_read2_b32 v[64:65], v63 offset1:32
	ds_read2_b32 v[66:67], v63 offset0:64 offset1:96
	v_add_u32_e32 v63, 0x4c00, v62
	s_waitcnt lgkmcnt(2)
	v_smfmac_f32_16x16x64_fp8_fp8 v[4:7], v[40:41], v[68:71], v45 cbsz:7 abid:1
	ds_read2_b32 v[68:69], v63 offset1:32
	ds_read2_b32 v[70:71], v63 offset0:64 offset1:96
	ds_read_b32 v63, v61 offset:26648
	ds_write_b32 v61, v60 offset:26644
	s_waitcnt lgkmcnt(4)
	v_smfmac_f32_16x16x64_fp8_fp8 v[4:7], v[38:39], v[64:67], v45 cbsz:7 abid:1
	s_waitcnt lgkmcnt(1)
	v_cmp_ne_u32_e32 vcc, v63, v44
	v_smfmac_f32_16x16x64_fp8_fp8 v[4:7], v[36:37], v[68:71], v45 cbsz:7 abid:1
	s_and_saveexec_b64 s[10:11], vcc
	s_cbranch_execz .LBB129_12
; %bb.32:                               ;   in Loop: Header=BB129_13 Depth=2
	s_mov_b64 s[46:47], 0
.LBB129_33:                             ;   Parent Loop BB129_7 Depth=1
                                        ;     Parent Loop BB129_13 Depth=2
                                        ; =>    This Inner Loop Header: Depth=3
	;;#ASMSTART
	s_sleep 0
	;;#ASMEND
	ds_read_b32 v63, v61 offset:26648
	s_waitcnt lgkmcnt(0)
	v_cmp_eq_u32_e32 vcc, v63, v44
	s_or_b64 s[46:47], vcc, s[46:47]
	s_andn2_b64 exec, exec, s[46:47]
	s_cbranch_execnz .LBB129_33
	s_branch .LBB129_12
.LBB129_34:                             ;   in Loop: Header=BB129_7 Depth=1
	s_or_b64 exec, exec, s[8:9]
.LBB129_35:                             ;   in Loop: Header=BB129_7 Depth=1
	s_or_b64 exec, exec, s[6:7]
	v_cmp_le_i32_e32 vcc, s41, v24
	v_mov_b32_e32 v40, v21
	v_mov_b32_e32 v41, v22
	;; [unrolled: 1-line block ×3, first 2 shown]
	s_waitcnt vmcnt(0)
	v_cndmask_b32_e32 v36, 0, v28, vcc
	v_pk_add_f32 v[20:21], v[40:41], v[20:21]
	v_cmp_eq_u32_e32 vcc, 1, v48
	v_pk_mul_f32 v[20:21], v[36:37], v[20:21] op_sel_hi:[0,1]
	v_cmp_eq_u32_e64 s[6:7], 2, v48
	v_cndmask_b32_e32 v36, v20, v21, vcc
	v_cmp_eq_u32_e64 s[8:9], 3, v48
	v_cndmask_b32_e64 v22, v36, v22, s[6:7]
	v_mov_b32_e32 v40, v17
	v_cndmask_b32_e64 v22, v22, v23, s[8:9]
	v_or_b32_e32 v23, 16, v24
	v_cmp_le_i32_e64 s[10:11], s41, v23
	v_mov_b32_e32 v41, v18
	v_mov_b32_e32 v17, v19
	v_cndmask_b32_e64 v36, 0, v28, s[10:11]
	v_pk_add_f32 v[16:17], v[40:41], v[16:17]
	v_mov_b32_e32 v40, v13
	v_pk_mul_f32 v[16:17], v[36:37], v[16:17] op_sel_hi:[0,1]
	v_cndmask_b32_e32 v23, v16, v17, vcc
	v_cndmask_b32_e64 v18, v23, v18, s[6:7]
	v_cndmask_b32_e64 v18, v18, v19, s[8:9]
	v_or_b32_e32 v19, 32, v24
	v_cmp_le_i32_e64 s[10:11], s41, v19
	v_mov_b32_e32 v41, v14
	v_mov_b32_e32 v13, v15
	v_cndmask_b32_e64 v36, 0, v28, s[10:11]
	v_pk_add_f32 v[12:13], v[40:41], v[12:13]
	v_cmp_le_i32_e64 s[10:11], s41, v49
	v_pk_mul_f32 v[12:13], v[36:37], v[12:13] op_sel_hi:[0,1]
	v_mov_b32_e32 v40, v9
	v_mov_b32_e32 v41, v10
	;; [unrolled: 1-line block ×3, first 2 shown]
	v_cndmask_b32_e32 v19, v12, v13, vcc
	v_cndmask_b32_e64 v36, 0, v28, s[10:11]
	v_pk_add_f32 v[8:9], v[40:41], v[8:9]
	v_cndmask_b32_e64 v14, v19, v14, s[6:7]
	v_pk_mul_f32 v[8:9], v[36:37], v[8:9] op_sel_hi:[0,1]
	v_cmp_le_i32_e64 s[10:11], s41, v50
	v_mov_b32_e32 v40, v5
	v_mov_b32_e32 v41, v6
	;; [unrolled: 1-line block ×3, first 2 shown]
	v_cndmask_b32_e64 v14, v14, v15, s[8:9]
	v_cndmask_b32_e32 v15, v8, v9, vcc
	v_cndmask_b32_e64 v36, 0, v28, s[10:11]
	v_pk_add_f32 v[4:5], v[40:41], v[4:5]
	v_cndmask_b32_e64 v10, v15, v10, s[6:7]
	v_pk_mul_f32 v[4:5], v[36:37], v[4:5] op_sel_hi:[0,1]
	v_cndmask_b32_e64 v10, v10, v11, s[8:9]
	v_cndmask_b32_e32 v11, v4, v5, vcc
	v_cmp_le_i32_e32 vcc, s41, v51
	v_mov_b32_e32 v36, v1
	v_mov_b32_e32 v37, v2
	;; [unrolled: 1-line block ×3, first 2 shown]
	v_cndmask_b32_e32 v28, 0, v28, vcc
	v_pk_add_f32 v[0:1], v[36:37], v[0:1]
	v_cndmask_b32_e64 v6, v11, v6, s[6:7]
	v_pk_mul_f32 v[0:1], v[28:29], v[0:1] op_sel_hi:[0,1]
	v_cmp_ne_u32_e32 vcc, 0, v48
	v_cndmask_b32_e64 v6, v6, v7, s[8:9]
	ds_bpermute_b32 v22, v57, v22
	v_cndmask_b32_e32 v7, v0, v1, vcc
	v_cndmask_b32_e64 v2, v7, v2, s[6:7]
	v_cndmask_b32_e64 v2, v2, v3, s[8:9]
	ds_bpermute_b32 v18, v57, v18
	ds_bpermute_b32 v14, v57, v14
	;; [unrolled: 1-line block ×5, first 2 shown]
	v_cmp_lt_i32_e32 vcc, s64, v52
	s_and_saveexec_b64 s[8:9], vcc
	s_cbranch_execz .LBB129_37
; %bb.36:                               ;   in Loop: Header=BB129_7 Depth=1
	s_mul_i32 s6, s62, s13
	s_ashr_i32 s7, s6, 31
	s_lshl_b64 s[6:7], s[6:7], 1
	s_add_u32 s10, s24, s6
	s_addc_u32 s11, s25, s7
	s_ashr_i32 s41, s40, 31
	s_lshl_b64 s[6:7], s[40:41], 1
	s_add_u32 s10, s10, s6
	s_addc_u32 s11, s11, s7
	v_cmp_ne_u32_e32 vcc, 0, v48
	v_cmp_eq_u32_e64 s[6:7], 0, v48
	v_lshlrev_b32_e32 v28, 1, v24
	s_waitcnt lgkmcnt(1)
	v_cndmask_b32_e32 v5, v5, v6, vcc
	v_cndmask_b32_e64 v4, v4, v6, s[6:7]
	v_cndmask_b32_e32 v6, v9, v10, vcc
	v_cndmask_b32_e64 v8, v8, v10, s[6:7]
	;; [unrolled: 2-line block ×4, first 2 shown]
	v_cvt_f16_f32_e32 v13, v13
	v_cvt_f16_f32_sdwa v12, v12 dst_sel:WORD_1 dst_unused:UNUSED_PAD src0_sel:DWORD
	s_waitcnt lgkmcnt(0)
	v_cndmask_b32_e32 v7, v1, v2, vcc
	v_cndmask_b32_e64 v11, v0, v2, s[6:7]
	v_cndmask_b32_e32 v2, v17, v18, vcc
	v_cndmask_b32_e64 v3, v16, v18, s[6:7]
	v_cvt_f16_f32_e32 v14, v3
	v_cvt_f16_f32_sdwa v15, v2 dst_sel:WORD_1 dst_unused:UNUSED_PAD src0_sel:DWORD
	v_cvt_f16_f32_e32 v8, v8
	v_cvt_f16_f32_sdwa v6, v6 dst_sel:WORD_1 dst_unused:UNUSED_PAD src0_sel:DWORD
	v_lshl_add_u64 v[0:1], v[26:27], 1, s[10:11]
	v_cvt_f16_f32_e32 v10, v10
	v_cvt_f16_f32_sdwa v9, v9 dst_sel:WORD_1 dst_unused:UNUSED_PAD src0_sel:DWORD
	v_lshl_add_u64 v[0:1], v[0:1], 0, v[28:29]
	v_or_b32_e32 v2, v12, v13
	;;#ASMSTART
	global_atomic_pk_add_f16 v[0:1], v2, off
	
	;;#ASMEND
	v_lshl_add_u64 v[2:3], v[0:1], 0, 32
	v_or_b32_e32 v12, v15, v14
	;;#ASMSTART
	global_atomic_pk_add_f16 v[2:3], v12, off
	
	;;#ASMEND
	v_lshl_add_u64 v[2:3], v[0:1], 0, 64
	v_or_b32_e32 v6, v6, v8
	v_or_b32_e32 v9, v9, v10
	;;#ASMSTART
	global_atomic_pk_add_f16 v[2:3], v9, off
	
	;;#ASMEND
	v_lshl_add_u64 v[2:3], v[0:1], 0, s[30:31]
	;;#ASMSTART
	global_atomic_pk_add_f16 v[2:3], v6, off
	
	;;#ASMEND
	v_cvt_f16_f32_e32 v4, v4
	v_cvt_f16_f32_sdwa v5, v5 dst_sel:WORD_1 dst_unused:UNUSED_PAD src0_sel:DWORD
	v_cvt_f16_f32_e32 v6, v11
	v_cvt_f16_f32_sdwa v7, v7 dst_sel:WORD_1 dst_unused:UNUSED_PAD src0_sel:DWORD
	v_lshl_add_u64 v[2:3], v[0:1], 0, s[34:35]
	v_or_b32_e32 v4, v5, v4
	;;#ASMSTART
	global_atomic_pk_add_f16 v[2:3], v4, off
	
	;;#ASMEND
	v_lshl_add_u64 v[0:1], v[0:1], 0, s[36:37]
	v_or_b32_e32 v2, v7, v6
	;;#ASMSTART
	global_atomic_pk_add_f16 v[0:1], v2, off
	
	;;#ASMEND
.LBB129_37:                             ;   in Loop: Header=BB129_7 Depth=1
	s_or_b64 exec, exec, s[8:9]
	v_subrev_u32_e32 v58, s61, v58
.LBB129_38:                             ;   in Loop: Header=BB129_7 Depth=1
	s_or_b64 exec, exec, s[44:45]
.LBB129_39:                             ;   in Loop: Header=BB129_7 Depth=1
	s_andn2_saveexec_b64 s[6:7], s[42:43]
	s_cbranch_execz .LBB129_48
; %bb.40:                               ;   in Loop: Header=BB129_7 Depth=1
	s_mul_i32 s44, s61, 6
	v_cmp_gt_i32_e32 vcc, s44, v58
	s_and_saveexec_b64 s[8:9], vcc
	s_cbranch_execz .LBB129_47
; %bb.41:                               ;   in Loop: Header=BB129_7 Depth=1
	s_mul_i32 s10, s40, s15
	s_ashr_i32 s11, s10, 31
	s_waitcnt lgkmcnt(0)
	s_add_u32 s10, s22, s10
	s_addc_u32 s11, s23, s11
	s_ashr_i32 s40, s63, 31
	s_add_u32 s10, s10, s63
	s_addc_u32 s11, s11, s40
	v_lshl_add_u64 v[0:1], s[10:11], 0, v[32:33]
	v_lshl_add_u64 v[16:17], v[0:1], 0, v[30:31]
	s_mov_b64 s[10:11], 0
	s_branch .LBB129_43
.LBB129_42:                             ;   in Loop: Header=BB129_43 Depth=2
	s_or_b64 exec, exec, s[40:41]
	v_lshl_or_b32 v20, v18, 12, v53
	;;#ASMSTART
	s_waitcnt vmcnt(3)
	;;#ASMEND
	ds_write2_b32 v20, v12, v13 offset1:32
	ds_write2_b32 v20, v14, v15 offset0:64 offset1:96
	v_add_u32_e32 v12, 0x400, v20
	;;#ASMSTART
	s_waitcnt vmcnt(2)
	;;#ASMEND
	ds_write2_b32 v12, v8, v9 offset1:32
	ds_write2_b32 v12, v10, v11 offset0:64 offset1:96
	v_add_u32_e32 v8, 0x800, v20
	;; [unrolled: 6-line block ×3, first 2 shown]
	v_add_u32_e32 v58, s18, v58
	;;#ASMSTART
	s_waitcnt vmcnt(0)
	;;#ASMEND
	ds_write2_b32 v4, v0, v1 offset1:32
	ds_write2_b32 v4, v2, v3 offset0:64 offset1:96
	v_add_u32_e32 v0, 1, v44
	v_add_u32_e32 v38, s18, v18
	v_cmp_le_i32_e32 vcc, s44, v58
	ds_write_b32 v19, v0 offset:4
	v_add_u32_e32 v0, 2, v44
	s_or_b64 s[10:11], vcc, s[10:11]
	v_cmp_lt_i32_e32 vcc, 5, v38
	s_nop 1
	v_cndmask_b32_e32 v44, v44, v0, vcc
	s_andn2_b64 exec, exec, s[10:11]
	s_cbranch_execz .LBB129_46
.LBB129_43:                             ;   Parent Loop BB129_7 Depth=1
                                        ; =>  This Loop Header: Depth=2
                                        ;       Child Loop BB129_45 Depth 3
	v_cmp_gt_i32_e32 vcc, 6, v38
	s_nop 1
	v_cndmask_b32_e64 v0, -6, 0, vcc
	v_add_u32_e32 v18, v0, v38
	v_mul_hi_i32 v0, v58, s50
	v_lshrrev_b32_e32 v1, 31, v0
	v_add_u32_e32 v0, v0, v1
	v_mul_lo_u32 v1, v0, 6
	v_sub_u32_e32 v2, v58, v1
	v_lshlrev_b32_e32 v0, 8, v0
	v_ashrrev_i32_e32 v1, 31, v0
	v_mul_lo_u32 v2, s54, v2
	v_lshl_add_u64 v[0:1], v[16:17], 0, v[0:1]
	v_ashrrev_i32_e32 v3, 31, v2
	v_lshl_add_u64 v[0:1], v[0:1], 0, v[2:3]
	v_lshlrev_b32_e32 v19, 2, v18
	;;#ASMSTART
	global_load_dwordx4 v[12:15], v[0:1], off offset:0    sc0 sc1 nt  
	global_load_dwordx4 v[8:11], v[0:1], off offset:64   sc0 sc1 nt  
	global_load_dwordx4 v[4:7], v[0:1], off offset:128  sc0 sc1 nt  
	global_load_dwordx4 v[0:3], v[0:1], off offset:192  sc0 sc1 nt  
	
	;;#ASMEND
	ds_read_b32 v20, v19 offset:26628
	v_add_u32_e32 v19, 0x6800, v19
	s_waitcnt lgkmcnt(0)
	v_cmp_ne_u32_e32 vcc, v20, v44
	s_and_saveexec_b64 s[40:41], vcc
	s_cbranch_execz .LBB129_42
; %bb.44:                               ;   in Loop: Header=BB129_43 Depth=2
	s_mov_b64 s[42:43], 0
.LBB129_45:                             ;   Parent Loop BB129_7 Depth=1
                                        ;     Parent Loop BB129_43 Depth=2
                                        ; =>    This Inner Loop Header: Depth=3
	;;#ASMSTART
	s_sleep 0
	;;#ASMEND
	ds_read_b32 v20, v19 offset:4
	s_waitcnt lgkmcnt(0)
	v_cmp_eq_u32_e32 vcc, v20, v44
	s_or_b64 s[42:43], vcc, s[42:43]
	s_andn2_b64 exec, exec, s[42:43]
	s_cbranch_execnz .LBB129_45
	s_branch .LBB129_42
.LBB129_46:                             ;   in Loop: Header=BB129_7 Depth=1
	s_or_b64 exec, exec, s[10:11]
.LBB129_47:                             ;   in Loop: Header=BB129_7 Depth=1
	s_or_b64 exec, exec, s[8:9]
	v_subrev_u32_e32 v58, s44, v58
.LBB129_48:                             ;   in Loop: Header=BB129_7 Depth=1
	s_or_b64 exec, exec, s[6:7]
.LBB129_49:                             ;   in Loop: Header=BB129_7 Depth=1
	s_andn2_saveexec_b64 s[6:7], s[38:39]
	s_cbranch_execz .LBB129_6
; %bb.50:                               ;   in Loop: Header=BB129_7 Depth=1
	v_cmp_gt_i32_e32 vcc, s61, v58
	s_and_saveexec_b64 s[8:9], vcc
	s_cbranch_execz .LBB129_5
; %bb.51:                               ;   in Loop: Header=BB129_7 Depth=1
	s_mul_i32 s62, s62, s14
	s_ashr_i32 s10, s62, 31
	s_waitcnt lgkmcnt(0)
	s_add_u32 s11, s20, s62
	s_addc_u32 s38, s21, s10
	s_ashr_i32 s39, s63, 31
	v_cmp_le_i32_e32 vcc, s64, v55
	s_add_u32 s10, s11, s63
	s_addc_u32 s11, s38, s39
	v_cndmask_b32_e32 v0, 0, v56, vcc
	v_ashrrev_i32_e32 v1, 31, v0
	v_lshl_add_u64 v[0:1], s[10:11], 0, v[0:1]
	v_lshlrev_b32_e32 v2, 8, v58
	v_lshl_add_u64 v[0:1], v[0:1], 0, v[34:35]
	v_ashrrev_i32_e32 v3, 31, v2
	v_lshl_add_u64 v[8:9], v[0:1], 0, v[2:3]
	s_mov_b64 s[10:11], 0
	s_branch .LBB129_53
.LBB129_52:                             ;   in Loop: Header=BB129_53 Depth=2
	s_or_b64 exec, exec, s[38:39]
	;;#ASMSTART
	s_waitcnt vmcnt(1)
	v_pack_b32_f16 v12, v4, v5, op_sel:[0,0]
	v_pack_b32_f16 v13, v4, v5, op_sel:[1,1]
	;; [unrolled: 1-line block ×4, first 2 shown]
	v_swap_b32 v12, v4
	v_swap_b32 v13, v6
	;; [unrolled: 1-line block ×4, first 2 shown]
	;;#ASMEND
	v_add_u32_e32 v58, s17, v58
	v_lshl_add_u32 v12, v10, 11, v54
	ds_write2_b32 v12, v4, v5 offset1:32
	ds_write2_b32 v12, v6, v7 offset0:64 offset1:96
	;;#ASMSTART
	s_waitcnt vmcnt(0)
	v_pack_b32_f16 v4, v0, v1, op_sel:[0,0]
	v_pack_b32_f16 v5, v0, v1, op_sel:[1,1]
	;; [unrolled: 1-line block ×4, first 2 shown]
	v_swap_b32 v4, v0
	v_swap_b32 v5, v2
	v_swap_b32 v6, v1
	v_swap_b32 v7, v3
	;;#ASMEND
	v_add_u32_e32 v38, s17, v10
	v_add_u32_e32 v4, 0x400, v12
	ds_write2_b32 v4, v0, v1 offset1:32
	ds_write2_b32 v4, v2, v3 offset0:64 offset1:96
	v_add_u32_e32 v0, 1, v44
	v_cmp_le_i32_e32 vcc, s61, v58
	ds_write_b32 v11, v0
	v_add_u32_e32 v0, 2, v44
	s_or_b64 s[10:11], vcc, s[10:11]
	v_cmp_lt_i32_e32 vcc, 0, v38
	v_lshl_add_u64 v[8:9], v[8:9], 0, s[28:29]
	s_nop 0
	v_cndmask_b32_e32 v44, v44, v0, vcc
	s_andn2_b64 exec, exec, s[10:11]
	s_cbranch_execz .LBB129_4
.LBB129_53:                             ;   Parent Loop BB129_7 Depth=1
                                        ; =>  This Loop Header: Depth=2
                                        ;       Child Loop BB129_55 Depth 3
	v_cmp_lt_i32_e32 vcc, 0, v38
	;;#ASMSTART
	global_load_dwordx4 v[4:7], v[8:9], off offset:0  
	global_load_dwordx4 v[0:3], v[8:9], off offset:128
	
	;;#ASMEND
	s_nop 1
	v_subbrev_co_u32_e32 v10, vcc, 0, v38, vcc
	v_lshlrev_b32_e32 v11, 2, v10
	ds_read_b32 v12, v11 offset:26624
	v_add_u32_e32 v11, 0x6800, v11
	s_waitcnt lgkmcnt(0)
	v_cmp_ne_u32_e32 vcc, v12, v44
	s_and_saveexec_b64 s[38:39], vcc
	s_cbranch_execz .LBB129_52
; %bb.54:                               ;   in Loop: Header=BB129_53 Depth=2
	s_mov_b64 s[40:41], 0
.LBB129_55:                             ;   Parent Loop BB129_7 Depth=1
                                        ;     Parent Loop BB129_53 Depth=2
                                        ; =>    This Inner Loop Header: Depth=3
	;;#ASMSTART
	s_sleep 0
	;;#ASMEND
	ds_read_b32 v12, v11
	s_waitcnt lgkmcnt(0)
	v_cmp_eq_u32_e32 vcc, v12, v44
	s_or_b64 s[40:41], vcc, s[40:41]
	s_andn2_b64 exec, exec, s[40:41]
	s_cbranch_execnz .LBB129_55
	s_branch .LBB129_52
.LBB129_56:
	s_endpgm
	.section	.rodata,"a",@progbits
	.p2align	6, 0x0
	.amdhsa_kernel _Z19_skinny_gemm_kernelILi1ELi6ELi1ELi8ELi4EEvPKhS1_P6__halfPKfiiiiiiii
		.amdhsa_group_segment_fixed_size 26652
		.amdhsa_private_segment_fixed_size 0
		.amdhsa_kernarg_size 64
		.amdhsa_user_sgpr_count 2
		.amdhsa_user_sgpr_dispatch_ptr 0
		.amdhsa_user_sgpr_queue_ptr 0
		.amdhsa_user_sgpr_kernarg_segment_ptr 1
		.amdhsa_user_sgpr_dispatch_id 0
		.amdhsa_user_sgpr_kernarg_preload_length 0
		.amdhsa_user_sgpr_kernarg_preload_offset 0
		.amdhsa_user_sgpr_private_segment_size 0
		.amdhsa_uses_dynamic_stack 0
		.amdhsa_enable_private_segment 0
		.amdhsa_system_sgpr_workgroup_id_x 1
		.amdhsa_system_sgpr_workgroup_id_y 0
		.amdhsa_system_sgpr_workgroup_id_z 0
		.amdhsa_system_sgpr_workgroup_info 0
		.amdhsa_system_vgpr_workitem_id 0
		.amdhsa_next_free_vgpr 72
		.amdhsa_next_free_sgpr 65
		.amdhsa_accum_offset 72
		.amdhsa_reserve_vcc 1
		.amdhsa_float_round_mode_32 0
		.amdhsa_float_round_mode_16_64 0
		.amdhsa_float_denorm_mode_32 3
		.amdhsa_float_denorm_mode_16_64 3
		.amdhsa_dx10_clamp 1
		.amdhsa_ieee_mode 1
		.amdhsa_fp16_overflow 0
		.amdhsa_tg_split 0
		.amdhsa_exception_fp_ieee_invalid_op 0
		.amdhsa_exception_fp_denorm_src 0
		.amdhsa_exception_fp_ieee_div_zero 0
		.amdhsa_exception_fp_ieee_overflow 0
		.amdhsa_exception_fp_ieee_underflow 0
		.amdhsa_exception_fp_ieee_inexact 0
		.amdhsa_exception_int_div_zero 0
	.end_amdhsa_kernel
	.section	.text._Z19_skinny_gemm_kernelILi1ELi6ELi1ELi8ELi4EEvPKhS1_P6__halfPKfiiiiiiii,"axG",@progbits,_Z19_skinny_gemm_kernelILi1ELi6ELi1ELi8ELi4EEvPKhS1_P6__halfPKfiiiiiiii,comdat
.Lfunc_end129:
	.size	_Z19_skinny_gemm_kernelILi1ELi6ELi1ELi8ELi4EEvPKhS1_P6__halfPKfiiiiiiii, .Lfunc_end129-_Z19_skinny_gemm_kernelILi1ELi6ELi1ELi8ELi4EEvPKhS1_P6__halfPKfiiiiiiii
                                        ; -- End function
	.set _Z19_skinny_gemm_kernelILi1ELi6ELi1ELi8ELi4EEvPKhS1_P6__halfPKfiiiiiiii.num_vgpr, 72
	.set _Z19_skinny_gemm_kernelILi1ELi6ELi1ELi8ELi4EEvPKhS1_P6__halfPKfiiiiiiii.num_agpr, 0
	.set _Z19_skinny_gemm_kernelILi1ELi6ELi1ELi8ELi4EEvPKhS1_P6__halfPKfiiiiiiii.numbered_sgpr, 65
	.set _Z19_skinny_gemm_kernelILi1ELi6ELi1ELi8ELi4EEvPKhS1_P6__halfPKfiiiiiiii.num_named_barrier, 0
	.set _Z19_skinny_gemm_kernelILi1ELi6ELi1ELi8ELi4EEvPKhS1_P6__halfPKfiiiiiiii.private_seg_size, 0
	.set _Z19_skinny_gemm_kernelILi1ELi6ELi1ELi8ELi4EEvPKhS1_P6__halfPKfiiiiiiii.uses_vcc, 1
	.set _Z19_skinny_gemm_kernelILi1ELi6ELi1ELi8ELi4EEvPKhS1_P6__halfPKfiiiiiiii.uses_flat_scratch, 0
	.set _Z19_skinny_gemm_kernelILi1ELi6ELi1ELi8ELi4EEvPKhS1_P6__halfPKfiiiiiiii.has_dyn_sized_stack, 0
	.set _Z19_skinny_gemm_kernelILi1ELi6ELi1ELi8ELi4EEvPKhS1_P6__halfPKfiiiiiiii.has_recursion, 0
	.set _Z19_skinny_gemm_kernelILi1ELi6ELi1ELi8ELi4EEvPKhS1_P6__halfPKfiiiiiiii.has_indirect_call, 0
	.section	.AMDGPU.csdata,"",@progbits
; Kernel info:
; codeLenInByte = 4960
; TotalNumSgprs: 71
; NumVgprs: 72
; NumAgprs: 0
; TotalNumVgprs: 72
; ScratchSize: 0
; MemoryBound: 0
; FloatMode: 240
; IeeeMode: 1
; LDSByteSize: 26652 bytes/workgroup (compile time only)
; SGPRBlocks: 8
; VGPRBlocks: 8
; NumSGPRsForWavesPerEU: 71
; NumVGPRsForWavesPerEU: 72
; AccumOffset: 72
; Occupancy: 7
; WaveLimiterHint : 0
; COMPUTE_PGM_RSRC2:SCRATCH_EN: 0
; COMPUTE_PGM_RSRC2:USER_SGPR: 2
; COMPUTE_PGM_RSRC2:TRAP_HANDLER: 0
; COMPUTE_PGM_RSRC2:TGID_X_EN: 1
; COMPUTE_PGM_RSRC2:TGID_Y_EN: 0
; COMPUTE_PGM_RSRC2:TGID_Z_EN: 0
; COMPUTE_PGM_RSRC2:TIDIG_COMP_CNT: 0
; COMPUTE_PGM_RSRC3_GFX90A:ACCUM_OFFSET: 17
; COMPUTE_PGM_RSRC3_GFX90A:TG_SPLIT: 0
	.section	.text._Z19_skinny_gemm_kernelILi1ELi6ELi1ELi8ELi8EEvPKhS1_P6__halfPKfiiiiiiii,"axG",@progbits,_Z19_skinny_gemm_kernelILi1ELi6ELi1ELi8ELi8EEvPKhS1_P6__halfPKfiiiiiiii,comdat
	.protected	_Z19_skinny_gemm_kernelILi1ELi6ELi1ELi8ELi8EEvPKhS1_P6__halfPKfiiiiiiii ; -- Begin function _Z19_skinny_gemm_kernelILi1ELi6ELi1ELi8ELi8EEvPKhS1_P6__halfPKfiiiiiiii
	.globl	_Z19_skinny_gemm_kernelILi1ELi6ELi1ELi8ELi8EEvPKhS1_P6__halfPKfiiiiiiii
	.p2align	8
	.type	_Z19_skinny_gemm_kernelILi1ELi6ELi1ELi8ELi8EEvPKhS1_P6__halfPKfiiiiiiii,@function
_Z19_skinny_gemm_kernelILi1ELi6ELi1ELi8ELi8EEvPKhS1_P6__halfPKfiiiiiiii: ; @_Z19_skinny_gemm_kernelILi1ELi6ELi1ELi8ELi8EEvPKhS1_P6__halfPKfiiiiiiii
; %bb.0:
	v_cmp_gt_u32_e32 vcc, 7, v0
	v_lshlrev_b32_e32 v1, 2, v0
	s_and_saveexec_b64 s[4:5], vcc
; %bb.1:
	v_mov_b32_e32 v2, 0
	ds_write_b32 v1, v2 offset:53248
; %bb.2:
	s_or_b64 exec, exec, s[4:5]
	s_load_dwordx8 s[12:19], s[0:1], 0x20
	s_waitcnt lgkmcnt(0)
	s_barrier
	s_add_i32 s3, s12, 7
	s_ashr_i32 s5, s3, 31
	s_add_i32 s4, s13, 0x5f
	s_lshr_b32 s5, s5, 29
	s_mul_hi_i32 s4, s4, 0x2aaaaaab
	s_add_i32 s3, s3, s5
	s_ashr_i32 s15, s3, 3
	s_lshr_b32 s3, s4, 31
	s_ashr_i32 s33, s4, 4
	s_add_i32 s33, s33, s3
	s_mul_i32 s3, s33, s15
	s_mul_i32 s3, s3, s16
	s_add_i32 s4, s3, 0x12f
	s_mul_hi_i32 s4, s4, 0x6bca1af3
	s_lshr_b32 s5, s4, 31
	s_ashr_i32 s4, s4, 7
	s_add_i32 s4, s4, s5
	s_add_i32 s5, s2, 1
	s_mul_i32 s5, s4, s5
	v_cvt_f64_i32_e32 v[2:3], s3
	v_cvt_f64_u32_e32 v[4:5], s5
	v_min_f64 v[2:3], v[2:3], v[4:5]
	v_cvt_i32_f64_e32 v25, v[2:3]
	s_mul_i32 s44, s4, s2
	v_cmp_ge_i32_e32 vcc, s44, v25
	s_cbranch_vccnz .LBB130_56
; %bb.3:
	v_lshrrev_b32_e32 v2, 6, v0
	s_add_i32 s4, s18, s17
	s_load_dwordx2 s[24:25], s[0:1], 0x0
	s_load_dwordx4 s[20:23], s[0:1], 0x10
	v_cmp_le_i32_e64 s[0:1], s4, v2
	v_mov_b32_e32 v3, s17
	v_cmp_le_i32_e64 s[2:3], s17, v2
	v_mov_b32_e32 v4, s18
	v_cndmask_b32_e64 v4, 0, v4, s[0:1]
	v_cndmask_b32_e64 v3, 0, v3, s[2:3]
	s_abs_i32 s5, s16
	v_add_u32_e32 v3, v3, v4
	v_cvt_f32_u32_e32 v4, s5
	v_sub_u32_e32 v34, v2, v3
	s_ashr_i32 s6, s14, 31
	s_lshr_b32 s6, s6, 23
	v_rcp_iflag_f32_e32 v3, v4
	s_sub_i32 s9, 0, s5
	s_add_i32 s6, s14, s6
	s_ashr_i32 s6, s6, 9
	v_mul_f32_e32 v3, 0x4f7ffffe, v3
	v_cvt_u32_f32_e32 v3, v3
	s_abs_i32 s8, s6
	s_xor_b32 s7, s6, s16
	s_ashr_i32 s7, s7, 31
	v_readfirstlane_b32 s10, v3
	s_mul_i32 s9, s9, s10
	s_mul_hi_u32 s9, s10, s9
	s_add_i32 s10, s10, s9
	s_mul_hi_u32 s9, s8, s10
	s_mul_i32 s10, s9, s5
	s_sub_i32 s8, s8, s10
	s_add_i32 s10, s9, 1
	s_sub_i32 s11, s8, s5
	s_cmp_ge_u32 s8, s5
	s_cselect_b32 s9, s10, s9
	s_cselect_b32 s8, s11, s8
	s_add_i32 s10, s9, 1
	s_cmp_ge_u32 s8, s5
	s_cselect_b32 s5, s10, s9
	s_xor_b32 s5, s5, s7
	s_sub_i32 s45, s5, s7
	s_add_i32 s16, s16, -1
	s_mul_i32 s5, s45, s16
	s_add_i32 s4, s4, s19
	s_sub_i32 s46, s6, s5
	v_cmp_gt_i32_e64 s[4:5], s4, v2
	v_and_b32_e32 v2, 1, v0
	v_lshlrev_b32_e32 v3, 1, v0
	v_and_b32_e32 v3, 0x7c, v3
	v_lshlrev_b32_e32 v4, 8, v2
	v_lshlrev_b32_e32 v5, 4, v0
	s_mov_b32 s47, 0xc000
	s_movk_i32 s6, 0x7c
	v_and_b32_e32 v6, 0x200, v5
	v_or3_b32 v50, v3, v4, s47
	v_lshrrev_b32_e32 v3, 3, v0
	v_cmp_eq_u32_e32 vcc, 0, v2
	v_and_or_b32 v51, v1, s6, v6
	v_lshlrev_b32_e32 v1, 1, v2
	v_and_or_b32 v2, v3, 6, v2
	v_lshlrev_b32_e32 v4, 7, v0
	v_and_b32_e32 v24, 14, v0
	v_bitop3_b32 v52, v0, 1, v0 bitop3:0xc
	v_sub_u32_e32 v1, v0, v1
	v_sub_u32_e32 v53, 8, v2
	v_mul_lo_u32 v26, s13, v2
	v_bfe_u32 v2, v0, 3, 3
	v_and_b32_e32 v4, 0x200, v4
	v_lshlrev_b32_e32 v0, 5, v0
	v_lshl_or_b32 v4, v2, 2, v4
	v_and_b32_e32 v0, 0x60, v0
	s_abs_i32 s48, s15
	v_or3_b32 v54, v4, v0, s47
	v_cvt_f32_u32_e32 v0, s48
	s_abs_i32 s50, s33
	v_mul_lo_u32 v56, s14, v2
	v_cvt_f32_u32_e32 v2, s50
	v_rcp_iflag_f32_e32 v0, v0
	s_sub_i32 s6, 0, s48
	v_add_u32_e32 v1, 1, v1
	v_rcp_iflag_f32_e32 v2, v2
	v_mul_f32_e32 v0, 0x4f7ffffe, v0
	v_cvt_u32_f32_e32 v0, v0
	v_and_b32_e32 v1, 63, v1
	v_mov_b32_e32 v7, 0xeeee
	v_mov_b32_e32 v8, 0x4444
	v_readfirstlane_b32 s7, v0
	v_mul_f32_e32 v0, 0x4f7ffffe, v2
	v_cvt_u32_f32_e32 v0, v0
	s_mul_i32 s6, s6, s7
	s_mul_hi_u32 s6, s7, s6
	s_add_i32 s52, s7, s6
	s_sub_i32 s6, 0, s50
	v_readfirstlane_b32 s7, v0
	v_mbcnt_lo_u32_b32 v0, -1, 0
	s_mul_i32 s6, s6, s7
	v_mbcnt_hi_u32_b32 v0, -1, v0
	v_mov_b32_e32 v29, 0
	s_mul_hi_u32 s6, s7, s6
	v_and_or_b32 v0, v0, 64, v1
	v_cndmask_b32_e64 v48, 0, 1, s[0:1]
	s_mov_b32 s27, 0
	v_cndmask_b32_e32 v49, v7, v8, vcc
	v_ashrrev_i32_e32 v27, 31, v26
	s_lshl_b32 s49, s45, 9
	v_bitop3_b32 v55, v3, 7, v3 bitop3:0xc
	v_and_b32_e32 v30, 0x70, v5
	v_mov_b32_e32 v31, v29
	s_lshl_b32 s26, s17, 9
	s_ashr_i32 s51, s15, 31
	s_ashr_i32 s53, s33, 31
	s_add_i32 s54, s7, s6
	s_mov_b64 s[28:29], 0x60
	s_mov_b64 s[30:31], 0x80
	;; [unrolled: 1-line block ×3, first 2 shown]
	v_lshlrev_b32_e32 v57, 2, v0
	v_mov_b32_e32 v58, v34
	s_branch .LBB130_7
.LBB130_4:                              ;   in Loop: Header=BB130_7 Depth=1
	s_or_b64 exec, exec, s[10:11]
.LBB130_5:                              ;   in Loop: Header=BB130_7 Depth=1
	s_or_b64 exec, exec, s[8:9]
	v_subrev_u32_e32 v58, s55, v58
.LBB130_6:                              ;   in Loop: Header=BB130_7 Depth=1
	s_or_b64 exec, exec, s[6:7]
	s_add_i32 s44, s44, 1
	v_cmp_ge_i32_e32 vcc, s44, v25
	s_cbranch_vccnz .LBB130_56
.LBB130_7:                              ; =>This Loop Header: Depth=1
                                        ;     Child Loop BB130_13 Depth 2
                                        ;       Child Loop BB130_15 Depth 3
                                        ;       Child Loop BB130_18 Depth 3
	;; [unrolled: 1-line block ×7, first 2 shown]
                                        ;     Child Loop BB130_43 Depth 2
                                        ;       Child Loop BB130_45 Depth 3
                                        ;     Child Loop BB130_53 Depth 2
                                        ;       Child Loop BB130_55 Depth 3
	s_abs_i32 s7, s44
	s_mul_hi_u32 s8, s7, s52
	s_mul_i32 s9, s8, s48
	s_ashr_i32 s6, s44, 31
	s_sub_i32 s7, s7, s9
	s_xor_b32 s6, s6, s51
	s_add_i32 s9, s8, 1
	s_sub_i32 s10, s7, s48
	s_cmp_ge_u32 s7, s48
	s_cselect_b32 s8, s9, s8
	s_cselect_b32 s7, s10, s7
	s_add_i32 s9, s8, 1
	s_cmp_ge_u32 s7, s48
	s_cselect_b32 s7, s9, s8
	s_xor_b32 s7, s7, s6
	s_sub_i32 s59, s7, s6
	s_abs_i32 s7, s59
	s_mul_i32 s6, s59, s15
	s_mul_hi_u32 s8, s7, s54
	s_sub_i32 s6, s44, s6
	s_mul_i32 s9, s8, s50
	s_lshl_b32 s56, s6, 3
	s_ashr_i32 s6, s59, 31
	s_sub_i32 s7, s7, s9
	s_xor_b32 s6, s6, s53
	s_add_i32 s9, s8, 1
	s_sub_i32 s10, s7, s50
	s_cmp_ge_u32 s7, s50
	s_cselect_b32 s8, s9, s8
	s_cselect_b32 s7, s10, s7
	s_add_i32 s9, s8, 1
	s_cmp_ge_u32 s7, s50
	s_cselect_b32 s7, s9, s8
	s_xor_b32 s7, s7, s6
	s_sub_i32 s58, s7, s6
	s_cmp_eq_u32 s58, s16
	s_cselect_b32 s55, s46, s45
	s_sub_i32 s57, s56, s12
	s_add_i32 s57, s57, 8
	s_and_saveexec_b64 s[6:7], s[2:3]
	s_xor_b64 s[36:37], exec, s[6:7]
	s_cbranch_execz .LBB130_49
; %bb.8:                                ;   in Loop: Header=BB130_7 Depth=1
	s_and_saveexec_b64 s[6:7], s[0:1]
	s_xor_b64 s[38:39], exec, s[6:7]
	s_cbranch_execz .LBB130_39
; %bb.9:                                ;   in Loop: Header=BB130_7 Depth=1
	s_and_saveexec_b64 s[40:41], s[4:5]
	s_cbranch_execz .LBB130_38
; %bb.10:                               ;   in Loop: Header=BB130_7 Depth=1
	s_waitcnt lgkmcnt(0)
	global_load_dword v28, v29, s[22:23]
	v_mov_b32_e32 v23, 0
	v_cmp_gt_i32_e32 vcc, s55, v58
	v_mov_b32_e32 v22, v23
	v_mov_b32_e32 v21, v23
	;; [unrolled: 1-line block ×23, first 2 shown]
	s_and_saveexec_b64 s[6:7], vcc
	s_cbranch_execz .LBB130_35
; %bb.11:                               ;   in Loop: Header=BB130_7 Depth=1
	v_mov_b32_e32 v0, 0
	s_mov_b64 s[8:9], 0
	v_mov_b32_e32 v1, v0
	v_mov_b32_e32 v2, v0
	;; [unrolled: 1-line block ×23, first 2 shown]
	s_branch .LBB130_13
.LBB130_12:                             ;   in Loop: Header=BB130_13 Depth=2
	s_or_b64 exec, exec, s[10:11]
	v_add_u32_e32 v63, 0xa000, v62
	ds_read2_b32 v[64:65], v63 offset1:32
	ds_read2_b32 v[66:67], v63 offset0:64 offset1:96
	v_add_u32_e32 v63, 0xa400, v62
	ds_read2_b32 v[68:69], v63 offset1:32
	ds_read2_b32 v[70:71], v63 offset0:64 offset1:96
	v_add_u32_e32 v58, s19, v58
	v_cmp_le_i32_e32 vcc, s55, v58
	s_waitcnt lgkmcnt(2)
	v_smfmac_f32_16x16x64_fp8_fp8 v[0:3], v[46:47], v[64:67], v49 cbsz:7 abid:1
	v_add_u32_e32 v46, 0xa800, v62
	ds_read2_b32 v[64:65], v46 offset1:32
	ds_read2_b32 v[66:67], v46 offset0:64 offset1:96
	v_add_u32_e32 v46, 0xac00, v62
	s_waitcnt lgkmcnt(2)
	v_smfmac_f32_16x16x64_fp8_fp8 v[0:3], v[44:45], v[68:71], v49 cbsz:7 abid:1
	ds_read2_b32 v[44:45], v46 offset1:32
	ds_read2_b32 v[46:47], v46 offset0:64 offset1:96
	s_or_b64 s[8:9], vcc, s[8:9]
	s_waitcnt lgkmcnt(2)
	v_smfmac_f32_16x16x64_fp8_fp8 v[0:3], v[42:43], v[64:67], v49 cbsz:7 abid:1
	v_add_u32_e32 v42, 0xb000, v62
	ds_read2_b32 v[64:65], v42 offset1:32
	ds_read2_b32 v[66:67], v42 offset0:64 offset1:96
	v_add_u32_e32 v42, 0xb400, v62
	s_waitcnt lgkmcnt(2)
	v_smfmac_f32_16x16x64_fp8_fp8 v[0:3], v[40:41], v[44:47], v49 cbsz:7 abid:1
	ds_read2_b32 v[40:41], v42 offset1:32
	ds_read2_b32 v[42:43], v42 offset0:64 offset1:96
	s_waitcnt lgkmcnt(2)
	v_smfmac_f32_16x16x64_fp8_fp8 v[0:3], v[38:39], v[64:67], v49 cbsz:7 abid:1
	v_add_u32_e32 v38, 0xb800, v62
	ds_read2_b32 v[44:45], v38 offset1:32
	ds_read2_b32 v[46:47], v38 offset0:64 offset1:96
	v_add_u32_e32 v38, 0xbc00, v62
	s_waitcnt lgkmcnt(2)
	v_smfmac_f32_16x16x64_fp8_fp8 v[0:3], v[36:37], v[40:43], v49 cbsz:7 abid:1
	ds_read2_b32 v[36:37], v38 offset1:32
	ds_read2_b32 v[38:39], v38 offset0:64 offset1:96
	ds_write_b32 v61, v60 offset:53272
	s_waitcnt lgkmcnt(3)
	v_smfmac_f32_16x16x64_fp8_fp8 v[0:3], v[34:35], v[44:47], v49 cbsz:7 abid:1
	v_add_u32_e32 v34, s19, v59
	v_add_u32_e32 v35, 2, v48
	v_cmp_lt_i32_e32 vcc, 0, v34
	s_waitcnt lgkmcnt(1)
	v_smfmac_f32_16x16x64_fp8_fp8 v[0:3], v[32:33], v[36:39], v49 cbsz:7 abid:1
	v_cndmask_b32_e32 v48, v48, v35, vcc
	s_andn2_b64 exec, exec, s[8:9]
	s_cbranch_execz .LBB130_34
.LBB130_13:                             ;   Parent Loop BB130_7 Depth=1
                                        ; =>  This Loop Header: Depth=2
                                        ;       Child Loop BB130_15 Depth 3
                                        ;       Child Loop BB130_18 Depth 3
                                        ;       Child Loop BB130_21 Depth 3
                                        ;       Child Loop BB130_24 Depth 3
                                        ;       Child Loop BB130_27 Depth 3
                                        ;       Child Loop BB130_30 Depth 3
                                        ;       Child Loop BB130_33 Depth 3
	v_cmp_lt_i32_e32 vcc, 0, v34
	s_nop 1
	v_subbrev_co_u32_e32 v59, vcc, 0, v34, vcc
	v_lshlrev_b32_e32 v32, 2, v59
	ds_read_b32 v33, v32 offset:53248
	v_add_u32_e32 v61, 0xd000, v32
	s_waitcnt lgkmcnt(0)
	v_cmp_ne_u32_e32 vcc, v33, v48
	s_and_saveexec_b64 s[10:11], vcc
	s_cbranch_execz .LBB130_16
; %bb.14:                               ;   in Loop: Header=BB130_13 Depth=2
	s_mov_b64 s[42:43], 0
.LBB130_15:                             ;   Parent Loop BB130_7 Depth=1
                                        ;     Parent Loop BB130_13 Depth=2
                                        ; =>    This Inner Loop Header: Depth=3
	;;#ASMSTART
	s_sleep 0
	;;#ASMEND
	ds_read_b32 v32, v61
	s_waitcnt lgkmcnt(0)
	v_cmp_eq_u32_e32 vcc, v32, v48
	s_or_b64 s[42:43], vcc, s[42:43]
	s_andn2_b64 exec, exec, s[42:43]
	s_cbranch_execnz .LBB130_15
.LBB130_16:                             ;   in Loop: Header=BB130_13 Depth=2
	s_or_b64 exec, exec, s[10:11]
	v_lshl_add_u32 v32, v59, 12, v50
	v_add_u32_e32 v33, 0x400, v32
	ds_read2_b32 v[46:47], v32 offset1:32
	ds_read2_b32 v[44:45], v32 offset0:128 offset1:160
	ds_read2_b32 v[42:43], v33 offset1:32
	ds_read2_b32 v[40:41], v33 offset0:128 offset1:160
	v_add_u32_e32 v33, 0x800, v32
	v_add_u32_e32 v32, 0xc00, v32
	;; [unrolled: 1-line block ×3, first 2 shown]
	ds_read2_b32 v[38:39], v33 offset1:32
	ds_read2_b32 v[36:37], v33 offset0:128 offset1:160
	ds_read2_b32 v[34:35], v32 offset1:32
	ds_read2_b32 v[32:33], v32 offset0:128 offset1:160
	;;#ASMSTART
	s_waitcnt lgkmcnt(0)
	;;#ASMEND
	ds_write_b32 v61, v60
	v_mul_lo_u32 v61, v59, 24
	ds_read_b32 v62, v61 offset:53252
	s_waitcnt lgkmcnt(0)
	v_cmp_ne_u32_e32 vcc, v62, v48
	s_and_saveexec_b64 s[10:11], vcc
	s_cbranch_execz .LBB130_19
; %bb.17:                               ;   in Loop: Header=BB130_13 Depth=2
	s_mov_b64 s[42:43], 0
.LBB130_18:                             ;   Parent Loop BB130_7 Depth=1
                                        ;     Parent Loop BB130_13 Depth=2
                                        ; =>    This Inner Loop Header: Depth=3
	;;#ASMSTART
	s_sleep 0
	;;#ASMEND
	ds_read_b32 v62, v61 offset:53252
	s_waitcnt lgkmcnt(0)
	v_cmp_eq_u32_e32 vcc, v62, v48
	s_or_b64 s[42:43], vcc, s[42:43]
	s_andn2_b64 exec, exec, s[42:43]
	s_cbranch_execnz .LBB130_18
.LBB130_19:                             ;   in Loop: Header=BB130_13 Depth=2
	s_or_b64 exec, exec, s[10:11]
	v_mul_lo_u32 v62, v59, s47
	v_or_b32_e32 v62, v51, v62
	ds_read2_b32 v[64:65], v62 offset1:32
	ds_read2_b32 v[66:67], v62 offset0:64 offset1:96
	v_add_u32_e32 v63, 0x400, v62
	ds_read2_b32 v[68:69], v63 offset1:32
	ds_read2_b32 v[70:71], v63 offset0:64 offset1:96
	v_add_u32_e32 v63, 0x800, v62
	s_waitcnt lgkmcnt(2)
	v_smfmac_f32_16x16x64_fp8_fp8 v[20:23], v[46:47], v[64:67], v49 cbsz:7 abid:1
	ds_read2_b32 v[64:65], v63 offset1:32
	ds_read2_b32 v[66:67], v63 offset0:64 offset1:96
	v_add_u32_e32 v63, 0xc00, v62
	s_waitcnt lgkmcnt(2)
	v_smfmac_f32_16x16x64_fp8_fp8 v[20:23], v[44:45], v[68:71], v49 cbsz:7 abid:1
	ds_read2_b32 v[68:69], v63 offset1:32
	ds_read2_b32 v[70:71], v63 offset0:64 offset1:96
	v_add_u32_e32 v63, 0x1000, v62
	s_waitcnt lgkmcnt(2)
	v_smfmac_f32_16x16x64_fp8_fp8 v[20:23], v[42:43], v[64:67], v49 cbsz:7 abid:1
	ds_read2_b32 v[64:65], v63 offset1:32
	ds_read2_b32 v[66:67], v63 offset0:64 offset1:96
	v_add_u32_e32 v63, 0x1400, v62
	s_waitcnt lgkmcnt(2)
	v_smfmac_f32_16x16x64_fp8_fp8 v[20:23], v[40:41], v[68:71], v49 cbsz:7 abid:1
	ds_read2_b32 v[68:69], v63 offset1:32
	ds_read2_b32 v[70:71], v63 offset0:64 offset1:96
	v_add_u32_e32 v63, 0x1800, v62
	s_waitcnt lgkmcnt(2)
	v_smfmac_f32_16x16x64_fp8_fp8 v[20:23], v[38:39], v[64:67], v49 cbsz:7 abid:1
	ds_read2_b32 v[64:65], v63 offset1:32
	ds_read2_b32 v[66:67], v63 offset0:64 offset1:96
	v_add_u32_e32 v63, 0x1c00, v62
	s_waitcnt lgkmcnt(2)
	v_smfmac_f32_16x16x64_fp8_fp8 v[20:23], v[36:37], v[68:71], v49 cbsz:7 abid:1
	ds_read2_b32 v[68:69], v63 offset1:32
	ds_read2_b32 v[70:71], v63 offset0:64 offset1:96
	ds_read_b32 v63, v61 offset:53256
	ds_write_b32 v61, v60 offset:53252
	s_waitcnt lgkmcnt(4)
	v_smfmac_f32_16x16x64_fp8_fp8 v[20:23], v[34:35], v[64:67], v49 cbsz:7 abid:1
	s_waitcnt lgkmcnt(1)
	v_cmp_ne_u32_e32 vcc, v63, v48
	v_smfmac_f32_16x16x64_fp8_fp8 v[20:23], v[32:33], v[68:71], v49 cbsz:7 abid:1
	s_and_saveexec_b64 s[10:11], vcc
	s_cbranch_execz .LBB130_22
; %bb.20:                               ;   in Loop: Header=BB130_13 Depth=2
	s_mov_b64 s[42:43], 0
.LBB130_21:                             ;   Parent Loop BB130_7 Depth=1
                                        ;     Parent Loop BB130_13 Depth=2
                                        ; =>    This Inner Loop Header: Depth=3
	;;#ASMSTART
	s_sleep 0
	;;#ASMEND
	ds_read_b32 v63, v61 offset:53256
	s_waitcnt lgkmcnt(0)
	v_cmp_eq_u32_e32 vcc, v63, v48
	s_or_b64 s[42:43], vcc, s[42:43]
	s_andn2_b64 exec, exec, s[42:43]
	s_cbranch_execnz .LBB130_21
.LBB130_22:                             ;   in Loop: Header=BB130_13 Depth=2
	s_or_b64 exec, exec, s[10:11]
	v_add_u32_e32 v63, 0x2000, v62
	ds_read2_b32 v[64:65], v63 offset1:32
	ds_read2_b32 v[66:67], v63 offset0:64 offset1:96
	v_add_u32_e32 v63, 0x2400, v62
	ds_read2_b32 v[68:69], v63 offset1:32
	ds_read2_b32 v[70:71], v63 offset0:64 offset1:96
	v_add_u32_e32 v63, 0x2800, v62
	s_waitcnt lgkmcnt(2)
	v_smfmac_f32_16x16x64_fp8_fp8 v[16:19], v[46:47], v[64:67], v49 cbsz:7 abid:1
	ds_read2_b32 v[64:65], v63 offset1:32
	ds_read2_b32 v[66:67], v63 offset0:64 offset1:96
	v_add_u32_e32 v63, 0x2c00, v62
	s_waitcnt lgkmcnt(2)
	v_smfmac_f32_16x16x64_fp8_fp8 v[16:19], v[44:45], v[68:71], v49 cbsz:7 abid:1
	ds_read2_b32 v[68:69], v63 offset1:32
	ds_read2_b32 v[70:71], v63 offset0:64 offset1:96
	v_add_u32_e32 v63, 0x3000, v62
	s_waitcnt lgkmcnt(2)
	v_smfmac_f32_16x16x64_fp8_fp8 v[16:19], v[42:43], v[64:67], v49 cbsz:7 abid:1
	ds_read2_b32 v[64:65], v63 offset1:32
	ds_read2_b32 v[66:67], v63 offset0:64 offset1:96
	v_add_u32_e32 v63, 0x3400, v62
	s_waitcnt lgkmcnt(2)
	v_smfmac_f32_16x16x64_fp8_fp8 v[16:19], v[40:41], v[68:71], v49 cbsz:7 abid:1
	ds_read2_b32 v[68:69], v63 offset1:32
	ds_read2_b32 v[70:71], v63 offset0:64 offset1:96
	v_add_u32_e32 v63, 0x3800, v62
	s_waitcnt lgkmcnt(2)
	v_smfmac_f32_16x16x64_fp8_fp8 v[16:19], v[38:39], v[64:67], v49 cbsz:7 abid:1
	ds_read2_b32 v[64:65], v63 offset1:32
	ds_read2_b32 v[66:67], v63 offset0:64 offset1:96
	v_add_u32_e32 v63, 0x3c00, v62
	s_waitcnt lgkmcnt(2)
	v_smfmac_f32_16x16x64_fp8_fp8 v[16:19], v[36:37], v[68:71], v49 cbsz:7 abid:1
	ds_read2_b32 v[68:69], v63 offset1:32
	ds_read2_b32 v[70:71], v63 offset0:64 offset1:96
	ds_read_b32 v63, v61 offset:53260
	ds_write_b32 v61, v60 offset:53256
	s_waitcnt lgkmcnt(4)
	v_smfmac_f32_16x16x64_fp8_fp8 v[16:19], v[34:35], v[64:67], v49 cbsz:7 abid:1
	s_waitcnt lgkmcnt(1)
	v_cmp_ne_u32_e32 vcc, v63, v48
	v_smfmac_f32_16x16x64_fp8_fp8 v[16:19], v[32:33], v[68:71], v49 cbsz:7 abid:1
	s_and_saveexec_b64 s[10:11], vcc
	s_cbranch_execz .LBB130_25
; %bb.23:                               ;   in Loop: Header=BB130_13 Depth=2
	s_mov_b64 s[42:43], 0
.LBB130_24:                             ;   Parent Loop BB130_7 Depth=1
                                        ;     Parent Loop BB130_13 Depth=2
                                        ; =>    This Inner Loop Header: Depth=3
	;;#ASMSTART
	s_sleep 0
	;;#ASMEND
	ds_read_b32 v63, v61 offset:53260
	s_waitcnt lgkmcnt(0)
	v_cmp_eq_u32_e32 vcc, v63, v48
	s_or_b64 s[42:43], vcc, s[42:43]
	s_andn2_b64 exec, exec, s[42:43]
	s_cbranch_execnz .LBB130_24
.LBB130_25:                             ;   in Loop: Header=BB130_13 Depth=2
	s_or_b64 exec, exec, s[10:11]
	v_add_u32_e32 v63, 0x4000, v62
	;; [unrolled: 61-line block ×4, first 2 shown]
	ds_read2_b32 v[64:65], v63 offset1:32
	ds_read2_b32 v[66:67], v63 offset0:64 offset1:96
	v_add_u32_e32 v63, 0x8400, v62
	ds_read2_b32 v[68:69], v63 offset1:32
	ds_read2_b32 v[70:71], v63 offset0:64 offset1:96
	v_add_u32_e32 v63, 0x8800, v62
	s_waitcnt lgkmcnt(2)
	v_smfmac_f32_16x16x64_fp8_fp8 v[4:7], v[46:47], v[64:67], v49 cbsz:7 abid:1
	ds_read2_b32 v[64:65], v63 offset1:32
	ds_read2_b32 v[66:67], v63 offset0:64 offset1:96
	v_add_u32_e32 v63, 0x8c00, v62
	s_waitcnt lgkmcnt(2)
	v_smfmac_f32_16x16x64_fp8_fp8 v[4:7], v[44:45], v[68:71], v49 cbsz:7 abid:1
	;; [unrolled: 5-line block ×6, first 2 shown]
	ds_read2_b32 v[68:69], v63 offset1:32
	ds_read2_b32 v[70:71], v63 offset0:64 offset1:96
	ds_read_b32 v63, v61 offset:53272
	ds_write_b32 v61, v60 offset:53268
	s_waitcnt lgkmcnt(4)
	v_smfmac_f32_16x16x64_fp8_fp8 v[4:7], v[34:35], v[64:67], v49 cbsz:7 abid:1
	s_waitcnt lgkmcnt(1)
	v_cmp_ne_u32_e32 vcc, v63, v48
	v_smfmac_f32_16x16x64_fp8_fp8 v[4:7], v[32:33], v[68:71], v49 cbsz:7 abid:1
	s_and_saveexec_b64 s[10:11], vcc
	s_cbranch_execz .LBB130_12
; %bb.32:                               ;   in Loop: Header=BB130_13 Depth=2
	s_mov_b64 s[42:43], 0
.LBB130_33:                             ;   Parent Loop BB130_7 Depth=1
                                        ;     Parent Loop BB130_13 Depth=2
                                        ; =>    This Inner Loop Header: Depth=3
	;;#ASMSTART
	s_sleep 0
	;;#ASMEND
	ds_read_b32 v63, v61 offset:53272
	s_waitcnt lgkmcnt(0)
	v_cmp_eq_u32_e32 vcc, v63, v48
	s_or_b64 s[42:43], vcc, s[42:43]
	s_andn2_b64 exec, exec, s[42:43]
	s_cbranch_execnz .LBB130_33
	s_branch .LBB130_12
.LBB130_34:                             ;   in Loop: Header=BB130_7 Depth=1
	s_or_b64 exec, exec, s[8:9]
.LBB130_35:                             ;   in Loop: Header=BB130_7 Depth=1
	s_or_b64 exec, exec, s[6:7]
	s_mul_i32 s6, s58, s33
	s_sub_i32 s42, s59, s6
	s_mulk_i32 s42, 0x60
	s_sub_i32 s43, s42, s13
	s_addk_i32 s43, 0x60
	v_cmp_le_i32_e32 vcc, s43, v24
	v_mov_b32_e32 v36, v21
	v_mov_b32_e32 v37, v22
	;; [unrolled: 1-line block ×3, first 2 shown]
	s_waitcnt vmcnt(0)
	v_cndmask_b32_e32 v32, 0, v28, vcc
	v_pk_add_f32 v[20:21], v[36:37], v[20:21]
	v_cmp_eq_u32_e32 vcc, 1, v52
	v_pk_mul_f32 v[20:21], v[32:33], v[20:21] op_sel_hi:[0,1]
	v_cmp_eq_u32_e64 s[6:7], 2, v52
	v_cndmask_b32_e32 v32, v20, v21, vcc
	v_cmp_eq_u32_e64 s[8:9], 3, v52
	v_cndmask_b32_e64 v22, v32, v22, s[6:7]
	v_mov_b32_e32 v36, v17
	v_cndmask_b32_e64 v22, v22, v23, s[8:9]
	v_or_b32_e32 v23, 16, v24
	v_cmp_le_i32_e64 s[10:11], s43, v23
	v_mov_b32_e32 v37, v18
	v_mov_b32_e32 v17, v19
	v_cndmask_b32_e64 v32, 0, v28, s[10:11]
	v_pk_add_f32 v[16:17], v[36:37], v[16:17]
	v_mov_b32_e32 v36, v13
	v_pk_mul_f32 v[16:17], v[32:33], v[16:17] op_sel_hi:[0,1]
	v_cndmask_b32_e32 v23, v16, v17, vcc
	v_cndmask_b32_e64 v18, v23, v18, s[6:7]
	v_cndmask_b32_e64 v18, v18, v19, s[8:9]
	v_or_b32_e32 v19, 32, v24
	v_cmp_le_i32_e64 s[10:11], s43, v19
	v_mov_b32_e32 v37, v14
	v_mov_b32_e32 v13, v15
	v_cndmask_b32_e64 v32, 0, v28, s[10:11]
	v_pk_add_f32 v[12:13], v[36:37], v[12:13]
	v_mov_b32_e32 v36, v9
	v_pk_mul_f32 v[12:13], v[32:33], v[12:13] op_sel_hi:[0,1]
	v_cndmask_b32_e32 v19, v12, v13, vcc
	v_cndmask_b32_e64 v14, v19, v14, s[6:7]
	;; [unrolled: 11-line block ×3, first 2 shown]
	v_cndmask_b32_e64 v10, v10, v11, s[8:9]
	v_or_b32_e32 v11, 64, v24
	v_cmp_le_i32_e64 s[10:11], s43, v11
	v_mov_b32_e32 v37, v6
	v_mov_b32_e32 v5, v7
	v_cndmask_b32_e64 v32, 0, v28, s[10:11]
	v_pk_add_f32 v[4:5], v[36:37], v[4:5]
	ds_bpermute_b32 v22, v57, v22
	v_pk_mul_f32 v[4:5], v[32:33], v[4:5] op_sel_hi:[0,1]
	v_cndmask_b32_e32 v11, v4, v5, vcc
	v_cndmask_b32_e64 v6, v11, v6, s[6:7]
	v_cndmask_b32_e64 v6, v6, v7, s[8:9]
	v_or_b32_e32 v7, 0x50, v24
	v_cmp_le_i32_e32 vcc, s43, v7
	v_mov_b32_e32 v32, v1
	v_mov_b32_e32 v33, v2
	;; [unrolled: 1-line block ×3, first 2 shown]
	v_cndmask_b32_e32 v28, 0, v28, vcc
	v_pk_add_f32 v[0:1], v[32:33], v[0:1]
	v_cmp_ne_u32_e32 vcc, 0, v52
	v_pk_mul_f32 v[0:1], v[28:29], v[0:1] op_sel_hi:[0,1]
	ds_bpermute_b32 v18, v57, v18
	v_cndmask_b32_e32 v7, v0, v1, vcc
	v_cndmask_b32_e64 v2, v7, v2, s[6:7]
	v_cndmask_b32_e64 v2, v2, v3, s[8:9]
	ds_bpermute_b32 v14, v57, v14
	ds_bpermute_b32 v10, v57, v10
	;; [unrolled: 1-line block ×4, first 2 shown]
	v_cmp_lt_i32_e32 vcc, s57, v53
	s_and_saveexec_b64 s[8:9], vcc
	s_cbranch_execz .LBB130_37
; %bb.36:                               ;   in Loop: Header=BB130_7 Depth=1
	s_mul_i32 s10, s56, s13
	s_max_i32 s6, s43, 0
	s_ashr_i32 s11, s10, 31
	s_sub_i32 s6, s42, s6
	s_lshl_b64 s[10:11], s[10:11], 1
	s_add_u32 s10, s20, s10
	s_addc_u32 s11, s21, s11
	s_ashr_i32 s7, s6, 31
	s_lshl_b64 s[6:7], s[6:7], 1
	s_add_u32 s10, s10, s6
	s_addc_u32 s11, s11, s7
	v_cmp_ne_u32_e32 vcc, 0, v52
	v_cmp_eq_u32_e64 s[6:7], 0, v52
	v_lshlrev_b32_e32 v28, 1, v24
	s_waitcnt lgkmcnt(1)
	v_cndmask_b32_e32 v5, v5, v6, vcc
	v_cndmask_b32_e64 v4, v4, v6, s[6:7]
	v_cndmask_b32_e32 v6, v9, v10, vcc
	v_cndmask_b32_e64 v8, v8, v10, s[6:7]
	;; [unrolled: 2-line block ×4, first 2 shown]
	v_cvt_f16_f32_e32 v13, v13
	v_cvt_f16_f32_sdwa v12, v12 dst_sel:WORD_1 dst_unused:UNUSED_PAD src0_sel:DWORD
	s_waitcnt lgkmcnt(0)
	v_cndmask_b32_e32 v7, v1, v2, vcc
	v_cndmask_b32_e64 v11, v0, v2, s[6:7]
	v_cndmask_b32_e32 v2, v17, v18, vcc
	v_cndmask_b32_e64 v3, v16, v18, s[6:7]
	v_cvt_f16_f32_e32 v14, v3
	v_cvt_f16_f32_sdwa v15, v2 dst_sel:WORD_1 dst_unused:UNUSED_PAD src0_sel:DWORD
	v_cvt_f16_f32_e32 v8, v8
	v_cvt_f16_f32_sdwa v6, v6 dst_sel:WORD_1 dst_unused:UNUSED_PAD src0_sel:DWORD
	v_lshl_add_u64 v[0:1], v[26:27], 1, s[10:11]
	v_cvt_f16_f32_e32 v10, v10
	v_cvt_f16_f32_sdwa v9, v9 dst_sel:WORD_1 dst_unused:UNUSED_PAD src0_sel:DWORD
	v_lshl_add_u64 v[0:1], v[0:1], 0, v[28:29]
	v_or_b32_e32 v2, v12, v13
	;;#ASMSTART
	global_atomic_pk_add_f16 v[0:1], v2, off
	
	;;#ASMEND
	v_lshl_add_u64 v[2:3], v[0:1], 0, 32
	v_or_b32_e32 v12, v15, v14
	;;#ASMSTART
	global_atomic_pk_add_f16 v[2:3], v12, off
	
	;;#ASMEND
	v_lshl_add_u64 v[2:3], v[0:1], 0, 64
	v_or_b32_e32 v6, v6, v8
	v_or_b32_e32 v9, v9, v10
	;;#ASMSTART
	global_atomic_pk_add_f16 v[2:3], v9, off
	
	;;#ASMEND
	v_lshl_add_u64 v[2:3], v[0:1], 0, s[28:29]
	;;#ASMSTART
	global_atomic_pk_add_f16 v[2:3], v6, off
	
	;;#ASMEND
	v_cvt_f16_f32_e32 v4, v4
	v_cvt_f16_f32_sdwa v5, v5 dst_sel:WORD_1 dst_unused:UNUSED_PAD src0_sel:DWORD
	v_cvt_f16_f32_e32 v6, v11
	v_cvt_f16_f32_sdwa v7, v7 dst_sel:WORD_1 dst_unused:UNUSED_PAD src0_sel:DWORD
	v_lshl_add_u64 v[2:3], v[0:1], 0, s[30:31]
	v_or_b32_e32 v4, v5, v4
	;;#ASMSTART
	global_atomic_pk_add_f16 v[2:3], v4, off
	
	;;#ASMEND
	v_lshl_add_u64 v[0:1], v[0:1], 0, s[34:35]
	v_or_b32_e32 v2, v7, v6
	;;#ASMSTART
	global_atomic_pk_add_f16 v[0:1], v2, off
	
	;;#ASMEND
.LBB130_37:                             ;   in Loop: Header=BB130_7 Depth=1
	s_or_b64 exec, exec, s[8:9]
	v_subrev_u32_e32 v58, s55, v58
.LBB130_38:                             ;   in Loop: Header=BB130_7 Depth=1
	s_or_b64 exec, exec, s[40:41]
.LBB130_39:                             ;   in Loop: Header=BB130_7 Depth=1
	s_andn2_saveexec_b64 s[6:7], s[38:39]
	s_cbranch_execz .LBB130_48
; %bb.40:                               ;   in Loop: Header=BB130_7 Depth=1
	s_mul_i32 s42, s55, 6
	v_cmp_gt_i32_e32 vcc, s42, v58
	s_and_saveexec_b64 s[8:9], vcc
	s_cbranch_execz .LBB130_47
; %bb.41:                               ;   in Loop: Header=BB130_7 Depth=1
	s_mov_b64 s[10:11], 0
	s_branch .LBB130_43
.LBB130_42:                             ;   in Loop: Header=BB130_43 Depth=2
	s_or_b64 exec, exec, s[38:39]
	v_add_u32_e32 v58, s18, v58
	v_add_u32_e32 v34, s18, v0
	v_cmp_le_i32_e32 vcc, s42, v58
	v_add_u32_e32 v0, 2, v48
	s_or_b64 s[10:11], vcc, s[10:11]
	v_cmp_lt_i32_e32 vcc, 5, v34
	v_add_u32_e32 v2, 1, v48
	;;#ASMSTART
	s_waitcnt vmcnt(3)
	;;#ASMEND
	;;#ASMSTART
	s_waitcnt vmcnt(2)
	;;#ASMEND
	;; [unrolled: 3-line block ×4, first 2 shown]
	s_nop 0
	v_cndmask_b32_e32 v48, v48, v0, vcc
	ds_write_b32 v1, v2 offset:4
	s_andn2_b64 exec, exec, s[10:11]
	s_cbranch_execz .LBB130_46
.LBB130_43:                             ;   Parent Loop BB130_7 Depth=1
                                        ; =>  This Loop Header: Depth=2
                                        ;       Child Loop BB130_45 Depth 3
	v_cmp_gt_i32_e32 vcc, 6, v34
	s_nop 1
	v_cndmask_b32_e64 v0, -6, 0, vcc
	v_add_u32_e32 v0, v0, v34
	v_lshlrev_b32_e32 v1, 2, v0
	s_waitcnt lgkmcnt(0)
	ds_read_b32 v2, v1 offset:53252
	v_add_u32_e32 v1, 0xd000, v1
	s_waitcnt lgkmcnt(0)
	v_cmp_ne_u32_e32 vcc, v2, v48
	s_and_saveexec_b64 s[38:39], vcc
	s_cbranch_execz .LBB130_42
; %bb.44:                               ;   in Loop: Header=BB130_43 Depth=2
	s_mov_b64 s[40:41], 0
.LBB130_45:                             ;   Parent Loop BB130_7 Depth=1
                                        ;     Parent Loop BB130_43 Depth=2
                                        ; =>    This Inner Loop Header: Depth=3
	;;#ASMSTART
	s_sleep 0
	;;#ASMEND
	ds_read_b32 v2, v1 offset:4
	s_waitcnt lgkmcnt(0)
	v_cmp_eq_u32_e32 vcc, v2, v48
	s_or_b64 s[40:41], vcc, s[40:41]
	s_andn2_b64 exec, exec, s[40:41]
	s_cbranch_execnz .LBB130_45
	s_branch .LBB130_42
.LBB130_46:                             ;   in Loop: Header=BB130_7 Depth=1
	s_or_b64 exec, exec, s[10:11]
.LBB130_47:                             ;   in Loop: Header=BB130_7 Depth=1
	s_or_b64 exec, exec, s[8:9]
	v_subrev_u32_e32 v58, s42, v58
.LBB130_48:                             ;   in Loop: Header=BB130_7 Depth=1
	s_or_b64 exec, exec, s[6:7]
.LBB130_49:                             ;   in Loop: Header=BB130_7 Depth=1
	s_andn2_saveexec_b64 s[6:7], s[36:37]
	s_cbranch_execz .LBB130_6
; %bb.50:                               ;   in Loop: Header=BB130_7 Depth=1
	v_cmp_gt_i32_e32 vcc, s55, v58
	s_and_saveexec_b64 s[8:9], vcc
	s_cbranch_execz .LBB130_5
; %bb.51:                               ;   in Loop: Header=BB130_7 Depth=1
	s_mul_i32 s56, s56, s14
	s_ashr_i32 s10, s56, 31
	s_waitcnt lgkmcnt(0)
	s_add_u32 s11, s24, s56
	s_mul_i32 s58, s58, s49
	s_addc_u32 s36, s25, s10
	s_ashr_i32 s37, s58, 31
	v_cmp_le_i32_e32 vcc, s57, v55
	s_add_u32 s10, s11, s58
	s_addc_u32 s11, s36, s37
	v_cndmask_b32_e32 v0, 0, v56, vcc
	v_ashrrev_i32_e32 v1, 31, v0
	v_lshl_add_u64 v[0:1], s[10:11], 0, v[0:1]
	v_lshlrev_b32_e32 v2, 9, v58
	v_lshl_add_u64 v[0:1], v[0:1], 0, v[30:31]
	v_ashrrev_i32_e32 v3, 31, v2
	v_lshl_add_u64 v[8:9], v[0:1], 0, v[2:3]
	s_mov_b64 s[10:11], 0
	s_branch .LBB130_53
.LBB130_52:                             ;   in Loop: Header=BB130_53 Depth=2
	s_or_b64 exec, exec, s[36:37]
	;;#ASMSTART
	s_waitcnt vmcnt(1)
	v_pack_b32_f16 v12, v4, v5, op_sel:[0,0]
	v_pack_b32_f16 v13, v4, v5, op_sel:[1,1]
	;; [unrolled: 1-line block ×4, first 2 shown]
	v_swap_b32 v12, v4
	v_swap_b32 v13, v6
	;; [unrolled: 1-line block ×4, first 2 shown]
	;;#ASMEND
	v_add_u32_e32 v58, s17, v58
	v_lshl_add_u32 v12, v10, 12, v54
	ds_write2_b32 v12, v4, v5 offset1:32
	ds_write2_b32 v12, v6, v7 offset0:64 offset1:96
	;;#ASMSTART
	s_waitcnt vmcnt(0)
	v_pack_b32_f16 v4, v0, v1, op_sel:[0,0]
	v_pack_b32_f16 v5, v0, v1, op_sel:[1,1]
	;; [unrolled: 1-line block ×4, first 2 shown]
	v_swap_b32 v4, v0
	v_swap_b32 v5, v2
	;; [unrolled: 1-line block ×4, first 2 shown]
	;;#ASMEND
	v_add_u32_e32 v34, s17, v10
	v_add_u32_e32 v4, 0x400, v12
	ds_write2_b32 v4, v0, v1 offset1:32
	ds_write2_b32 v4, v2, v3 offset0:64 offset1:96
	v_add_u32_e32 v0, 1, v48
	v_cmp_le_i32_e32 vcc, s55, v58
	ds_write_b32 v11, v0
	v_add_u32_e32 v0, 2, v48
	s_or_b64 s[10:11], vcc, s[10:11]
	v_cmp_lt_i32_e32 vcc, 0, v34
	v_lshl_add_u64 v[8:9], v[8:9], 0, s[26:27]
	s_nop 0
	v_cndmask_b32_e32 v48, v48, v0, vcc
	s_andn2_b64 exec, exec, s[10:11]
	s_cbranch_execz .LBB130_4
.LBB130_53:                             ;   Parent Loop BB130_7 Depth=1
                                        ; =>  This Loop Header: Depth=2
                                        ;       Child Loop BB130_55 Depth 3
	v_cmp_lt_i32_e32 vcc, 0, v34
	;;#ASMSTART
	global_load_dwordx4 v[4:7], v[8:9], off offset:0  
	global_load_dwordx4 v[0:3], v[8:9], off offset:128
	
	;;#ASMEND
	s_nop 1
	v_subbrev_co_u32_e32 v10, vcc, 0, v34, vcc
	v_lshlrev_b32_e32 v11, 2, v10
	ds_read_b32 v12, v11 offset:53248
	v_add_u32_e32 v11, 0xd000, v11
	s_waitcnt lgkmcnt(0)
	v_cmp_ne_u32_e32 vcc, v12, v48
	s_and_saveexec_b64 s[36:37], vcc
	s_cbranch_execz .LBB130_52
; %bb.54:                               ;   in Loop: Header=BB130_53 Depth=2
	s_mov_b64 s[38:39], 0
.LBB130_55:                             ;   Parent Loop BB130_7 Depth=1
                                        ;     Parent Loop BB130_53 Depth=2
                                        ; =>    This Inner Loop Header: Depth=3
	;;#ASMSTART
	s_sleep 0
	;;#ASMEND
	ds_read_b32 v12, v11
	s_waitcnt lgkmcnt(0)
	v_cmp_eq_u32_e32 vcc, v12, v48
	s_or_b64 s[38:39], vcc, s[38:39]
	s_andn2_b64 exec, exec, s[38:39]
	s_cbranch_execnz .LBB130_55
	s_branch .LBB130_52
.LBB130_56:
	s_endpgm
	.section	.rodata,"a",@progbits
	.p2align	6, 0x0
	.amdhsa_kernel _Z19_skinny_gemm_kernelILi1ELi6ELi1ELi8ELi8EEvPKhS1_P6__halfPKfiiiiiiii
		.amdhsa_group_segment_fixed_size 53276
		.amdhsa_private_segment_fixed_size 0
		.amdhsa_kernarg_size 64
		.amdhsa_user_sgpr_count 2
		.amdhsa_user_sgpr_dispatch_ptr 0
		.amdhsa_user_sgpr_queue_ptr 0
		.amdhsa_user_sgpr_kernarg_segment_ptr 1
		.amdhsa_user_sgpr_dispatch_id 0
		.amdhsa_user_sgpr_kernarg_preload_length 0
		.amdhsa_user_sgpr_kernarg_preload_offset 0
		.amdhsa_user_sgpr_private_segment_size 0
		.amdhsa_uses_dynamic_stack 0
		.amdhsa_enable_private_segment 0
		.amdhsa_system_sgpr_workgroup_id_x 1
		.amdhsa_system_sgpr_workgroup_id_y 0
		.amdhsa_system_sgpr_workgroup_id_z 0
		.amdhsa_system_sgpr_workgroup_info 0
		.amdhsa_system_vgpr_workitem_id 0
		.amdhsa_next_free_vgpr 72
		.amdhsa_next_free_sgpr 60
		.amdhsa_accum_offset 72
		.amdhsa_reserve_vcc 1
		.amdhsa_float_round_mode_32 0
		.amdhsa_float_round_mode_16_64 0
		.amdhsa_float_denorm_mode_32 3
		.amdhsa_float_denorm_mode_16_64 3
		.amdhsa_dx10_clamp 1
		.amdhsa_ieee_mode 1
		.amdhsa_fp16_overflow 0
		.amdhsa_tg_split 0
		.amdhsa_exception_fp_ieee_invalid_op 0
		.amdhsa_exception_fp_denorm_src 0
		.amdhsa_exception_fp_ieee_div_zero 0
		.amdhsa_exception_fp_ieee_overflow 0
		.amdhsa_exception_fp_ieee_underflow 0
		.amdhsa_exception_fp_ieee_inexact 0
		.amdhsa_exception_int_div_zero 0
	.end_amdhsa_kernel
	.section	.text._Z19_skinny_gemm_kernelILi1ELi6ELi1ELi8ELi8EEvPKhS1_P6__halfPKfiiiiiiii,"axG",@progbits,_Z19_skinny_gemm_kernelILi1ELi6ELi1ELi8ELi8EEvPKhS1_P6__halfPKfiiiiiiii,comdat
.Lfunc_end130:
	.size	_Z19_skinny_gemm_kernelILi1ELi6ELi1ELi8ELi8EEvPKhS1_P6__halfPKfiiiiiiii, .Lfunc_end130-_Z19_skinny_gemm_kernelILi1ELi6ELi1ELi8ELi8EEvPKhS1_P6__halfPKfiiiiiiii
                                        ; -- End function
	.set _Z19_skinny_gemm_kernelILi1ELi6ELi1ELi8ELi8EEvPKhS1_P6__halfPKfiiiiiiii.num_vgpr, 72
	.set _Z19_skinny_gemm_kernelILi1ELi6ELi1ELi8ELi8EEvPKhS1_P6__halfPKfiiiiiiii.num_agpr, 0
	.set _Z19_skinny_gemm_kernelILi1ELi6ELi1ELi8ELi8EEvPKhS1_P6__halfPKfiiiiiiii.numbered_sgpr, 60
	.set _Z19_skinny_gemm_kernelILi1ELi6ELi1ELi8ELi8EEvPKhS1_P6__halfPKfiiiiiiii.num_named_barrier, 0
	.set _Z19_skinny_gemm_kernelILi1ELi6ELi1ELi8ELi8EEvPKhS1_P6__halfPKfiiiiiiii.private_seg_size, 0
	.set _Z19_skinny_gemm_kernelILi1ELi6ELi1ELi8ELi8EEvPKhS1_P6__halfPKfiiiiiiii.uses_vcc, 1
	.set _Z19_skinny_gemm_kernelILi1ELi6ELi1ELi8ELi8EEvPKhS1_P6__halfPKfiiiiiiii.uses_flat_scratch, 0
	.set _Z19_skinny_gemm_kernelILi1ELi6ELi1ELi8ELi8EEvPKhS1_P6__halfPKfiiiiiiii.has_dyn_sized_stack, 0
	.set _Z19_skinny_gemm_kernelILi1ELi6ELi1ELi8ELi8EEvPKhS1_P6__halfPKfiiiiiiii.has_recursion, 0
	.set _Z19_skinny_gemm_kernelILi1ELi6ELi1ELi8ELi8EEvPKhS1_P6__halfPKfiiiiiiii.has_indirect_call, 0
	.section	.AMDGPU.csdata,"",@progbits
; Kernel info:
; codeLenInByte = 5544
; TotalNumSgprs: 66
; NumVgprs: 72
; NumAgprs: 0
; TotalNumVgprs: 72
; ScratchSize: 0
; MemoryBound: 0
; FloatMode: 240
; IeeeMode: 1
; LDSByteSize: 53276 bytes/workgroup (compile time only)
; SGPRBlocks: 8
; VGPRBlocks: 8
; NumSGPRsForWavesPerEU: 66
; NumVGPRsForWavesPerEU: 72
; AccumOffset: 72
; Occupancy: 7
; WaveLimiterHint : 0
; COMPUTE_PGM_RSRC2:SCRATCH_EN: 0
; COMPUTE_PGM_RSRC2:USER_SGPR: 2
; COMPUTE_PGM_RSRC2:TRAP_HANDLER: 0
; COMPUTE_PGM_RSRC2:TGID_X_EN: 1
; COMPUTE_PGM_RSRC2:TGID_Y_EN: 0
; COMPUTE_PGM_RSRC2:TGID_Z_EN: 0
; COMPUTE_PGM_RSRC2:TIDIG_COMP_CNT: 0
; COMPUTE_PGM_RSRC3_GFX90A:ACCUM_OFFSET: 17
; COMPUTE_PGM_RSRC3_GFX90A:TG_SPLIT: 0
	.section	.text._Z19_skinny_gemm_kernelILi1ELi6ELi1ELi16ELi4EEvPKhS1_P6__halfPKfiiiiiiii,"axG",@progbits,_Z19_skinny_gemm_kernelILi1ELi6ELi1ELi16ELi4EEvPKhS1_P6__halfPKfiiiiiiii,comdat
	.protected	_Z19_skinny_gemm_kernelILi1ELi6ELi1ELi16ELi4EEvPKhS1_P6__halfPKfiiiiiiii ; -- Begin function _Z19_skinny_gemm_kernelILi1ELi6ELi1ELi16ELi4EEvPKhS1_P6__halfPKfiiiiiiii
	.globl	_Z19_skinny_gemm_kernelILi1ELi6ELi1ELi16ELi4EEvPKhS1_P6__halfPKfiiiiiiii
	.p2align	8
	.type	_Z19_skinny_gemm_kernelILi1ELi6ELi1ELi16ELi4EEvPKhS1_P6__halfPKfiiiiiiii,@function
_Z19_skinny_gemm_kernelILi1ELi6ELi1ELi16ELi4EEvPKhS1_P6__halfPKfiiiiiiii: ; @_Z19_skinny_gemm_kernelILi1ELi6ELi1ELi16ELi4EEvPKhS1_P6__halfPKfiiiiiiii
; %bb.0:
	v_cmp_gt_u32_e32 vcc, 7, v0
	v_lshlrev_b32_e32 v1, 2, v0
	s_and_saveexec_b64 s[4:5], vcc
; %bb.1:
	v_mov_b32_e32 v2, 0
	ds_write_b32 v1, v2 offset:14336
; %bb.2:
	s_or_b64 exec, exec, s[4:5]
	s_load_dwordx8 s[20:27], s[0:1], 0x20
	s_mov_b32 s56, 0x2aaaaaab
	s_waitcnt lgkmcnt(0)
	s_barrier
	s_add_i32 s3, s20, 15
	s_ashr_i32 s5, s3, 31
	s_lshr_b32 s5, s5, 28
	s_add_i32 s4, s21, 0x5f
	s_add_i32 s3, s3, s5
	s_ashr_i32 s33, s3, 4
	s_mul_hi_i32 s3, s4, 0x2aaaaaab
	s_lshr_b32 s4, s3, 31
	s_ashr_i32 s54, s3, 4
	s_add_i32 s54, s54, s4
	s_mul_i32 s3, s54, s33
	s_mul_i32 s3, s3, s24
	s_add_i32 s4, s3, 0x12f
	s_mul_hi_i32 s4, s4, 0x6bca1af3
	s_lshr_b32 s5, s4, 31
	s_ashr_i32 s4, s4, 7
	s_add_i32 s4, s4, s5
	s_add_i32 s5, s2, 1
	s_mul_i32 s5, s4, s5
	v_cvt_f64_i32_e32 v[2:3], s3
	v_cvt_f64_u32_e32 v[4:5], s5
	v_min_f64 v[2:3], v[2:3], v[4:5]
	v_cvt_i32_f64_e32 v25, v[2:3]
	s_mul_i32 s55, s4, s2
	v_cmp_ge_i32_e32 vcc, s55, v25
	s_cbranch_vccnz .LBB131_57
; %bb.3:
	v_lshrrev_b32_e32 v2, 6, v0
	s_add_i32 s4, s26, s25
	s_load_dwordx8 s[36:43], s[0:1], 0x0
	v_cmp_le_i32_e64 s[0:1], s4, v2
	v_mov_b32_e32 v3, s25
	v_cmp_le_i32_e64 s[2:3], s25, v2
	v_mov_b32_e32 v4, s26
	v_cndmask_b32_e64 v4, 0, v4, s[0:1]
	v_cndmask_b32_e64 v3, 0, v3, s[2:3]
	s_abs_i32 s5, s24
	v_add_u32_e32 v3, v3, v4
	v_cvt_f32_u32_e32 v4, s5
	v_sub_u32_e32 v32, v2, v3
	s_ashr_i32 s6, s22, 31
	s_lshr_b32 s6, s6, 25
	v_rcp_iflag_f32_e32 v3, v4
	s_sub_i32 s9, 0, s5
	s_add_i32 s6, s22, s6
	s_ashr_i32 s6, s6, 7
	v_mul_f32_e32 v3, 0x4f7ffffe, v3
	v_cvt_u32_f32_e32 v3, v3
	s_abs_i32 s8, s6
	s_xor_b32 s7, s6, s24
	s_ashr_i32 s7, s7, 31
	v_readfirstlane_b32 s10, v3
	s_mul_i32 s9, s9, s10
	s_mul_hi_u32 s9, s10, s9
	s_add_i32 s10, s10, s9
	s_mul_hi_u32 s9, s8, s10
	s_mul_i32 s10, s9, s5
	s_sub_i32 s8, s8, s10
	s_add_i32 s10, s9, 1
	s_sub_i32 s11, s8, s5
	s_cmp_ge_u32 s8, s5
	s_cselect_b32 s9, s10, s9
	s_cselect_b32 s8, s11, s8
	s_add_i32 s10, s9, 1
	s_cmp_ge_u32 s8, s5
	s_cselect_b32 s5, s10, s9
	s_xor_b32 s5, s5, s7
	s_sub_i32 s57, s5, s7
	s_add_i32 s24, s24, -1
	s_mul_i32 s5, s57, s24
	s_add_i32 s4, s4, s27
	s_sub_i32 s58, s6, s5
	v_cmp_gt_i32_e64 s[4:5], s4, v2
	v_lshlrev_b32_e32 v2, 1, v0
	v_lshlrev_b32_e32 v3, 4, v0
	v_and_b32_e32 v1, 60, v1
	v_and_b32_e32 v2, 64, v2
	;; [unrolled: 1-line block ×3, first 2 shown]
	s_abs_i32 s60, s33
	v_or3_b32 v47, v1, v2, v4
	v_and_b32_e32 v1, 1, v0
	v_cvt_f32_u32_e32 v6, s60
	v_lshlrev_b32_e32 v2, 1, v1
	v_lshrrev_b32_e32 v4, 2, v0
	v_and_b32_e32 v24, 14, v0
	v_sub_u32_e32 v2, v0, v2
	v_and_or_b32 v49, v4, 12, v1
	v_bitop3_b32 v50, v0, 1, v0 bitop3:0xc
	v_bitop3_b32 v51, v0, 3, 1 bitop3:0x6c
	v_and_b32_e32 v28, 48, v3
	v_bfe_u32 v1, v0, 2, 4
	v_and_b32_e32 v3, 60, v0
	v_lshlrev_b32_e32 v5, 8, v0
	v_lshlrev_b32_e32 v0, 6, v0
	v_and_b32_e32 v5, 0x200, v5
	v_and_b32_e32 v0, 64, v0
	v_or3_b32 v57, v3, v5, v0
	v_rcp_iflag_f32_e32 v0, v6
	s_abs_i32 s62, s54
	v_mul_lo_u32 v30, s23, v1
	v_mul_lo_u32 v59, s22, v1
	v_cvt_f32_u32_e32 v1, s62
	v_mul_f32_e32 v0, 0x4f7ffffe, v0
	v_cvt_u32_f32_e32 v0, v0
	v_mad_u64_u32 v[26:27], s[6:7], s21, v49, v[24:25]
	v_rcp_iflag_f32_e32 v1, v1
	v_readfirstlane_b32 s7, v0
	s_sub_i32 s6, 0, s60
	s_mul_i32 s6, s6, s7
	v_mul_f32_e32 v0, 0x4f7ffffe, v1
	v_cvt_u32_f32_e32 v0, v0
	s_mul_hi_u32 s6, s7, s6
	v_add_u32_e32 v2, 1, v2
	s_add_i32 s64, s7, s6
	s_sub_i32 s6, 0, s62
	v_readfirstlane_b32 s7, v0
	v_mbcnt_lo_u32_b32 v0, -1, 0
	v_and_b32_e32 v2, 63, v2
	s_mul_i32 s6, s6, s7
	v_mbcnt_hi_u32_b32 v0, -1, v0
	s_mul_hi_u32 s6, s7, s6
	v_and_or_b32 v0, v0, 64, v2
	v_cndmask_b32_e64 v46, 0, 1, s[0:1]
	s_movk_i32 s59, 0x3000
	v_or_b32_e32 v48, 0x3000, v47
	v_or_b32_e32 v52, 16, v24
	;; [unrolled: 1-line block ×6, first 2 shown]
	v_ashrrev_i32_e32 v27, 31, v26
	s_ashr_i32 s29, s21, 31
	s_mov_b32 s28, s21
	v_ashrrev_i32_e32 v31, 31, v30
	v_mov_b32_e32 v29, 0
	s_lshl_b32 s61, s23, 4
	v_bitop3_b32 v58, v4, 15, v4 bitop3:0xc
	v_or_b32_e32 v60, 0x3000, v57
	s_ashr_i32 s63, s33, 31
	s_ashr_i32 s65, s54, 31
	s_add_i32 s66, s7, s6
	s_mov_b64 s[30:31], 0x60
	s_mov_b64 s[34:35], 0x80
	;; [unrolled: 1-line block ×3, first 2 shown]
	v_lshlrev_b32_e32 v61, 2, v0
	v_mov_b32_e32 v62, v32
	s_branch .LBB131_7
.LBB131_4:                              ;   in Loop: Header=BB131_7 Depth=1
	s_or_b64 exec, exec, s[10:11]
.LBB131_5:                              ;   in Loop: Header=BB131_7 Depth=1
	s_or_b64 exec, exec, s[8:9]
	v_subrev_u32_e32 v62, s67, v62
.LBB131_6:                              ;   in Loop: Header=BB131_7 Depth=1
	s_or_b64 exec, exec, s[6:7]
	s_add_i32 s55, s55, 1
	v_cmp_ge_i32_e32 vcc, s55, v25
	s_cbranch_vccnz .LBB131_57
.LBB131_7:                              ; =>This Loop Header: Depth=1
                                        ;     Child Loop BB131_13 Depth 2
                                        ;       Child Loop BB131_15 Depth 3
                                        ;       Child Loop BB131_18 Depth 3
	;; [unrolled: 1-line block ×7, first 2 shown]
                                        ;     Child Loop BB131_44 Depth 2
                                        ;       Child Loop BB131_46 Depth 3
                                        ;     Child Loop BB131_54 Depth 2
                                        ;       Child Loop BB131_56 Depth 3
	s_abs_i32 s7, s55
	s_mul_hi_u32 s8, s7, s64
	s_mul_i32 s9, s8, s60
	s_ashr_i32 s6, s55, 31
	s_sub_i32 s7, s7, s9
	s_xor_b32 s6, s6, s63
	s_add_i32 s9, s8, 1
	s_sub_i32 s10, s7, s60
	s_cmp_ge_u32 s7, s60
	s_cselect_b32 s8, s9, s8
	s_cselect_b32 s7, s10, s7
	s_add_i32 s9, s8, 1
	s_cmp_ge_u32 s7, s60
	s_cselect_b32 s7, s9, s8
	s_xor_b32 s7, s7, s6
	s_sub_i32 s6, s7, s6
	s_abs_i32 s8, s6
	s_mul_i32 s7, s6, s33
	s_mul_hi_u32 s9, s8, s66
	s_sub_i32 s7, s55, s7
	s_mul_i32 s10, s9, s62
	s_lshl_b32 s68, s7, 4
	s_ashr_i32 s7, s6, 31
	s_sub_i32 s8, s8, s10
	s_xor_b32 s7, s7, s65
	s_add_i32 s10, s9, 1
	s_sub_i32 s11, s8, s62
	s_cmp_ge_u32 s8, s62
	s_cselect_b32 s9, s10, s9
	s_cselect_b32 s8, s11, s8
	s_add_i32 s10, s9, 1
	s_cmp_ge_u32 s8, s62
	s_cselect_b32 s8, s10, s9
	s_xor_b32 s8, s8, s7
	s_sub_i32 s7, s8, s7
	s_mul_i32 s8, s7, s57
	s_lshl_b32 s69, s8, 7
	s_cmp_eq_u32 s7, s24
	s_cselect_b32 s67, s58, s57
	s_sub_i32 s70, s68, s20
	s_add_i32 s70, s70, 16
	s_and_saveexec_b64 s[8:9], s[2:3]
	s_xor_b64 s[46:47], exec, s[8:9]
	s_cbranch_execz .LBB131_50
; %bb.8:                                ;   in Loop: Header=BB131_7 Depth=1
	s_mul_i32 s7, s7, s54
	s_sub_i32 s6, s6, s7
	s_mulk_i32 s6, 0x60
	s_sub_i32 s49, s6, s21
	s_addk_i32 s49, 0x60
	s_max_i32 s7, s49, 0
	s_sub_i32 s48, s6, s7
	s_and_saveexec_b64 s[6:7], s[0:1]
	s_xor_b64 s[50:51], exec, s[6:7]
	s_cbranch_execz .LBB131_40
; %bb.9:                                ;   in Loop: Header=BB131_7 Depth=1
	s_and_saveexec_b64 s[52:53], s[4:5]
	s_cbranch_execz .LBB131_39
; %bb.10:                               ;   in Loop: Header=BB131_7 Depth=1
	s_waitcnt lgkmcnt(0)
	global_load_dword v63, v29, s[42:43]
	v_mov_b32_e32 v23, 0
	v_cmp_gt_i32_e32 vcc, s67, v62
	v_mov_b32_e32 v22, v23
	v_mov_b32_e32 v21, v23
	;; [unrolled: 1-line block ×23, first 2 shown]
	s_and_saveexec_b64 s[6:7], vcc
	s_cbranch_execz .LBB131_35
; %bb.11:                               ;   in Loop: Header=BB131_7 Depth=1
	v_mov_b32_e32 v0, 0
	s_mov_b64 s[8:9], 0
	v_mov_b32_e32 v1, v0
	v_mov_b32_e32 v2, v0
	;; [unrolled: 1-line block ×23, first 2 shown]
	s_branch .LBB131_13
.LBB131_12:                             ;   in Loop: Header=BB131_13 Depth=2
	s_or_b64 exec, exec, s[10:11]
	v_add_u32_e32 v41, 0x2800, v40
	ds_read2_b32 v[42:43], v41 offset1:32
	v_add_u32_e32 v62, s27, v62
	v_cmp_le_i32_e32 vcc, s67, v62
	s_or_b64 s[8:9], vcc, s[8:9]
	s_waitcnt lgkmcnt(0)
	v_mfma_f32_16x16x32_fp8_fp8 v[0:3], v[34:35], v[42:43], v[0:3]
	ds_read2_b32 v[34:35], v41 offset0:128 offset1:160
	v_add_u32_e32 v42, 0x2c00, v40
	ds_read2_b32 v[40:41], v42 offset1:32
	s_waitcnt lgkmcnt(1)
	v_mfma_f32_16x16x32_fp8_fp8 v[0:3], v[32:33], v[34:35], v[0:3]
	ds_read2_b32 v[34:35], v42 offset0:128 offset1:160
	v_add_u32_e32 v32, s27, v65
	v_add_u32_e32 v33, 2, v46
	s_waitcnt lgkmcnt(1)
	v_mfma_f32_16x16x32_fp8_fp8 v[0:3], v[38:39], v[40:41], v[0:3]
	v_cmp_lt_i32_e32 vcc, 0, v32
	;;#ASMSTART
	s_waitcnt lgkmcnt(0)
	;;#ASMEND
	ds_write_b32 v64, v66 offset:14360
	s_waitcnt lgkmcnt(1)
	v_mfma_f32_16x16x32_fp8_fp8 v[0:3], v[36:37], v[34:35], v[0:3]
	v_cndmask_b32_e32 v46, v46, v33, vcc
	s_andn2_b64 exec, exec, s[8:9]
	s_cbranch_execz .LBB131_34
.LBB131_13:                             ;   Parent Loop BB131_7 Depth=1
                                        ; =>  This Loop Header: Depth=2
                                        ;       Child Loop BB131_15 Depth 3
                                        ;       Child Loop BB131_18 Depth 3
	;; [unrolled: 1-line block ×7, first 2 shown]
	v_cmp_lt_i32_e32 vcc, 0, v32
	s_nop 1
	v_subbrev_co_u32_e32 v65, vcc, 0, v32, vcc
	v_mul_lo_u32 v64, v65, 24
	ds_read_b32 v32, v64 offset:14340
	s_waitcnt lgkmcnt(0)
	v_cmp_ne_u32_e32 vcc, v32, v46
	s_and_saveexec_b64 s[10:11], vcc
	s_cbranch_execz .LBB131_16
; %bb.14:                               ;   in Loop: Header=BB131_13 Depth=2
	s_mov_b64 s[12:13], 0
.LBB131_15:                             ;   Parent Loop BB131_7 Depth=1
                                        ;     Parent Loop BB131_13 Depth=2
                                        ; =>    This Inner Loop Header: Depth=3
	;;#ASMSTART
	s_sleep 0
	;;#ASMEND
	ds_read_b32 v32, v64 offset:14340
	s_waitcnt lgkmcnt(0)
	v_cmp_eq_u32_e32 vcc, v32, v46
	s_or_b64 s[12:13], vcc, s[12:13]
	s_andn2_b64 exec, exec, s[12:13]
	s_cbranch_execnz .LBB131_15
.LBB131_16:                             ;   in Loop: Header=BB131_13 Depth=2
	s_or_b64 exec, exec, s[10:11]
	v_mul_lo_u32 v67, v65, s59
	v_or_b32_e32 v32, v47, v67
	ds_read2_b32 v[36:37], v32 offset1:32
	ds_read2_b32 v[40:41], v32 offset0:128 offset1:160
	v_add_u32_e32 v32, 0x400, v32
	v_add_u32_e32 v66, 1, v46
	ds_read2_b32 v[44:45], v32 offset1:32
	ds_read2_b32 v[42:43], v32 offset0:128 offset1:160
	;;#ASMSTART
	s_waitcnt lgkmcnt(0)
	;;#ASMEND
	ds_write_b32 v64, v66 offset:14340
	v_lshlrev_b32_e32 v32, 2, v65
	ds_read_b32 v33, v32 offset:14336
	v_add_u32_e32 v68, 0x3800, v32
	s_waitcnt lgkmcnt(0)
	v_cmp_ne_u32_e32 vcc, v33, v46
	s_and_saveexec_b64 s[10:11], vcc
	s_cbranch_execz .LBB131_19
; %bb.17:                               ;   in Loop: Header=BB131_13 Depth=2
	s_mov_b64 s[12:13], 0
.LBB131_18:                             ;   Parent Loop BB131_7 Depth=1
                                        ;     Parent Loop BB131_13 Depth=2
                                        ; =>    This Inner Loop Header: Depth=3
	;;#ASMSTART
	s_sleep 0
	;;#ASMEND
	ds_read_b32 v32, v68
	s_waitcnt lgkmcnt(0)
	v_cmp_eq_u32_e32 vcc, v32, v46
	s_or_b64 s[12:13], vcc, s[12:13]
	s_andn2_b64 exec, exec, s[12:13]
	s_cbranch_execnz .LBB131_18
.LBB131_19:                             ;   in Loop: Header=BB131_13 Depth=2
	s_or_b64 exec, exec, s[10:11]
	v_lshl_add_u32 v38, v65, 11, v48
	ds_read2_b32 v[34:35], v38 offset1:32
	ds_read2_b32 v[32:33], v38 offset0:128 offset1:160
	v_add_u32_e32 v69, 0x400, v38
	ds_read2_b32 v[38:39], v69 offset1:32
	ds_write_b32 v68, v66
	s_waitcnt lgkmcnt(3)
	v_mfma_f32_16x16x32_fp8_fp8 v[20:23], v[34:35], v[36:37], v[20:23]
	ds_read2_b32 v[36:37], v69 offset0:128 offset1:160
	s_waitcnt lgkmcnt(3)
	v_mfma_f32_16x16x32_fp8_fp8 v[20:23], v[32:33], v[40:41], v[20:23]
	ds_read_b32 v40, v64 offset:14344
	s_waitcnt lgkmcnt(0)
	v_cmp_ne_u32_e32 vcc, v40, v46
	v_mfma_f32_16x16x32_fp8_fp8 v[20:23], v[38:39], v[44:45], v[20:23]
	v_mfma_f32_16x16x32_fp8_fp8 v[20:23], v[36:37], v[42:43], v[20:23]
	s_and_saveexec_b64 s[10:11], vcc
	s_cbranch_execz .LBB131_22
; %bb.20:                               ;   in Loop: Header=BB131_13 Depth=2
	s_mov_b64 s[12:13], 0
.LBB131_21:                             ;   Parent Loop BB131_7 Depth=1
                                        ;     Parent Loop BB131_13 Depth=2
                                        ; =>    This Inner Loop Header: Depth=3
	;;#ASMSTART
	s_sleep 0
	;;#ASMEND
	ds_read_b32 v40, v64 offset:14344
	s_waitcnt lgkmcnt(0)
	v_cmp_eq_u32_e32 vcc, v40, v46
	s_or_b64 s[12:13], vcc, s[12:13]
	s_andn2_b64 exec, exec, s[12:13]
	s_cbranch_execnz .LBB131_21
.LBB131_22:                             ;   in Loop: Header=BB131_13 Depth=2
	s_or_b64 exec, exec, s[10:11]
	v_add_u32_e32 v40, v47, v67
	v_add_u32_e32 v41, 0x800, v40
	ds_read2_b32 v[42:43], v41 offset1:32
	s_waitcnt lgkmcnt(0)
	v_mfma_f32_16x16x32_fp8_fp8 v[16:19], v[34:35], v[42:43], v[16:19]
	ds_read2_b32 v[42:43], v41 offset0:128 offset1:160
	v_add_u32_e32 v41, 0xc00, v40
	s_waitcnt lgkmcnt(0)
	v_mfma_f32_16x16x32_fp8_fp8 v[16:19], v[32:33], v[42:43], v[16:19]
	ds_read2_b32 v[42:43], v41 offset1:32
	ds_read2_b32 v[44:45], v41 offset0:128 offset1:160
	;;#ASMSTART
	s_waitcnt lgkmcnt(0)
	;;#ASMEND
	ds_read_b32 v41, v64 offset:14348
	s_waitcnt lgkmcnt(2)
	v_mfma_f32_16x16x32_fp8_fp8 v[16:19], v[38:39], v[42:43], v[16:19]
	ds_write_b32 v64, v66 offset:14344
	s_waitcnt lgkmcnt(1)
	v_cmp_ne_u32_e32 vcc, v41, v46
	v_mfma_f32_16x16x32_fp8_fp8 v[16:19], v[36:37], v[44:45], v[16:19]
	s_and_saveexec_b64 s[10:11], vcc
	s_cbranch_execz .LBB131_25
; %bb.23:                               ;   in Loop: Header=BB131_13 Depth=2
	s_mov_b64 s[12:13], 0
.LBB131_24:                             ;   Parent Loop BB131_7 Depth=1
                                        ;     Parent Loop BB131_13 Depth=2
                                        ; =>    This Inner Loop Header: Depth=3
	;;#ASMSTART
	s_sleep 0
	;;#ASMEND
	ds_read_b32 v41, v64 offset:14348
	s_waitcnt lgkmcnt(0)
	v_cmp_eq_u32_e32 vcc, v41, v46
	s_or_b64 s[12:13], vcc, s[12:13]
	s_andn2_b64 exec, exec, s[12:13]
	s_cbranch_execnz .LBB131_24
.LBB131_25:                             ;   in Loop: Header=BB131_13 Depth=2
	s_or_b64 exec, exec, s[10:11]
	v_add_u32_e32 v41, 0x1000, v40
	ds_read2_b32 v[42:43], v41 offset1:32
	s_waitcnt lgkmcnt(0)
	v_mfma_f32_16x16x32_fp8_fp8 v[12:15], v[34:35], v[42:43], v[12:15]
	ds_read2_b32 v[42:43], v41 offset0:128 offset1:160
	v_add_u32_e32 v41, 0x1400, v40
	s_waitcnt lgkmcnt(0)
	v_mfma_f32_16x16x32_fp8_fp8 v[12:15], v[32:33], v[42:43], v[12:15]
	ds_read2_b32 v[42:43], v41 offset1:32
	ds_read2_b32 v[44:45], v41 offset0:128 offset1:160
	;;#ASMSTART
	s_waitcnt lgkmcnt(0)
	;;#ASMEND
	ds_read_b32 v41, v64 offset:14352
	s_waitcnt lgkmcnt(2)
	v_mfma_f32_16x16x32_fp8_fp8 v[12:15], v[38:39], v[42:43], v[12:15]
	ds_write_b32 v64, v66 offset:14348
	s_waitcnt lgkmcnt(1)
	v_cmp_ne_u32_e32 vcc, v41, v46
	v_mfma_f32_16x16x32_fp8_fp8 v[12:15], v[36:37], v[44:45], v[12:15]
	s_and_saveexec_b64 s[10:11], vcc
	s_cbranch_execz .LBB131_28
; %bb.26:                               ;   in Loop: Header=BB131_13 Depth=2
	s_mov_b64 s[12:13], 0
.LBB131_27:                             ;   Parent Loop BB131_7 Depth=1
                                        ;     Parent Loop BB131_13 Depth=2
                                        ; =>    This Inner Loop Header: Depth=3
	;;#ASMSTART
	s_sleep 0
	;;#ASMEND
	ds_read_b32 v41, v64 offset:14352
	s_waitcnt lgkmcnt(0)
	v_cmp_eq_u32_e32 vcc, v41, v46
	s_or_b64 s[12:13], vcc, s[12:13]
	s_andn2_b64 exec, exec, s[12:13]
	s_cbranch_execnz .LBB131_27
.LBB131_28:                             ;   in Loop: Header=BB131_13 Depth=2
	s_or_b64 exec, exec, s[10:11]
	;; [unrolled: 38-line block ×3, first 2 shown]
	v_add_u32_e32 v41, 0x2000, v40
	ds_read2_b32 v[42:43], v41 offset1:32
	s_waitcnt lgkmcnt(0)
	v_mfma_f32_16x16x32_fp8_fp8 v[4:7], v[34:35], v[42:43], v[4:7]
	ds_read2_b32 v[42:43], v41 offset0:128 offset1:160
	v_add_u32_e32 v41, 0x2400, v40
	s_waitcnt lgkmcnt(0)
	v_mfma_f32_16x16x32_fp8_fp8 v[4:7], v[32:33], v[42:43], v[4:7]
	ds_read2_b32 v[42:43], v41 offset1:32
	ds_read2_b32 v[44:45], v41 offset0:128 offset1:160
	;;#ASMSTART
	s_waitcnt lgkmcnt(0)
	;;#ASMEND
	ds_read_b32 v41, v64 offset:14360
	s_waitcnt lgkmcnt(2)
	v_mfma_f32_16x16x32_fp8_fp8 v[4:7], v[38:39], v[42:43], v[4:7]
	ds_write_b32 v64, v66 offset:14356
	s_waitcnt lgkmcnt(1)
	v_cmp_ne_u32_e32 vcc, v41, v46
	v_mfma_f32_16x16x32_fp8_fp8 v[4:7], v[36:37], v[44:45], v[4:7]
	s_and_saveexec_b64 s[10:11], vcc
	s_cbranch_execz .LBB131_12
; %bb.32:                               ;   in Loop: Header=BB131_13 Depth=2
	s_mov_b64 s[12:13], 0
.LBB131_33:                             ;   Parent Loop BB131_7 Depth=1
                                        ;     Parent Loop BB131_13 Depth=2
                                        ; =>    This Inner Loop Header: Depth=3
	;;#ASMSTART
	s_sleep 0
	;;#ASMEND
	ds_read_b32 v41, v64 offset:14360
	s_waitcnt lgkmcnt(0)
	v_cmp_eq_u32_e32 vcc, v41, v46
	s_or_b64 s[12:13], vcc, s[12:13]
	s_andn2_b64 exec, exec, s[12:13]
	s_cbranch_execnz .LBB131_33
	s_branch .LBB131_12
.LBB131_34:                             ;   in Loop: Header=BB131_7 Depth=1
	s_or_b64 exec, exec, s[8:9]
.LBB131_35:                             ;   in Loop: Header=BB131_7 Depth=1
	s_or_b64 exec, exec, s[6:7]
	v_cmp_le_i32_e32 vcc, s49, v24
	v_cmp_eq_u32_e64 s[12:13], 1, v50
	v_cmp_eq_u32_e64 s[6:7], 3, v50
	s_waitcnt vmcnt(0)
	v_cndmask_b32_e32 v34, 0, v63, vcc
	v_pk_mul_f32 v[22:23], v[34:35], v[22:23] op_sel_hi:[0,1]
	v_pk_mul_f32 v[34:35], v[34:35], v[20:21] op_sel_hi:[0,1]
	v_cndmask_b32_e64 v20, v34, v35, s[12:13]
	v_cmp_eq_u32_e32 vcc, 2, v50
	v_cmp_eq_u32_e64 s[8:9], 0, v50
	v_cmp_le_i32_e64 s[14:15], s49, v52
	v_cndmask_b32_e32 v20, v20, v22, vcc
	v_cndmask_b32_e64 v20, v20, v23, s[6:7]
	ds_bpermute_b32 v33, v61, v20
	v_cmp_eq_u32_e64 s[10:11], 1, v51
	v_cmp_le_i32_e64 s[18:19], s49, v53
	v_cmp_eq_u32_e64 s[16:17], 3, v51
	s_waitcnt lgkmcnt(0)
	v_cndmask_b32_e64 v20, v23, v33, s[6:7]
	v_cndmask_b32_e64 v23, v34, v33, s[8:9]
	;; [unrolled: 1-line block ×3, first 2 shown]
	v_cndmask_b32_e32 v21, v22, v33, vcc
	v_cndmask_b32_e64 v22, v35, v33, s[12:13]
	v_pk_mul_f32 v[18:19], v[34:35], v[18:19] op_sel_hi:[0,1]
	v_pk_mul_f32 v[34:35], v[34:35], v[16:17] op_sel_hi:[0,1]
	v_cndmask_b32_e64 v16, v34, v35, s[12:13]
	v_cndmask_b32_e32 v16, v16, v18, vcc
	v_cndmask_b32_e64 v16, v16, v19, s[6:7]
	ds_bpermute_b32 v36, v61, v16
	v_cndmask_b32_e64 v33, v23, v22, s[10:11]
	v_cmp_eq_u32_e64 s[14:15], 2, v51
	s_waitcnt lgkmcnt(0)
	v_cndmask_b32_e64 v17, v19, v36, s[6:7]
	v_cndmask_b32_e64 v16, v33, v21, s[14:15]
	;; [unrolled: 1-line block ×5, first 2 shown]
	v_pk_mul_f32 v[14:15], v[34:35], v[14:15] op_sel_hi:[0,1]
	v_pk_mul_f32 v[34:35], v[34:35], v[12:13] op_sel_hi:[0,1]
	v_cndmask_b32_e64 v12, v34, v35, s[12:13]
	v_cndmask_b32_e32 v12, v12, v14, vcc
	v_cndmask_b32_e64 v12, v12, v15, s[6:7]
	v_cndmask_b32_e32 v18, v18, v36, vcc
	ds_bpermute_b32 v36, v61, v12
	v_cmp_le_i32_e64 s[18:19], s49, v54
	v_cndmask_b32_e64 v12, v33, v19, s[10:11]
	v_cndmask_b32_e64 v12, v12, v18, s[14:15]
	v_cndmask_b32_e64 v16, v16, v20, s[16:17]
	s_waitcnt lgkmcnt(0)
	v_cndmask_b32_e64 v13, v15, v36, s[6:7]
	v_cndmask_b32_e32 v14, v14, v36, vcc
	v_cndmask_b32_e64 v15, v35, v36, s[12:13]
	v_cndmask_b32_e64 v34, v34, v36, s[8:9]
	;; [unrolled: 1-line block ×3, first 2 shown]
	v_pk_mul_f32 v[38:39], v[36:37], v[8:9] op_sel_hi:[0,1]
	v_pk_mul_f32 v[10:11], v[36:37], v[10:11] op_sel_hi:[0,1]
	v_cndmask_b32_e64 v8, v38, v39, s[12:13]
	v_cndmask_b32_e32 v8, v8, v10, vcc
	v_cndmask_b32_e64 v8, v8, v11, s[6:7]
	ds_bpermute_b32 v35, v61, v8
	v_cmp_le_i32_e64 s[18:19], s49, v55
	v_cndmask_b32_e64 v8, v34, v15, s[10:11]
	v_cndmask_b32_e64 v8, v8, v14, s[14:15]
	;; [unrolled: 1-line block ×3, first 2 shown]
	s_waitcnt lgkmcnt(0)
	v_cndmask_b32_e64 v37, v38, v35, s[8:9]
	v_cndmask_b32_e64 v38, 0, v63, s[18:19]
	v_pk_mul_f32 v[40:41], v[38:39], v[4:5] op_sel_hi:[0,1]
	v_pk_mul_f32 v[6:7], v[38:39], v[6:7] op_sel_hi:[0,1]
	v_cndmask_b32_e64 v4, v40, v41, s[12:13]
	v_cndmask_b32_e32 v4, v4, v6, vcc
	v_cndmask_b32_e64 v4, v4, v7, s[6:7]
	v_cndmask_b32_e64 v9, v11, v35, s[6:7]
	ds_bpermute_b32 v11, v61, v4
	v_cmp_le_i32_e64 s[18:19], s49, v56
	v_cndmask_b32_e64 v36, v39, v35, s[12:13]
	v_cndmask_b32_e32 v10, v10, v35, vcc
	v_cndmask_b32_e64 v4, v37, v36, s[10:11]
	s_waitcnt lgkmcnt(0)
	v_cndmask_b32_e64 v39, v40, v11, s[8:9]
	v_cndmask_b32_e64 v40, 0, v63, s[18:19]
	;; [unrolled: 1-line block ×3, first 2 shown]
	v_pk_mul_f32 v[42:43], v[40:41], v[2:3] op_sel_hi:[0,1]
	v_pk_mul_f32 v[40:41], v[40:41], v[0:1] op_sel_hi:[0,1]
	v_cndmask_b32_e64 v0, v40, v41, s[12:13]
	v_cndmask_b32_e32 v0, v0, v42, vcc
	v_cndmask_b32_e64 v0, v0, v43, s[6:7]
	ds_bpermute_b32 v1, v61, v0
	v_cndmask_b32_e32 v6, v6, v11, vcc
	v_cndmask_b32_e64 v0, v39, v38, s[10:11]
	v_cndmask_b32_e64 v5, v7, v11, s[6:7]
	;; [unrolled: 1-line block ×4, first 2 shown]
	s_waitcnt lgkmcnt(0)
	v_cndmask_b32_e32 v7, v42, v1, vcc
	v_cmp_ne_u32_e32 vcc, 0, v50
	ds_bpermute_b32 v2, v61, v0
	v_cndmask_b32_e64 v3, v43, v1, s[6:7]
	v_cndmask_b32_e32 v0, v41, v1, vcc
	v_cndmask_b32_e64 v1, v40, v1, s[8:9]
	v_cndmask_b32_e64 v11, v1, v0, s[10:11]
	v_cndmask_b32_e64 v4, v4, v10, s[14:15]
	v_cndmask_b32_e64 v11, v11, v7, s[14:15]
	v_cndmask_b32_e64 v8, v8, v13, s[16:17]
	v_cndmask_b32_e64 v4, v4, v9, s[16:17]
	v_cndmask_b32_e64 v11, v11, v3, s[16:17]
	ds_bpermute_b32 v16, v61, v16
	ds_bpermute_b32 v12, v61, v12
	;; [unrolled: 1-line block ×5, first 2 shown]
	s_max_i32 s6, s70, 0
	v_add_u32_e32 v35, s6, v49
	v_cmp_gt_u32_e32 vcc, 16, v35
	s_and_saveexec_b64 s[12:13], vcc
	s_cbranch_execz .LBB131_38
; %bb.36:                               ;   in Loop: Header=BB131_7 Depth=1
	v_cmp_eq_u32_e64 s[8:9], 1, v51
	v_cmp_eq_u32_e64 s[10:11], 0, v51
	v_cmp_eq_u32_e32 vcc, 3, v51
	s_waitcnt lgkmcnt(4)
	v_cndmask_b32_e64 v22, v22, v16, s[8:9]
	s_waitcnt lgkmcnt(3)
	v_cndmask_b32_e64 v19, v19, v12, s[8:9]
	;; [unrolled: 2-line block ×4, first 2 shown]
	v_cndmask_b32_e64 v38, v38, v2, s[8:9]
	s_waitcnt lgkmcnt(0)
	v_cndmask_b32_e64 v40, v0, v11, s[8:9]
	s_mul_i32 s8, s68, s21
	s_ashr_i32 s9, s8, 31
	s_lshl_b64 s[8:9], s[8:9], 1
	v_cndmask_b32_e64 v23, v23, v16, s[10:11]
	v_cndmask_b32_e64 v33, v33, v12, s[10:11]
	;; [unrolled: 1-line block ×6, first 2 shown]
	s_add_u32 s10, s40, s8
	s_addc_u32 s11, s41, s9
	s_ashr_i32 s49, s48, 31
	v_cvt_f16_f32_e32 v23, v23
	v_cvt_f16_f32_sdwa v22, v22 dst_sel:WORD_1 dst_unused:UNUSED_PAD src0_sel:DWORD
	v_cvt_f16_f32_e32 v33, v33
	v_cvt_f16_f32_sdwa v19, v19 dst_sel:WORD_1 dst_unused:UNUSED_PAD src0_sel:DWORD
	s_lshl_b64 s[8:9], s[48:49], 1
	s_add_u32 s8, s10, s8
	s_addc_u32 s9, s11, s9
	v_lshl_add_u64 v[0:1], v[26:27], 1, s[8:9]
	v_or_b32_e32 v22, v22, v23
	v_or_b32_e32 v19, v19, v33
	;;#ASMSTART
	global_atomic_pk_add_f16 v[0:1], v22, off
	
	;;#ASMEND
	v_lshl_add_u64 v[22:23], v[0:1], 0, 32
	;;#ASMSTART
	global_atomic_pk_add_f16 v[22:23], v19, off
	
	;;#ASMEND
	v_cvt_f16_f32_e32 v19, v34
	v_cvt_f16_f32_sdwa v15, v15 dst_sel:WORD_1 dst_unused:UNUSED_PAD src0_sel:DWORD
	v_cvt_f16_f32_e32 v33, v37
	v_cvt_f16_f32_sdwa v34, v36 dst_sel:WORD_1 dst_unused:UNUSED_PAD src0_sel:DWORD
	v_lshl_add_u64 v[22:23], v[0:1], 0, 64
	v_or_b32_e32 v15, v15, v19
	;;#ASMSTART
	global_atomic_pk_add_f16 v[22:23], v15, off
	
	;;#ASMEND
	v_or_b32_e32 v15, v34, v33
	v_lshl_add_u64 v[22:23], v[0:1], 0, s[30:31]
	;;#ASMSTART
	global_atomic_pk_add_f16 v[22:23], v15, off
	
	;;#ASMEND
	v_cvt_f16_f32_e32 v15, v39
	v_cvt_f16_f32_sdwa v19, v38 dst_sel:WORD_1 dst_unused:UNUSED_PAD src0_sel:DWORD
	v_cvt_f16_f32_e32 v33, v41
	v_cvt_f16_f32_sdwa v34, v40 dst_sel:WORD_1 dst_unused:UNUSED_PAD src0_sel:DWORD
	v_cmp_eq_u32_e64 s[6:7], 2, v51
	v_lshl_add_u64 v[22:23], v[0:1], 0, s[34:35]
	v_or_b32_e32 v15, v19, v15
	v_cmp_gt_u32_e64 s[8:9], 14, v35
	;;#ASMSTART
	global_atomic_pk_add_f16 v[22:23], v15, off
	
	;;#ASMEND
	v_lshl_add_u64 v[22:23], v[0:1], 0, s[44:45]
	v_or_b32_e32 v15, v34, v33
	;;#ASMSTART
	global_atomic_pk_add_f16 v[22:23], v15, off
	
	;;#ASMEND
	s_and_b64 exec, exec, s[8:9]
	s_cbranch_execz .LBB131_38
; %bb.37:                               ;   in Loop: Header=BB131_7 Depth=1
	v_cndmask_b32_e32 v15, v20, v16, vcc
	v_cndmask_b32_e64 v16, v21, v16, s[6:7]
	v_cndmask_b32_e32 v17, v17, v12, vcc
	v_cndmask_b32_e64 v12, v18, v12, s[6:7]
	;; [unrolled: 2-line block ×5, first 2 shown]
	v_cvt_f16_f32_e32 v2, v16
	v_cvt_f16_f32_sdwa v3, v15 dst_sel:WORD_1 dst_unused:UNUSED_PAD src0_sel:DWORD
	v_cvt_f16_f32_e32 v11, v12
	v_cvt_f16_f32_sdwa v12, v17 dst_sel:WORD_1 dst_unused:UNUSED_PAD src0_sel:DWORD
	v_cndmask_b32_e32 v13, v13, v8, vcc
	v_cndmask_b32_e64 v8, v14, v8, s[6:7]
	v_lshl_add_u64 v[0:1], s[28:29], 2, v[0:1]
	v_or_b32_e32 v2, v3, v2
	v_or_b32_e32 v11, v12, v11
	v_cvt_f16_f32_e32 v4, v4
	v_cvt_f16_f32_sdwa v9, v9 dst_sel:WORD_1 dst_unused:UNUSED_PAD src0_sel:DWORD
	;;#ASMSTART
	global_atomic_pk_add_f16 v[0:1], v2, off
	
	;;#ASMEND
	v_lshl_add_u64 v[2:3], v[0:1], 0, 32
	;;#ASMSTART
	global_atomic_pk_add_f16 v[2:3], v11, off
	
	;;#ASMEND
	v_cvt_f16_f32_e32 v8, v8
	v_cvt_f16_f32_sdwa v11, v13 dst_sel:WORD_1 dst_unused:UNUSED_PAD src0_sel:DWORD
	v_lshl_add_u64 v[2:3], v[0:1], 0, 64
	v_or_b32_e32 v4, v9, v4
	v_cvt_f16_f32_sdwa v5, v5 dst_sel:WORD_1 dst_unused:UNUSED_PAD src0_sel:DWORD
	v_or_b32_e32 v8, v11, v8
	;;#ASMSTART
	global_atomic_pk_add_f16 v[2:3], v8, off
	
	;;#ASMEND
	v_lshl_add_u64 v[2:3], v[0:1], 0, s[30:31]
	;;#ASMSTART
	global_atomic_pk_add_f16 v[2:3], v4, off
	
	;;#ASMEND
	v_cvt_f16_f32_e32 v4, v6
	v_cvt_f16_f32_e32 v6, v7
	v_cvt_f16_f32_sdwa v7, v10 dst_sel:WORD_1 dst_unused:UNUSED_PAD src0_sel:DWORD
	v_lshl_add_u64 v[2:3], v[0:1], 0, s[34:35]
	v_or_b32_e32 v4, v5, v4
	;;#ASMSTART
	global_atomic_pk_add_f16 v[2:3], v4, off
	
	;;#ASMEND
	v_lshl_add_u64 v[0:1], v[0:1], 0, s[44:45]
	v_or_b32_e32 v2, v7, v6
	;;#ASMSTART
	global_atomic_pk_add_f16 v[0:1], v2, off
	
	;;#ASMEND
.LBB131_38:                             ;   in Loop: Header=BB131_7 Depth=1
	s_or_b64 exec, exec, s[12:13]
	v_subrev_u32_e32 v62, s67, v62
.LBB131_39:                             ;   in Loop: Header=BB131_7 Depth=1
	s_or_b64 exec, exec, s[52:53]
.LBB131_40:                             ;   in Loop: Header=BB131_7 Depth=1
	s_andn2_saveexec_b64 s[6:7], s[50:51]
	s_cbranch_execz .LBB131_49
; %bb.41:                               ;   in Loop: Header=BB131_7 Depth=1
	s_mul_i32 s16, s67, 6
	v_cmp_gt_i32_e32 vcc, s16, v62
	s_and_saveexec_b64 s[8:9], vcc
	s_cbranch_execz .LBB131_48
; %bb.42:                               ;   in Loop: Header=BB131_7 Depth=1
	s_mul_i32 s10, s48, s23
	s_ashr_i32 s11, s10, 31
	s_waitcnt lgkmcnt(0)
	s_add_u32 s10, s38, s10
	s_addc_u32 s11, s39, s11
	s_ashr_i32 s12, s69, 31
	s_add_u32 s10, s10, s69
	s_addc_u32 s11, s11, s12
	v_lshl_add_u64 v[0:1], s[10:11], 0, v[30:31]
	v_lshl_add_u64 v[8:9], v[0:1], 0, v[28:29]
	s_mov_b64 s[10:11], 0
	s_branch .LBB131_44
.LBB131_43:                             ;   in Loop: Header=BB131_44 Depth=2
	s_or_b64 exec, exec, s[12:13]
	v_lshl_or_b32 v12, v10, 11, v57
	;;#ASMSTART
	s_waitcnt vmcnt(1)
	;;#ASMEND
	ds_write2_b32 v12, v4, v5 offset1:32
	ds_write2_b32 v12, v6, v7 offset0:64 offset1:96
	v_add_u32_e32 v4, 0x400, v12
	v_add_u32_e32 v62, s26, v62
	;;#ASMSTART
	s_waitcnt vmcnt(0)
	;;#ASMEND
	ds_write2_b32 v4, v0, v1 offset1:32
	ds_write2_b32 v4, v2, v3 offset0:64 offset1:96
	v_add_u32_e32 v0, 1, v46
	v_add_u32_e32 v32, s26, v10
	v_cmp_le_i32_e32 vcc, s16, v62
	ds_write_b32 v11, v0 offset:4
	v_add_u32_e32 v0, 2, v46
	s_or_b64 s[10:11], vcc, s[10:11]
	v_cmp_lt_i32_e32 vcc, 5, v32
	s_nop 1
	v_cndmask_b32_e32 v46, v46, v0, vcc
	s_andn2_b64 exec, exec, s[10:11]
	s_cbranch_execz .LBB131_47
.LBB131_44:                             ;   Parent Loop BB131_7 Depth=1
                                        ; =>  This Loop Header: Depth=2
                                        ;       Child Loop BB131_46 Depth 3
	v_cmp_gt_i32_e32 vcc, 6, v32
	s_nop 1
	v_cndmask_b32_e64 v0, -6, 0, vcc
	v_add_u32_e32 v10, v0, v32
	v_mul_hi_i32 v0, v62, s56
	v_lshrrev_b32_e32 v1, 31, v0
	v_add_u32_e32 v0, v0, v1
	v_mul_lo_u32 v1, v0, 6
	v_sub_u32_e32 v2, v62, v1
	v_lshlrev_b32_e32 v0, 7, v0
	v_ashrrev_i32_e32 v1, 31, v0
	v_mul_lo_u32 v2, s61, v2
	v_lshl_add_u64 v[0:1], v[8:9], 0, v[0:1]
	v_ashrrev_i32_e32 v3, 31, v2
	v_lshl_add_u64 v[0:1], v[0:1], 0, v[2:3]
	v_lshlrev_b32_e32 v11, 2, v10
	;;#ASMSTART
	global_load_dwordx4 v[4:7], v[0:1], off offset:0   sc0 sc1 nt  
	global_load_dwordx4 v[0:3], v[0:1], off offset:64  sc0 sc1 nt  
	
	;;#ASMEND
	ds_read_b32 v12, v11 offset:14340
	v_add_u32_e32 v11, 0x3800, v11
	s_waitcnt lgkmcnt(0)
	v_cmp_ne_u32_e32 vcc, v12, v46
	s_and_saveexec_b64 s[12:13], vcc
	s_cbranch_execz .LBB131_43
; %bb.45:                               ;   in Loop: Header=BB131_44 Depth=2
	s_mov_b64 s[14:15], 0
.LBB131_46:                             ;   Parent Loop BB131_7 Depth=1
                                        ;     Parent Loop BB131_44 Depth=2
                                        ; =>    This Inner Loop Header: Depth=3
	;;#ASMSTART
	s_sleep 0
	;;#ASMEND
	ds_read_b32 v12, v11 offset:4
	s_waitcnt lgkmcnt(0)
	v_cmp_eq_u32_e32 vcc, v12, v46
	s_or_b64 s[14:15], vcc, s[14:15]
	s_andn2_b64 exec, exec, s[14:15]
	s_cbranch_execnz .LBB131_46
	s_branch .LBB131_43
.LBB131_47:                             ;   in Loop: Header=BB131_7 Depth=1
	s_or_b64 exec, exec, s[10:11]
.LBB131_48:                             ;   in Loop: Header=BB131_7 Depth=1
	s_or_b64 exec, exec, s[8:9]
	v_subrev_u32_e32 v62, s16, v62
.LBB131_49:                             ;   in Loop: Header=BB131_7 Depth=1
	s_or_b64 exec, exec, s[6:7]
.LBB131_50:                             ;   in Loop: Header=BB131_7 Depth=1
	s_andn2_saveexec_b64 s[6:7], s[46:47]
	s_cbranch_execz .LBB131_6
; %bb.51:                               ;   in Loop: Header=BB131_7 Depth=1
	v_cmp_gt_i32_e32 vcc, s67, v62
	s_and_saveexec_b64 s[8:9], vcc
	s_cbranch_execz .LBB131_5
; %bb.52:                               ;   in Loop: Header=BB131_7 Depth=1
	s_mul_i32 s68, s68, s22
	s_ashr_i32 s10, s68, 31
	s_waitcnt lgkmcnt(0)
	s_add_u32 s11, s36, s68
	s_addc_u32 s12, s37, s10
	s_ashr_i32 s13, s69, 31
	v_cmp_le_i32_e32 vcc, s70, v58
	s_add_u32 s10, s11, s69
	s_addc_u32 s11, s12, s13
	v_cndmask_b32_e32 v0, 0, v59, vcc
	v_ashrrev_i32_e32 v1, 31, v0
	v_lshl_add_u64 v[0:1], s[10:11], 0, v[0:1]
	v_lshl_add_u64 v[8:9], v[0:1], 0, v[28:29]
	s_mov_b64 s[10:11], 0
	s_branch .LBB131_54
.LBB131_53:                             ;   in Loop: Header=BB131_54 Depth=2
	s_or_b64 exec, exec, s[12:13]
	v_lshl_add_u32 v12, v10, 11, v60
	;;#ASMSTART
	s_waitcnt vmcnt(1)
	;;#ASMEND
	ds_write2_b32 v12, v4, v5 offset1:32
	ds_write2_b32 v12, v6, v7 offset0:64 offset1:96
	v_add_u32_e32 v4, 0x400, v12
	v_add_u32_e32 v62, s25, v62
	;;#ASMSTART
	s_waitcnt vmcnt(0)
	;;#ASMEND
	ds_write2_b32 v4, v0, v1 offset1:32
	ds_write2_b32 v4, v2, v3 offset0:64 offset1:96
	v_add_u32_e32 v0, 1, v46
	v_add_u32_e32 v32, s25, v10
	v_cmp_le_i32_e32 vcc, s67, v62
	ds_write_b32 v11, v0
	v_add_u32_e32 v0, 2, v46
	s_or_b64 s[10:11], vcc, s[10:11]
	v_cmp_lt_i32_e32 vcc, 0, v32
	s_nop 1
	v_cndmask_b32_e32 v46, v46, v0, vcc
	s_andn2_b64 exec, exec, s[10:11]
	s_cbranch_execz .LBB131_4
.LBB131_54:                             ;   Parent Loop BB131_7 Depth=1
                                        ; =>  This Loop Header: Depth=2
                                        ;       Child Loop BB131_56 Depth 3
	v_cmp_lt_i32_e32 vcc, 0, v32
	v_lshlrev_b32_e32 v0, 7, v62
	v_ashrrev_i32_e32 v1, 31, v0
	v_subbrev_co_u32_e32 v10, vcc, 0, v32, vcc
	v_lshl_add_u64 v[0:1], v[8:9], 0, v[0:1]
	v_lshlrev_b32_e32 v11, 2, v10
	;;#ASMSTART
	global_load_dwordx4 v[4:7], v[0:1], off offset:0   
	global_load_dwordx4 v[0:3], v[0:1], off offset:64  
	
	;;#ASMEND
	ds_read_b32 v12, v11 offset:14336
	v_add_u32_e32 v11, 0x3800, v11
	s_waitcnt lgkmcnt(0)
	v_cmp_ne_u32_e32 vcc, v12, v46
	s_and_saveexec_b64 s[12:13], vcc
	s_cbranch_execz .LBB131_53
; %bb.55:                               ;   in Loop: Header=BB131_54 Depth=2
	s_mov_b64 s[14:15], 0
.LBB131_56:                             ;   Parent Loop BB131_7 Depth=1
                                        ;     Parent Loop BB131_54 Depth=2
                                        ; =>    This Inner Loop Header: Depth=3
	;;#ASMSTART
	s_sleep 0
	;;#ASMEND
	ds_read_b32 v12, v11
	s_waitcnt lgkmcnt(0)
	v_cmp_eq_u32_e32 vcc, v12, v46
	s_or_b64 s[14:15], vcc, s[14:15]
	s_andn2_b64 exec, exec, s[14:15]
	s_cbranch_execnz .LBB131_56
	s_branch .LBB131_53
.LBB131_57:
	s_endpgm
	.section	.rodata,"a",@progbits
	.p2align	6, 0x0
	.amdhsa_kernel _Z19_skinny_gemm_kernelILi1ELi6ELi1ELi16ELi4EEvPKhS1_P6__halfPKfiiiiiiii
		.amdhsa_group_segment_fixed_size 14364
		.amdhsa_private_segment_fixed_size 0
		.amdhsa_kernarg_size 64
		.amdhsa_user_sgpr_count 2
		.amdhsa_user_sgpr_dispatch_ptr 0
		.amdhsa_user_sgpr_queue_ptr 0
		.amdhsa_user_sgpr_kernarg_segment_ptr 1
		.amdhsa_user_sgpr_dispatch_id 0
		.amdhsa_user_sgpr_kernarg_preload_length 0
		.amdhsa_user_sgpr_kernarg_preload_offset 0
		.amdhsa_user_sgpr_private_segment_size 0
		.amdhsa_uses_dynamic_stack 0
		.amdhsa_enable_private_segment 0
		.amdhsa_system_sgpr_workgroup_id_x 1
		.amdhsa_system_sgpr_workgroup_id_y 0
		.amdhsa_system_sgpr_workgroup_id_z 0
		.amdhsa_system_sgpr_workgroup_info 0
		.amdhsa_system_vgpr_workitem_id 0
		.amdhsa_next_free_vgpr 70
		.amdhsa_next_free_sgpr 71
		.amdhsa_accum_offset 72
		.amdhsa_reserve_vcc 1
		.amdhsa_float_round_mode_32 0
		.amdhsa_float_round_mode_16_64 0
		.amdhsa_float_denorm_mode_32 3
		.amdhsa_float_denorm_mode_16_64 3
		.amdhsa_dx10_clamp 1
		.amdhsa_ieee_mode 1
		.amdhsa_fp16_overflow 0
		.amdhsa_tg_split 0
		.amdhsa_exception_fp_ieee_invalid_op 0
		.amdhsa_exception_fp_denorm_src 0
		.amdhsa_exception_fp_ieee_div_zero 0
		.amdhsa_exception_fp_ieee_overflow 0
		.amdhsa_exception_fp_ieee_underflow 0
		.amdhsa_exception_fp_ieee_inexact 0
		.amdhsa_exception_int_div_zero 0
	.end_amdhsa_kernel
	.section	.text._Z19_skinny_gemm_kernelILi1ELi6ELi1ELi16ELi4EEvPKhS1_P6__halfPKfiiiiiiii,"axG",@progbits,_Z19_skinny_gemm_kernelILi1ELi6ELi1ELi16ELi4EEvPKhS1_P6__halfPKfiiiiiiii,comdat
.Lfunc_end131:
	.size	_Z19_skinny_gemm_kernelILi1ELi6ELi1ELi16ELi4EEvPKhS1_P6__halfPKfiiiiiiii, .Lfunc_end131-_Z19_skinny_gemm_kernelILi1ELi6ELi1ELi16ELi4EEvPKhS1_P6__halfPKfiiiiiiii
                                        ; -- End function
	.set _Z19_skinny_gemm_kernelILi1ELi6ELi1ELi16ELi4EEvPKhS1_P6__halfPKfiiiiiiii.num_vgpr, 70
	.set _Z19_skinny_gemm_kernelILi1ELi6ELi1ELi16ELi4EEvPKhS1_P6__halfPKfiiiiiiii.num_agpr, 0
	.set _Z19_skinny_gemm_kernelILi1ELi6ELi1ELi16ELi4EEvPKhS1_P6__halfPKfiiiiiiii.numbered_sgpr, 71
	.set _Z19_skinny_gemm_kernelILi1ELi6ELi1ELi16ELi4EEvPKhS1_P6__halfPKfiiiiiiii.num_named_barrier, 0
	.set _Z19_skinny_gemm_kernelILi1ELi6ELi1ELi16ELi4EEvPKhS1_P6__halfPKfiiiiiiii.private_seg_size, 0
	.set _Z19_skinny_gemm_kernelILi1ELi6ELi1ELi16ELi4EEvPKhS1_P6__halfPKfiiiiiiii.uses_vcc, 1
	.set _Z19_skinny_gemm_kernelILi1ELi6ELi1ELi16ELi4EEvPKhS1_P6__halfPKfiiiiiiii.uses_flat_scratch, 0
	.set _Z19_skinny_gemm_kernelILi1ELi6ELi1ELi16ELi4EEvPKhS1_P6__halfPKfiiiiiiii.has_dyn_sized_stack, 0
	.set _Z19_skinny_gemm_kernelILi1ELi6ELi1ELi16ELi4EEvPKhS1_P6__halfPKfiiiiiiii.has_recursion, 0
	.set _Z19_skinny_gemm_kernelILi1ELi6ELi1ELi16ELi4EEvPKhS1_P6__halfPKfiiiiiiii.has_indirect_call, 0
	.section	.AMDGPU.csdata,"",@progbits
; Kernel info:
; codeLenInByte = 5012
; TotalNumSgprs: 77
; NumVgprs: 70
; NumAgprs: 0
; TotalNumVgprs: 70
; ScratchSize: 0
; MemoryBound: 0
; FloatMode: 240
; IeeeMode: 1
; LDSByteSize: 14364 bytes/workgroup (compile time only)
; SGPRBlocks: 9
; VGPRBlocks: 8
; NumSGPRsForWavesPerEU: 77
; NumVGPRsForWavesPerEU: 70
; AccumOffset: 72
; Occupancy: 7
; WaveLimiterHint : 0
; COMPUTE_PGM_RSRC2:SCRATCH_EN: 0
; COMPUTE_PGM_RSRC2:USER_SGPR: 2
; COMPUTE_PGM_RSRC2:TRAP_HANDLER: 0
; COMPUTE_PGM_RSRC2:TGID_X_EN: 1
; COMPUTE_PGM_RSRC2:TGID_Y_EN: 0
; COMPUTE_PGM_RSRC2:TGID_Z_EN: 0
; COMPUTE_PGM_RSRC2:TIDIG_COMP_CNT: 0
; COMPUTE_PGM_RSRC3_GFX90A:ACCUM_OFFSET: 17
; COMPUTE_PGM_RSRC3_GFX90A:TG_SPLIT: 0
	.section	.text._Z19_skinny_gemm_kernelILi1ELi6ELi1ELi16ELi8EEvPKhS1_P6__halfPKfiiiiiiii,"axG",@progbits,_Z19_skinny_gemm_kernelILi1ELi6ELi1ELi16ELi8EEvPKhS1_P6__halfPKfiiiiiiii,comdat
	.protected	_Z19_skinny_gemm_kernelILi1ELi6ELi1ELi16ELi8EEvPKhS1_P6__halfPKfiiiiiiii ; -- Begin function _Z19_skinny_gemm_kernelILi1ELi6ELi1ELi16ELi8EEvPKhS1_P6__halfPKfiiiiiiii
	.globl	_Z19_skinny_gemm_kernelILi1ELi6ELi1ELi16ELi8EEvPKhS1_P6__halfPKfiiiiiiii
	.p2align	8
	.type	_Z19_skinny_gemm_kernelILi1ELi6ELi1ELi16ELi8EEvPKhS1_P6__halfPKfiiiiiiii,@function
_Z19_skinny_gemm_kernelILi1ELi6ELi1ELi16ELi8EEvPKhS1_P6__halfPKfiiiiiiii: ; @_Z19_skinny_gemm_kernelILi1ELi6ELi1ELi16ELi8EEvPKhS1_P6__halfPKfiiiiiiii
; %bb.0:
	v_cmp_gt_u32_e32 vcc, 7, v0
	v_lshlrev_b32_e32 v1, 2, v0
	s_and_saveexec_b64 s[4:5], vcc
; %bb.1:
	v_mov_b32_e32 v2, 0
	ds_write_b32 v1, v2 offset:28672
; %bb.2:
	s_or_b64 exec, exec, s[4:5]
	s_load_dwordx8 s[20:27], s[0:1], 0x20
	s_mov_b32 s56, 0x2aaaaaab
	s_waitcnt lgkmcnt(0)
	s_barrier
	s_add_i32 s3, s20, 15
	s_ashr_i32 s5, s3, 31
	s_lshr_b32 s5, s5, 28
	s_add_i32 s4, s21, 0x5f
	s_add_i32 s3, s3, s5
	s_ashr_i32 s33, s3, 4
	s_mul_hi_i32 s3, s4, 0x2aaaaaab
	s_lshr_b32 s4, s3, 31
	s_ashr_i32 s54, s3, 4
	s_add_i32 s54, s54, s4
	s_mul_i32 s3, s54, s33
	s_mul_i32 s3, s3, s24
	s_add_i32 s4, s3, 0x12f
	s_mul_hi_i32 s4, s4, 0x6bca1af3
	s_lshr_b32 s5, s4, 31
	s_ashr_i32 s4, s4, 7
	s_add_i32 s4, s4, s5
	s_add_i32 s5, s2, 1
	s_mul_i32 s5, s4, s5
	v_cvt_f64_i32_e32 v[2:3], s3
	v_cvt_f64_u32_e32 v[4:5], s5
	v_min_f64 v[2:3], v[2:3], v[4:5]
	v_cvt_i32_f64_e32 v25, v[2:3]
	s_mul_i32 s55, s4, s2
	v_cmp_ge_i32_e32 vcc, s55, v25
	s_cbranch_vccnz .LBB132_57
; %bb.3:
	v_lshrrev_b32_e32 v2, 6, v0
	s_add_i32 s4, s26, s25
	s_load_dwordx8 s[36:43], s[0:1], 0x0
	v_cmp_le_i32_e64 s[0:1], s4, v2
	v_mov_b32_e32 v3, s25
	v_cmp_le_i32_e64 s[2:3], s25, v2
	v_mov_b32_e32 v4, s26
	v_cndmask_b32_e64 v4, 0, v4, s[0:1]
	v_cndmask_b32_e64 v3, 0, v3, s[2:3]
	s_abs_i32 s5, s24
	v_add_u32_e32 v3, v3, v4
	v_cvt_f32_u32_e32 v4, s5
	v_sub_u32_e32 v32, v2, v3
	s_ashr_i32 s6, s22, 31
	s_lshr_b32 s6, s6, 24
	v_rcp_iflag_f32_e32 v3, v4
	s_sub_i32 s9, 0, s5
	s_add_i32 s6, s22, s6
	s_ashr_i32 s6, s6, 8
	v_mul_f32_e32 v3, 0x4f7ffffe, v3
	v_cvt_u32_f32_e32 v3, v3
	s_abs_i32 s8, s6
	s_xor_b32 s7, s6, s24
	s_ashr_i32 s7, s7, 31
	v_readfirstlane_b32 s10, v3
	s_mul_i32 s9, s9, s10
	s_mul_hi_u32 s9, s10, s9
	s_add_i32 s10, s10, s9
	s_mul_hi_u32 s9, s8, s10
	s_mul_i32 s10, s9, s5
	s_sub_i32 s8, s8, s10
	s_add_i32 s10, s9, 1
	s_sub_i32 s11, s8, s5
	s_cmp_ge_u32 s8, s5
	s_cselect_b32 s9, s10, s9
	s_cselect_b32 s8, s11, s8
	s_add_i32 s10, s9, 1
	s_cmp_ge_u32 s8, s5
	s_cselect_b32 s5, s10, s9
	s_xor_b32 s5, s5, s7
	s_sub_i32 s57, s5, s7
	s_add_i32 s24, s24, -1
	s_mul_i32 s5, s57, s24
	s_add_i32 s4, s4, s27
	s_sub_i32 s58, s6, s5
	v_cmp_gt_i32_e64 s[4:5], s4, v2
	v_lshlrev_b32_e32 v2, 1, v0
	v_lshlrev_b32_e32 v3, 4, v0
	v_and_b32_e32 v1, 60, v1
	v_and_b32_e32 v2, 64, v2
	;; [unrolled: 1-line block ×3, first 2 shown]
	s_abs_i32 s60, s33
	v_or3_b32 v59, v1, v2, v4
	v_and_b32_e32 v1, 1, v0
	v_cvt_f32_u32_e32 v6, s60
	v_lshlrev_b32_e32 v2, 1, v1
	v_lshrrev_b32_e32 v4, 2, v0
	v_and_b32_e32 v24, 14, v0
	v_sub_u32_e32 v2, v0, v2
	v_and_or_b32 v60, v4, 12, v1
	v_bitop3_b32 v61, v0, 1, v0 bitop3:0xc
	v_bitop3_b32 v62, v0, 3, 1 bitop3:0x6c
	v_and_b32_e32 v28, 48, v3
	v_bfe_u32 v1, v0, 2, 4
	v_and_b32_e32 v3, 60, v0
	v_lshlrev_b32_e32 v5, 8, v0
	v_lshlrev_b32_e32 v0, 6, v0
	v_and_b32_e32 v5, 0x200, v5
	v_and_b32_e32 v0, 64, v0
	v_or3_b32 v68, v3, v5, v0
	v_rcp_iflag_f32_e32 v0, v6
	s_abs_i32 s62, s54
	v_mul_lo_u32 v30, s23, v1
	v_mul_lo_u32 v70, s22, v1
	v_cvt_f32_u32_e32 v1, s62
	v_mul_f32_e32 v0, 0x4f7ffffe, v0
	v_cvt_u32_f32_e32 v0, v0
	v_mad_u64_u32 v[26:27], s[6:7], s21, v60, v[24:25]
	v_rcp_iflag_f32_e32 v1, v1
	v_readfirstlane_b32 s7, v0
	s_sub_i32 s6, 0, s60
	s_mul_i32 s6, s6, s7
	v_mul_f32_e32 v0, 0x4f7ffffe, v1
	v_cvt_u32_f32_e32 v0, v0
	s_mul_hi_u32 s6, s7, s6
	v_add_u32_e32 v2, 1, v2
	s_add_i32 s64, s7, s6
	s_sub_i32 s6, 0, s62
	v_readfirstlane_b32 s7, v0
	v_mbcnt_lo_u32_b32 v0, -1, 0
	v_and_b32_e32 v2, 63, v2
	s_mul_i32 s6, s6, s7
	v_mbcnt_hi_u32_b32 v0, -1, v0
	s_mul_hi_u32 s6, s7, s6
	v_and_or_b32 v0, v0, 64, v2
	v_cndmask_b32_e64 v58, 0, 1, s[0:1]
	s_movk_i32 s59, 0x6000
	v_or_b32_e32 v63, 16, v24
	v_or_b32_e32 v64, 32, v24
	;; [unrolled: 1-line block ×5, first 2 shown]
	v_ashrrev_i32_e32 v27, 31, v26
	s_ashr_i32 s29, s21, 31
	s_mov_b32 s28, s21
	v_ashrrev_i32_e32 v31, 31, v30
	v_mov_b32_e32 v29, 0
	s_lshl_b32 s61, s23, 4
	v_bitop3_b32 v69, v4, 15, v4 bitop3:0xc
	v_or_b32_e32 v71, 0x6000, v68
	s_ashr_i32 s63, s33, 31
	s_ashr_i32 s65, s54, 31
	s_add_i32 s66, s7, s6
	s_mov_b64 s[30:31], 0x60
	s_mov_b64 s[34:35], 0x80
	;; [unrolled: 1-line block ×3, first 2 shown]
	v_lshlrev_b32_e32 v72, 2, v0
	v_mov_b32_e32 v73, v32
	s_branch .LBB132_7
.LBB132_4:                              ;   in Loop: Header=BB132_7 Depth=1
	s_or_b64 exec, exec, s[10:11]
.LBB132_5:                              ;   in Loop: Header=BB132_7 Depth=1
	s_or_b64 exec, exec, s[8:9]
	v_subrev_u32_e32 v73, s67, v73
.LBB132_6:                              ;   in Loop: Header=BB132_7 Depth=1
	s_or_b64 exec, exec, s[6:7]
	s_add_i32 s55, s55, 1
	v_cmp_ge_i32_e32 vcc, s55, v25
	s_cbranch_vccnz .LBB132_57
.LBB132_7:                              ; =>This Loop Header: Depth=1
                                        ;     Child Loop BB132_13 Depth 2
                                        ;       Child Loop BB132_15 Depth 3
                                        ;       Child Loop BB132_18 Depth 3
	;; [unrolled: 1-line block ×7, first 2 shown]
                                        ;     Child Loop BB132_44 Depth 2
                                        ;       Child Loop BB132_46 Depth 3
                                        ;     Child Loop BB132_54 Depth 2
                                        ;       Child Loop BB132_56 Depth 3
	s_abs_i32 s7, s55
	s_mul_hi_u32 s8, s7, s64
	s_mul_i32 s9, s8, s60
	s_ashr_i32 s6, s55, 31
	s_sub_i32 s7, s7, s9
	s_xor_b32 s6, s6, s63
	s_add_i32 s9, s8, 1
	s_sub_i32 s10, s7, s60
	s_cmp_ge_u32 s7, s60
	s_cselect_b32 s8, s9, s8
	s_cselect_b32 s7, s10, s7
	s_add_i32 s9, s8, 1
	s_cmp_ge_u32 s7, s60
	s_cselect_b32 s7, s9, s8
	s_xor_b32 s7, s7, s6
	s_sub_i32 s6, s7, s6
	s_abs_i32 s8, s6
	s_mul_i32 s7, s6, s33
	s_mul_hi_u32 s9, s8, s66
	s_sub_i32 s7, s55, s7
	s_mul_i32 s10, s9, s62
	s_lshl_b32 s68, s7, 4
	s_ashr_i32 s7, s6, 31
	s_sub_i32 s8, s8, s10
	s_xor_b32 s7, s7, s65
	s_add_i32 s10, s9, 1
	s_sub_i32 s11, s8, s62
	s_cmp_ge_u32 s8, s62
	s_cselect_b32 s9, s10, s9
	s_cselect_b32 s8, s11, s8
	s_add_i32 s10, s9, 1
	s_cmp_ge_u32 s8, s62
	s_cselect_b32 s8, s10, s9
	s_xor_b32 s8, s8, s7
	s_sub_i32 s7, s8, s7
	s_mul_i32 s8, s7, s57
	s_lshl_b32 s69, s8, 8
	s_cmp_eq_u32 s7, s24
	s_cselect_b32 s67, s58, s57
	s_sub_i32 s70, s68, s20
	s_add_i32 s70, s70, 16
	s_and_saveexec_b64 s[8:9], s[2:3]
	s_xor_b64 s[46:47], exec, s[8:9]
	s_cbranch_execz .LBB132_50
; %bb.8:                                ;   in Loop: Header=BB132_7 Depth=1
	s_mul_i32 s7, s7, s54
	s_sub_i32 s6, s6, s7
	s_mulk_i32 s6, 0x60
	s_sub_i32 s49, s6, s21
	s_addk_i32 s49, 0x60
	s_max_i32 s7, s49, 0
	s_sub_i32 s48, s6, s7
	s_and_saveexec_b64 s[6:7], s[0:1]
	s_xor_b64 s[50:51], exec, s[6:7]
	s_cbranch_execz .LBB132_40
; %bb.9:                                ;   in Loop: Header=BB132_7 Depth=1
	s_and_saveexec_b64 s[52:53], s[4:5]
	s_cbranch_execz .LBB132_39
; %bb.10:                               ;   in Loop: Header=BB132_7 Depth=1
	s_waitcnt lgkmcnt(0)
	global_load_dword v74, v29, s[42:43]
	v_mov_b32_e32 v23, 0
	v_cmp_gt_i32_e32 vcc, s67, v73
	v_mov_b32_e32 v22, v23
	v_mov_b32_e32 v21, v23
	;; [unrolled: 1-line block ×23, first 2 shown]
	s_and_saveexec_b64 s[6:7], vcc
	s_cbranch_execz .LBB132_35
; %bb.11:                               ;   in Loop: Header=BB132_7 Depth=1
	v_mov_b32_e32 v0, 0
	s_mov_b64 s[8:9], 0
	v_mov_b32_e32 v1, v0
	v_mov_b32_e32 v2, v0
	;; [unrolled: 1-line block ×23, first 2 shown]
	s_branch .LBB132_13
.LBB132_12:                             ;   in Loop: Header=BB132_13 Depth=2
	s_or_b64 exec, exec, s[10:11]
	v_add_u32_e32 v50, 0x5000, v77
	ds_read2_b32 v[48:49], v50 offset1:32
	v_add_u32_e32 v73, s27, v73
	v_cmp_le_i32_e32 vcc, s67, v73
	s_or_b64 s[8:9], vcc, s[8:9]
	s_waitcnt lgkmcnt(0)
	v_mfma_f32_16x16x32_fp8_fp8 v[0:3], v[32:33], v[48:49], v[0:3]
	ds_read2_b32 v[32:33], v50 offset0:128 offset1:160
	v_add_u32_e32 v48, 0x5400, v77
	s_waitcnt lgkmcnt(0)
	v_mfma_f32_16x16x32_fp8_fp8 v[0:3], v[34:35], v[32:33], v[0:3]
	ds_read2_b32 v[32:33], v48 offset1:32
	v_add_u32_e32 v34, 0x5800, v77
	s_waitcnt lgkmcnt(0)
	v_mfma_f32_16x16x32_fp8_fp8 v[0:3], v[44:45], v[32:33], v[0:3]
	ds_read2_b32 v[32:33], v48 offset0:128 offset1:160
	s_waitcnt lgkmcnt(0)
	v_mfma_f32_16x16x32_fp8_fp8 v[0:3], v[42:43], v[32:33], v[0:3]
	ds_read2_b32 v[32:33], v34 offset1:32
	v_add_u32_e32 v42, 0x5c00, v77
	s_waitcnt lgkmcnt(0)
	v_mfma_f32_16x16x32_fp8_fp8 v[0:3], v[46:47], v[32:33], v[0:3]
	ds_read2_b32 v[32:33], v34 offset0:128 offset1:160
	ds_read2_b32 v[34:35], v42 offset1:32
	s_waitcnt lgkmcnt(1)
	v_mfma_f32_16x16x32_fp8_fp8 v[0:3], v[40:41], v[32:33], v[0:3]
	ds_read2_b32 v[40:41], v42 offset0:128 offset1:160
	v_add_u32_e32 v32, s27, v76
	v_add_u32_e32 v33, 2, v58
	s_waitcnt lgkmcnt(1)
	v_mfma_f32_16x16x32_fp8_fp8 v[0:3], v[38:39], v[34:35], v[0:3]
	v_cmp_lt_i32_e32 vcc, 0, v32
	;;#ASMSTART
	s_waitcnt lgkmcnt(0)
	;;#ASMEND
	ds_write_b32 v75, v78 offset:28696
	s_waitcnt lgkmcnt(1)
	v_mfma_f32_16x16x32_fp8_fp8 v[0:3], v[36:37], v[40:41], v[0:3]
	v_cndmask_b32_e32 v58, v58, v33, vcc
	s_andn2_b64 exec, exec, s[8:9]
	s_cbranch_execz .LBB132_34
.LBB132_13:                             ;   Parent Loop BB132_7 Depth=1
                                        ; =>  This Loop Header: Depth=2
                                        ;       Child Loop BB132_15 Depth 3
                                        ;       Child Loop BB132_18 Depth 3
	;; [unrolled: 1-line block ×7, first 2 shown]
	v_cmp_lt_i32_e32 vcc, 0, v32
	s_nop 1
	v_subbrev_co_u32_e32 v76, vcc, 0, v32, vcc
	v_mul_lo_u32 v75, v76, 24
	ds_read_b32 v32, v75 offset:28676
	s_waitcnt lgkmcnt(0)
	v_cmp_ne_u32_e32 vcc, v32, v58
	s_and_saveexec_b64 s[10:11], vcc
	s_cbranch_execz .LBB132_16
; %bb.14:                               ;   in Loop: Header=BB132_13 Depth=2
	s_mov_b64 s[12:13], 0
.LBB132_15:                             ;   Parent Loop BB132_7 Depth=1
                                        ;     Parent Loop BB132_13 Depth=2
                                        ; =>    This Inner Loop Header: Depth=3
	;;#ASMSTART
	s_sleep 0
	;;#ASMEND
	ds_read_b32 v32, v75 offset:28676
	s_waitcnt lgkmcnt(0)
	v_cmp_eq_u32_e32 vcc, v32, v58
	s_or_b64 s[12:13], vcc, s[12:13]
	s_andn2_b64 exec, exec, s[12:13]
	s_cbranch_execnz .LBB132_15
.LBB132_16:                             ;   in Loop: Header=BB132_13 Depth=2
	s_or_b64 exec, exec, s[10:11]
	v_mul_lo_u32 v32, v76, s59
	v_or_b32_e32 v77, v59, v32
	v_add_u32_e32 v32, 0x400, v77
	ds_read2_b32 v[36:37], v77 offset1:32
	ds_read2_b32 v[38:39], v77 offset0:128 offset1:160
	ds_read2_b32 v[40:41], v32 offset1:32
	ds_read2_b32 v[48:49], v32 offset0:128 offset1:160
	v_add_u32_e32 v32, 0x800, v77
	ds_read2_b32 v[50:51], v32 offset1:32
	ds_read2_b32 v[52:53], v32 offset0:128 offset1:160
	v_add_u32_e32 v32, 0xc00, v77
	v_add_u32_e32 v78, 1, v58
	ds_read2_b32 v[56:57], v32 offset1:32
	ds_read2_b32 v[54:55], v32 offset0:128 offset1:160
	;;#ASMSTART
	s_waitcnt lgkmcnt(0)
	;;#ASMEND
	ds_write_b32 v75, v78 offset:28676
	v_lshlrev_b32_e32 v32, 2, v76
	ds_read_b32 v33, v32 offset:28672
	v_add_u32_e32 v79, 0x7000, v32
	s_waitcnt lgkmcnt(0)
	v_cmp_ne_u32_e32 vcc, v33, v58
	s_and_saveexec_b64 s[10:11], vcc
	s_cbranch_execz .LBB132_19
; %bb.17:                               ;   in Loop: Header=BB132_13 Depth=2
	s_mov_b64 s[12:13], 0
.LBB132_18:                             ;   Parent Loop BB132_7 Depth=1
                                        ;     Parent Loop BB132_13 Depth=2
                                        ; =>    This Inner Loop Header: Depth=3
	;;#ASMSTART
	s_sleep 0
	;;#ASMEND
	ds_read_b32 v32, v79
	s_waitcnt lgkmcnt(0)
	v_cmp_eq_u32_e32 vcc, v32, v58
	s_or_b64 s[12:13], vcc, s[12:13]
	s_andn2_b64 exec, exec, s[12:13]
	s_cbranch_execnz .LBB132_18
.LBB132_19:                             ;   in Loop: Header=BB132_13 Depth=2
	s_or_b64 exec, exec, s[10:11]
	v_or_b32_e32 v32, 0x6000, v59
	v_lshl_add_u32 v80, v76, 12, v32
	ds_read2_b32 v[32:33], v80 offset1:32
	ds_read2_b32 v[34:35], v80 offset0:128 offset1:160
	v_add_u32_e32 v42, 0x400, v80
	ds_read2_b32 v[44:45], v42 offset1:32
	ds_read2_b32 v[42:43], v42 offset0:128 offset1:160
	s_waitcnt lgkmcnt(3)
	v_mfma_f32_16x16x32_fp8_fp8 v[20:23], v[32:33], v[36:37], v[20:23]
	v_add_u32_e32 v36, 0x800, v80
	ds_read2_b32 v[46:47], v36 offset1:32
	ds_write_b32 v79, v78
	s_waitcnt lgkmcnt(4)
	v_mfma_f32_16x16x32_fp8_fp8 v[20:23], v[34:35], v[38:39], v[20:23]
	s_waitcnt lgkmcnt(3)
	v_mfma_f32_16x16x32_fp8_fp8 v[20:23], v[44:45], v[40:41], v[20:23]
	ds_read2_b32 v[40:41], v36 offset0:128 offset1:160
	v_add_u32_e32 v36, 0xc00, v80
	ds_read2_b32 v[38:39], v36 offset1:32
	s_waitcnt lgkmcnt(4)
	v_mfma_f32_16x16x32_fp8_fp8 v[20:23], v[42:43], v[48:49], v[20:23]
	ds_read2_b32 v[36:37], v36 offset0:128 offset1:160
	ds_read_b32 v48, v75 offset:28680
	s_waitcnt lgkmcnt(0)
	v_cmp_ne_u32_e32 vcc, v48, v58
	v_mfma_f32_16x16x32_fp8_fp8 v[20:23], v[46:47], v[50:51], v[20:23]
	v_mfma_f32_16x16x32_fp8_fp8 v[20:23], v[40:41], v[52:53], v[20:23]
	;; [unrolled: 1-line block ×4, first 2 shown]
	s_and_saveexec_b64 s[10:11], vcc
	s_cbranch_execz .LBB132_22
; %bb.20:                               ;   in Loop: Header=BB132_13 Depth=2
	s_mov_b64 s[12:13], 0
.LBB132_21:                             ;   Parent Loop BB132_7 Depth=1
                                        ;     Parent Loop BB132_13 Depth=2
                                        ; =>    This Inner Loop Header: Depth=3
	;;#ASMSTART
	s_sleep 0
	;;#ASMEND
	ds_read_b32 v48, v75 offset:28680
	s_waitcnt lgkmcnt(0)
	v_cmp_eq_u32_e32 vcc, v48, v58
	s_or_b64 s[12:13], vcc, s[12:13]
	s_andn2_b64 exec, exec, s[12:13]
	s_cbranch_execnz .LBB132_21
.LBB132_22:                             ;   in Loop: Header=BB132_13 Depth=2
	s_or_b64 exec, exec, s[10:11]
	v_add_u32_e32 v50, 0x1000, v77
	ds_read2_b32 v[48:49], v50 offset1:32
	s_waitcnt lgkmcnt(0)
	v_mfma_f32_16x16x32_fp8_fp8 v[16:19], v[32:33], v[48:49], v[16:19]
	ds_read2_b32 v[48:49], v50 offset0:128 offset1:160
	v_add_u32_e32 v50, 0x1400, v77
	s_waitcnt lgkmcnt(0)
	v_mfma_f32_16x16x32_fp8_fp8 v[16:19], v[34:35], v[48:49], v[16:19]
	ds_read2_b32 v[48:49], v50 offset1:32
	s_waitcnt lgkmcnt(0)
	v_mfma_f32_16x16x32_fp8_fp8 v[16:19], v[44:45], v[48:49], v[16:19]
	ds_read2_b32 v[48:49], v50 offset0:128 offset1:160
	v_add_u32_e32 v50, 0x1800, v77
	s_waitcnt lgkmcnt(0)
	v_mfma_f32_16x16x32_fp8_fp8 v[16:19], v[42:43], v[48:49], v[16:19]
	ds_read2_b32 v[48:49], v50 offset1:32
	s_waitcnt lgkmcnt(0)
	v_mfma_f32_16x16x32_fp8_fp8 v[16:19], v[46:47], v[48:49], v[16:19]
	ds_read2_b32 v[48:49], v50 offset0:128 offset1:160
	v_add_u32_e32 v50, 0x1c00, v77
	s_waitcnt lgkmcnt(0)
	v_mfma_f32_16x16x32_fp8_fp8 v[16:19], v[40:41], v[48:49], v[16:19]
	ds_read2_b32 v[48:49], v50 offset1:32
	ds_read2_b32 v[50:51], v50 offset0:128 offset1:160
	;;#ASMSTART
	s_waitcnt lgkmcnt(0)
	;;#ASMEND
	ds_write_b32 v75, v78 offset:28680
	s_waitcnt lgkmcnt(2)
	v_mfma_f32_16x16x32_fp8_fp8 v[16:19], v[38:39], v[48:49], v[16:19]
	ds_read_b32 v48, v75 offset:28684
	s_waitcnt lgkmcnt(0)
	v_cmp_ne_u32_e32 vcc, v48, v58
	v_mfma_f32_16x16x32_fp8_fp8 v[16:19], v[36:37], v[50:51], v[16:19]
	s_and_saveexec_b64 s[10:11], vcc
	s_cbranch_execz .LBB132_25
; %bb.23:                               ;   in Loop: Header=BB132_13 Depth=2
	s_mov_b64 s[12:13], 0
.LBB132_24:                             ;   Parent Loop BB132_7 Depth=1
                                        ;     Parent Loop BB132_13 Depth=2
                                        ; =>    This Inner Loop Header: Depth=3
	;;#ASMSTART
	s_sleep 0
	;;#ASMEND
	ds_read_b32 v48, v75 offset:28684
	s_waitcnt lgkmcnt(0)
	v_cmp_eq_u32_e32 vcc, v48, v58
	s_or_b64 s[12:13], vcc, s[12:13]
	s_andn2_b64 exec, exec, s[12:13]
	s_cbranch_execnz .LBB132_24
.LBB132_25:                             ;   in Loop: Header=BB132_13 Depth=2
	s_or_b64 exec, exec, s[10:11]
	v_add_u32_e32 v50, 0x2000, v77
	ds_read2_b32 v[48:49], v50 offset1:32
	s_waitcnt lgkmcnt(0)
	v_mfma_f32_16x16x32_fp8_fp8 v[12:15], v[32:33], v[48:49], v[12:15]
	ds_read2_b32 v[48:49], v50 offset0:128 offset1:160
	v_add_u32_e32 v50, 0x2400, v77
	s_waitcnt lgkmcnt(0)
	v_mfma_f32_16x16x32_fp8_fp8 v[12:15], v[34:35], v[48:49], v[12:15]
	ds_read2_b32 v[48:49], v50 offset1:32
	s_waitcnt lgkmcnt(0)
	v_mfma_f32_16x16x32_fp8_fp8 v[12:15], v[44:45], v[48:49], v[12:15]
	ds_read2_b32 v[48:49], v50 offset0:128 offset1:160
	v_add_u32_e32 v50, 0x2800, v77
	s_waitcnt lgkmcnt(0)
	v_mfma_f32_16x16x32_fp8_fp8 v[12:15], v[42:43], v[48:49], v[12:15]
	ds_read2_b32 v[48:49], v50 offset1:32
	s_waitcnt lgkmcnt(0)
	v_mfma_f32_16x16x32_fp8_fp8 v[12:15], v[46:47], v[48:49], v[12:15]
	ds_read2_b32 v[48:49], v50 offset0:128 offset1:160
	v_add_u32_e32 v50, 0x2c00, v77
	s_waitcnt lgkmcnt(0)
	v_mfma_f32_16x16x32_fp8_fp8 v[12:15], v[40:41], v[48:49], v[12:15]
	ds_read2_b32 v[48:49], v50 offset1:32
	ds_read2_b32 v[50:51], v50 offset0:128 offset1:160
	;;#ASMSTART
	s_waitcnt lgkmcnt(0)
	;;#ASMEND
	ds_write_b32 v75, v78 offset:28684
	s_waitcnt lgkmcnt(2)
	v_mfma_f32_16x16x32_fp8_fp8 v[12:15], v[38:39], v[48:49], v[12:15]
	ds_read_b32 v48, v75 offset:28688
	s_waitcnt lgkmcnt(0)
	v_cmp_ne_u32_e32 vcc, v48, v58
	v_mfma_f32_16x16x32_fp8_fp8 v[12:15], v[36:37], v[50:51], v[12:15]
	;; [unrolled: 52-line block ×4, first 2 shown]
	s_and_saveexec_b64 s[10:11], vcc
	s_cbranch_execz .LBB132_12
; %bb.32:                               ;   in Loop: Header=BB132_13 Depth=2
	s_mov_b64 s[12:13], 0
.LBB132_33:                             ;   Parent Loop BB132_7 Depth=1
                                        ;     Parent Loop BB132_13 Depth=2
                                        ; =>    This Inner Loop Header: Depth=3
	;;#ASMSTART
	s_sleep 0
	;;#ASMEND
	ds_read_b32 v48, v75 offset:28696
	s_waitcnt lgkmcnt(0)
	v_cmp_eq_u32_e32 vcc, v48, v58
	s_or_b64 s[12:13], vcc, s[12:13]
	s_andn2_b64 exec, exec, s[12:13]
	s_cbranch_execnz .LBB132_33
	s_branch .LBB132_12
.LBB132_34:                             ;   in Loop: Header=BB132_7 Depth=1
	s_or_b64 exec, exec, s[8:9]
.LBB132_35:                             ;   in Loop: Header=BB132_7 Depth=1
	s_or_b64 exec, exec, s[6:7]
	v_cmp_le_i32_e32 vcc, s49, v24
	v_cmp_eq_u32_e64 s[12:13], 1, v61
	v_cmp_eq_u32_e64 s[6:7], 3, v61
	s_waitcnt vmcnt(0)
	v_cndmask_b32_e32 v34, 0, v74, vcc
	v_pk_mul_f32 v[22:23], v[34:35], v[22:23] op_sel_hi:[0,1]
	v_pk_mul_f32 v[34:35], v[34:35], v[20:21] op_sel_hi:[0,1]
	v_cndmask_b32_e64 v20, v34, v35, s[12:13]
	v_cmp_eq_u32_e32 vcc, 2, v61
	v_cmp_eq_u32_e64 s[8:9], 0, v61
	v_cmp_le_i32_e64 s[14:15], s49, v63
	v_cndmask_b32_e32 v20, v20, v22, vcc
	v_cndmask_b32_e64 v20, v20, v23, s[6:7]
	ds_bpermute_b32 v33, v72, v20
	v_cmp_eq_u32_e64 s[10:11], 1, v62
	v_cmp_le_i32_e64 s[18:19], s49, v64
	v_cmp_eq_u32_e64 s[16:17], 3, v62
	s_waitcnt lgkmcnt(0)
	v_cndmask_b32_e64 v20, v23, v33, s[6:7]
	v_cndmask_b32_e64 v23, v34, v33, s[8:9]
	;; [unrolled: 1-line block ×3, first 2 shown]
	v_cndmask_b32_e32 v21, v22, v33, vcc
	v_cndmask_b32_e64 v22, v35, v33, s[12:13]
	v_pk_mul_f32 v[18:19], v[34:35], v[18:19] op_sel_hi:[0,1]
	v_pk_mul_f32 v[34:35], v[34:35], v[16:17] op_sel_hi:[0,1]
	v_cndmask_b32_e64 v16, v34, v35, s[12:13]
	v_cndmask_b32_e32 v16, v16, v18, vcc
	v_cndmask_b32_e64 v16, v16, v19, s[6:7]
	ds_bpermute_b32 v36, v72, v16
	v_cndmask_b32_e64 v33, v23, v22, s[10:11]
	v_cmp_eq_u32_e64 s[14:15], 2, v62
	s_waitcnt lgkmcnt(0)
	v_cndmask_b32_e64 v17, v19, v36, s[6:7]
	v_cndmask_b32_e64 v16, v33, v21, s[14:15]
	;; [unrolled: 1-line block ×5, first 2 shown]
	v_pk_mul_f32 v[14:15], v[34:35], v[14:15] op_sel_hi:[0,1]
	v_pk_mul_f32 v[34:35], v[34:35], v[12:13] op_sel_hi:[0,1]
	v_cndmask_b32_e64 v12, v34, v35, s[12:13]
	v_cndmask_b32_e32 v12, v12, v14, vcc
	v_cndmask_b32_e64 v12, v12, v15, s[6:7]
	v_cndmask_b32_e32 v18, v18, v36, vcc
	ds_bpermute_b32 v36, v72, v12
	v_cmp_le_i32_e64 s[18:19], s49, v65
	v_cndmask_b32_e64 v12, v33, v19, s[10:11]
	v_cndmask_b32_e64 v12, v12, v18, s[14:15]
	v_cndmask_b32_e64 v16, v16, v20, s[16:17]
	s_waitcnt lgkmcnt(0)
	v_cndmask_b32_e64 v13, v15, v36, s[6:7]
	v_cndmask_b32_e32 v14, v14, v36, vcc
	v_cndmask_b32_e64 v15, v35, v36, s[12:13]
	v_cndmask_b32_e64 v34, v34, v36, s[8:9]
	;; [unrolled: 1-line block ×3, first 2 shown]
	v_pk_mul_f32 v[38:39], v[36:37], v[8:9] op_sel_hi:[0,1]
	v_pk_mul_f32 v[10:11], v[36:37], v[10:11] op_sel_hi:[0,1]
	v_cndmask_b32_e64 v8, v38, v39, s[12:13]
	v_cndmask_b32_e32 v8, v8, v10, vcc
	v_cndmask_b32_e64 v8, v8, v11, s[6:7]
	ds_bpermute_b32 v35, v72, v8
	v_cmp_le_i32_e64 s[18:19], s49, v66
	v_cndmask_b32_e64 v8, v34, v15, s[10:11]
	v_cndmask_b32_e64 v8, v8, v14, s[14:15]
	;; [unrolled: 1-line block ×3, first 2 shown]
	s_waitcnt lgkmcnt(0)
	v_cndmask_b32_e64 v37, v38, v35, s[8:9]
	v_cndmask_b32_e64 v38, 0, v74, s[18:19]
	v_pk_mul_f32 v[40:41], v[38:39], v[4:5] op_sel_hi:[0,1]
	v_pk_mul_f32 v[6:7], v[38:39], v[6:7] op_sel_hi:[0,1]
	v_cndmask_b32_e64 v4, v40, v41, s[12:13]
	v_cndmask_b32_e32 v4, v4, v6, vcc
	v_cndmask_b32_e64 v4, v4, v7, s[6:7]
	v_cndmask_b32_e64 v9, v11, v35, s[6:7]
	ds_bpermute_b32 v11, v72, v4
	v_cmp_le_i32_e64 s[18:19], s49, v67
	v_cndmask_b32_e64 v36, v39, v35, s[12:13]
	v_cndmask_b32_e32 v10, v10, v35, vcc
	v_cndmask_b32_e64 v4, v37, v36, s[10:11]
	s_waitcnt lgkmcnt(0)
	v_cndmask_b32_e64 v39, v40, v11, s[8:9]
	v_cndmask_b32_e64 v40, 0, v74, s[18:19]
	;; [unrolled: 1-line block ×3, first 2 shown]
	v_pk_mul_f32 v[42:43], v[40:41], v[2:3] op_sel_hi:[0,1]
	v_pk_mul_f32 v[40:41], v[40:41], v[0:1] op_sel_hi:[0,1]
	v_cndmask_b32_e64 v0, v40, v41, s[12:13]
	v_cndmask_b32_e32 v0, v0, v42, vcc
	v_cndmask_b32_e64 v0, v0, v43, s[6:7]
	ds_bpermute_b32 v1, v72, v0
	v_cndmask_b32_e32 v6, v6, v11, vcc
	v_cndmask_b32_e64 v0, v39, v38, s[10:11]
	v_cndmask_b32_e64 v5, v7, v11, s[6:7]
	;; [unrolled: 1-line block ×4, first 2 shown]
	s_waitcnt lgkmcnt(0)
	v_cndmask_b32_e32 v7, v42, v1, vcc
	v_cmp_ne_u32_e32 vcc, 0, v61
	ds_bpermute_b32 v2, v72, v0
	v_cndmask_b32_e64 v3, v43, v1, s[6:7]
	v_cndmask_b32_e32 v0, v41, v1, vcc
	v_cndmask_b32_e64 v1, v40, v1, s[8:9]
	v_cndmask_b32_e64 v11, v1, v0, s[10:11]
	;; [unrolled: 1-line block ×7, first 2 shown]
	ds_bpermute_b32 v16, v72, v16
	ds_bpermute_b32 v12, v72, v12
	;; [unrolled: 1-line block ×5, first 2 shown]
	s_max_i32 s6, s70, 0
	v_add_u32_e32 v35, s6, v60
	v_cmp_gt_u32_e32 vcc, 16, v35
	s_and_saveexec_b64 s[12:13], vcc
	s_cbranch_execz .LBB132_38
; %bb.36:                               ;   in Loop: Header=BB132_7 Depth=1
	v_cmp_eq_u32_e64 s[8:9], 1, v62
	v_cmp_eq_u32_e64 s[10:11], 0, v62
	v_cmp_eq_u32_e32 vcc, 3, v62
	s_waitcnt lgkmcnt(4)
	v_cndmask_b32_e64 v22, v22, v16, s[8:9]
	s_waitcnt lgkmcnt(3)
	v_cndmask_b32_e64 v19, v19, v12, s[8:9]
	;; [unrolled: 2-line block ×4, first 2 shown]
	v_cndmask_b32_e64 v38, v38, v2, s[8:9]
	s_waitcnt lgkmcnt(0)
	v_cndmask_b32_e64 v40, v0, v11, s[8:9]
	s_mul_i32 s8, s68, s21
	s_ashr_i32 s9, s8, 31
	s_lshl_b64 s[8:9], s[8:9], 1
	v_cndmask_b32_e64 v23, v23, v16, s[10:11]
	v_cndmask_b32_e64 v33, v33, v12, s[10:11]
	;; [unrolled: 1-line block ×6, first 2 shown]
	s_add_u32 s10, s40, s8
	s_addc_u32 s11, s41, s9
	s_ashr_i32 s49, s48, 31
	v_cvt_f16_f32_e32 v23, v23
	v_cvt_f16_f32_sdwa v22, v22 dst_sel:WORD_1 dst_unused:UNUSED_PAD src0_sel:DWORD
	v_cvt_f16_f32_e32 v33, v33
	v_cvt_f16_f32_sdwa v19, v19 dst_sel:WORD_1 dst_unused:UNUSED_PAD src0_sel:DWORD
	s_lshl_b64 s[8:9], s[48:49], 1
	s_add_u32 s8, s10, s8
	s_addc_u32 s9, s11, s9
	v_lshl_add_u64 v[0:1], v[26:27], 1, s[8:9]
	v_or_b32_e32 v22, v22, v23
	v_or_b32_e32 v19, v19, v33
	;;#ASMSTART
	global_atomic_pk_add_f16 v[0:1], v22, off
	
	;;#ASMEND
	v_lshl_add_u64 v[22:23], v[0:1], 0, 32
	;;#ASMSTART
	global_atomic_pk_add_f16 v[22:23], v19, off
	
	;;#ASMEND
	v_cvt_f16_f32_e32 v19, v34
	v_cvt_f16_f32_sdwa v15, v15 dst_sel:WORD_1 dst_unused:UNUSED_PAD src0_sel:DWORD
	v_cvt_f16_f32_e32 v33, v37
	v_cvt_f16_f32_sdwa v34, v36 dst_sel:WORD_1 dst_unused:UNUSED_PAD src0_sel:DWORD
	v_lshl_add_u64 v[22:23], v[0:1], 0, 64
	v_or_b32_e32 v15, v15, v19
	;;#ASMSTART
	global_atomic_pk_add_f16 v[22:23], v15, off
	
	;;#ASMEND
	v_or_b32_e32 v15, v34, v33
	v_lshl_add_u64 v[22:23], v[0:1], 0, s[30:31]
	;;#ASMSTART
	global_atomic_pk_add_f16 v[22:23], v15, off
	
	;;#ASMEND
	v_cvt_f16_f32_e32 v15, v39
	v_cvt_f16_f32_sdwa v19, v38 dst_sel:WORD_1 dst_unused:UNUSED_PAD src0_sel:DWORD
	v_cvt_f16_f32_e32 v33, v41
	v_cvt_f16_f32_sdwa v34, v40 dst_sel:WORD_1 dst_unused:UNUSED_PAD src0_sel:DWORD
	v_cmp_eq_u32_e64 s[6:7], 2, v62
	v_lshl_add_u64 v[22:23], v[0:1], 0, s[34:35]
	v_or_b32_e32 v15, v19, v15
	v_cmp_gt_u32_e64 s[8:9], 14, v35
	;;#ASMSTART
	global_atomic_pk_add_f16 v[22:23], v15, off
	
	;;#ASMEND
	v_lshl_add_u64 v[22:23], v[0:1], 0, s[44:45]
	v_or_b32_e32 v15, v34, v33
	;;#ASMSTART
	global_atomic_pk_add_f16 v[22:23], v15, off
	
	;;#ASMEND
	s_and_b64 exec, exec, s[8:9]
	s_cbranch_execz .LBB132_38
; %bb.37:                               ;   in Loop: Header=BB132_7 Depth=1
	v_cndmask_b32_e32 v15, v20, v16, vcc
	v_cndmask_b32_e64 v16, v21, v16, s[6:7]
	v_cndmask_b32_e32 v17, v17, v12, vcc
	v_cndmask_b32_e64 v12, v18, v12, s[6:7]
	;; [unrolled: 2-line block ×5, first 2 shown]
	v_cvt_f16_f32_e32 v2, v16
	v_cvt_f16_f32_sdwa v3, v15 dst_sel:WORD_1 dst_unused:UNUSED_PAD src0_sel:DWORD
	v_cvt_f16_f32_e32 v11, v12
	v_cvt_f16_f32_sdwa v12, v17 dst_sel:WORD_1 dst_unused:UNUSED_PAD src0_sel:DWORD
	v_cndmask_b32_e32 v13, v13, v8, vcc
	v_cndmask_b32_e64 v8, v14, v8, s[6:7]
	v_lshl_add_u64 v[0:1], s[28:29], 2, v[0:1]
	v_or_b32_e32 v2, v3, v2
	v_or_b32_e32 v11, v12, v11
	v_cvt_f16_f32_e32 v4, v4
	v_cvt_f16_f32_sdwa v9, v9 dst_sel:WORD_1 dst_unused:UNUSED_PAD src0_sel:DWORD
	;;#ASMSTART
	global_atomic_pk_add_f16 v[0:1], v2, off
	
	;;#ASMEND
	v_lshl_add_u64 v[2:3], v[0:1], 0, 32
	;;#ASMSTART
	global_atomic_pk_add_f16 v[2:3], v11, off
	
	;;#ASMEND
	v_cvt_f16_f32_e32 v8, v8
	v_cvt_f16_f32_sdwa v11, v13 dst_sel:WORD_1 dst_unused:UNUSED_PAD src0_sel:DWORD
	v_lshl_add_u64 v[2:3], v[0:1], 0, 64
	v_or_b32_e32 v4, v9, v4
	v_cvt_f16_f32_sdwa v5, v5 dst_sel:WORD_1 dst_unused:UNUSED_PAD src0_sel:DWORD
	v_or_b32_e32 v8, v11, v8
	;;#ASMSTART
	global_atomic_pk_add_f16 v[2:3], v8, off
	
	;;#ASMEND
	v_lshl_add_u64 v[2:3], v[0:1], 0, s[30:31]
	;;#ASMSTART
	global_atomic_pk_add_f16 v[2:3], v4, off
	
	;;#ASMEND
	v_cvt_f16_f32_e32 v4, v6
	v_cvt_f16_f32_e32 v6, v7
	v_cvt_f16_f32_sdwa v7, v10 dst_sel:WORD_1 dst_unused:UNUSED_PAD src0_sel:DWORD
	v_lshl_add_u64 v[2:3], v[0:1], 0, s[34:35]
	v_or_b32_e32 v4, v5, v4
	;;#ASMSTART
	global_atomic_pk_add_f16 v[2:3], v4, off
	
	;;#ASMEND
	v_lshl_add_u64 v[0:1], v[0:1], 0, s[44:45]
	v_or_b32_e32 v2, v7, v6
	;;#ASMSTART
	global_atomic_pk_add_f16 v[0:1], v2, off
	
	;;#ASMEND
.LBB132_38:                             ;   in Loop: Header=BB132_7 Depth=1
	s_or_b64 exec, exec, s[12:13]
	v_subrev_u32_e32 v73, s67, v73
.LBB132_39:                             ;   in Loop: Header=BB132_7 Depth=1
	s_or_b64 exec, exec, s[52:53]
.LBB132_40:                             ;   in Loop: Header=BB132_7 Depth=1
	s_andn2_saveexec_b64 s[6:7], s[50:51]
	s_cbranch_execz .LBB132_49
; %bb.41:                               ;   in Loop: Header=BB132_7 Depth=1
	s_mul_i32 s16, s67, 6
	v_cmp_gt_i32_e32 vcc, s16, v73
	s_and_saveexec_b64 s[8:9], vcc
	s_cbranch_execz .LBB132_48
; %bb.42:                               ;   in Loop: Header=BB132_7 Depth=1
	s_mul_i32 s10, s48, s23
	s_ashr_i32 s11, s10, 31
	s_waitcnt lgkmcnt(0)
	s_add_u32 s10, s38, s10
	s_addc_u32 s11, s39, s11
	s_ashr_i32 s12, s69, 31
	s_add_u32 s10, s10, s69
	s_addc_u32 s11, s11, s12
	v_lshl_add_u64 v[0:1], s[10:11], 0, v[30:31]
	v_lshl_add_u64 v[16:17], v[0:1], 0, v[28:29]
	s_mov_b64 s[10:11], 0
	s_branch .LBB132_44
.LBB132_43:                             ;   in Loop: Header=BB132_44 Depth=2
	s_or_b64 exec, exec, s[12:13]
	v_lshl_or_b32 v20, v18, 12, v68
	;;#ASMSTART
	s_waitcnt vmcnt(3)
	;;#ASMEND
	ds_write2_b32 v20, v12, v13 offset1:32
	ds_write2_b32 v20, v14, v15 offset0:64 offset1:96
	v_add_u32_e32 v12, 0x400, v20
	;;#ASMSTART
	s_waitcnt vmcnt(2)
	;;#ASMEND
	ds_write2_b32 v12, v8, v9 offset1:32
	ds_write2_b32 v12, v10, v11 offset0:64 offset1:96
	v_add_u32_e32 v8, 0x800, v20
	;;#ASMSTART
	s_waitcnt vmcnt(1)
	;;#ASMEND
	ds_write2_b32 v8, v4, v5 offset1:32
	ds_write2_b32 v8, v6, v7 offset0:64 offset1:96
	v_add_u32_e32 v4, 0xc00, v20
	v_add_u32_e32 v73, s26, v73
	;;#ASMSTART
	s_waitcnt vmcnt(0)
	;;#ASMEND
	ds_write2_b32 v4, v0, v1 offset1:32
	ds_write2_b32 v4, v2, v3 offset0:64 offset1:96
	v_add_u32_e32 v0, 1, v58
	v_add_u32_e32 v32, s26, v18
	v_cmp_le_i32_e32 vcc, s16, v73
	ds_write_b32 v19, v0 offset:4
	v_add_u32_e32 v0, 2, v58
	s_or_b64 s[10:11], vcc, s[10:11]
	v_cmp_lt_i32_e32 vcc, 5, v32
	s_nop 1
	v_cndmask_b32_e32 v58, v58, v0, vcc
	s_andn2_b64 exec, exec, s[10:11]
	s_cbranch_execz .LBB132_47
.LBB132_44:                             ;   Parent Loop BB132_7 Depth=1
                                        ; =>  This Loop Header: Depth=2
                                        ;       Child Loop BB132_46 Depth 3
	v_cmp_gt_i32_e32 vcc, 6, v32
	s_nop 1
	v_cndmask_b32_e64 v0, -6, 0, vcc
	v_add_u32_e32 v18, v0, v32
	v_mul_hi_i32 v0, v73, s56
	v_lshrrev_b32_e32 v1, 31, v0
	v_add_u32_e32 v0, v0, v1
	v_mul_lo_u32 v1, v0, 6
	v_sub_u32_e32 v2, v73, v1
	v_lshlrev_b32_e32 v0, 8, v0
	v_ashrrev_i32_e32 v1, 31, v0
	v_mul_lo_u32 v2, s61, v2
	v_lshl_add_u64 v[0:1], v[16:17], 0, v[0:1]
	v_ashrrev_i32_e32 v3, 31, v2
	v_lshl_add_u64 v[0:1], v[0:1], 0, v[2:3]
	v_lshlrev_b32_e32 v19, 2, v18
	;;#ASMSTART
	global_load_dwordx4 v[12:15], v[0:1], off offset:0    sc0 sc1 nt  
	global_load_dwordx4 v[8:11], v[0:1], off offset:64   sc0 sc1 nt  
	global_load_dwordx4 v[4:7], v[0:1], off offset:128  sc0 sc1 nt  
	global_load_dwordx4 v[0:3], v[0:1], off offset:192  sc0 sc1 nt  
	
	;;#ASMEND
	ds_read_b32 v20, v19 offset:28676
	v_add_u32_e32 v19, 0x7000, v19
	s_waitcnt lgkmcnt(0)
	v_cmp_ne_u32_e32 vcc, v20, v58
	s_and_saveexec_b64 s[12:13], vcc
	s_cbranch_execz .LBB132_43
; %bb.45:                               ;   in Loop: Header=BB132_44 Depth=2
	s_mov_b64 s[14:15], 0
.LBB132_46:                             ;   Parent Loop BB132_7 Depth=1
                                        ;     Parent Loop BB132_44 Depth=2
                                        ; =>    This Inner Loop Header: Depth=3
	;;#ASMSTART
	s_sleep 0
	;;#ASMEND
	ds_read_b32 v20, v19 offset:4
	s_waitcnt lgkmcnt(0)
	v_cmp_eq_u32_e32 vcc, v20, v58
	s_or_b64 s[14:15], vcc, s[14:15]
	s_andn2_b64 exec, exec, s[14:15]
	s_cbranch_execnz .LBB132_46
	s_branch .LBB132_43
.LBB132_47:                             ;   in Loop: Header=BB132_7 Depth=1
	s_or_b64 exec, exec, s[10:11]
.LBB132_48:                             ;   in Loop: Header=BB132_7 Depth=1
	s_or_b64 exec, exec, s[8:9]
	v_subrev_u32_e32 v73, s16, v73
.LBB132_49:                             ;   in Loop: Header=BB132_7 Depth=1
	s_or_b64 exec, exec, s[6:7]
.LBB132_50:                             ;   in Loop: Header=BB132_7 Depth=1
	s_andn2_saveexec_b64 s[6:7], s[46:47]
	s_cbranch_execz .LBB132_6
; %bb.51:                               ;   in Loop: Header=BB132_7 Depth=1
	v_cmp_gt_i32_e32 vcc, s67, v73
	s_and_saveexec_b64 s[8:9], vcc
	s_cbranch_execz .LBB132_5
; %bb.52:                               ;   in Loop: Header=BB132_7 Depth=1
	s_mul_i32 s68, s68, s22
	s_ashr_i32 s10, s68, 31
	s_waitcnt lgkmcnt(0)
	s_add_u32 s11, s36, s68
	s_addc_u32 s12, s37, s10
	s_ashr_i32 s13, s69, 31
	v_cmp_le_i32_e32 vcc, s70, v69
	s_add_u32 s10, s11, s69
	s_addc_u32 s11, s12, s13
	v_cndmask_b32_e32 v0, 0, v70, vcc
	v_ashrrev_i32_e32 v1, 31, v0
	v_lshl_add_u64 v[0:1], s[10:11], 0, v[0:1]
	v_lshl_add_u64 v[16:17], v[0:1], 0, v[28:29]
	s_mov_b64 s[10:11], 0
	s_branch .LBB132_54
.LBB132_53:                             ;   in Loop: Header=BB132_54 Depth=2
	s_or_b64 exec, exec, s[12:13]
	v_lshl_add_u32 v20, v18, 12, v71
	;;#ASMSTART
	s_waitcnt vmcnt(3)
	;;#ASMEND
	ds_write2_b32 v20, v12, v13 offset1:32
	ds_write2_b32 v20, v14, v15 offset0:64 offset1:96
	v_add_u32_e32 v12, 0x400, v20
	;;#ASMSTART
	s_waitcnt vmcnt(2)
	;;#ASMEND
	ds_write2_b32 v12, v8, v9 offset1:32
	ds_write2_b32 v12, v10, v11 offset0:64 offset1:96
	v_add_u32_e32 v8, 0x800, v20
	;; [unrolled: 6-line block ×3, first 2 shown]
	v_add_u32_e32 v73, s25, v73
	;;#ASMSTART
	s_waitcnt vmcnt(0)
	;;#ASMEND
	ds_write2_b32 v4, v0, v1 offset1:32
	ds_write2_b32 v4, v2, v3 offset0:64 offset1:96
	v_add_u32_e32 v0, 1, v58
	v_add_u32_e32 v32, s25, v18
	v_cmp_le_i32_e32 vcc, s67, v73
	ds_write_b32 v19, v0
	v_add_u32_e32 v0, 2, v58
	s_or_b64 s[10:11], vcc, s[10:11]
	v_cmp_lt_i32_e32 vcc, 0, v32
	s_nop 1
	v_cndmask_b32_e32 v58, v58, v0, vcc
	s_andn2_b64 exec, exec, s[10:11]
	s_cbranch_execz .LBB132_4
.LBB132_54:                             ;   Parent Loop BB132_7 Depth=1
                                        ; =>  This Loop Header: Depth=2
                                        ;       Child Loop BB132_56 Depth 3
	v_cmp_lt_i32_e32 vcc, 0, v32
	v_lshlrev_b32_e32 v0, 8, v73
	v_ashrrev_i32_e32 v1, 31, v0
	v_subbrev_co_u32_e32 v18, vcc, 0, v32, vcc
	v_lshl_add_u64 v[0:1], v[16:17], 0, v[0:1]
	v_lshlrev_b32_e32 v19, 2, v18
	;;#ASMSTART
	global_load_dwordx4 v[12:15], v[0:1], off offset:0    
	global_load_dwordx4 v[8:11], v[0:1], off offset:64   
	;; [unrolled: 1-line block ×4, first 2 shown]
	
	;;#ASMEND
	ds_read_b32 v20, v19 offset:28672
	v_add_u32_e32 v19, 0x7000, v19
	s_waitcnt lgkmcnt(0)
	v_cmp_ne_u32_e32 vcc, v20, v58
	s_and_saveexec_b64 s[12:13], vcc
	s_cbranch_execz .LBB132_53
; %bb.55:                               ;   in Loop: Header=BB132_54 Depth=2
	s_mov_b64 s[14:15], 0
.LBB132_56:                             ;   Parent Loop BB132_7 Depth=1
                                        ;     Parent Loop BB132_54 Depth=2
                                        ; =>    This Inner Loop Header: Depth=3
	;;#ASMSTART
	s_sleep 0
	;;#ASMEND
	ds_read_b32 v20, v19
	s_waitcnt lgkmcnt(0)
	v_cmp_eq_u32_e32 vcc, v20, v58
	s_or_b64 s[14:15], vcc, s[14:15]
	s_andn2_b64 exec, exec, s[14:15]
	s_cbranch_execnz .LBB132_56
	s_branch .LBB132_53
.LBB132_57:
	s_endpgm
	.section	.rodata,"a",@progbits
	.p2align	6, 0x0
	.amdhsa_kernel _Z19_skinny_gemm_kernelILi1ELi6ELi1ELi16ELi8EEvPKhS1_P6__halfPKfiiiiiiii
		.amdhsa_group_segment_fixed_size 28700
		.amdhsa_private_segment_fixed_size 0
		.amdhsa_kernarg_size 64
		.amdhsa_user_sgpr_count 2
		.amdhsa_user_sgpr_dispatch_ptr 0
		.amdhsa_user_sgpr_queue_ptr 0
		.amdhsa_user_sgpr_kernarg_segment_ptr 1
		.amdhsa_user_sgpr_dispatch_id 0
		.amdhsa_user_sgpr_kernarg_preload_length 0
		.amdhsa_user_sgpr_kernarg_preload_offset 0
		.amdhsa_user_sgpr_private_segment_size 0
		.amdhsa_uses_dynamic_stack 0
		.amdhsa_enable_private_segment 0
		.amdhsa_system_sgpr_workgroup_id_x 1
		.amdhsa_system_sgpr_workgroup_id_y 0
		.amdhsa_system_sgpr_workgroup_id_z 0
		.amdhsa_system_sgpr_workgroup_info 0
		.amdhsa_system_vgpr_workitem_id 0
		.amdhsa_next_free_vgpr 81
		.amdhsa_next_free_sgpr 71
		.amdhsa_accum_offset 84
		.amdhsa_reserve_vcc 1
		.amdhsa_float_round_mode_32 0
		.amdhsa_float_round_mode_16_64 0
		.amdhsa_float_denorm_mode_32 3
		.amdhsa_float_denorm_mode_16_64 3
		.amdhsa_dx10_clamp 1
		.amdhsa_ieee_mode 1
		.amdhsa_fp16_overflow 0
		.amdhsa_tg_split 0
		.amdhsa_exception_fp_ieee_invalid_op 0
		.amdhsa_exception_fp_denorm_src 0
		.amdhsa_exception_fp_ieee_div_zero 0
		.amdhsa_exception_fp_ieee_overflow 0
		.amdhsa_exception_fp_ieee_underflow 0
		.amdhsa_exception_fp_ieee_inexact 0
		.amdhsa_exception_int_div_zero 0
	.end_amdhsa_kernel
	.section	.text._Z19_skinny_gemm_kernelILi1ELi6ELi1ELi16ELi8EEvPKhS1_P6__halfPKfiiiiiiii,"axG",@progbits,_Z19_skinny_gemm_kernelILi1ELi6ELi1ELi16ELi8EEvPKhS1_P6__halfPKfiiiiiiii,comdat
.Lfunc_end132:
	.size	_Z19_skinny_gemm_kernelILi1ELi6ELi1ELi16ELi8EEvPKhS1_P6__halfPKfiiiiiiii, .Lfunc_end132-_Z19_skinny_gemm_kernelILi1ELi6ELi1ELi16ELi8EEvPKhS1_P6__halfPKfiiiiiiii
                                        ; -- End function
	.set _Z19_skinny_gemm_kernelILi1ELi6ELi1ELi16ELi8EEvPKhS1_P6__halfPKfiiiiiiii.num_vgpr, 81
	.set _Z19_skinny_gemm_kernelILi1ELi6ELi1ELi16ELi8EEvPKhS1_P6__halfPKfiiiiiiii.num_agpr, 0
	.set _Z19_skinny_gemm_kernelILi1ELi6ELi1ELi16ELi8EEvPKhS1_P6__halfPKfiiiiiiii.numbered_sgpr, 71
	.set _Z19_skinny_gemm_kernelILi1ELi6ELi1ELi16ELi8EEvPKhS1_P6__halfPKfiiiiiiii.num_named_barrier, 0
	.set _Z19_skinny_gemm_kernelILi1ELi6ELi1ELi16ELi8EEvPKhS1_P6__halfPKfiiiiiiii.private_seg_size, 0
	.set _Z19_skinny_gemm_kernelILi1ELi6ELi1ELi16ELi8EEvPKhS1_P6__halfPKfiiiiiiii.uses_vcc, 1
	.set _Z19_skinny_gemm_kernelILi1ELi6ELi1ELi16ELi8EEvPKhS1_P6__halfPKfiiiiiiii.uses_flat_scratch, 0
	.set _Z19_skinny_gemm_kernelILi1ELi6ELi1ELi16ELi8EEvPKhS1_P6__halfPKfiiiiiiii.has_dyn_sized_stack, 0
	.set _Z19_skinny_gemm_kernelILi1ELi6ELi1ELi16ELi8EEvPKhS1_P6__halfPKfiiiiiiii.has_recursion, 0
	.set _Z19_skinny_gemm_kernelILi1ELi6ELi1ELi16ELi8EEvPKhS1_P6__halfPKfiiiiiiii.has_indirect_call, 0
	.section	.AMDGPU.csdata,"",@progbits
; Kernel info:
; codeLenInByte = 5848
; TotalNumSgprs: 77
; NumVgprs: 81
; NumAgprs: 0
; TotalNumVgprs: 81
; ScratchSize: 0
; MemoryBound: 0
; FloatMode: 240
; IeeeMode: 1
; LDSByteSize: 28700 bytes/workgroup (compile time only)
; SGPRBlocks: 9
; VGPRBlocks: 10
; NumSGPRsForWavesPerEU: 77
; NumVGPRsForWavesPerEU: 81
; AccumOffset: 84
; Occupancy: 5
; WaveLimiterHint : 0
; COMPUTE_PGM_RSRC2:SCRATCH_EN: 0
; COMPUTE_PGM_RSRC2:USER_SGPR: 2
; COMPUTE_PGM_RSRC2:TRAP_HANDLER: 0
; COMPUTE_PGM_RSRC2:TGID_X_EN: 1
; COMPUTE_PGM_RSRC2:TGID_Y_EN: 0
; COMPUTE_PGM_RSRC2:TGID_Z_EN: 0
; COMPUTE_PGM_RSRC2:TIDIG_COMP_CNT: 0
; COMPUTE_PGM_RSRC3_GFX90A:ACCUM_OFFSET: 20
; COMPUTE_PGM_RSRC3_GFX90A:TG_SPLIT: 0
	.section	.text._Z19_skinny_gemm_kernelILi1ELi6ELi1ELi32ELi4EEvPKhS1_P6__halfPKfiiiiiiii,"axG",@progbits,_Z19_skinny_gemm_kernelILi1ELi6ELi1ELi32ELi4EEvPKhS1_P6__halfPKfiiiiiiii,comdat
	.protected	_Z19_skinny_gemm_kernelILi1ELi6ELi1ELi32ELi4EEvPKhS1_P6__halfPKfiiiiiiii ; -- Begin function _Z19_skinny_gemm_kernelILi1ELi6ELi1ELi32ELi4EEvPKhS1_P6__halfPKfiiiiiiii
	.globl	_Z19_skinny_gemm_kernelILi1ELi6ELi1ELi32ELi4EEvPKhS1_P6__halfPKfiiiiiiii
	.p2align	8
	.type	_Z19_skinny_gemm_kernelILi1ELi6ELi1ELi32ELi4EEvPKhS1_P6__halfPKfiiiiiiii,@function
_Z19_skinny_gemm_kernelILi1ELi6ELi1ELi32ELi4EEvPKhS1_P6__halfPKfiiiiiiii: ; @_Z19_skinny_gemm_kernelILi1ELi6ELi1ELi32ELi4EEvPKhS1_P6__halfPKfiiiiiiii
; %bb.0:
	v_cmp_gt_u32_e32 vcc, 7, v0
	s_and_saveexec_b64 s[4:5], vcc
; %bb.1:
	v_lshlrev_b32_e32 v1, 2, v0
	v_mov_b32_e32 v2, 0
	ds_write_b32 v1, v2 offset:14336
; %bb.2:
	s_or_b64 exec, exec, s[4:5]
	s_load_dwordx8 s[88:95], s[0:1], 0x20
	s_waitcnt lgkmcnt(0)
	s_barrier
	s_add_i32 s3, s88, 31
	s_ashr_i32 s5, s3, 31
	s_add_i32 s4, s89, 0xbf
	s_lshr_b32 s5, s5, 27
	s_mul_hi_i32 s4, s4, 0x2aaaaaab
	s_add_i32 s3, s3, s5
	s_ashr_i32 s11, s3, 5
	s_lshr_b32 s3, s4, 31
	s_ashr_i32 s4, s4, 5
	s_add_i32 s12, s4, s3
	s_mul_i32 s3, s12, s11
	s_mul_i32 s3, s3, s92
	s_add_i32 s4, s3, 0x12f
	s_mul_hi_i32 s4, s4, 0x6bca1af3
	s_lshr_b32 s5, s4, 31
	s_ashr_i32 s4, s4, 7
	s_add_i32 s4, s4, s5
	s_add_i32 s5, s2, 1
	s_mul_i32 s5, s4, s5
	v_cvt_f64_i32_e32 v[2:3], s3
	v_cvt_f64_u32_e32 v[4:5], s5
	v_min_f64 v[2:3], v[2:3], v[4:5]
	v_cvt_i32_f64_e32 v13, v[2:3]
	s_mul_i32 s33, s4, s2
	v_cmp_ge_i32_e32 vcc, s33, v13
	s_cbranch_vccnz .LBB133_58
; %bb.3:
	s_load_dwordx8 s[52:59], s[0:1], 0x0
	v_lshrrev_b32_e32 v1, 6, v0
	s_add_i32 s0, s94, s93
	v_cmp_le_i32_e64 s[14:15], s0, v1
	v_mov_b32_e32 v2, s93
	v_cmp_le_i32_e64 s[24:25], s93, v1
	v_mov_b32_e32 v3, s94
	v_cndmask_b32_e64 v3, 0, v3, s[14:15]
	v_cndmask_b32_e64 v2, 0, v2, s[24:25]
	s_abs_i32 s1, s92
	v_add_u32_e32 v2, v2, v3
	v_cvt_f32_u32_e32 v3, s1
	v_sub_u32_e32 v104, v1, v2
	s_ashr_i32 s2, s90, 31
	s_lshr_b32 s2, s2, 26
	v_rcp_iflag_f32_e32 v2, v3
	s_sub_i32 s5, 0, s1
	s_add_i32 s2, s90, s2
	s_ashr_i32 s2, s2, 6
	v_mul_f32_e32 v2, 0x4f7ffffe, v2
	v_cvt_u32_f32_e32 v2, v2
	s_abs_i32 s4, s2
	s_xor_b32 s3, s2, s92
	s_ashr_i32 s3, s3, 31
	v_readfirstlane_b32 s6, v2
	s_mul_i32 s5, s5, s6
	s_mul_hi_u32 s5, s6, s5
	s_add_i32 s6, s6, s5
	s_mul_hi_u32 s5, s4, s6
	s_mul_i32 s6, s5, s1
	s_sub_i32 s4, s4, s6
	s_add_i32 s6, s5, 1
	s_sub_i32 s7, s4, s1
	s_cmp_ge_u32 s4, s1
	s_cselect_b32 s5, s6, s5
	s_cselect_b32 s4, s7, s4
	s_add_i32 s6, s5, 1
	s_cmp_ge_u32 s4, s1
	s_cselect_b32 s1, s6, s5
	s_add_i32 s0, s0, s95
	v_and_b32_e32 v120, 31, v0
	v_lshrrev_b32_e32 v2, 3, v0
	v_cmp_gt_i32_e64 s[28:29], s0, v1
	v_lshlrev_b32_e32 v1, 2, v120
	v_and_b32_e32 v3, 4, v2
	v_lshlrev_b32_e32 v2, 6, v3
	v_or_b32_e32 v4, 0x3000, v1
	v_and_b32_e32 v5, 1, v0
	v_or_b32_e32 v115, v4, v2
	v_or_b32_e32 v116, v1, v2
	v_lshlrev_b32_e32 v2, 1, v5
	v_sub_u32_e32 v2, v0, v2
	v_mul_lo_u32 v8, s91, v120
	v_add_u32_e32 v2, 1, v2
	v_ashrrev_i32_e32 v9, 31, v8
	s_abs_i32 s30, s11
                                        ; implicit-def: $vgpr127 : SGPR spill to VGPR lane
	v_and_b32_e32 v6, 63, v2
	v_bitop3_b32 v2, v0, 1, v0 bitop3:0xc
	scratch_store_dwordx2 off, v[8:9], off offset:92 ; 8-byte Folded Spill
	v_cvt_f32_u32_e32 v8, s30
	v_writelane_b32 v127, s11, 0
	scratch_store_dword off, v2, off offset:52 ; 4-byte Folded Spill
	v_bitop3_b32 v2, v0, 3, 1 bitop3:0x6c
	v_lshrrev_b32_e32 v7, 1, v0
	v_writelane_b32 v127, s12, 1
	scratch_store_dword off, v2, off offset:56 ; 4-byte Folded Spill
	v_bitop3_b32 v2, v0, 5, 1 bitop3:0x6c
	v_and_b32_e32 v14, 16, v7
	v_lshlrev_b32_e32 v7, 4, v0
	s_waitcnt lgkmcnt(0)
	v_writelane_b32 v127, s52, 2
	scratch_store_dword off, v2, off offset:60 ; 4-byte Folded Spill
	v_bitop3_b32 v2, v0, 7, 1 bitop3:0x6c
	v_and_b32_e32 v7, 0x200, v7
	v_writelane_b32 v127, s53, 3
	scratch_store_dword off, v2, off offset:64 ; 4-byte Folded Spill
	v_bitop3_b32 v2, v0, 9, 1 bitop3:0x6c
	v_or_b32_e32 v16, v1, v7
	v_rcp_iflag_f32_e32 v1, v8
	v_writelane_b32 v127, s54, 4
	scratch_store_dword off, v2, off offset:68 ; 4-byte Folded Spill
	v_bitop3_b32 v2, v0, 11, 1 bitop3:0x6c
	v_writelane_b32 v127, s55, 5
	scratch_store_dword off, v2, off offset:72 ; 4-byte Folded Spill
	v_bitop3_b32 v2, v0, 13, 1 bitop3:0x6c
	;; [unrolled: 3-line block ×3, first 2 shown]
	s_abs_i32 s34, s12
	v_writelane_b32 v127, s57, 7
	scratch_store_dword off, v2, off offset:80 ; 4-byte Folded Spill
	v_and_b32_e32 v2, 30, v0
	v_bitop3_b32 v17, v0, 31, v0 bitop3:0xc
	v_mul_f32_e32 v0, 0x4f7ffffe, v1
	v_cvt_f32_u32_e32 v1, s34
	v_writelane_b32 v127, s58, 8
	v_writelane_b32 v127, s59, 9
	v_cndmask_b32_e64 v111, 0, 1, s[14:15]
	v_writelane_b32 v127, s14, 10
	s_xor_b32 s1, s1, s3
	v_cvt_u32_f32_e32 v0, v0
	v_writelane_b32 v127, s15, 11
	v_rcp_iflag_f32_e32 v1, v1
	v_writelane_b32 v127, s24, 12
	s_sub_i32 s13, s1, s3
	s_add_i32 s26, s92, -1
	v_writelane_b32 v127, s25, 13
	s_mul_i32 s1, s13, s26
	v_writelane_b32 v127, s13, 14
	s_sub_i32 s27, s2, s1
	v_writelane_b32 v127, s26, 15
	v_readfirstlane_b32 s1, v0
	v_mul_f32_e32 v0, 0x4f7ffffe, v1
	v_writelane_b32 v127, s27, 16
	v_cvt_u32_f32_e32 v0, v0
	v_writelane_b32 v127, s28, 17
	s_sub_i32 s0, 0, s30
	s_lshl_b32 s31, s91, 5
	v_writelane_b32 v127, s29, 18
	s_mul_i32 s0, s0, s1
	v_writelane_b32 v127, s30, 19
	s_mul_hi_u32 s0, s1, s0
	v_writelane_b32 v127, s31, 20
	s_ashr_i32 s35, s11, 31
	s_add_i32 s36, s1, s0
	s_sub_i32 s0, 0, s34
	v_readfirstlane_b32 s1, v0
	v_writelane_b32 v127, s34, 21
	s_mul_i32 s0, s0, s1
	v_mbcnt_lo_u32_b32 v0, -1, 0
	v_writelane_b32 v127, s35, 22
	s_ashr_i32 s37, s12, 31
	s_mul_hi_u32 s0, s1, s0
	v_mbcnt_hi_u32_b32 v0, -1, v0
	v_writelane_b32 v127, s36, 23
	v_mov_b32_e32 v123, 0
	s_add_i32 s38, s1, s0
	v_and_or_b32 v0, v0, 64, v6
	v_writelane_b32 v127, s37, 24
	v_mov_b32_e32 v15, v123
	v_or_b32_e32 v125, v4, v7
	v_lshlrev_b32_e32 v122, 1, v2
	v_lshlrev_b32_e32 v118, 2, v0
	v_mov_b32_e32 v101, v104
	v_writelane_b32 v127, s38, 25
	v_or_b32_e32 v100, v5, v3
	scratch_store_dword off, v13, off offset:36 ; 4-byte Folded Spill
	scratch_store_dword off, v120, off offset:40 ; 4-byte Folded Spill
	;; [unrolled: 1-line block ×4, first 2 shown]
	scratch_store_dwordx2 off, v[14:15], off offset:84 ; 8-byte Folded Spill
	scratch_store_dword off, v16, off offset:100 ; 4-byte Folded Spill
	scratch_store_dword off, v17, off offset:104 ; 4-byte Folded Spill
	;; [unrolled: 1-line block ×3, first 2 shown]
	s_branch .LBB133_7
.LBB133_4:                              ;   in Loop: Header=BB133_7 Depth=1
	s_or_b64 exec, exec, s[4:5]
.LBB133_5:                              ;   in Loop: Header=BB133_7 Depth=1
	s_or_b64 exec, exec, s[2:3]
	v_subrev_u32_e32 v101, s92, v101
.LBB133_6:                              ;   in Loop: Header=BB133_7 Depth=1
	s_or_b64 exec, exec, s[0:1]
	s_add_i32 s33, s33, 1
	s_waitcnt vmcnt(4)
	v_cmp_ge_i32_e32 vcc, s33, v13
	s_cbranch_vccnz .LBB133_58
.LBB133_7:                              ; =>This Loop Header: Depth=1
                                        ;     Child Loop BB133_13 Depth 2
                                        ;       Child Loop BB133_15 Depth 3
                                        ;       Child Loop BB133_18 Depth 3
                                        ;       Child Loop BB133_21 Depth 3
                                        ;       Child Loop BB133_24 Depth 3
                                        ;       Child Loop BB133_27 Depth 3
                                        ;       Child Loop BB133_30 Depth 3
                                        ;       Child Loop BB133_33 Depth 3
                                        ;     Child Loop BB133_37 Depth 2
                                        ;     Child Loop BB133_45 Depth 2
                                        ;       Child Loop BB133_47 Depth 3
                                        ;     Child Loop BB133_55 Depth 2
                                        ;       Child Loop BB133_57 Depth 3
	s_abs_i32 s1, s33
	s_mul_hi_u32 s2, s1, s36
	s_mul_i32 s3, s2, s30
	s_ashr_i32 s0, s33, 31
	s_sub_i32 s1, s1, s3
	s_xor_b32 s0, s0, s35
	s_add_i32 s3, s2, 1
	s_sub_i32 s4, s1, s30
	s_cmp_ge_u32 s1, s30
	s_cselect_b32 s2, s3, s2
	s_cselect_b32 s1, s4, s1
	s_add_i32 s3, s2, 1
	s_cmp_ge_u32 s1, s30
	s_cselect_b32 s1, s3, s2
	s_xor_b32 s1, s1, s0
	s_sub_i32 s0, s1, s0
	s_abs_i32 s2, s0
	s_mul_i32 s1, s0, s11
	s_mul_hi_u32 s3, s2, s38
	s_sub_i32 s1, s33, s1
	s_mul_i32 s4, s3, s34
	s_lshl_b32 s39, s1, 5
	s_ashr_i32 s1, s0, 31
	s_sub_i32 s2, s2, s4
	s_xor_b32 s1, s1, s37
	s_add_i32 s4, s3, 1
	s_sub_i32 s5, s2, s34
	s_cmp_ge_u32 s2, s34
	s_cselect_b32 s3, s4, s3
	s_cselect_b32 s2, s5, s2
	s_add_i32 s4, s3, 1
	s_cmp_ge_u32 s2, s34
	s_cselect_b32 s2, s4, s3
	s_xor_b32 s2, s2, s1
	s_sub_i32 s1, s2, s1
	s_mul_i32 s2, s1, s13
	s_lshl_b32 s41, s2, 6
	s_cmp_eq_u32 s1, s26
	s_cselect_b32 s92, s27, s13
	s_sub_i32 s2, s39, s88
	s_add_i32 s40, s2, 32
	s_and_saveexec_b64 s[2:3], s[24:25]
	s_xor_b64 s[42:43], exec, s[2:3]
	s_cbranch_execz .LBB133_51
; %bb.8:                                ;   in Loop: Header=BB133_7 Depth=1
	s_mul_i32 s1, s1, s12
	s_sub_i32 s0, s0, s1
	s_mulk_i32 s0, 0xc0
	s_sub_i32 s8, s0, s89
	s_addk_i32 s8, 0xc0
	s_max_i32 s1, s8, 0
	s_sub_i32 s44, s0, s1
	s_and_saveexec_b64 s[0:1], s[14:15]
	s_xor_b64 s[46:47], exec, s[0:1]
	s_cbranch_execz .LBB133_41
; %bb.9:                                ;   in Loop: Header=BB133_7 Depth=1
	s_and_saveexec_b64 s[48:49], s[28:29]
	s_cbranch_execz .LBB133_40
; %bb.10:                               ;   in Loop: Header=BB133_7 Depth=1
	global_load_dword v124, v123, s[58:59]
	v_mov_b32_e32 v95, 0
	v_cmp_gt_i32_e32 vcc, s92, v101
	v_mov_b32_e32 v94, v95
	v_mov_b32_e32 v93, v95
	;; [unrolled: 1-line block ×77, first 2 shown]
	s_waitcnt vmcnt(1)
	v_mov_b32_e32 v17, v95
	v_mov_b32_e32 v16, v95
	;; [unrolled: 1-line block ×18, first 2 shown]
	s_and_saveexec_b64 s[0:1], vcc
	s_cbranch_execz .LBB133_35
; %bb.11:                               ;   in Loop: Header=BB133_7 Depth=1
	v_mov_b32_e32 v0, 0
	s_mov_b64 s[2:3], 0
	v_mov_b32_e32 v1, v0
	v_mov_b32_e32 v2, v0
	;; [unrolled: 1-line block ×95, first 2 shown]
	s_branch .LBB133_13
.LBB133_12:                             ;   in Loop: Header=BB133_13 Depth=2
	s_or_b64 exec, exec, s[4:5]
	v_add_u32_e32 v110, 0x2800, v99
	ds_read2_b32 v[112:113], v110 offset1:32
	v_add_u32_e32 v99, 0x2c00, v99
	v_add_u32_e32 v101, s95, v101
	s_waitcnt lgkmcnt(0)
	v_mfma_f32_32x32x16_fp8_fp8 v[0:15], v[108:109], v[112:113], v[0:15]
	ds_read2_b32 v[108:109], v110 offset0:128 offset1:160
	s_waitcnt lgkmcnt(0)
	v_mfma_f32_32x32x16_fp8_fp8 v[0:15], v[106:107], v[108:109], v[0:15]
	ds_read2_b32 v[106:107], v99 offset1:32
	ds_read2_b32 v[108:109], v99 offset0:128 offset1:160
	ds_write_b32 v97, v98 offset:14380
	s_waitcnt lgkmcnt(2)
	v_mfma_f32_32x32x16_fp8_fp8 v[0:15], v[104:105], v[106:107], v[0:15]
	v_add_u32_e32 v104, s95, v96
	v_add_u32_e32 v96, 2, v111
	v_cmp_lt_i32_e32 vcc, 0, v104
	s_nop 1
	v_cndmask_b32_e32 v111, v111, v96, vcc
	v_cmp_le_i32_e32 vcc, s92, v101
	s_waitcnt lgkmcnt(1)
	v_mfma_f32_32x32x16_fp8_fp8 v[0:15], v[102:103], v[108:109], v[0:15]
	s_or_b64 s[2:3], vcc, s[2:3]
	s_andn2_b64 exec, exec, s[2:3]
	s_cbranch_execz .LBB133_34
.LBB133_13:                             ;   Parent Loop BB133_7 Depth=1
                                        ; =>  This Loop Header: Depth=2
                                        ;       Child Loop BB133_15 Depth 3
                                        ;       Child Loop BB133_18 Depth 3
	;; [unrolled: 1-line block ×7, first 2 shown]
	v_cmp_lt_i32_e32 vcc, 0, v104
	s_nop 1
	v_subbrev_co_u32_e32 v96, vcc, 0, v104, vcc
	v_mul_lo_u32 v97, v96, 48
	ds_read_b32 v98, v97 offset:14336
	s_waitcnt lgkmcnt(0)
	v_cmp_ne_u32_e32 vcc, v98, v111
	s_and_saveexec_b64 s[4:5], vcc
	s_cbranch_execz .LBB133_16
; %bb.14:                               ;   in Loop: Header=BB133_13 Depth=2
	s_mov_b64 s[6:7], 0
.LBB133_15:                             ;   Parent Loop BB133_7 Depth=1
                                        ;     Parent Loop BB133_13 Depth=2
                                        ; =>    This Inner Loop Header: Depth=3
	;;#ASMSTART
	s_sleep 0
	;;#ASMEND
	ds_read_b32 v98, v97 offset:14336
	s_waitcnt lgkmcnt(0)
	v_cmp_eq_u32_e32 vcc, v98, v111
	s_or_b64 s[6:7], vcc, s[6:7]
	s_andn2_b64 exec, exec, s[6:7]
	s_cbranch_execnz .LBB133_15
.LBB133_16:                             ;   in Loop: Header=BB133_13 Depth=2
	s_or_b64 exec, exec, s[4:5]
	v_lshl_add_u32 v98, v96, 11, v115
	ds_read2_b32 v[108:109], v98 offset1:32
	ds_read2_b32 v[106:107], v98 offset0:128 offset1:160
	v_add_u32_e32 v98, 0x400, v98
	ds_read2_b32 v[104:105], v98 offset1:32
	ds_read_b32 v99, v97 offset:14340
	ds_read2_b32 v[102:103], v98 offset0:128 offset1:160
	v_add_u32_e32 v98, 1, v111
	ds_write_b32 v97, v98 offset:14336
	s_waitcnt lgkmcnt(2)
	v_cmp_ne_u32_e32 vcc, v99, v111
	s_and_saveexec_b64 s[4:5], vcc
	s_cbranch_execz .LBB133_19
; %bb.17:                               ;   in Loop: Header=BB133_13 Depth=2
	s_mov_b64 s[6:7], 0
.LBB133_18:                             ;   Parent Loop BB133_7 Depth=1
                                        ;     Parent Loop BB133_13 Depth=2
                                        ; =>    This Inner Loop Header: Depth=3
	;;#ASMSTART
	s_sleep 0
	;;#ASMEND
	ds_read_b32 v99, v97 offset:14340
	s_waitcnt lgkmcnt(0)
	v_cmp_eq_u32_e32 vcc, v99, v111
	s_or_b64 s[6:7], vcc, s[6:7]
	s_andn2_b64 exec, exec, s[6:7]
	s_cbranch_execnz .LBB133_18
.LBB133_19:                             ;   in Loop: Header=BB133_13 Depth=2
	s_or_b64 exec, exec, s[4:5]
	s_movk_i32 s4, 0x3000
	v_mul_lo_u32 v99, v96, s4
	v_or_b32_e32 v110, v116, v99
	ds_read2_b32 v[112:113], v110 offset1:32
	ds_write_b32 v97, v98 offset:14340
	s_waitcnt lgkmcnt(1)
	v_mfma_f32_32x32x16_fp8_fp8 v[80:95], v[108:109], v[112:113], v[80:95]
	ds_read2_b32 v[112:113], v110 offset0:128 offset1:160
	v_add_u32_e32 v110, 0x400, v110
	s_waitcnt lgkmcnt(0)
	v_mfma_f32_32x32x16_fp8_fp8 v[80:95], v[106:107], v[112:113], v[80:95]
	ds_read2_b32 v[112:113], v110 offset1:32
	s_waitcnt lgkmcnt(0)
	v_mfma_f32_32x32x16_fp8_fp8 v[80:95], v[104:105], v[112:113], v[80:95]
	ds_read2_b32 v[112:113], v110 offset0:128 offset1:160
	ds_read_b32 v110, v97 offset:14348
	s_waitcnt lgkmcnt(0)
	v_cmp_ne_u32_e32 vcc, v110, v111
	v_mfma_f32_32x32x16_fp8_fp8 v[80:95], v[102:103], v[112:113], v[80:95]
	s_and_saveexec_b64 s[4:5], vcc
	s_cbranch_execz .LBB133_22
; %bb.20:                               ;   in Loop: Header=BB133_13 Depth=2
	s_mov_b64 s[6:7], 0
.LBB133_21:                             ;   Parent Loop BB133_7 Depth=1
                                        ;     Parent Loop BB133_13 Depth=2
                                        ; =>    This Inner Loop Header: Depth=3
	;;#ASMSTART
	s_sleep 0
	;;#ASMEND
	ds_read_b32 v110, v97 offset:14348
	s_waitcnt lgkmcnt(0)
	v_cmp_eq_u32_e32 vcc, v110, v111
	s_or_b64 s[6:7], vcc, s[6:7]
	s_andn2_b64 exec, exec, s[6:7]
	s_cbranch_execnz .LBB133_21
.LBB133_22:                             ;   in Loop: Header=BB133_13 Depth=2
	s_or_b64 exec, exec, s[4:5]
	v_add_u32_e32 v99, v116, v99
	v_add_u32_e32 v110, 0x800, v99
	ds_read2_b32 v[112:113], v110 offset1:32
	ds_write_b32 v97, v98 offset:14348
	s_waitcnt lgkmcnt(1)
	v_mfma_f32_32x32x16_fp8_fp8 v[64:79], v[108:109], v[112:113], v[64:79]
	ds_read2_b32 v[112:113], v110 offset0:128 offset1:160
	v_add_u32_e32 v110, 0xc00, v99
	s_waitcnt lgkmcnt(0)
	v_mfma_f32_32x32x16_fp8_fp8 v[64:79], v[106:107], v[112:113], v[64:79]
	ds_read2_b32 v[112:113], v110 offset1:32
	s_waitcnt lgkmcnt(0)
	v_mfma_f32_32x32x16_fp8_fp8 v[64:79], v[104:105], v[112:113], v[64:79]
	ds_read2_b32 v[112:113], v110 offset0:128 offset1:160
	ds_read_b32 v110, v97 offset:14356
	s_waitcnt lgkmcnt(0)
	v_cmp_ne_u32_e32 vcc, v110, v111
	v_mfma_f32_32x32x16_fp8_fp8 v[64:79], v[102:103], v[112:113], v[64:79]
	s_and_saveexec_b64 s[4:5], vcc
	s_cbranch_execz .LBB133_25
; %bb.23:                               ;   in Loop: Header=BB133_13 Depth=2
	s_mov_b64 s[6:7], 0
.LBB133_24:                             ;   Parent Loop BB133_7 Depth=1
                                        ;     Parent Loop BB133_13 Depth=2
                                        ; =>    This Inner Loop Header: Depth=3
	;;#ASMSTART
	s_sleep 0
	;;#ASMEND
	ds_read_b32 v110, v97 offset:14356
	s_waitcnt lgkmcnt(0)
	v_cmp_eq_u32_e32 vcc, v110, v111
	s_or_b64 s[6:7], vcc, s[6:7]
	s_andn2_b64 exec, exec, s[6:7]
	s_cbranch_execnz .LBB133_24
.LBB133_25:                             ;   in Loop: Header=BB133_13 Depth=2
	s_or_b64 exec, exec, s[4:5]
	v_add_u32_e32 v110, 0x1000, v99
	ds_read2_b32 v[112:113], v110 offset1:32
	s_waitcnt lgkmcnt(0)
	v_mfma_f32_32x32x16_fp8_fp8 v[48:63], v[108:109], v[112:113], v[48:63]
	ds_read2_b32 v[112:113], v110 offset0:128 offset1:160
	v_add_u32_e32 v110, 0x1400, v99
	s_waitcnt lgkmcnt(0)
	v_mfma_f32_32x32x16_fp8_fp8 v[48:63], v[106:107], v[112:113], v[48:63]
	ds_read2_b32 v[112:113], v110 offset1:32
	s_waitcnt lgkmcnt(0)
	v_mfma_f32_32x32x16_fp8_fp8 v[48:63], v[104:105], v[112:113], v[48:63]
	ds_read_b32 v114, v97 offset:14364
	ds_read2_b32 v[112:113], v110 offset0:128 offset1:160
	ds_write_b32 v97, v98 offset:14356
	s_waitcnt lgkmcnt(2)
	v_cmp_ne_u32_e32 vcc, v114, v111
	s_waitcnt lgkmcnt(1)
	v_mfma_f32_32x32x16_fp8_fp8 v[48:63], v[102:103], v[112:113], v[48:63]
	s_and_saveexec_b64 s[4:5], vcc
	s_cbranch_execz .LBB133_28
; %bb.26:                               ;   in Loop: Header=BB133_13 Depth=2
	s_mov_b64 s[6:7], 0
.LBB133_27:                             ;   Parent Loop BB133_7 Depth=1
                                        ;     Parent Loop BB133_13 Depth=2
                                        ; =>    This Inner Loop Header: Depth=3
	;;#ASMSTART
	s_sleep 0
	;;#ASMEND
	ds_read_b32 v110, v97 offset:14364
	s_waitcnt lgkmcnt(0)
	v_cmp_eq_u32_e32 vcc, v110, v111
	s_or_b64 s[6:7], vcc, s[6:7]
	s_andn2_b64 exec, exec, s[6:7]
	s_cbranch_execnz .LBB133_27
.LBB133_28:                             ;   in Loop: Header=BB133_13 Depth=2
	s_or_b64 exec, exec, s[4:5]
	v_add_u32_e32 v110, 0x1800, v99
	ds_read2_b32 v[112:113], v110 offset1:32
	s_waitcnt lgkmcnt(0)
	v_mfma_f32_32x32x16_fp8_fp8 v[32:47], v[108:109], v[112:113], v[32:47]
	ds_read2_b32 v[112:113], v110 offset0:128 offset1:160
	v_add_u32_e32 v110, 0x1c00, v99
	s_waitcnt lgkmcnt(0)
	v_mfma_f32_32x32x16_fp8_fp8 v[32:47], v[106:107], v[112:113], v[32:47]
	ds_read2_b32 v[112:113], v110 offset1:32
	s_waitcnt lgkmcnt(0)
	v_mfma_f32_32x32x16_fp8_fp8 v[32:47], v[104:105], v[112:113], v[32:47]
	ds_read_b32 v114, v97 offset:14372
	ds_read2_b32 v[112:113], v110 offset0:128 offset1:160
	ds_write_b32 v97, v98 offset:14364
	s_waitcnt lgkmcnt(2)
	v_cmp_ne_u32_e32 vcc, v114, v111
	s_waitcnt lgkmcnt(1)
	;; [unrolled: 36-line block ×3, first 2 shown]
	v_mfma_f32_32x32x16_fp8_fp8 v[16:31], v[102:103], v[112:113], v[16:31]
	s_and_saveexec_b64 s[4:5], vcc
	s_cbranch_execz .LBB133_12
; %bb.32:                               ;   in Loop: Header=BB133_13 Depth=2
	s_mov_b64 s[6:7], 0
.LBB133_33:                             ;   Parent Loop BB133_7 Depth=1
                                        ;     Parent Loop BB133_13 Depth=2
                                        ; =>    This Inner Loop Header: Depth=3
	;;#ASMSTART
	s_sleep 0
	;;#ASMEND
	ds_read_b32 v110, v97 offset:14380
	s_waitcnt lgkmcnt(0)
	v_cmp_eq_u32_e32 vcc, v110, v111
	s_or_b64 s[6:7], vcc, s[6:7]
	s_andn2_b64 exec, exec, s[6:7]
	s_cbranch_execnz .LBB133_33
	s_branch .LBB133_12
.LBB133_34:                             ;   in Loop: Header=BB133_7 Depth=1
	s_or_b64 exec, exec, s[2:3]
.LBB133_35:                             ;   in Loop: Header=BB133_7 Depth=1
	v_writelane_b32 v127, s48, 26
	s_nop 1
	v_writelane_b32 v127, s49, 27
	v_writelane_b32 v127, s46, 28
	s_nop 1
	v_writelane_b32 v127, s47, 29
	v_writelane_b32 v127, s44, 30
	s_nop 1
	v_writelane_b32 v127, s45, 31
	v_writelane_b32 v127, s42, 32
	s_nop 1
	v_writelane_b32 v127, s43, 33
	v_writelane_b32 v127, s41, 34
	v_writelane_b32 v127, s40, 35
	;; [unrolled: 1-line block ×3, first 2 shown]
	s_or_b64 exec, exec, s[0:1]
	scratch_load_dword v100, off, off offset:52 ; 4-byte Folded Reload
	scratch_load_dword v117, off, off offset:60 ; 4-byte Folded Reload
	v_cmp_le_i32_e32 vcc, s8, v120
	v_or_b32_e32 v102, 32, v120
	scratch_store_dwordx2 off, v[122:123], off ; 8-byte Folded Spill
	s_waitcnt vmcnt(3)
	v_cndmask_b32_e32 v96, 0, v124, vcc
	v_cmp_le_i32_e32 vcc, s8, v102
	v_pk_mul_f32 v[106:107], v[96:97], v[94:95] op_sel_hi:[0,1]
	v_pk_mul_f32 v[108:109], v[96:97], v[92:93] op_sel_hi:[0,1]
	;; [unrolled: 1-line block ×8, first 2 shown]
	v_cndmask_b32_e32 v96, 0, v124, vcc
	v_pk_mul_f32 v[78:79], v[96:97], v[78:79] op_sel_hi:[0,1]
	v_pk_mul_f32 v[76:77], v[96:97], v[76:77] op_sel_hi:[0,1]
	v_pk_mul_f32 v[102:103], v[96:97], v[74:75] op_sel_hi:[0,1]
	v_pk_mul_f32 v[112:113], v[96:97], v[72:73] op_sel_hi:[0,1]
	v_pk_mul_f32 v[114:115], v[96:97], v[70:71] op_sel_hi:[0,1]
	v_pk_mul_f32 v[94:95], v[96:97], v[68:69] op_sel_hi:[0,1]
	v_pk_mul_f32 v[98:99], v[96:97], v[66:67] op_sel_hi:[0,1]
	v_pk_mul_f32 v[92:93], v[96:97], v[64:65] op_sel_hi:[0,1]
	v_or_b32_e32 v96, 64, v120
	v_cmp_le_i32_e32 vcc, s8, v96
	v_or_b32_e32 v96, 0x60, v120
	v_subrev_u32_e32 v101, s92, v101
	v_cndmask_b32_e32 v66, 0, v124, vcc
	v_cmp_le_i32_e32 vcc, s8, v96
	v_or_b32_e32 v96, 0x80, v120
	v_pk_mul_f32 v[64:65], v[66:67], v[48:49] op_sel_hi:[0,1]
	v_cndmask_b32_e32 v48, 0, v124, vcc
	v_cmp_le_i32_e32 vcc, s8, v96
	v_or_b32_e32 v96, 0xa0, v120
	v_pk_mul_f32 v[46:47], v[48:49], v[46:47] op_sel_hi:[0,1]
	v_pk_mul_f32 v[44:45], v[48:49], v[44:45] op_sel_hi:[0,1]
	;; [unrolled: 1-line block ×8, first 2 shown]
	v_cndmask_b32_e32 v48, 0, v124, vcc
	v_cmp_le_i32_e32 vcc, s8, v96
	v_pk_mul_f32 v[30:31], v[48:49], v[30:31] op_sel_hi:[0,1]
	v_pk_mul_f32 v[28:29], v[48:49], v[28:29] op_sel_hi:[0,1]
	v_pk_mul_f32 v[26:27], v[48:49], v[26:27] op_sel_hi:[0,1]
	v_pk_mul_f32 v[24:25], v[48:49], v[24:25] op_sel_hi:[0,1]
	v_pk_mul_f32 v[22:23], v[48:49], v[22:23] op_sel_hi:[0,1]
	v_pk_mul_f32 v[20:21], v[48:49], v[20:21] op_sel_hi:[0,1]
	v_pk_mul_f32 v[18:19], v[48:49], v[18:19] op_sel_hi:[0,1]
	v_pk_mul_f32 v[16:17], v[48:49], v[16:17] op_sel_hi:[0,1]
	v_cndmask_b32_e32 v48, 0, v124, vcc
	v_pk_mul_f32 v[14:15], v[48:49], v[14:15] op_sel_hi:[0,1]
	v_pk_mul_f32 v[12:13], v[48:49], v[12:13] op_sel_hi:[0,1]
	;; [unrolled: 1-line block ×15, first 2 shown]
	s_waitcnt vmcnt(2)
	v_cmp_eq_u32_e64 s[6:7], 1, v100
	s_nop 1
	v_cndmask_b32_e64 v48, v80, v81, s[6:7]
	v_cmp_eq_u32_e64 s[38:39], 2, v100
	v_cmp_eq_u32_e32 vcc, 3, v100
	v_cmp_eq_u32_e64 s[0:1], 4, v100
	v_cndmask_b32_e64 v48, v48, v82, s[38:39]
	v_cndmask_b32_e32 v48, v48, v83, vcc
	v_cndmask_b32_e64 v48, v48, v84, s[0:1]
	v_cmp_eq_u32_e64 s[2:3], 5, v100
	v_cmp_eq_u32_e64 s[34:35], 6, v100
	v_cmp_eq_u32_e64 s[26:27], 7, v100
	v_cndmask_b32_e64 v48, v48, v85, s[2:3]
	v_cndmask_b32_e64 v48, v48, v86, s[34:35]
	v_cndmask_b32_e64 v48, v48, v87, s[26:27]
	v_cmp_eq_u32_e64 s[24:25], 8, v100
	v_cmp_eq_u32_e64 s[22:23], 9, v100
	v_cmp_eq_u32_e64 s[20:21], 10, v100
	v_cndmask_b32_e64 v48, v48, v88, s[24:25]
	v_cndmask_b32_e64 v48, v48, v89, s[22:23]
	;; [unrolled: 6-line block ×4, first 2 shown]
	ds_bpermute_b32 v48, v118, v48
	s_waitcnt vmcnt(1)
	v_cmp_eq_u32_e64 s[40:41], 1, v117
	s_waitcnt lgkmcnt(0)
	v_cndmask_b32_e64 v75, v86, v48, s[34:35]
	scratch_load_dword v86, off, off offset:56 ; 4-byte Folded Reload
	v_cndmask_b32_e64 v49, v107, v48, s[8:9]
	v_cndmask_b32_e64 v66, v106, v48, s[10:11]
	;; [unrolled: 1-line block ×11, first 2 shown]
	v_cndmask_b32_e32 v83, v83, v48, vcc
	v_cndmask_b32_e64 v82, v82, v48, s[38:39]
	v_cndmask_b32_e64 v81, v81, v48, s[6:7]
	;; [unrolled: 1-line block ×3, first 2 shown]
	s_waitcnt vmcnt(0)
	v_cmp_eq_u32_e64 s[4:5], 1, v86
	s_nop 1
	v_cndmask_b32_e64 v74, v48, v81, s[4:5]
	v_cmp_eq_u32_e64 s[28:29], 2, v86
	v_cmp_eq_u32_e64 s[30:31], 3, v86
	v_cmp_eq_u32_e64 s[36:37], 4, v86
	v_cndmask_b32_e64 v74, v74, v82, s[28:29]
	v_cndmask_b32_e64 v74, v74, v83, s[30:31]
	v_cndmask_b32_e64 v74, v74, v84, s[36:37]
	v_cmp_eq_u32_e64 s[44:45], 5, v86
	v_cmp_eq_u32_e64 s[48:49], 6, v86
	v_cmp_eq_u32_e64 s[52:53], 7, v86
	v_cndmask_b32_e64 v74, v74, v85, s[44:45]
	v_cndmask_b32_e64 v74, v74, v75, s[48:49]
	;; [unrolled: 6-line block ×5, first 2 shown]
	ds_bpermute_b32 v80, v118, v74
	s_waitcnt lgkmcnt(0)
	v_cndmask_b32_e64 v121, v49, v80, s[84:85]
	v_cndmask_b32_e64 v74, v72, v80, s[56:57]
	;; [unrolled: 1-line block ×8, first 2 shown]
	v_cndmask_b32_e32 v49, v49, v99, vcc
	v_cndmask_b32_e32 v75, v75, v51, vcc
	v_cndmask_b32_e64 v49, v49, v94, s[0:1]
	v_cndmask_b32_e64 v75, v75, v52, s[0:1]
	;; [unrolled: 1-line block ×34, first 2 shown]
	ds_bpermute_b32 v82, v118, v49
	v_cndmask_b32_e64 v49, v81, v80, s[4:5]
	v_cndmask_b32_e64 v48, v48, v80, s[16:17]
	ds_bpermute_b32 v80, v118, v75
	s_waitcnt lgkmcnt(1)
	v_cndmask_b32_e64 v106, v77, v82, s[12:13]
	v_cndmask_b32_e32 v75, v99, v82, vcc
	v_cndmask_b32_e64 v77, v93, v82, s[6:7]
	s_waitcnt lgkmcnt(0)
	v_cndmask_b32_e64 v96, v52, v80, s[0:1]
	v_cndmask_b32_e64 v52, v32, v33, s[6:7]
	;; [unrolled: 1-line block ×3, first 2 shown]
	v_cndmask_b32_e32 v52, v52, v35, vcc
	v_cndmask_b32_e64 v52, v52, v36, s[0:1]
	v_cndmask_b32_e64 v52, v52, v37, s[2:3]
	;; [unrolled: 1-line block ×12, first 2 shown]
	ds_bpermute_b32 v52, v118, v52
	v_cndmask_b32_e64 v99, v65, v80, s[6:7]
	v_cndmask_b32_e64 v79, v79, v82, s[8:9]
	;; [unrolled: 1-line block ×4, first 2 shown]
	s_waitcnt lgkmcnt(0)
	v_cndmask_b32_e64 v83, v33, v52, s[6:7]
	scratch_load_dword v33, off, off offset:64 ; 4-byte Folded Reload
	v_cndmask_b32_e64 v36, v36, v52, s[0:1]
	scratch_store_dword off, v36, off offset:12 ; 4-byte Folded Spill
	v_cndmask_b32_e64 v36, v16, v17, s[6:7]
	v_cndmask_b32_e64 v36, v36, v18, s[38:39]
	v_cndmask_b32_e32 v36, v36, v19, vcc
	v_cndmask_b32_e64 v36, v36, v20, s[0:1]
	v_cndmask_b32_e64 v36, v36, v21, s[2:3]
	;; [unrolled: 1-line block ×12, first 2 shown]
	ds_bpermute_b32 v36, v118, v36
	v_cndmask_b32_e64 v47, v47, v52, s[8:9]
	v_cndmask_b32_e64 v37, v37, v52, s[2:3]
	;; [unrolled: 1-line block ×4, first 2 shown]
	s_waitcnt lgkmcnt(0)
	v_cndmask_b32_e64 v17, v17, v36, s[6:7]
	scratch_store_dword off, v17, off offset:32 ; 4-byte Folded Spill
	v_cndmask_b32_e64 v17, v0, v1, s[6:7]
	v_cndmask_b32_e64 v17, v17, v2, s[38:39]
	v_cndmask_b32_e32 v17, v17, v3, vcc
	v_cndmask_b32_e64 v17, v17, v4, s[0:1]
	v_cndmask_b32_e64 v17, v17, v5, s[2:3]
	;; [unrolled: 1-line block ×12, first 2 shown]
	ds_bpermute_b32 v17, v118, v17
	v_cndmask_b32_e64 v85, v16, v36, s[42:43]
	v_cndmask_b32_e64 v16, v48, v49, s[40:41]
	v_cmp_eq_u32_e64 s[6:7], 2, v117
	v_cndmask_b32_e64 v31, v31, v36, s[8:9]
	s_waitcnt lgkmcnt(0)
	v_cndmask_b32_e64 v15, v15, v17, s[8:9]
	v_cndmask_b32_e64 v16, v16, v69, s[6:7]
	v_cmp_eq_u32_e64 s[8:9], 3, v117
	scratch_store_dword off, v37, off offset:8 ; 4-byte Folded Spill
	v_cndmask_b32_e64 v37, v30, v36, s[10:11]
	v_cndmask_b32_e64 v16, v16, v68, s[8:9]
	;; [unrolled: 1-line block ×3, first 2 shown]
	v_cmp_eq_u32_e64 s[10:11], 4, v117
	v_cndmask_b32_e64 v90, v61, v80, s[12:13]
	v_cndmask_b32_e64 v45, v45, v52, s[12:13]
	;; [unrolled: 1-line block ×6, first 2 shown]
	v_cmp_eq_u32_e64 s[12:13], 5, v117
	v_cndmask_b32_e64 v107, v76, v82, s[14:15]
	v_cndmask_b32_e64 v110, v113, v82, s[22:23]
	;; [unrolled: 1-line block ×10, first 2 shown]
	v_cmp_eq_u32_e64 s[14:15], 6, v117
	v_cndmask_b32_e64 v108, v103, v82, s[18:19]
	v_cndmask_b32_e64 v116, v94, v82, s[0:1]
	;; [unrolled: 1-line block ×9, first 2 shown]
	v_cmp_eq_u32_e64 s[18:19], 7, v117
	v_cndmask_b32_e64 v109, v102, v82, s[20:21]
	v_cndmask_b32_e64 v93, v58, v80, s[20:21]
	;; [unrolled: 1-line block ×6, first 2 shown]
	v_cmp_eq_u32_e64 s[20:21], 8, v117
	v_cndmask_b32_e64 v59, v41, v52, s[22:23]
	v_cndmask_b32_e64 v61, v25, v36, s[22:23]
	v_cndmask_b32_e64 v10, v16, v74, s[20:21]
	v_cndmask_b32_e64 v119, v9, v17, s[22:23]
	v_cmp_eq_u32_e64 s[22:23], 9, v117
	v_cndmask_b32_e64 v112, v112, v82, s[24:25]
	v_cndmask_b32_e64 v60, v40, v52, s[24:25]
	v_cndmask_b32_e64 v62, v24, v36, s[24:25]
	v_cndmask_b32_e64 v9, v10, v67, s[22:23]
	v_cndmask_b32_e64 v29, v8, v17, s[24:25]
	v_cmp_eq_u32_e64 s[24:25], 10, v117
	v_cndmask_b32_e64 v55, v55, v80, s[26:27]
	;; [unrolled: 6-line block ×3, first 2 shown]
	v_cndmask_b32_e64 v54, v54, v80, s[34:35]
	v_cndmask_b32_e64 v102, v64, v80, s[42:43]
	;; [unrolled: 1-line block ×5, first 2 shown]
	v_cmp_eq_u32_e64 s[34:35], 12, v117
	v_cndmask_b32_e64 v53, v53, v80, s[2:3]
	v_cndmask_b32_e64 v81, v21, v36, s[2:3]
	;; [unrolled: 1-line block ×4, first 2 shown]
	v_cmp_eq_u32_e64 s[2:3], 13, v117
	v_cndmask_b32_e64 v20, v20, v36, s[0:1]
	v_cndmask_b32_e64 v4, v4, v17, s[0:1]
	;; [unrolled: 1-line block ×3, first 2 shown]
	v_cmp_eq_u32_e64 s[0:1], 14, v117
	v_cndmask_b32_e32 v97, v51, v80, vcc
	v_cndmask_b32_e32 v35, v35, v52, vcc
	v_cndmask_b32_e32 v19, v19, v36, vcc
	v_cndmask_b32_e64 v6, v6, v122, s[0:1]
	v_cndmask_b32_e32 v3, v3, v17, vcc
	v_cmp_eq_u32_e32 vcc, 15, v117
	v_cndmask_b32_e64 v76, v98, v82, s[38:39]
	v_cndmask_b32_e64 v98, v50, v80, s[38:39]
	v_cndmask_b32_e32 v6, v6, v121, vcc
	ds_bpermute_b32 v7, v118, v6
	v_cndmask_b32_e64 v84, v34, v52, s[38:39]
	v_cndmask_b32_e64 v18, v18, v36, s[38:39]
	;; [unrolled: 1-line block ×3, first 2 shown]
	v_cmp_ne_u32_e64 s[38:39], 0, v100
	v_cndmask_b32_e64 v82, v32, v52, s[42:43]
	s_waitcnt lgkmcnt(0)
	v_cndmask_b32_e64 v28, v49, v7, s[40:41]
	v_cndmask_b32_e64 v1, v1, v17, s[38:39]
	v_cmp_eq_u32_e64 s[38:39], 0, v117
	s_waitcnt vmcnt(3)
	v_cmp_eq_u32_e64 s[58:59], 1, v33
	v_cndmask_b32_e64 v27, v69, v7, s[6:7]
	v_writelane_b32 v127, s38, 37
	v_cndmask_b32_e64 v80, v0, v17, s[42:43]
	v_cndmask_b32_e64 v26, v68, v7, s[8:9]
	;; [unrolled: 1-line block ×3, first 2 shown]
	v_writelane_b32 v127, s39, 38
	v_cndmask_b32_e64 v0, v32, v28, s[58:59]
	v_cmp_eq_u32_e64 s[38:39], 2, v33
	v_cmp_eq_u32_e64 s[46:47], 3, v33
	v_cndmask_b32_e64 v25, v71, v7, s[10:11]
	v_cndmask_b32_e64 v0, v0, v27, s[38:39]
	;; [unrolled: 1-line block ×3, first 2 shown]
	v_cmp_eq_u32_e64 s[50:51], 4, v33
	v_cndmask_b32_e64 v24, v70, v7, s[12:13]
	v_cmp_eq_u32_e64 s[54:55], 5, v33
	v_cndmask_b32_e64 v0, v0, v25, s[50:51]
	v_cndmask_b32_e64 v23, v73, v7, s[14:15]
	;; [unrolled: 1-line block ×3, first 2 shown]
	v_cmp_eq_u32_e64 s[62:63], 6, v33
	v_cndmask_b32_e64 v22, v72, v7, s[18:19]
	v_cmp_eq_u32_e64 s[66:67], 7, v33
	v_cndmask_b32_e64 v0, v0, v23, s[62:63]
	v_cndmask_b32_e64 v21, v74, v7, s[20:21]
	;; [unrolled: 1-line block ×3, first 2 shown]
	v_cmp_eq_u32_e64 s[70:71], 8, v33
	scratch_store_dword off, v20, off offset:16 ; 4-byte Folded Spill
	v_cndmask_b32_e64 v20, v67, v7, s[22:23]
	v_cndmask_b32_e64 v0, v0, v21, s[70:71]
	v_cmp_eq_u32_e64 s[74:75], 9, v33
	scratch_store_dword off, v19, off offset:24 ; 4-byte Folded Spill
	v_cndmask_b32_e64 v19, v66, v7, s[24:25]
	v_cndmask_b32_e64 v0, v0, v20, s[74:75]
	;; [unrolled: 4-line block ×3, first 2 shown]
	v_cmp_eq_u32_e64 s[82:83], 11, v33
	v_cndmask_b32_e64 v16, v124, v7, s[34:35]
	v_cmp_eq_u32_e64 s[86:87], 12, v33
	v_cndmask_b32_e64 v0, v0, v18, s[82:83]
	v_cndmask_b32_e64 v10, v123, v7, s[2:3]
	s_mov_b64 s[96:97], s[38:39]
	v_cndmask_b32_e64 v0, v0, v16, s[86:87]
	v_cmp_eq_u32_e64 s[38:39], 13, v33
	v_cndmask_b32_e64 v9, v122, v7, s[0:1]
	v_cmp_eq_u32_e64 s[42:43], 14, v33
	v_cndmask_b32_e64 v0, v0, v10, s[38:39]
	v_cndmask_b32_e32 v8, v121, v7, vcc
	v_cndmask_b32_e64 v0, v0, v9, s[42:43]
	v_cmp_eq_u32_e64 s[98:99], 15, v33
	v_writelane_b32 v127, s96, 39
	scratch_store_dword off, v35, off offset:20 ; 4-byte Folded Spill
	v_cndmask_b32_e64 v0, v0, v8, s[98:99]
	ds_bpermute_b32 v17, v118, v0
	v_writelane_b32 v127, s97, 40
	s_waitcnt lgkmcnt(0)
	v_cndmask_b32_e64 v51, v27, v17, s[96:97]
	v_cmp_eq_u32_e64 s[96:97], 0, v33
	v_cndmask_b32_e64 v2, v8, v17, s[98:99]
	v_cndmask_b32_e64 v7, v9, v17, s[42:43]
	;; [unrolled: 1-line block ×14, first 2 shown]
	v_writelane_b32 v127, s96, 41
	v_cndmask_b32_e64 v16, v78, v77, s[4:5]
	v_cndmask_b32_e64 v16, v16, v76, s[28:29]
	;; [unrolled: 1-line block ×31, first 2 shown]
	ds_bpermute_b32 v41, v118, v17
	ds_bpermute_b32 v19, v118, v16
	v_writelane_b32 v127, s97, 42
	s_waitcnt lgkmcnt(1)
	v_cndmask_b32_e64 v124, v89, v41, s[80:81]
	scratch_load_dword v89, off, off offset:20 ; 4-byte Folded Reload
	s_waitcnt lgkmcnt(0)
	v_cndmask_b32_e64 v121, v78, v19, s[16:17]
	scratch_load_dword v78, off, off offset:12 ; 4-byte Folded Reload
	v_cndmask_b32_e64 v122, v88, v41, s[84:85]
	v_cndmask_b32_e64 v32, v90, v41, s[76:77]
	;; [unrolled: 1-line block ×5, first 2 shown]
	scratch_load_dword v88, off, off offset:32 ; 4-byte Folded Reload
	scratch_load_dword v90, off, off offset:28 ; 4-byte Folded Reload
	;; [unrolled: 1-line block ×5, first 2 shown]
	v_cndmask_b32_e64 v21, v53, v41, s[44:45]
	v_cndmask_b32_e64 v53, v82, v83, s[4:5]
	;; [unrolled: 1-line block ×27, first 2 shown]
	s_waitcnt vmcnt(6)
	v_cndmask_b32_e64 v53, v53, v89, s[30:31]
	s_waitcnt vmcnt(5)
	v_cndmask_b32_e64 v53, v53, v78, s[36:37]
	;; [unrolled: 2-line block ×3, first 2 shown]
	v_cndmask_b32_e64 v53, v53, v65, s[48:49]
	v_cndmask_b32_e64 v53, v53, v39, s[52:53]
	;; [unrolled: 1-line block ×10, first 2 shown]
	ds_bpermute_b32 v75, v118, v53
	v_cndmask_b32_e64 v53, v85, v88, s[4:5]
	v_cndmask_b32_e64 v53, v53, v90, s[28:29]
	;; [unrolled: 1-line block ×15, first 2 shown]
	ds_bpermute_b32 v76, v118, v53
	v_cndmask_b32_e64 v53, v80, v1, s[4:5]
	v_cndmask_b32_e64 v53, v53, v6, s[28:29]
	;; [unrolled: 1-line block ×15, first 2 shown]
	ds_bpermute_b32 v77, v118, v53
	s_waitcnt lgkmcnt(2)
	v_cndmask_b32_e64 v96, v84, v75, s[28:29]
	s_waitcnt lgkmcnt(1)
	v_cndmask_b32_e64 v102, v90, v76, s[28:29]
	v_cndmask_b32_e64 v54, v37, v76, s[80:81]
	;; [unrolled: 1-line block ×3, first 2 shown]
	s_waitcnt lgkmcnt(0)
	v_cndmask_b32_e64 v108, v12, v77, s[72:73]
	scratch_load_dword v12, off, off offset:68 ; 4-byte Folded Reload
	v_cndmask_b32_e64 v112, v119, v77, s[60:61]
	v_cndmask_b32_e64 v119, v6, v77, s[28:29]
	;; [unrolled: 1-line block ×41, first 2 shown]
	v_readlane_b32 s36, v127, 37
	v_cndmask_b32_e64 v59, v59, v75, s[60:61]
	v_cndmask_b32_e64 v61, v61, v76, s[60:61]
	v_readlane_b32 s37, v127, 38
	s_waitcnt vmcnt(0)
	v_cmp_eq_u32_e64 s[28:29], 1, v12
	s_nop 1
	v_cndmask_b32_e64 v11, v74, v52, s[28:29]
	v_cmp_eq_u32_e64 s[44:45], 2, v12
	v_cmp_eq_u32_e64 s[48:49], 3, v12
	v_cmp_eq_u32_e64 s[52:53], 4, v12
	v_cndmask_b32_e64 v11, v11, v51, s[44:45]
	v_cndmask_b32_e64 v11, v11, v50, s[48:49]
	v_cndmask_b32_e64 v11, v11, v49, s[52:53]
	v_cmp_eq_u32_e64 s[56:57], 5, v12
	v_cmp_eq_u32_e64 s[64:65], 6, v12
	v_cmp_eq_u32_e64 s[68:69], 7, v12
	v_cndmask_b32_e64 v11, v11, v48, s[56:57]
	v_cndmask_b32_e64 v11, v11, v70, s[64:65]
	v_cndmask_b32_e64 v11, v11, v69, s[68:69]
	v_cmp_eq_u32_e64 s[72:73], 8, v12
	v_cmp_eq_u32_e64 s[76:77], 9, v12
	v_cmp_eq_u32_e64 s[80:81], 10, v12
	v_cndmask_b32_e64 v11, v11, v68, s[72:73]
	v_cndmask_b32_e64 v11, v11, v72, s[76:77]
	v_cndmask_b32_e64 v11, v11, v0, s[80:81]
	v_cmp_eq_u32_e64 s[84:85], 11, v12
	v_cmp_eq_u32_e64 s[16:17], 12, v12
	v_cmp_eq_u32_e64 s[30:31], 13, v12
	v_cndmask_b32_e64 v11, v11, v10, s[84:85]
	v_cndmask_b32_e64 v11, v11, v9, s[16:17]
	v_cndmask_b32_e64 v11, v11, v8, s[30:31]
	v_cmp_eq_u32_e64 s[96:97], 14, v12
	v_cmp_eq_u32_e64 s[4:5], 15, v12
	v_cmp_eq_u32_e64 s[60:61], 0, v12
	v_cndmask_b32_e64 v11, v11, v7, s[96:97]
	v_cndmask_b32_e64 v11, v11, v2, s[4:5]
	ds_bpermute_b32 v11, v118, v11
	s_waitcnt lgkmcnt(0)
	v_cndmask_b32_e64 v86, v0, v11, s[80:81]
	v_cndmask_b32_e64 v0, v121, v28, s[40:41]
	;; [unrolled: 1-line block ×15, first 2 shown]
	v_cndmask_b32_e32 v0, v0, v79, vcc
	v_cndmask_b32_e64 v81, v2, v11, s[4:5]
	ds_bpermute_b32 v0, v118, v0
	v_cndmask_b32_e64 v2, v41, v126, s[40:41]
	v_cndmask_b32_e64 v2, v2, v123, s[6:7]
	;; [unrolled: 1-line block ×12, first 2 shown]
	s_waitcnt lgkmcnt(0)
	v_cndmask_b32_e32 v68, v79, v0, vcc
	v_cndmask_b32_e64 v69, v66, v0, s[0:1]
	v_cndmask_b32_e64 v70, v67, v0, s[2:3]
	;; [unrolled: 1-line block ×33, first 2 shown]
	v_cndmask_b32_e32 v2, v2, v122, vcc
	v_cndmask_b32_e64 v0, v0, v46, s[24:25]
	ds_bpermute_b32 v2, v118, v2
	v_cndmask_b32_e64 v0, v0, v45, s[26:27]
	v_cndmask_b32_e64 v0, v0, v44, s[34:35]
	;; [unrolled: 1-line block ×4, first 2 shown]
	v_cndmask_b32_e32 v0, v0, v47, vcc
	s_waitcnt lgkmcnt(0)
	v_cndmask_b32_e64 v13, v32, v2, s[2:3]
	ds_bpermute_b32 v32, v118, v0
	v_cndmask_b32_e64 v0, v3, v103, s[40:41]
	v_cndmask_b32_e64 v0, v0, v102, s[6:7]
	v_cndmask_b32_e64 v0, v0, v99, s[8:9]
	v_cndmask_b32_e64 v0, v0, v98, s[10:11]
	s_waitcnt lgkmcnt(0)
	v_cndmask_b32_e64 v29, v14, v32, s[2:3]
	scratch_load_dword v14, off, off offset:72 ; 4-byte Folded Reload
	v_cndmask_b32_e64 v0, v0, v65, s[12:13]
	v_cndmask_b32_e64 v0, v0, v64, s[14:15]
	;; [unrolled: 1-line block ×10, first 2 shown]
	v_cndmask_b32_e32 v0, v0, v53, vcc
	v_cndmask_b32_e64 v82, v7, v11, s[96:97]
	v_cndmask_b32_e64 v83, v8, v11, s[30:31]
	;; [unrolled: 1-line block ×7, first 2 shown]
	v_cndmask_b32_e32 v11, v122, v2, vcc
	v_cndmask_b32_e64 v122, v33, v2, s[34:35]
	ds_bpermute_b32 v33, v118, v0
	v_cndmask_b32_e64 v0, v6, v120, s[40:41]
	v_cndmask_b32_e64 v0, v0, v119, s[6:7]
	;; [unrolled: 1-line block ×14, first 2 shown]
	v_cndmask_b32_e32 v0, v0, v105, vcc
	v_cndmask_b32_e64 v15, v34, v2, s[26:27]
	ds_bpermute_b32 v34, v118, v0
	v_cndmask_b32_e64 v12, v124, v2, s[0:1]
	v_cndmask_b32_e64 v26, v41, v2, s[36:37]
	;; [unrolled: 1-line block ×3, first 2 shown]
	s_waitcnt lgkmcnt(1)
	v_cndmask_b32_e64 v41, v54, v33, s[0:1]
	s_waitcnt lgkmcnt(0)
	v_cndmask_b32_e64 v54, v106, v34, s[0:1]
	s_mov_b64 s[0:1], s[36:37]
	v_cndmask_b32_e64 v1, v1, v32, s[0:1]
	v_cndmask_b32_e64 v3, v3, v33, s[0:1]
	;; [unrolled: 1-line block ×5, first 2 shown]
	v_cndmask_b32_e32 v27, v47, v32, vcc
	v_cndmask_b32_e64 v42, v55, v33, s[2:3]
	v_cndmask_b32_e64 v55, v107, v34, s[2:3]
	;; [unrolled: 1-line block ×29, first 2 shown]
	s_waitcnt vmcnt(0)
	v_cmp_eq_u32_e64 s[0:1], 1, v14
	v_cmp_eq_u32_e64 s[8:9], 2, v14
	;; [unrolled: 1-line block ×3, first 2 shown]
	v_cndmask_b32_e64 v32, v80, v93, s[0:1]
	v_cndmask_b32_e64 v32, v32, v92, s[8:9]
	;; [unrolled: 1-line block ×3, first 2 shown]
	v_cmp_eq_u32_e64 s[26:27], 4, v14
	s_mov_b64 s[34:35], s[0:1]
	v_cmp_eq_u32_e64 s[0:1], 5, v14
	v_cndmask_b32_e64 v32, v32, v94, s[26:27]
	s_mov_b64 s[36:37], s[0:1]
	v_cndmask_b32_e64 v32, v32, v91, s[0:1]
	v_cmp_eq_u32_e64 s[0:1], 6, v14
	v_cndmask_b32_e64 v24, v123, v2, s[6:7]
	v_cndmask_b32_e64 v25, v126, v2, s[40:41]
	;; [unrolled: 1-line block ×5, first 2 shown]
	s_mov_b64 s[40:41], s[0:1]
	v_cmp_eq_u32_e64 s[0:1], 7, v14
	v_cndmask_b32_e64 v8, v102, v33, s[6:7]
	v_cndmask_b32_e64 v4, v119, v34, s[6:7]
	;; [unrolled: 1-line block ×3, first 2 shown]
	s_mov_b64 s[6:7], s[0:1]
	v_cmp_eq_u32_e64 s[0:1], 8, v14
	v_cndmask_b32_e64 v49, v64, v33, s[14:15]
	v_cndmask_b32_e64 v51, v98, v33, s[10:11]
	;; [unrolled: 1-line block ×4, first 2 shown]
	s_mov_b64 s[10:11], s[0:1]
	v_cmp_eq_u32_e64 s[0:1], 9, v14
	v_cndmask_b32_e64 v48, v63, v33, s[18:19]
	v_cndmask_b32_e64 v63, v116, v34, s[12:13]
	v_writelane_b32 v127, s36, 43
	v_cndmask_b32_e64 v32, v32, v87, s[0:1]
	s_mov_b64 s[12:13], s[0:1]
	v_cmp_eq_u32_e64 s[0:1], 10, v14
	v_cndmask_b32_e64 v47, v62, v33, s[20:21]
	v_cndmask_b32_e64 v62, v115, v34, s[14:15]
	v_writelane_b32 v127, s37, 44
	v_cndmask_b32_e64 v32, v32, v86, s[0:1]
	;; [unrolled: 6-line block ×3, first 2 shown]
	s_mov_b64 s[18:19], s[0:1]
	v_cmp_eq_u32_e64 s[0:1], 12, v14
	v_cndmask_b32_e64 v60, v113, v34, s[20:21]
	v_writelane_b32 v127, s41, 46
	v_cndmask_b32_e64 v32, v32, v84, s[0:1]
	s_mov_b64 s[20:21], s[0:1]
	v_cmp_eq_u32_e64 s[0:1], 13, v14
	v_cmp_eq_u32_e64 s[2:3], 14, v14
	v_cndmask_b32_e64 v59, v112, v34, s[22:23]
	v_writelane_b32 v127, s0, 47
	v_cmp_eq_u32_e64 s[22:23], 15, v14
	v_cndmask_b32_e32 v40, v53, v33, vcc
	v_writelane_b32 v127, s1, 48
	v_cndmask_b32_e64 v32, v32, v83, s[0:1]
	v_writelane_b32 v127, s2, 49
	v_cndmask_b32_e64 v33, v10, v9, s[58:59]
	v_cndmask_b32_e32 v53, v105, v34, vcc
	v_writelane_b32 v127, s3, 50
	v_cndmask_b32_e64 v32, v32, v82, s[2:3]
	v_writelane_b32 v127, s22, 37
	s_nop 1
	v_cndmask_b32_e64 v32, v32, v81, s[22:23]
	ds_bpermute_b32 v32, v118, v32
	v_writelane_b32 v127, s23, 38
	s_waitcnt lgkmcnt(0)
	v_cndmask_b32_e64 v82, v82, v32, s[2:3]
	v_readlane_b32 s2, v127, 39
	v_readlane_b32 s3, v127, 40
	v_cndmask_b32_e64 v83, v83, v32, s[0:1]
	v_cmp_eq_u32_e64 s[0:1], 0, v14
	v_cndmask_b32_e64 v33, v33, v67, s[2:3]
	v_cndmask_b32_e64 v33, v33, v66, s[46:47]
	;; [unrolled: 1-line block ×14, first 2 shown]
	v_writelane_b32 v127, s0, 51
	v_cndmask_b32_e64 v81, v81, v32, s[22:23]
	v_cndmask_b32_e64 v84, v84, v32, s[20:21]
	;; [unrolled: 1-line block ×11, first 2 shown]
	ds_bpermute_b32 v33, v118, v33
	v_cndmask_b32_e64 v92, v92, v32, s[8:9]
	v_cndmask_b32_e64 v93, v93, v32, s[34:35]
	v_writelane_b32 v127, s1, 52
	v_cndmask_b32_e64 v80, v80, v32, s[0:1]
	v_cndmask_b32_e64 v32, v26, v25, s[58:59]
	s_mov_b64 s[0:1], s[2:3]
	v_cndmask_b32_e64 v32, v32, v24, s[0:1]
	v_cndmask_b32_e64 v32, v32, v23, s[46:47]
	;; [unrolled: 1-line block ×5, first 2 shown]
	s_waitcnt lgkmcnt(0)
	v_cndmask_b32_e64 v35, v9, v33, s[58:59]
	v_cndmask_b32_e64 v9, v1, v0, s[58:59]
	;; [unrolled: 1-line block ×21, first 2 shown]
	ds_bpermute_b32 v73, v118, v32
	v_cndmask_b32_e64 v9, v9, v31, s[82:83]
	v_cndmask_b32_e64 v9, v9, v30, s[86:87]
	;; [unrolled: 1-line block ×5, first 2 shown]
	s_waitcnt lgkmcnt(0)
	v_cndmask_b32_e64 v32, v16, v73, s[78:79]
	ds_bpermute_b32 v16, v118, v9
	v_cndmask_b32_e64 v9, v3, v2, s[58:59]
	v_cndmask_b32_e64 v9, v9, v8, s[0:1]
	;; [unrolled: 1-line block ×13, first 2 shown]
	v_readlane_b32 s2, v127, 41
	v_cndmask_b32_e64 v9, v9, v41, s[42:43]
	v_readlane_b32 s3, v127, 42
	v_cndmask_b32_e64 v9, v9, v40, s[98:99]
	v_cndmask_b32_e64 v68, v68, v33, s[98:99]
	v_cndmask_b32_e64 v69, v69, v33, s[42:43]
	v_cndmask_b32_e64 v70, v70, v33, s[38:39]
	v_cndmask_b32_e64 v71, v71, v33, s[86:87]
	v_cndmask_b32_e64 v72, v72, v33, s[82:83]
	v_cndmask_b32_e64 v126, v74, v33, s[74:75]
	v_cndmask_b32_e64 v75, v75, v33, s[70:71]
	v_cndmask_b32_e64 v76, v76, v33, s[66:67]
	v_cndmask_b32_e64 v77, v77, v33, s[62:63]
	v_cndmask_b32_e64 v78, v78, v33, s[54:55]
	v_cndmask_b32_e64 v79, v79, v33, s[50:51]
	v_cndmask_b32_e64 v66, v66, v33, s[46:47]
	v_cndmask_b32_e64 v67, v67, v33, s[0:1]
	v_cndmask_b32_e64 v10, v10, v33, s[2:3]
	v_cndmask_b32_e64 v33, v17, v73, s[74:75]
	ds_bpermute_b32 v17, v118, v9
	v_cndmask_b32_e64 v9, v6, v5, s[58:59]
	v_cndmask_b32_e64 v9, v9, v4, s[0:1]
	;; [unrolled: 1-line block ×16, first 2 shown]
	ds_bpermute_b32 v18, v118, v9
	v_cndmask_b32_e64 v24, v24, v73, s[0:1]
	s_waitcnt lgkmcnt(2)
	v_cndmask_b32_e64 v9, v7, v16, s[0:1]
	s_waitcnt lgkmcnt(1)
	v_cndmask_b32_e64 v8, v8, v17, s[0:1]
	v_cndmask_b32_e64 v102, v40, v17, s[98:99]
	s_waitcnt lgkmcnt(0)
	v_cndmask_b32_e64 v115, v4, v18, s[0:1]
	s_mov_b64 s[0:1], s[2:3]
	v_cndmask_b32_e64 v97, v53, v18, s[98:99]
	v_cndmask_b32_e64 v53, v41, v17, s[42:43]
	;; [unrolled: 1-line block ×24, first 2 shown]
	scratch_load_dword v17, off, off offset:76 ; 4-byte Folded Reload
	v_cndmask_b32_e64 v25, v25, v73, s[58:59]
	v_cndmask_b32_e64 v26, v26, v73, s[2:3]
	;; [unrolled: 1-line block ×44, first 2 shown]
	ds_bpermute_b32 v49, v118, v37
	v_cndmask_b32_e64 v30, v30, v16, s[86:87]
	v_cndmask_b32_e64 v27, v27, v16, s[98:99]
	s_mov_b64 s[22:23], s[34:35]
	v_cndmask_b32_e64 v29, v29, v16, s[38:39]
	s_waitcnt lgkmcnt(0)
	v_cndmask_b32_e64 v46, v11, v49, s[4:5]
	v_cndmask_b32_e64 v37, v12, v49, s[96:97]
	;; [unrolled: 1-line block ×30, first 2 shown]
	s_waitcnt vmcnt(0)
	v_cmp_eq_u32_e64 s[0:1], 1, v17
	s_mov_b64 s[42:43], s[0:1]
	v_cmp_eq_u32_e64 s[98:99], 14, v17
	v_cndmask_b32_e64 v0, v80, v93, s[0:1]
	v_cmp_eq_u32_e64 s[0:1], 2, v17
	s_mov_b64 s[46:47], s[0:1]
	v_cmp_eq_u32_e64 s[34:35], 15, v17
	v_cndmask_b32_e64 v0, v0, v92, s[0:1]
	v_cmp_eq_u32_e64 s[0:1], 3, v17
	s_mov_b64 s[50:51], s[0:1]
	v_cndmask_b32_e64 v11, v11, v102, s[4:5]
	v_cndmask_b32_e64 v0, v0, v95, s[0:1]
	v_cmp_eq_u32_e64 s[0:1], 4, v17
	s_mov_b64 s[54:55], s[0:1]
	v_cndmask_b32_e64 v12, v12, v97, s[4:5]
	v_cndmask_b32_e64 v0, v0, v94, s[0:1]
	v_cmp_eq_u32_e64 s[0:1], 5, v17
	s_mov_b64 s[58:59], s[0:1]
	ds_bpermute_b32 v11, v118, v11
	v_cndmask_b32_e64 v0, v0, v91, s[0:1]
	v_cmp_eq_u32_e64 s[0:1], 6, v17
	s_mov_b64 s[62:63], s[0:1]
	ds_bpermute_b32 v12, v118, v12
	v_cndmask_b32_e64 v0, v0, v90, s[0:1]
	v_cmp_eq_u32_e64 s[0:1], 7, v17
	s_mov_b64 s[66:67], s[0:1]
	v_cmp_eq_u32_e32 vcc, 0, v17
	v_cndmask_b32_e64 v0, v0, v89, s[0:1]
	v_cmp_eq_u32_e64 s[0:1], 8, v17
	s_mov_b64 s[70:71], s[0:1]
	v_cndmask_b32_e64 v38, v13, v49, s[30:31]
	v_cndmask_b32_e64 v0, v0, v88, s[0:1]
	v_cmp_eq_u32_e64 s[0:1], 9, v17
	s_mov_b64 s[74:75], s[0:1]
	s_waitcnt lgkmcnt(0)
	v_cndmask_b32_e64 v13, v97, v12, s[4:5]
	v_cndmask_b32_e64 v0, v0, v87, s[0:1]
	v_cmp_eq_u32_e64 s[0:1], 10, v17
	s_mov_b64 s[78:79], s[0:1]
	v_cndmask_b32_e64 v43, v34, v49, s[72:73]
	v_cndmask_b32_e64 v0, v0, v86, s[0:1]
	v_cmp_eq_u32_e64 s[0:1], 11, v17
	s_mov_b64 s[82:83], s[0:1]
	;; [unrolled: 4-line block ×3, first 2 shown]
	scratch_store_dword off, v13, off offset:8 ; 4-byte Folded Spill
	v_cndmask_b32_e64 v0, v0, v84, s[0:1]
	v_cmp_eq_u32_e64 s[0:1], 13, v17
	v_cndmask_b32_e64 v13, v98, v12, s[96:97]
	v_cndmask_b32_e64 v98, v112, v12, s[16:17]
	v_writelane_b32 v127, s0, 53
	v_cndmask_b32_e64 v112, v115, v12, s[44:45]
	v_cndmask_b32_e64 v42, v33, v49, s[76:77]
	;; [unrolled: 1-line block ×3, first 2 shown]
	v_writelane_b32 v127, s1, 54
	v_cndmask_b32_e64 v0, v0, v82, s[98:99]
	v_writelane_b32 v127, s34, 41
	v_cndmask_b32_e64 v33, v23, v49, s[48:49]
	v_cndmask_b32_e64 v41, v32, v49, s[80:81]
	;; [unrolled: 1-line block ×3, first 2 shown]
	ds_bpermute_b32 v16, v118, v0
	v_cndmask_b32_e64 v0, v10, v35, s[28:29]
	v_cndmask_b32_e64 v0, v0, v67, s[44:45]
	;; [unrolled: 1-line block ×15, first 2 shown]
	ds_bpermute_b32 v36, v118, v0
	s_waitcnt lgkmcnt(1)
	v_cndmask_b32_e64 v64, v82, v16, s[98:99]
	v_cndmask_b32_e64 v82, v84, v16, s[86:87]
	;; [unrolled: 1-line block ×4, first 2 shown]
	s_waitcnt lgkmcnt(0)
	v_cndmask_b32_e64 v18, v72, v36, s[84:85]
	v_cndmask_b32_e64 v72, v123, v36, s[80:81]
	;; [unrolled: 1-line block ×7, first 2 shown]
	scratch_load_dword v124, off, off offset:80 ; 4-byte Folded Reload
	v_cndmask_b32_e64 v88, v90, v16, s[62:63]
	v_cndmask_b32_e64 v90, v94, v16, s[54:55]
	;; [unrolled: 1-line block ×19, first 2 shown]
	ds_bpermute_b32 v10, v118, v10
	v_writelane_b32 v127, s35, 42
	v_cndmask_b32_e64 v6, v81, v16, s[34:35]
	v_cndmask_b32_e64 v1, v93, v16, s[42:43]
	v_cndmask_b32_e32 v65, v80, v16, vcc
	v_cndmask_b32_e64 v0, v92, v16, s[46:47]
	v_cndmask_b32_e64 v74, v70, v36, s[30:31]
	;; [unrolled: 1-line block ×5, first 2 shown]
	s_waitcnt lgkmcnt(0)
	v_cndmask_b32_e64 v63, v2, v10, s[60:61]
	v_cndmask_b32_e64 v81, v83, v16, s[0:1]
	;; [unrolled: 1-line block ×50, first 2 shown]
	s_waitcnt vmcnt(0)
	v_cmp_eq_u32_e64 s[34:35], 1, v124
	v_cmp_eq_u32_e64 s[36:37], 2, v124
	v_cmp_eq_u32_e64 s[38:39], 3, v124
	v_cndmask_b32_e64 v2, v65, v1, s[34:35]
	v_cndmask_b32_e64 v2, v2, v0, s[36:37]
	v_cndmask_b32_e64 v2, v2, v91, s[38:39]
	v_cmp_eq_u32_e64 s[40:41], 4, v124
	v_cmp_eq_u32_e64 s[44:45], 5, v124
	v_cmp_eq_u32_e64 s[48:49], 6, v124
	v_cndmask_b32_e64 v2, v2, v90, s[40:41]
	v_cndmask_b32_e64 v2, v2, v89, s[44:45]
	v_cndmask_b32_e64 v2, v2, v88, s[48:49]
	;; [unrolled: 6-line block ×4, first 2 shown]
	v_cmp_eq_u32_e64 s[84:85], 13, v124
	v_cmp_eq_u32_e64 s[2:3], 14, v124
	v_cndmask_b32_e64 v49, v27, v10, s[4:5]
	v_cndmask_b32_e64 v2, v2, v81, s[84:85]
	v_writelane_b32 v127, s2, 55
	v_cndmask_b32_e64 v95, v102, v11, s[4:5]
	v_cmp_eq_u32_e64 s[4:5], 15, v124
	v_writelane_b32 v127, s3, 56
	v_cndmask_b32_e64 v2, v2, v64, s[2:3]
	v_writelane_b32 v127, s4, 39
	v_cndmask_b32_e64 v52, v30, v10, s[16:17]
	s_mov_b64 s[16:17], s[22:23]
	v_cndmask_b32_e64 v2, v2, v6, s[4:5]
	ds_bpermute_b32 v19, v118, v2
	v_cndmask_b32_e64 v102, v113, v12, s[80:81]
	v_cndmask_b32_e64 v62, v4, v10, s[28:29]
	;; [unrolled: 1-line block ×4, first 2 shown]
	s_waitcnt lgkmcnt(0)
	v_cndmask_b32_e64 v2, v0, v19, s[36:37]
	v_cndmask_b32_e64 v0, v75, v76, s[16:17]
	v_writelane_b32 v127, s5, 40
	v_cndmask_b32_e64 v0, v0, v77, s[8:9]
	s_mov_b64 s[28:29], s[24:25]
	v_cndmask_b32_e64 v50, v28, v10, s[96:97]
	v_cndmask_b32_e64 v51, v29, v10, s[30:31]
	;; [unrolled: 1-line block ×3, first 2 shown]
	s_mov_b64 s[30:31], s[26:27]
	v_readlane_b32 s96, v127, 43
	v_cndmask_b32_e64 v15, v6, v19, s[4:5]
	v_cndmask_b32_e64 v0, v0, v92, s[30:31]
	v_readlane_b32 s97, v127, 44
	v_readlane_b32 s4, v127, 45
	;; [unrolled: 1-line block ×3, first 2 shown]
	v_cndmask_b32_e64 v0, v0, v93, s[96:97]
	v_readlane_b32 s24, v127, 47
	v_cndmask_b32_e64 v0, v0, v123, s[4:5]
	v_cndmask_b32_e64 v0, v0, v126, s[6:7]
	;; [unrolled: 1-line block ×7, first 2 shown]
	v_readlane_b32 s25, v127, 48
	v_readlane_b32 s26, v127, 49
	;; [unrolled: 1-line block ×3, first 2 shown]
	v_cndmask_b32_e64 v0, v0, v74, s[24:25]
	v_readlane_b32 s0, v127, 37
	v_cndmask_b32_e64 v0, v0, v17, s[26:27]
	v_readlane_b32 s1, v127, 38
	;; [unrolled: 2-line block ×3, first 2 shown]
	v_cndmask_b32_e64 v0, v0, v16, s[0:1]
	ds_bpermute_b32 v0, v118, v0
	v_readlane_b32 s3, v127, 52
	s_mov_b64 s[22:23], s[20:21]
	v_cndmask_b32_e64 v55, v55, v10, s[76:77]
	s_mov_b64 s[76:77], s[74:75]
	s_waitcnt lgkmcnt(0)
	v_cndmask_b32_e64 v16, v16, v0, s[0:1]
	v_cndmask_b32_e64 v17, v17, v0, s[26:27]
	;; [unrolled: 1-line block ×5, first 2 shown]
	s_mov_b64 s[20:21], s[18:19]
	v_cndmask_b32_e64 v22, v72, v0, s[14:15]
	s_mov_b64 s[18:19], s[14:15]
	v_cndmask_b32_e64 v23, v71, v0, s[12:13]
	;; [unrolled: 2-line block ×5, first 2 shown]
	v_cndmask_b32_e64 v27, v93, v0, s[96:97]
	v_cndmask_b32_e64 v28, v92, v0, s[30:31]
	;; [unrolled: 1-line block ×6, first 2 shown]
	s_mov_b64 s[6:7], s[42:43]
	v_cndmask_b32_e64 v47, v0, v31, s[6:7]
	s_mov_b64 s[42:43], s[46:47]
	v_cndmask_b32_e64 v47, v47, v30, s[42:43]
	;; [unrolled: 2-line block ×8, first 2 shown]
	v_cndmask_b32_e64 v47, v47, v23, s[76:77]
	s_mov_b64 s[74:75], s[78:79]
	v_cndmask_b32_e64 v54, v54, v10, s[80:81]
	v_cndmask_b32_e64 v47, v47, v22, s[74:75]
	s_mov_b64 s[80:81], s[82:83]
	v_cndmask_b32_e64 v47, v47, v18, s[80:81]
	s_mov_b64 s[82:83], s[86:87]
	v_readlane_b32 s86, v127, 53
	v_cndmask_b32_e64 v47, v47, v21, s[82:83]
	v_readlane_b32 s87, v127, 54
	v_readlane_b32 s0, v127, 41
	v_readlane_b32 s1, v127, 42
	v_cndmask_b32_e64 v47, v47, v20, s[86:87]
	v_cndmask_b32_e64 v47, v47, v17, s[98:99]
	;; [unrolled: 1-line block ×3, first 2 shown]
	ds_bpermute_b32 v47, v118, v47
	scratch_store_dword off, v13, off offset:12 ; 4-byte Folded Spill
	v_cndmask_b32_e64 v13, v81, v19, s[84:85]
	v_cndmask_b32_e64 v12, v82, v19, s[72:73]
	;; [unrolled: 1-line block ×3, first 2 shown]
	s_waitcnt lgkmcnt(0)
	v_cndmask_b32_e64 v16, v16, v47, s[0:1]
	v_cndmask_b32_e64 v17, v17, v47, s[98:99]
	;; [unrolled: 1-line block ×15, first 2 shown]
	v_cndmask_b32_e32 v47, v0, v47, vcc
	v_cndmask_b32_e64 v0, v47, v76, s[34:35]
	v_cndmask_b32_e64 v0, v0, v75, s[36:37]
	;; [unrolled: 1-line block ×11, first 2 shown]
	s_mov_b64 s[74:75], s[70:71]
	v_cndmask_b32_e64 v0, v0, v21, s[72:73]
	v_readlane_b32 s70, v127, 55
	s_mov_b64 s[66:67], s[62:63]
	s_mov_b64 s[62:63], s[58:59]
	;; [unrolled: 1-line block ×4, first 2 shown]
	v_cndmask_b32_e64 v0, v0, v20, s[84:85]
	v_readlane_b32 s71, v127, 56
	v_readlane_b32 s50, v127, 39
	;; [unrolled: 1-line block ×3, first 2 shown]
	v_cndmask_b32_e64 v0, v0, v17, s[70:71]
	v_cmp_eq_u32_e64 s[0:1], 0, v124
	v_cndmask_b32_e64 v0, v0, v16, s[50:51]
	ds_bpermute_b32 v77, v118, v0
	v_cndmask_b32_e64 v0, v65, v19, s[0:1]
	v_writelane_b32 v127, s0, 57
	v_cndmask_b32_e64 v10, v84, v19, s[64:65]
	v_cndmask_b32_e64 v9, v85, v19, s[60:61]
	s_waitcnt lgkmcnt(0)
	v_cndmask_b32_e64 v31, v16, v77, s[50:51]
	v_cndmask_b32_e64 v16, v36, v35, s[16:17]
	;; [unrolled: 1-line block ×7, first 2 shown]
	s_mov_b64 s[70:71], s[4:5]
	v_cndmask_b32_e64 v16, v16, v45, s[70:71]
	v_cndmask_b32_e64 v16, v16, v44, s[10:11]
	;; [unrolled: 1-line block ×6, first 2 shown]
	v_writelane_b32 v127, s1, 58
	v_cndmask_b32_e64 v16, v16, v39, s[22:23]
	v_cndmask_b32_e64 v16, v16, v38, s[24:25]
	v_readlane_b32 s50, v127, 37
	v_cndmask_b32_e64 v16, v16, v37, s[26:27]
	v_readlane_b32 s51, v127, 38
	v_readlane_b32 s4, v127, 41
	;; [unrolled: 1-line block ×3, first 2 shown]
	v_cndmask_b32_e64 v16, v16, v46, s[50:51]
	ds_bpermute_b32 v16, v118, v16
	v_cndmask_b32_e64 v8, v86, v19, s[56:57]
	v_cndmask_b32_e64 v7, v87, v19, s[52:53]
	;; [unrolled: 1-line block ×4, first 2 shown]
	s_waitcnt lgkmcnt(0)
	v_cndmask_b32_e64 v46, v46, v16, s[50:51]
	v_cndmask_b32_e64 v37, v37, v16, s[26:27]
	;; [unrolled: 1-line block ×16, first 2 shown]
	s_mov_b64 s[50:51], s[6:7]
	v_cndmask_b32_e64 v36, v16, v35, s[50:51]
	v_cndmask_b32_e64 v36, v36, v34, s[42:43]
	;; [unrolled: 1-line block ×15, first 2 shown]
	ds_bpermute_b32 v36, v118, v36
	v_cndmask_b32_e64 v4, v90, v19, s[40:41]
	v_cndmask_b32_e64 v3, v91, v19, s[38:39]
	v_cndmask_b32_e64 v1, v1, v19, s[34:35]
	v_cndmask_b32_e64 v29, v20, v77, s[84:85]
	s_waitcnt lgkmcnt(0)
	v_cndmask_b32_e64 v46, v46, v36, s[4:5]
	s_mov_b64 s[4:5], vcc
	v_cndmask_b32_e64 v20, v73, v77, s[40:41]
	v_cndmask_b32_e64 v19, v74, v77, s[38:39]
	;; [unrolled: 1-line block ×34, first 2 shown]
	v_readlane_b32 s6, v127, 55
	v_cndmask_b32_e64 v37, v37, v36, s[98:99]
	v_cndmask_b32_e64 v16, v16, v38, s[84:85]
	v_readlane_b32 s7, v127, 56
	v_readlane_b32 s2, v127, 39
	;; [unrolled: 1-line block ×3, first 2 shown]
	v_cndmask_b32_e64 v16, v16, v37, s[6:7]
	v_cndmask_b32_e64 v27, v18, v77, s[68:69]
	;; [unrolled: 1-line block ×4, first 2 shown]
	ds_bpermute_b32 v75, v118, v16
	v_cndmask_b32_e64 v16, v47, v77, s[0:1]
	v_readlane_b32 s0, v127, 37
	v_readlane_b32 s1, v127, 38
	v_cndmask_b32_e64 v24, v24, v77, s[56:57]
	s_waitcnt lgkmcnt(0)
	v_cndmask_b32_e64 v36, v32, v75, s[40:41]
	v_cndmask_b32_e64 v32, v63, v62, s[16:17]
	;; [unrolled: 1-line block ×9, first 2 shown]
	s_mov_b64 s[6:7], s[10:11]
	v_cndmask_b32_e64 v32, v32, v110, s[6:7]
	s_mov_b64 s[10:11], s[12:13]
	v_cndmask_b32_e64 v32, v32, v56, s[10:11]
	;; [unrolled: 2-line block ×6, first 2 shown]
	v_cndmask_b32_e64 v32, v32, v51, s[24:25]
	v_cndmask_b32_e64 v32, v32, v50, s[26:27]
	;; [unrolled: 1-line block ×3, first 2 shown]
	ds_bpermute_b32 v32, v118, v32
	v_cndmask_b32_e64 v37, v48, v75, s[44:45]
	v_readlane_b32 s2, v127, 41
	v_readlane_b32 s3, v127, 42
	v_cndmask_b32_e64 v17, v76, v77, s[34:35]
	s_waitcnt lgkmcnt(0)
	v_cndmask_b32_e64 v48, v49, v32, s[0:1]
	v_readlane_b32 s0, v127, 51
	v_readlane_b32 s1, v127, 52
	v_cndmask_b32_e64 v49, v50, v32, s[26:27]
	v_cndmask_b32_e64 v50, v51, v32, s[24:25]
	;; [unrolled: 1-line block ×30, first 2 shown]
	ds_bpermute_b32 v63, v118, v63
	v_cndmask_b32_e64 v35, v33, v75, s[38:39]
	v_cndmask_b32_e64 v33, v73, v75, s[34:35]
	;; [unrolled: 1-line block ×4, first 2 shown]
	s_waitcnt lgkmcnt(0)
	v_cndmask_b32_e64 v77, v62, v63, s[50:51]
	v_cndmask_b32_e64 v78, v32, v63, s[4:5]
	;; [unrolled: 1-line block ×31, first 2 shown]
	s_mov_b64 vcc, s[42:43]
	v_cndmask_b32_e64 v32, v32, v51, s[72:73]
	v_readlane_b32 s42, v127, 55
	s_mov_b64 s[20:21], s[18:19]
	s_mov_b64 s[18:19], s[14:15]
	;; [unrolled: 1-line block ×5, first 2 shown]
	v_cndmask_b32_e64 v49, v49, v63, s[98:99]
	v_cndmask_b32_e64 v32, v32, v50, s[84:85]
	v_readlane_b32 s43, v127, 56
	v_readlane_b32 s6, v127, 39
	v_cndmask_b32_e64 v48, v48, v63, s[2:3]
	v_cndmask_b32_e64 v32, v32, v49, s[42:43]
	v_readlane_b32 s7, v127, 40
	s_mov_b64 s[2:3], s[4:5]
	v_readlane_b32 s4, v127, 57
	v_cndmask_b32_e64 v32, v32, v48, s[6:7]
	ds_bpermute_b32 v81, v118, v32
	v_readlane_b32 s5, v127, 58
	v_cndmask_b32_e64 v34, v34, v75, s[36:37]
	s_waitcnt lgkmcnt(0)
	v_cndmask_b32_e64 v63, v48, v81, s[6:7]
	v_cndmask_b32_e64 v48, v79, v115, s[16:17]
	;; [unrolled: 1-line block ×15, first 2 shown]
	s_mov_b64 s[6:7], s[34:35]
	v_cndmask_b32_e64 v48, v48, v66, s[24:25]
	v_readlane_b32 s34, v127, 37
	v_cndmask_b32_e64 v48, v48, v80, s[26:27]
	v_readlane_b32 s35, v127, 38
	v_cndmask_b32_e64 v32, v74, v75, s[4:5]
	v_cndmask_b32_e64 v61, v50, v81, s[84:85]
	;; [unrolled: 1-line block ×3, first 2 shown]
	ds_bpermute_b32 v48, v118, v48
	v_cndmask_b32_e64 v60, v51, v81, s[72:73]
	v_cndmask_b32_e64 v59, v52, v81, s[68:69]
	;; [unrolled: 1-line block ×11, first 2 shown]
	s_waitcnt lgkmcnt(0)
	v_cndmask_b32_e64 v64, v95, v48, s[34:35]
	v_cndmask_b32_e64 v65, v80, v48, s[26:27]
	;; [unrolled: 1-line block ×16, first 2 shown]
	s_mov_b64 s[42:43], s[50:51]
	v_cndmask_b32_e64 v79, v48, v80, s[42:43]
	s_mov_b64 s[0:1], vcc
	v_cndmask_b32_e64 v79, v79, v77, s[0:1]
	v_cndmask_b32_e64 v79, v79, v76, s[46:47]
	s_mov_b64 s[50:51], s[54:55]
	v_cndmask_b32_e64 v79, v79, v75, s[50:51]
	s_mov_b64 s[54:55], s[58:59]
	;; [unrolled: 2-line block ×7, first 2 shown]
	v_cndmask_b32_e64 v79, v79, v69, s[74:75]
	v_cndmask_b32_e64 v79, v79, v68, s[80:81]
	;; [unrolled: 1-line block ×4, first 2 shown]
	v_readlane_b32 s76, v127, 41
	v_cndmask_b32_e64 v79, v79, v65, s[98:99]
	v_readlane_b32 s77, v127, 42
	s_mov_b64 s[78:79], s[80:81]
	scratch_load_dwordx2 v[122:123], off, off ; 8-byte Folded Reload
	v_cndmask_b32_e64 v79, v79, v64, s[76:77]
	ds_bpermute_b32 v79, v118, v79
	s_mov_b64 vcc, s[50:51]
	s_waitcnt lgkmcnt(0)
	v_cndmask_b32_e64 v82, v64, v79, s[76:77]
	v_cndmask_b32_e64 v89, v80, v79, s[42:43]
	;; [unrolled: 1-line block ×27, first 2 shown]
	s_mov_b64 s[76:77], s[84:85]
	v_readlane_b32 s80, v127, 55
	v_cndmask_b32_e64 v65, v65, v79, s[98:99]
	v_cndmask_b32_e64 v48, v48, v66, s[76:77]
	v_readlane_b32 s81, v127, 56
	v_readlane_b32 s84, v127, 39
	;; [unrolled: 1-line block ×3, first 2 shown]
	v_cndmask_b32_e64 v48, v48, v65, s[80:81]
	s_mov_b64 s[50:51], s[0:1]
	v_cndmask_b32_e64 v48, v48, v82, s[84:85]
	ds_bpermute_b32 v80, v118, v48
	v_cndmask_b32_e64 v48, v78, v81, s[4:5]
	v_cndmask_b32_e64 v81, v114, v113, s[16:17]
	;; [unrolled: 1-line block ×4, first 2 shown]
	s_waitcnt lgkmcnt(0)
	v_cndmask_b32_e64 v72, v71, v80, s[56:57]
	v_cndmask_b32_e64 v71, v83, v80, s[52:53]
	scratch_load_dword v83, off, off offset:12 ; 4-byte Folded Reload
	v_cndmask_b32_e64 v79, v82, v80, s[84:85]
	scratch_load_dword v82, off, off offset:8 ; 4-byte Folded Reload
	scratch_load_dword v115, off, off offset:44 ; 4-byte Folded Reload
	;; [unrolled: 1-line block ×4, first 2 shown]
	v_cndmask_b32_e64 v81, v81, v109, s[30:31]
	v_readlane_b32 s0, v127, 45
	v_cndmask_b32_e64 v81, v81, v108, s[96:97]
	v_readlane_b32 s1, v127, 46
	v_cndmask_b32_e64 v78, v65, v80, s[80:81]
	v_cndmask_b32_e64 v77, v66, v80, s[76:77]
	;; [unrolled: 1-line block ×21, first 2 shown]
	s_waitcnt vmcnt(4)
	v_cndmask_b32_e64 v81, v81, v83, s[26:27]
	s_waitcnt vmcnt(3)
	v_cndmask_b32_e64 v81, v81, v82, s[34:35]
	ds_bpermute_b32 v81, v118, v81
	s_waitcnt lgkmcnt(0)
	v_cndmask_b32_e64 v91, v107, v81, s[0:1]
	v_readlane_b32 s0, v127, 51
	v_readlane_b32 s1, v127, 52
	v_cndmask_b32_e64 v82, v82, v81, s[34:35]
	v_cndmask_b32_e64 v83, v83, v81, s[26:27]
	;; [unrolled: 1-line block ×18, first 2 shown]
	v_cndmask_b32_e32 v97, v97, v93, vcc
	v_cndmask_b32_e64 v97, v97, v92, s[54:55]
	v_cndmask_b32_e64 v97, v97, v91, s[58:59]
	;; [unrolled: 1-line block ×9, first 2 shown]
	v_readlane_b32 s0, v127, 41
	v_cndmask_b32_e64 v97, v97, v83, s[98:99]
	v_readlane_b32 s1, v127, 42
	s_mov_b64 s[8:9], s[6:7]
	v_readlane_b32 s14, v127, 10
	v_cndmask_b32_e64 v97, v97, v82, s[0:1]
	ds_bpermute_b32 v97, v118, v97
	v_readlane_b32 s24, v127, 12
	v_readlane_b32 s28, v127, 17
	s_mov_b32 s6, 0
	v_readlane_b32 s12, v127, 1
	s_waitcnt lgkmcnt(0)
	v_cndmask_b32_e64 v82, v82, v97, s[0:1]
	v_cndmask_b32_e64 v83, v83, v97, s[98:99]
	v_cndmask_b32_e64 v84, v84, v97, s[86:87]
	v_cndmask_b32_e64 v85, v85, v97, s[82:83]
	v_cndmask_b32_e64 v86, v86, v97, s[78:79]
	v_cndmask_b32_e64 v87, v87, v97, s[74:75]
	v_cndmask_b32_e64 v88, v88, v97, s[70:71]
	v_cndmask_b32_e64 v98, v89, v97, s[66:67]
	v_cndmask_b32_e64 v99, v90, v97, s[62:63]
	v_cndmask_b32_e64 v102, v91, v97, s[58:59]
	v_cndmask_b32_e64 v103, v92, v97, s[54:55]
	v_cndmask_b32_e32 v105, v93, v97, vcc
	v_cndmask_b32_e64 v106, v94, v97, s[46:47]
	v_cndmask_b32_e64 v107, v95, v97, s[50:51]
	;; [unrolled: 1-line block ×19, first 2 shown]
	ds_bpermute_b32 v108, v118, v81
	v_readlane_b32 s42, v127, 32
	v_readlane_b32 s46, v127, 28
	;; [unrolled: 1-line block ×4, first 2 shown]
	s_waitcnt lgkmcnt(0)
	v_cndmask_b32_e64 v94, v83, v108, s[80:81]
	v_cndmask_b32_e64 v83, v106, v108, s[38:39]
	v_readlane_b32 s39, v127, 36
	s_mul_i32 s0, s39, s89
	v_cndmask_b32_e64 v90, v87, v108, s[64:65]
	v_cndmask_b32_e64 v89, v88, v108, s[60:61]
	;; [unrolled: 1-line block ×4, first 2 shown]
	s_ashr_i32 s1, s0, 31
	v_readlane_b32 s52, v127, 2
	v_cndmask_b32_e64 v92, v85, v108, s[72:73]
	v_cndmask_b32_e64 v85, v103, v108, s[44:45]
	s_lshl_b64 s[0:1], s[0:1], 1
	v_readlane_b32 s56, v127, 6
	v_readlane_b32 s44, v127, 30
	v_readlane_b32 s57, v127, 7
	s_add_u32 s2, s56, s0
	v_readlane_b32 s45, v127, 31
	s_addc_u32 s3, s57, s1
	s_ashr_i32 s45, s44, 31
	s_lshl_b64 s[0:1], s[44:45], 1
	s_add_u32 s0, s2, s0
	v_cndmask_b32_e64 v93, v84, v108, s[76:77]
	v_cndmask_b32_e64 v91, v86, v108, s[68:69]
	;; [unrolled: 1-line block ×4, first 2 shown]
	s_addc_u32 s1, s3, s1
	v_readlane_b32 s40, v127, 35
	v_readlane_b32 s48, v127, 26
	v_cndmask_b32_e64 v95, v82, v108, s[84:85]
	v_cndmask_b32_e64 v82, v107, v108, s[36:37]
	v_readlane_b32 s53, v127, 3
	v_readlane_b32 s54, v127, 4
	;; [unrolled: 1-line block ×5, first 2 shown]
	s_max_i32 s7, s40, 0
	v_cndmask_b32_e64 v81, v96, v108, s[8:9]
	v_cndmask_b32_e64 v80, v97, v108, s[4:5]
	v_lshl_add_u64 v[102:103], s[0:1], 0, v[122:123]
	s_mov_b64 s[0:1], 0
	s_mov_b32 s8, 0
	v_readlane_b32 s13, v127, 14
	v_readlane_b32 s26, v127, 15
	;; [unrolled: 1-line block ×15, first 2 shown]
                                        ; implicit-def: $sgpr2_sgpr3
	s_branch .LBB133_37
.LBB133_36:                             ;   in Loop: Header=BB133_37 Depth=2
	s_or_b64 exec, exec, s[4:5]
	s_and_b64 s[4:5], exec, s[2:3]
	s_or_b64 s[0:1], s[4:5], s[0:1]
	s_andn2_b64 exec, exec, s[0:1]
	s_cbranch_execz .LBB133_39
.LBB133_37:                             ;   Parent Loop BB133_7 Depth=1
                                        ; =>  This Inner Loop Header: Depth=2
	s_and_b32 s4, s8, 2
	s_and_b32 s5, s6, 24
	s_or_b32 s4, s5, s4
	s_waitcnt vmcnt(0)
	v_or_b32_e32 v96, s4, v100
	v_add_u32_e32 v97, s7, v96
	v_cmp_gt_u32_e32 vcc, 32, v97
	s_or_b64 s[2:3], s[2:3], exec
	s_and_saveexec_b64 s[4:5], vcc
	s_cbranch_execz .LBB133_36
; %bb.38:                               ;   in Loop: Header=BB133_37 Depth=2
	s_add_i32 s9, s8, 1
	s_set_gpr_idx_on s8, gpr_idx(SRC0)
	v_mov_b32_e32 v97, v0
	s_set_gpr_idx_off
	v_cvt_f16_f32_e32 v98, v97
	s_set_gpr_idx_on s9, gpr_idx(SRC0)
	v_mov_b32_e32 v97, v0
	s_set_gpr_idx_off
	v_cvt_f16_f32_sdwa v99, v97 dst_sel:WORD_1 dst_unused:UNUSED_PAD src0_sel:DWORD
	v_mul_lo_u32 v96, v96, s89
	v_ashrrev_i32_e32 v97, 31, v96
	v_lshl_add_u64 v[96:97], v[96:97], 1, v[102:103]
	v_or_b32_e32 v98, v99, v98
	;;#ASMSTART
	global_atomic_pk_add_f16 v[96:97], v98, off
	
	;;#ASMEND
	s_set_gpr_idx_on s8, gpr_idx(SRC0)
	v_mov_b32_e32 v98, v16
	s_set_gpr_idx_off
	v_cvt_f16_f32_e32 v105, v98
	s_set_gpr_idx_on s9, gpr_idx(SRC0)
	v_mov_b32_e32 v98, v16
	s_set_gpr_idx_off
	v_cvt_f16_f32_sdwa v106, v98 dst_sel:WORD_1 dst_unused:UNUSED_PAD src0_sel:DWORD
	v_lshl_add_u64 v[98:99], v[96:97], 0, 64
	s_mov_b64 s[10:11], 0x80
	s_add_i32 s6, s6, 4
	v_or_b32_e32 v105, v106, v105
	;;#ASMSTART
	global_atomic_pk_add_f16 v[98:99], v105, off
	
	;;#ASMEND
	s_set_gpr_idx_on s8, gpr_idx(SRC0)
	v_mov_b32_e32 v98, v32
	s_set_gpr_idx_off
	v_cvt_f16_f32_e32 v105, v98
	s_set_gpr_idx_on s9, gpr_idx(SRC0)
	v_mov_b32_e32 v98, v32
	s_set_gpr_idx_off
	v_cvt_f16_f32_sdwa v106, v98 dst_sel:WORD_1 dst_unused:UNUSED_PAD src0_sel:DWORD
	v_lshl_add_u64 v[98:99], v[96:97], 0, s[10:11]
	s_mov_b64 s[10:11], 0xc0
	v_or_b32_e32 v105, v106, v105
	;;#ASMSTART
	global_atomic_pk_add_f16 v[98:99], v105, off
	
	;;#ASMEND
	s_set_gpr_idx_on s8, gpr_idx(SRC0)
	v_mov_b32_e32 v98, v48
	s_set_gpr_idx_off
	v_cvt_f16_f32_e32 v105, v98
	s_set_gpr_idx_on s9, gpr_idx(SRC0)
	v_mov_b32_e32 v98, v48
	s_set_gpr_idx_off
	v_cvt_f16_f32_sdwa v106, v98 dst_sel:WORD_1 dst_unused:UNUSED_PAD src0_sel:DWORD
	v_lshl_add_u64 v[98:99], v[96:97], 0, s[10:11]
	s_mov_b64 s[10:11], 0x100
	;; [unrolled: 15-line block ×3, first 2 shown]
	v_lshl_add_u64 v[96:97], v[96:97], 0, s[10:11]
	v_or_b32_e32 v105, v106, v105
	;;#ASMSTART
	global_atomic_pk_add_f16 v[98:99], v105, off
	
	;;#ASMEND
	s_set_gpr_idx_on s8, gpr_idx(SRC0)
	v_mov_b32_e32 v98, v80
	s_set_gpr_idx_off
	v_cvt_f16_f32_e32 v98, v98
	s_set_gpr_idx_on s9, gpr_idx(SRC0)
	v_mov_b32_e32 v99, v80
	s_set_gpr_idx_off
	s_add_i32 s8, s8, 2
	v_cvt_f16_f32_sdwa v99, v99 dst_sel:WORD_1 dst_unused:UNUSED_PAD src0_sel:DWORD
	s_cmp_eq_u32 s8, 16
	s_cselect_b64 s[10:11], -1, 0
	s_andn2_b64 s[2:3], s[2:3], exec
	s_and_b64 s[10:11], s[10:11], exec
	s_or_b64 s[2:3], s[2:3], s[10:11]
	v_or_b32_e32 v98, v99, v98
	;;#ASMSTART
	global_atomic_pk_add_f16 v[96:97], v98, off
	
	;;#ASMEND
	s_branch .LBB133_36
.LBB133_39:                             ;   in Loop: Header=BB133_7 Depth=1
	s_or_b64 exec, exec, s[0:1]
	scratch_load_dword v13, off, off offset:36 ; 4-byte Folded Reload
	scratch_load_dword v120, off, off offset:40 ; 4-byte Folded Reload
	scratch_load_dwordx2 v[14:15], off, off offset:84 ; 8-byte Folded Reload
	scratch_load_dword v16, off, off offset:100 ; 4-byte Folded Reload
	scratch_load_dword v17, off, off offset:104 ; 4-byte Folded Reload
	v_readlane_b32 s11, v127, 0
.LBB133_40:                             ;   in Loop: Header=BB133_7 Depth=1
	s_or_b64 exec, exec, s[48:49]
.LBB133_41:                             ;   in Loop: Header=BB133_7 Depth=1
	s_andn2_saveexec_b64 s[0:1], s[46:47]
	s_cbranch_execz .LBB133_50
; %bb.42:                               ;   in Loop: Header=BB133_7 Depth=1
	s_mul_i32 s10, s92, 6
	v_cmp_gt_i32_e32 vcc, s10, v101
	s_and_saveexec_b64 s[2:3], vcc
	s_cbranch_execz .LBB133_49
; %bb.43:                               ;   in Loop: Header=BB133_7 Depth=1
	scratch_load_dwordx2 v[0:1], off, off offset:92 ; 8-byte Folded Reload
	s_mul_i32 s4, s44, s91
	s_ashr_i32 s5, s4, 31
	s_add_u32 s4, s54, s4
	s_addc_u32 s5, s55, s5
	s_ashr_i32 s6, s41, 31
	s_add_u32 s4, s4, s41
	s_addc_u32 s5, s5, s6
	s_waitcnt vmcnt(0)
	v_lshl_add_u64 v[0:1], s[4:5], 0, v[0:1]
	v_lshl_add_u64 v[8:9], v[0:1], 0, v[14:15]
	s_mov_b64 s[4:5], 0
	s_branch .LBB133_45
.LBB133_44:                             ;   in Loop: Header=BB133_45 Depth=2
	s_or_b64 exec, exec, s[6:7]
	v_lshl_or_b32 v12, v10, 11, v16
	;;#ASMSTART
	s_waitcnt vmcnt(1)
	;;#ASMEND
	ds_write2_b32 v12, v4, v5 offset1:32
	ds_write2_b32 v12, v6, v7 offset0:64 offset1:96
	v_add_u32_e32 v4, 0x400, v12
	v_add_u32_e32 v101, s94, v101
	;;#ASMSTART
	s_waitcnt vmcnt(0)
	;;#ASMEND
	ds_write2_b32 v4, v0, v1 offset1:32
	ds_write2_b32 v4, v2, v3 offset0:64 offset1:96
	v_add_u32_e32 v0, 1, v111
	v_add_u32_e32 v104, s94, v10
	v_cmp_le_i32_e32 vcc, s10, v101
	ds_write_b32 v11, v0 offset:4
	v_add_u32_e32 v0, 2, v111
	s_or_b64 s[4:5], vcc, s[4:5]
	v_cmp_lt_i32_e32 vcc, 5, v104
	s_nop 1
	v_cndmask_b32_e32 v111, v111, v0, vcc
	s_andn2_b64 exec, exec, s[4:5]
	s_cbranch_execz .LBB133_48
.LBB133_45:                             ;   Parent Loop BB133_7 Depth=1
                                        ; =>  This Loop Header: Depth=2
                                        ;       Child Loop BB133_47 Depth 3
	v_cmp_gt_i32_e32 vcc, 6, v104
	s_mov_b32 s6, 0x2aaaaaab
	s_nop 0
	v_cndmask_b32_e64 v0, -6, 0, vcc
	v_add_u32_e32 v10, v0, v104
	v_mul_hi_i32 v0, v101, s6
	v_lshrrev_b32_e32 v1, 31, v0
	v_add_u32_e32 v0, v0, v1
	v_mul_lo_u32 v1, v0, 6
	v_sub_u32_e32 v2, v101, v1
	v_lshlrev_b32_e32 v0, 6, v0
	v_ashrrev_i32_e32 v1, 31, v0
	v_mul_lo_u32 v2, s31, v2
	v_lshl_add_u64 v[0:1], v[8:9], 0, v[0:1]
	v_ashrrev_i32_e32 v3, 31, v2
	v_lshl_add_u64 v[0:1], v[0:1], 0, v[2:3]
	v_lshlrev_b32_e32 v11, 2, v10
	;;#ASMSTART
	global_load_dwordx4 v[4:7], v[0:1], off offset:0   sc0 sc1 nt  
	global_load_dwordx4 v[0:3], v[0:1], off offset:32  sc0 sc1 nt  
	
	;;#ASMEND
	ds_read_b32 v12, v11 offset:14340
	v_add_u32_e32 v11, 0x3800, v11
	s_waitcnt lgkmcnt(0)
	v_cmp_ne_u32_e32 vcc, v12, v111
	s_and_saveexec_b64 s[6:7], vcc
	s_cbranch_execz .LBB133_44
; %bb.46:                               ;   in Loop: Header=BB133_45 Depth=2
	s_mov_b64 s[8:9], 0
.LBB133_47:                             ;   Parent Loop BB133_7 Depth=1
                                        ;     Parent Loop BB133_45 Depth=2
                                        ; =>    This Inner Loop Header: Depth=3
	;;#ASMSTART
	s_sleep 0
	;;#ASMEND
	ds_read_b32 v12, v11 offset:4
	s_waitcnt lgkmcnt(0)
	v_cmp_eq_u32_e32 vcc, v12, v111
	s_or_b64 s[8:9], vcc, s[8:9]
	s_andn2_b64 exec, exec, s[8:9]
	s_cbranch_execnz .LBB133_47
	s_branch .LBB133_44
.LBB133_48:                             ;   in Loop: Header=BB133_7 Depth=1
	s_or_b64 exec, exec, s[4:5]
.LBB133_49:                             ;   in Loop: Header=BB133_7 Depth=1
	s_or_b64 exec, exec, s[2:3]
	v_subrev_u32_e32 v101, s10, v101
.LBB133_50:                             ;   in Loop: Header=BB133_7 Depth=1
	s_or_b64 exec, exec, s[0:1]
.LBB133_51:                             ;   in Loop: Header=BB133_7 Depth=1
	s_andn2_saveexec_b64 s[0:1], s[42:43]
	s_cbranch_execz .LBB133_6
; %bb.52:                               ;   in Loop: Header=BB133_7 Depth=1
	v_cmp_gt_i32_e32 vcc, s92, v101
	s_and_saveexec_b64 s[2:3], vcc
	s_cbranch_execz .LBB133_5
; %bb.53:                               ;   in Loop: Header=BB133_7 Depth=1
	s_mul_i32 s4, s39, s90
	s_ashr_i32 s5, s4, 31
	s_add_u32 s4, s52, s4
	s_addc_u32 s5, s53, s5
	s_ashr_i32 s6, s41, 31
	s_waitcnt vmcnt(3)
	v_mul_lo_u32 v0, s90, v120
	s_waitcnt vmcnt(0)
	v_cmp_le_i32_e32 vcc, s40, v17
	s_add_u32 s4, s4, s41
	s_addc_u32 s5, s5, s6
	v_cndmask_b32_e32 v0, 0, v0, vcc
	v_ashrrev_i32_e32 v1, 31, v0
	v_lshl_add_u64 v[0:1], s[4:5], 0, v[0:1]
	v_lshl_add_u64 v[8:9], v[0:1], 0, v[14:15]
	s_mov_b64 s[4:5], 0
	s_branch .LBB133_55
.LBB133_54:                             ;   in Loop: Header=BB133_55 Depth=2
	s_or_b64 exec, exec, s[6:7]
	v_lshl_add_u32 v12, v10, 11, v125
	;;#ASMSTART
	s_waitcnt vmcnt(1)
	;;#ASMEND
	ds_write2_b32 v12, v4, v5 offset1:32
	ds_write2_b32 v12, v6, v7 offset0:64 offset1:96
	v_add_u32_e32 v4, 0x400, v12
	v_add_u32_e32 v101, s93, v101
	;;#ASMSTART
	s_waitcnt vmcnt(0)
	;;#ASMEND
	ds_write2_b32 v4, v0, v1 offset1:32
	ds_write2_b32 v4, v2, v3 offset0:64 offset1:96
	v_add_u32_e32 v0, 1, v111
	v_add_u32_e32 v104, s93, v10
	v_cmp_le_i32_e32 vcc, s92, v101
	ds_write_b32 v11, v0
	v_add_u32_e32 v0, 2, v111
	s_or_b64 s[4:5], vcc, s[4:5]
	v_cmp_lt_i32_e32 vcc, 0, v104
	s_nop 1
	v_cndmask_b32_e32 v111, v111, v0, vcc
	s_andn2_b64 exec, exec, s[4:5]
	s_cbranch_execz .LBB133_4
.LBB133_55:                             ;   Parent Loop BB133_7 Depth=1
                                        ; =>  This Loop Header: Depth=2
                                        ;       Child Loop BB133_57 Depth 3
	v_cmp_lt_i32_e32 vcc, 0, v104
	v_lshlrev_b32_e32 v0, 6, v101
	v_ashrrev_i32_e32 v1, 31, v0
	v_subbrev_co_u32_e32 v10, vcc, 0, v104, vcc
	v_lshl_add_u64 v[0:1], v[8:9], 0, v[0:1]
	v_lshlrev_b32_e32 v11, 2, v10
	;;#ASMSTART
	global_load_dwordx4 v[4:7], v[0:1], off offset:0   
	global_load_dwordx4 v[0:3], v[0:1], off offset:32  
	
	;;#ASMEND
	ds_read_b32 v12, v11 offset:14336
	v_add_u32_e32 v11, 0x3800, v11
	s_waitcnt lgkmcnt(0)
	v_cmp_ne_u32_e32 vcc, v12, v111
	s_and_saveexec_b64 s[6:7], vcc
	s_cbranch_execz .LBB133_54
; %bb.56:                               ;   in Loop: Header=BB133_55 Depth=2
	s_mov_b64 s[8:9], 0
.LBB133_57:                             ;   Parent Loop BB133_7 Depth=1
                                        ;     Parent Loop BB133_55 Depth=2
                                        ; =>    This Inner Loop Header: Depth=3
	;;#ASMSTART
	s_sleep 0
	;;#ASMEND
	ds_read_b32 v12, v11
	s_waitcnt lgkmcnt(0)
	v_cmp_eq_u32_e32 vcc, v12, v111
	s_or_b64 s[8:9], vcc, s[8:9]
	s_andn2_b64 exec, exec, s[8:9]
	s_cbranch_execnz .LBB133_57
	s_branch .LBB133_54
.LBB133_58:
	s_endpgm
	.section	.rodata,"a",@progbits
	.p2align	6, 0x0
	.amdhsa_kernel _Z19_skinny_gemm_kernelILi1ELi6ELi1ELi32ELi4EEvPKhS1_P6__halfPKfiiiiiiii
		.amdhsa_group_segment_fixed_size 14364
		.amdhsa_private_segment_fixed_size 116
		.amdhsa_kernarg_size 64
		.amdhsa_user_sgpr_count 2
		.amdhsa_user_sgpr_dispatch_ptr 0
		.amdhsa_user_sgpr_queue_ptr 0
		.amdhsa_user_sgpr_kernarg_segment_ptr 1
		.amdhsa_user_sgpr_dispatch_id 0
		.amdhsa_user_sgpr_kernarg_preload_length 0
		.amdhsa_user_sgpr_kernarg_preload_offset 0
		.amdhsa_user_sgpr_private_segment_size 0
		.amdhsa_uses_dynamic_stack 0
		.amdhsa_enable_private_segment 1
		.amdhsa_system_sgpr_workgroup_id_x 1
		.amdhsa_system_sgpr_workgroup_id_y 0
		.amdhsa_system_sgpr_workgroup_id_z 0
		.amdhsa_system_sgpr_workgroup_info 0
		.amdhsa_system_vgpr_workitem_id 0
		.amdhsa_next_free_vgpr 128
		.amdhsa_next_free_sgpr 100
		.amdhsa_accum_offset 128
		.amdhsa_reserve_vcc 1
		.amdhsa_float_round_mode_32 0
		.amdhsa_float_round_mode_16_64 0
		.amdhsa_float_denorm_mode_32 3
		.amdhsa_float_denorm_mode_16_64 3
		.amdhsa_dx10_clamp 1
		.amdhsa_ieee_mode 1
		.amdhsa_fp16_overflow 0
		.amdhsa_tg_split 0
		.amdhsa_exception_fp_ieee_invalid_op 0
		.amdhsa_exception_fp_denorm_src 0
		.amdhsa_exception_fp_ieee_div_zero 0
		.amdhsa_exception_fp_ieee_overflow 0
		.amdhsa_exception_fp_ieee_underflow 0
		.amdhsa_exception_fp_ieee_inexact 0
		.amdhsa_exception_int_div_zero 0
	.end_amdhsa_kernel
	.section	.text._Z19_skinny_gemm_kernelILi1ELi6ELi1ELi32ELi4EEvPKhS1_P6__halfPKfiiiiiiii,"axG",@progbits,_Z19_skinny_gemm_kernelILi1ELi6ELi1ELi32ELi4EEvPKhS1_P6__halfPKfiiiiiiii,comdat
.Lfunc_end133:
	.size	_Z19_skinny_gemm_kernelILi1ELi6ELi1ELi32ELi4EEvPKhS1_P6__halfPKfiiiiiiii, .Lfunc_end133-_Z19_skinny_gemm_kernelILi1ELi6ELi1ELi32ELi4EEvPKhS1_P6__halfPKfiiiiiiii
                                        ; -- End function
	.set _Z19_skinny_gemm_kernelILi1ELi6ELi1ELi32ELi4EEvPKhS1_P6__halfPKfiiiiiiii.num_vgpr, 128
	.set _Z19_skinny_gemm_kernelILi1ELi6ELi1ELi32ELi4EEvPKhS1_P6__halfPKfiiiiiiii.num_agpr, 0
	.set _Z19_skinny_gemm_kernelILi1ELi6ELi1ELi32ELi4EEvPKhS1_P6__halfPKfiiiiiiii.numbered_sgpr, 100
	.set _Z19_skinny_gemm_kernelILi1ELi6ELi1ELi32ELi4EEvPKhS1_P6__halfPKfiiiiiiii.num_named_barrier, 0
	.set _Z19_skinny_gemm_kernelILi1ELi6ELi1ELi32ELi4EEvPKhS1_P6__halfPKfiiiiiiii.private_seg_size, 116
	.set _Z19_skinny_gemm_kernelILi1ELi6ELi1ELi32ELi4EEvPKhS1_P6__halfPKfiiiiiiii.uses_vcc, 1
	.set _Z19_skinny_gemm_kernelILi1ELi6ELi1ELi32ELi4EEvPKhS1_P6__halfPKfiiiiiiii.uses_flat_scratch, 0
	.set _Z19_skinny_gemm_kernelILi1ELi6ELi1ELi32ELi4EEvPKhS1_P6__halfPKfiiiiiiii.has_dyn_sized_stack, 0
	.set _Z19_skinny_gemm_kernelILi1ELi6ELi1ELi32ELi4EEvPKhS1_P6__halfPKfiiiiiiii.has_recursion, 0
	.set _Z19_skinny_gemm_kernelILi1ELi6ELi1ELi32ELi4EEvPKhS1_P6__halfPKfiiiiiiii.has_indirect_call, 0
	.section	.AMDGPU.csdata,"",@progbits
; Kernel info:
; codeLenInByte = 20488
; TotalNumSgprs: 106
; NumVgprs: 128
; NumAgprs: 0
; TotalNumVgprs: 128
; ScratchSize: 116
; MemoryBound: 0
; FloatMode: 240
; IeeeMode: 1
; LDSByteSize: 14364 bytes/workgroup (compile time only)
; SGPRBlocks: 13
; VGPRBlocks: 15
; NumSGPRsForWavesPerEU: 106
; NumVGPRsForWavesPerEU: 128
; AccumOffset: 128
; Occupancy: 4
; WaveLimiterHint : 0
; COMPUTE_PGM_RSRC2:SCRATCH_EN: 1
; COMPUTE_PGM_RSRC2:USER_SGPR: 2
; COMPUTE_PGM_RSRC2:TRAP_HANDLER: 0
; COMPUTE_PGM_RSRC2:TGID_X_EN: 1
; COMPUTE_PGM_RSRC2:TGID_Y_EN: 0
; COMPUTE_PGM_RSRC2:TGID_Z_EN: 0
; COMPUTE_PGM_RSRC2:TIDIG_COMP_CNT: 0
; COMPUTE_PGM_RSRC3_GFX90A:ACCUM_OFFSET: 31
; COMPUTE_PGM_RSRC3_GFX90A:TG_SPLIT: 0
	.section	.text._Z19_skinny_gemm_kernelILi1ELi6ELi1ELi32ELi8EEvPKhS1_P6__halfPKfiiiiiiii,"axG",@progbits,_Z19_skinny_gemm_kernelILi1ELi6ELi1ELi32ELi8EEvPKhS1_P6__halfPKfiiiiiiii,comdat
	.protected	_Z19_skinny_gemm_kernelILi1ELi6ELi1ELi32ELi8EEvPKhS1_P6__halfPKfiiiiiiii ; -- Begin function _Z19_skinny_gemm_kernelILi1ELi6ELi1ELi32ELi8EEvPKhS1_P6__halfPKfiiiiiiii
	.globl	_Z19_skinny_gemm_kernelILi1ELi6ELi1ELi32ELi8EEvPKhS1_P6__halfPKfiiiiiiii
	.p2align	8
	.type	_Z19_skinny_gemm_kernelILi1ELi6ELi1ELi32ELi8EEvPKhS1_P6__halfPKfiiiiiiii,@function
_Z19_skinny_gemm_kernelILi1ELi6ELi1ELi32ELi8EEvPKhS1_P6__halfPKfiiiiiiii: ; @_Z19_skinny_gemm_kernelILi1ELi6ELi1ELi32ELi8EEvPKhS1_P6__halfPKfiiiiiiii
; %bb.0:
	v_cmp_gt_u32_e32 vcc, 7, v0
	s_and_saveexec_b64 s[4:5], vcc
; %bb.1:
	v_lshlrev_b32_e32 v1, 2, v0
	v_mov_b32_e32 v2, 0
	ds_write_b32 v1, v2 offset:28672
; %bb.2:
	s_or_b64 exec, exec, s[4:5]
	s_load_dwordx8 s[88:95], s[0:1], 0x20
	s_waitcnt lgkmcnt(0)
	s_barrier
	s_add_i32 s3, s88, 31
	s_ashr_i32 s5, s3, 31
	s_add_i32 s4, s89, 0xbf
	s_lshr_b32 s5, s5, 27
	s_mul_hi_i32 s4, s4, 0x2aaaaaab
	s_add_i32 s3, s3, s5
	s_ashr_i32 s11, s3, 5
	s_lshr_b32 s3, s4, 31
	s_ashr_i32 s4, s4, 5
	s_add_i32 s12, s4, s3
	s_mul_i32 s3, s12, s11
	s_mul_i32 s3, s3, s92
	s_add_i32 s4, s3, 0x12f
	s_mul_hi_i32 s4, s4, 0x6bca1af3
	s_lshr_b32 s5, s4, 31
	s_ashr_i32 s4, s4, 7
	s_add_i32 s4, s4, s5
	s_add_i32 s5, s2, 1
	s_mul_i32 s5, s4, s5
	v_cvt_f64_i32_e32 v[2:3], s3
	v_cvt_f64_u32_e32 v[4:5], s5
	v_min_f64 v[2:3], v[2:3], v[4:5]
	v_cvt_i32_f64_e32 v21, v[2:3]
	s_mul_i32 s33, s4, s2
	v_cmp_ge_i32_e32 vcc, s33, v21
	s_cbranch_vccnz .LBB134_58
; %bb.3:
	s_load_dwordx8 s[52:59], s[0:1], 0x0
	v_lshrrev_b32_e32 v1, 6, v0
	s_add_i32 s0, s94, s93
	v_cmp_le_i32_e64 s[14:15], s0, v1
	v_mov_b32_e32 v2, s93
	v_cmp_le_i32_e64 s[24:25], s93, v1
	v_mov_b32_e32 v3, s94
	v_cndmask_b32_e64 v3, 0, v3, s[14:15]
	v_cndmask_b32_e64 v2, 0, v2, s[24:25]
	s_abs_i32 s1, s92
	v_add_u32_e32 v2, v2, v3
	v_cvt_f32_u32_e32 v3, s1
	v_sub_u32_e32 v104, v1, v2
	s_ashr_i32 s2, s90, 31
	s_lshr_b32 s2, s2, 25
	v_rcp_iflag_f32_e32 v2, v3
	s_sub_i32 s5, 0, s1
	s_add_i32 s2, s90, s2
	s_ashr_i32 s2, s2, 7
	v_mul_f32_e32 v2, 0x4f7ffffe, v2
	v_cvt_u32_f32_e32 v2, v2
	s_abs_i32 s4, s2
	s_xor_b32 s3, s2, s92
	s_ashr_i32 s3, s3, 31
	v_readfirstlane_b32 s6, v2
	s_mul_i32 s5, s5, s6
	s_mul_hi_u32 s5, s6, s5
	s_add_i32 s6, s6, s5
	s_mul_hi_u32 s5, s4, s6
	s_mul_i32 s6, s5, s1
	s_sub_i32 s4, s4, s6
	s_add_i32 s6, s5, 1
	s_sub_i32 s7, s4, s1
	s_cmp_ge_u32 s4, s1
	s_cselect_b32 s5, s6, s5
	s_cselect_b32 s4, s7, s4
	s_add_i32 s6, s5, 1
	s_cmp_ge_u32 s4, s1
	s_cselect_b32 s1, s6, s5
	s_add_i32 s0, s0, s95
	v_and_b32_e32 v99, 31, v0
	v_lshrrev_b32_e32 v2, 3, v0
	v_cmp_gt_i32_e64 s[28:29], s0, v1
	v_lshlrev_b32_e32 v1, 2, v99
	v_and_b32_e32 v3, 4, v2
	v_lshlrev_b32_e32 v2, 6, v3
	v_or_b32_e32 v4, 0x6000, v1
	v_and_b32_e32 v5, 1, v0
	v_or_b32_e32 v123, v4, v2
	v_or_b32_e32 v126, v1, v2
	v_lshlrev_b32_e32 v2, 1, v5
	v_sub_u32_e32 v2, v0, v2
	v_mul_lo_u32 v8, s91, v99
	v_add_u32_e32 v2, 1, v2
	v_ashrrev_i32_e32 v9, 31, v8
	s_abs_i32 s30, s11
                                        ; implicit-def: $vgpr127 : SGPR spill to VGPR lane
	v_and_b32_e32 v6, 63, v2
	v_bitop3_b32 v2, v0, 1, v0 bitop3:0xc
	scratch_store_dwordx2 off, v[8:9], off offset:80 ; 8-byte Folded Spill
	v_cvt_f32_u32_e32 v8, s30
	v_writelane_b32 v127, s11, 0
	scratch_store_dword off, v2, off offset:40 ; 4-byte Folded Spill
	v_bitop3_b32 v2, v0, 3, 1 bitop3:0x6c
	v_lshrrev_b32_e32 v7, 1, v0
	v_writelane_b32 v127, s12, 1
	scratch_store_dword off, v2, off offset:44 ; 4-byte Folded Spill
	v_bitop3_b32 v2, v0, 5, 1 bitop3:0x6c
	v_and_b32_e32 v22, 16, v7
	v_lshlrev_b32_e32 v7, 4, v0
	s_waitcnt lgkmcnt(0)
	v_writelane_b32 v127, s52, 2
	scratch_store_dword off, v2, off offset:48 ; 4-byte Folded Spill
	v_bitop3_b32 v2, v0, 7, 1 bitop3:0x6c
	v_and_b32_e32 v7, 0x200, v7
	v_writelane_b32 v127, s53, 3
	scratch_store_dword off, v2, off offset:52 ; 4-byte Folded Spill
	v_bitop3_b32 v2, v0, 9, 1 bitop3:0x6c
	v_or_b32_e32 v24, v1, v7
	v_rcp_iflag_f32_e32 v1, v8
	v_writelane_b32 v127, s54, 4
	scratch_store_dword off, v2, off offset:56 ; 4-byte Folded Spill
	v_bitop3_b32 v2, v0, 11, 1 bitop3:0x6c
	v_writelane_b32 v127, s55, 5
	scratch_store_dword off, v2, off offset:60 ; 4-byte Folded Spill
	v_bitop3_b32 v2, v0, 13, 1 bitop3:0x6c
	v_writelane_b32 v127, s56, 6
	scratch_store_dword off, v2, off offset:64 ; 4-byte Folded Spill
	v_bitop3_b32 v2, v0, 15, 1 bitop3:0x6c
	s_abs_i32 s34, s12
	v_writelane_b32 v127, s57, 7
	scratch_store_dword off, v2, off offset:68 ; 4-byte Folded Spill
	v_and_b32_e32 v2, 30, v0
	v_bitop3_b32 v25, v0, 31, v0 bitop3:0xc
	v_mul_f32_e32 v0, 0x4f7ffffe, v1
	v_cvt_f32_u32_e32 v1, s34
	v_writelane_b32 v127, s58, 8
	v_writelane_b32 v127, s59, 9
	v_cndmask_b32_e64 v119, 0, 1, s[14:15]
	v_writelane_b32 v127, s14, 10
	s_xor_b32 s1, s1, s3
	v_cvt_u32_f32_e32 v0, v0
	v_writelane_b32 v127, s15, 11
	v_rcp_iflag_f32_e32 v1, v1
	v_writelane_b32 v127, s24, 12
	s_sub_i32 s13, s1, s3
	s_add_i32 s26, s92, -1
	v_writelane_b32 v127, s25, 13
	s_mul_i32 s1, s13, s26
	v_writelane_b32 v127, s13, 14
	s_sub_i32 s27, s2, s1
	v_writelane_b32 v127, s26, 15
	v_readfirstlane_b32 s1, v0
	v_mul_f32_e32 v0, 0x4f7ffffe, v1
	v_writelane_b32 v127, s27, 16
	v_cvt_u32_f32_e32 v0, v0
	v_writelane_b32 v127, s28, 17
	s_sub_i32 s0, 0, s30
	s_lshl_b32 s31, s91, 5
	v_writelane_b32 v127, s29, 18
	s_mul_i32 s0, s0, s1
	v_writelane_b32 v127, s30, 19
	s_mul_hi_u32 s0, s1, s0
	v_writelane_b32 v127, s31, 20
	s_ashr_i32 s35, s11, 31
	s_add_i32 s36, s1, s0
	s_sub_i32 s0, 0, s34
	v_readfirstlane_b32 s1, v0
	v_writelane_b32 v127, s34, 21
	s_mul_i32 s0, s0, s1
	v_mbcnt_lo_u32_b32 v0, -1, 0
	v_writelane_b32 v127, s35, 22
	s_ashr_i32 s37, s12, 31
	s_mul_hi_u32 s0, s1, s0
	v_mbcnt_hi_u32_b32 v0, -1, v0
	v_writelane_b32 v127, s36, 23
	v_mov_b32_e32 v107, 0
	s_add_i32 s38, s1, s0
	v_and_or_b32 v0, v0, 64, v6
	v_writelane_b32 v127, s37, 24
	v_mov_b32_e32 v23, v107
	v_or_b32_e32 v120, v4, v7
	v_lshlrev_b32_e32 v106, 1, v2
	v_lshlrev_b32_e32 v0, 2, v0
	v_mov_b32_e32 v121, v104
	v_writelane_b32 v127, s38, 25
	v_or_b32_e32 v118, v5, v3
	scratch_store_dword off, v0, off offset:100 ; 4-byte Folded Spill
	scratch_store_dword off, v21, off offset:24 ; 4-byte Folded Spill
	;; [unrolled: 1-line block ×5, first 2 shown]
	scratch_store_dwordx2 off, v[22:23], off offset:72 ; 8-byte Folded Spill
	scratch_store_dword off, v24, off offset:88 ; 4-byte Folded Spill
	scratch_store_dword off, v25, off offset:92 ; 4-byte Folded Spill
	;; [unrolled: 1-line block ×3, first 2 shown]
	s_branch .LBB134_7
.LBB134_4:                              ;   in Loop: Header=BB134_7 Depth=1
	s_or_b64 exec, exec, s[4:5]
.LBB134_5:                              ;   in Loop: Header=BB134_7 Depth=1
	s_or_b64 exec, exec, s[2:3]
	v_subrev_u32_e32 v121, s92, v121
.LBB134_6:                              ;   in Loop: Header=BB134_7 Depth=1
	s_or_b64 exec, exec, s[0:1]
	s_add_i32 s33, s33, 1
	s_waitcnt vmcnt(4)
	v_cmp_ge_i32_e32 vcc, s33, v21
	s_cbranch_vccnz .LBB134_58
.LBB134_7:                              ; =>This Loop Header: Depth=1
                                        ;     Child Loop BB134_13 Depth 2
                                        ;       Child Loop BB134_15 Depth 3
                                        ;       Child Loop BB134_18 Depth 3
                                        ;       Child Loop BB134_21 Depth 3
                                        ;       Child Loop BB134_24 Depth 3
                                        ;       Child Loop BB134_27 Depth 3
                                        ;       Child Loop BB134_30 Depth 3
                                        ;       Child Loop BB134_33 Depth 3
                                        ;     Child Loop BB134_37 Depth 2
                                        ;     Child Loop BB134_45 Depth 2
                                        ;       Child Loop BB134_47 Depth 3
                                        ;     Child Loop BB134_55 Depth 2
                                        ;       Child Loop BB134_57 Depth 3
	s_abs_i32 s1, s33
	s_mul_hi_u32 s2, s1, s36
	s_mul_i32 s3, s2, s30
	s_ashr_i32 s0, s33, 31
	s_sub_i32 s1, s1, s3
	s_xor_b32 s0, s0, s35
	s_add_i32 s3, s2, 1
	s_sub_i32 s4, s1, s30
	s_cmp_ge_u32 s1, s30
	s_cselect_b32 s2, s3, s2
	s_cselect_b32 s1, s4, s1
	s_add_i32 s3, s2, 1
	s_cmp_ge_u32 s1, s30
	s_cselect_b32 s1, s3, s2
	s_xor_b32 s1, s1, s0
	s_sub_i32 s0, s1, s0
	s_abs_i32 s2, s0
	s_mul_i32 s1, s0, s11
	s_mul_hi_u32 s3, s2, s38
	s_sub_i32 s1, s33, s1
	s_mul_i32 s4, s3, s34
	s_lshl_b32 s16, s1, 5
	s_ashr_i32 s1, s0, 31
	s_sub_i32 s2, s2, s4
	s_xor_b32 s1, s1, s37
	s_add_i32 s4, s3, 1
	s_sub_i32 s5, s2, s34
	s_cmp_ge_u32 s2, s34
	s_cselect_b32 s3, s4, s3
	s_cselect_b32 s2, s5, s2
	s_add_i32 s4, s3, 1
	s_cmp_ge_u32 s2, s34
	s_cselect_b32 s2, s4, s3
	s_xor_b32 s2, s2, s1
	s_sub_i32 s1, s2, s1
	s_mul_i32 s2, s1, s13
	s_lshl_b32 s41, s2, 7
	s_cmp_eq_u32 s1, s26
	s_cselect_b32 s92, s27, s13
	s_sub_i32 s2, s16, s88
	s_add_i32 s40, s2, 32
	s_and_saveexec_b64 s[2:3], s[24:25]
	s_xor_b64 s[42:43], exec, s[2:3]
	s_cbranch_execz .LBB134_51
; %bb.8:                                ;   in Loop: Header=BB134_7 Depth=1
	s_mul_i32 s1, s1, s12
	s_sub_i32 s0, s0, s1
	s_mulk_i32 s0, 0xc0
	s_sub_i32 s8, s0, s89
	s_addk_i32 s8, 0xc0
	s_max_i32 s1, s8, 0
	s_sub_i32 s44, s0, s1
	s_and_saveexec_b64 s[0:1], s[14:15]
	s_xor_b64 s[46:47], exec, s[0:1]
	s_cbranch_execz .LBB134_41
; %bb.9:                                ;   in Loop: Header=BB134_7 Depth=1
	s_and_saveexec_b64 s[48:49], s[28:29]
	s_cbranch_execz .LBB134_40
; %bb.10:                               ;   in Loop: Header=BB134_7 Depth=1
	global_load_dword v97, v107, s[58:59]
	v_mov_b32_e32 v95, 0
	v_cmp_gt_i32_e32 vcc, s92, v121
	v_mov_b32_e32 v94, v95
	v_mov_b32_e32 v93, v95
	v_mov_b32_e32 v92, v95
	v_mov_b32_e32 v91, v95
	v_mov_b32_e32 v90, v95
	v_mov_b32_e32 v89, v95
	v_mov_b32_e32 v88, v95
	v_mov_b32_e32 v87, v95
	v_mov_b32_e32 v86, v95
	v_mov_b32_e32 v85, v95
	v_mov_b32_e32 v84, v95
	v_mov_b32_e32 v83, v95
	v_mov_b32_e32 v82, v95
	v_mov_b32_e32 v81, v95
	v_mov_b32_e32 v80, v95
	v_mov_b32_e32 v79, v95
	v_mov_b32_e32 v78, v95
	v_mov_b32_e32 v77, v95
	v_mov_b32_e32 v76, v95
	v_mov_b32_e32 v75, v95
	v_mov_b32_e32 v74, v95
	v_mov_b32_e32 v73, v95
	v_mov_b32_e32 v72, v95
	v_mov_b32_e32 v71, v95
	v_mov_b32_e32 v70, v95
	v_mov_b32_e32 v69, v95
	v_mov_b32_e32 v68, v95
	v_mov_b32_e32 v67, v95
	v_mov_b32_e32 v66, v95
	v_mov_b32_e32 v65, v95
	v_mov_b32_e32 v64, v95
	v_mov_b32_e32 v63, v95
	v_mov_b32_e32 v62, v95
	v_mov_b32_e32 v61, v95
	v_mov_b32_e32 v60, v95
	v_mov_b32_e32 v59, v95
	v_mov_b32_e32 v58, v95
	v_mov_b32_e32 v57, v95
	v_mov_b32_e32 v56, v95
	v_mov_b32_e32 v55, v95
	v_mov_b32_e32 v54, v95
	v_mov_b32_e32 v53, v95
	v_mov_b32_e32 v52, v95
	v_mov_b32_e32 v51, v95
	v_mov_b32_e32 v50, v95
	v_mov_b32_e32 v49, v95
	v_mov_b32_e32 v48, v95
	v_mov_b32_e32 v47, v95
	v_mov_b32_e32 v46, v95
	v_mov_b32_e32 v45, v95
	v_mov_b32_e32 v44, v95
	v_mov_b32_e32 v43, v95
	v_mov_b32_e32 v42, v95
	v_mov_b32_e32 v41, v95
	v_mov_b32_e32 v40, v95
	v_mov_b32_e32 v39, v95
	v_mov_b32_e32 v38, v95
	v_mov_b32_e32 v37, v95
	v_mov_b32_e32 v36, v95
	v_mov_b32_e32 v35, v95
	v_mov_b32_e32 v34, v95
	v_mov_b32_e32 v33, v95
	v_mov_b32_e32 v32, v95
	v_mov_b32_e32 v31, v95
	v_mov_b32_e32 v30, v95
	v_mov_b32_e32 v29, v95
	v_mov_b32_e32 v28, v95
	v_mov_b32_e32 v27, v95
	v_mov_b32_e32 v26, v95
	s_waitcnt vmcnt(1)
	v_mov_b32_e32 v25, v95
	v_mov_b32_e32 v24, v95
	;; [unrolled: 1-line block ×26, first 2 shown]
	scratch_store_dwordx2 off, v[106:107], off ; 8-byte Folded Spill
	s_and_saveexec_b64 s[0:1], vcc
	s_cbranch_execz .LBB134_35
; %bb.11:                               ;   in Loop: Header=BB134_7 Depth=1
	v_mov_b32_e32 v0, 0
	s_mov_b64 s[2:3], 0
	v_mov_b32_e32 v1, v0
	v_mov_b32_e32 v2, v0
	;; [unrolled: 1-line block ×95, first 2 shown]
	s_waitcnt vmcnt(1)
	scratch_store_dword off, v97, off offset:8 ; 4-byte Folded Spill
	s_branch .LBB134_13
.LBB134_12:                             ;   in Loop: Header=BB134_13 Depth=2
	s_or_b64 exec, exec, s[4:5]
	v_add_u32_e32 v97, 0x5000, v96
	ds_read2_b32 v[100:101], v97 offset1:32
	v_add_u32_e32 v98, 0x5c00, v96
	v_add_u32_e32 v121, s95, v121
	s_waitcnt lgkmcnt(0)
	v_mfma_f32_32x32x16_fp8_fp8 v[0:15], v[116:117], v[100:101], v[0:15]
	ds_read2_b32 v[100:101], v97 offset0:128 offset1:160
	v_add_u32_e32 v97, 0x5400, v96
	s_waitcnt lgkmcnt(0)
	v_mfma_f32_32x32x16_fp8_fp8 v[0:15], v[114:115], v[100:101], v[0:15]
	ds_read2_b32 v[100:101], v97 offset1:32
	s_waitcnt lgkmcnt(0)
	v_mfma_f32_32x32x16_fp8_fp8 v[0:15], v[112:113], v[100:101], v[0:15]
	ds_read2_b32 v[100:101], v97 offset0:128 offset1:160
	v_add_u32_e32 v97, 0x5800, v96
	s_waitcnt lgkmcnt(0)
	v_mfma_f32_32x32x16_fp8_fp8 v[0:15], v[110:111], v[100:101], v[0:15]
	ds_read2_b32 v[100:101], v97 offset1:32
	s_waitcnt lgkmcnt(0)
	v_mfma_f32_32x32x16_fp8_fp8 v[0:15], v[108:109], v[100:101], v[0:15]
	ds_read2_b32 v[100:101], v97 offset0:128 offset1:160
	s_waitcnt lgkmcnt(0)
	v_mfma_f32_32x32x16_fp8_fp8 v[0:15], v[106:107], v[100:101], v[0:15]
	ds_read2_b32 v[96:97], v98 offset1:32
	ds_read2_b32 v[100:101], v98 offset0:128 offset1:160
	ds_write_b32 v124, v125 offset:28716
	s_waitcnt lgkmcnt(2)
	v_mfma_f32_32x32x16_fp8_fp8 v[0:15], v[104:105], v[96:97], v[0:15]
	v_add_u32_e32 v104, s95, v122
	v_add_u32_e32 v96, 2, v119
	v_cmp_lt_i32_e32 vcc, 0, v104
	s_nop 1
	v_cndmask_b32_e32 v119, v119, v96, vcc
	v_cmp_le_i32_e32 vcc, s92, v121
	s_waitcnt lgkmcnt(1)
	v_mfma_f32_32x32x16_fp8_fp8 v[0:15], v[102:103], v[100:101], v[0:15]
	s_or_b64 s[2:3], vcc, s[2:3]
	s_andn2_b64 exec, exec, s[2:3]
	s_cbranch_execz .LBB134_34
.LBB134_13:                             ;   Parent Loop BB134_7 Depth=1
                                        ; =>  This Loop Header: Depth=2
                                        ;       Child Loop BB134_15 Depth 3
                                        ;       Child Loop BB134_18 Depth 3
	;; [unrolled: 1-line block ×7, first 2 shown]
	v_cmp_lt_i32_e32 vcc, 0, v104
	s_nop 1
	v_subbrev_co_u32_e32 v122, vcc, 0, v104, vcc
	v_mul_lo_u32 v124, v122, 48
	ds_read_b32 v96, v124 offset:28672
	s_waitcnt lgkmcnt(0)
	v_cmp_ne_u32_e32 vcc, v96, v119
	s_and_saveexec_b64 s[4:5], vcc
	s_cbranch_execz .LBB134_16
; %bb.14:                               ;   in Loop: Header=BB134_13 Depth=2
	s_mov_b64 s[6:7], 0
.LBB134_15:                             ;   Parent Loop BB134_7 Depth=1
                                        ;     Parent Loop BB134_13 Depth=2
                                        ; =>    This Inner Loop Header: Depth=3
	;;#ASMSTART
	s_sleep 0
	;;#ASMEND
	ds_read_b32 v96, v124 offset:28672
	s_waitcnt lgkmcnt(0)
	v_cmp_eq_u32_e32 vcc, v96, v119
	s_or_b64 s[6:7], vcc, s[6:7]
	s_andn2_b64 exec, exec, s[6:7]
	s_cbranch_execnz .LBB134_15
.LBB134_16:                             ;   in Loop: Header=BB134_13 Depth=2
	s_or_b64 exec, exec, s[4:5]
	v_lshl_add_u32 v96, v122, 12, v123
	v_add_u32_e32 v97, 0x400, v96
	ds_read2_b32 v[116:117], v96 offset1:32
	ds_read2_b32 v[114:115], v96 offset0:128 offset1:160
	ds_read2_b32 v[112:113], v97 offset1:32
	ds_read2_b32 v[110:111], v97 offset0:128 offset1:160
	v_add_u32_e32 v97, 0x800, v96
	v_add_u32_e32 v96, 0xc00, v96
	ds_read2_b32 v[108:109], v97 offset1:32
	ds_read2_b32 v[106:107], v97 offset0:128 offset1:160
	ds_read2_b32 v[104:105], v96 offset1:32
	ds_read_b32 v97, v124 offset:28676
	ds_read2_b32 v[102:103], v96 offset0:128 offset1:160
	v_add_u32_e32 v125, 1, v119
	ds_write_b32 v124, v125 offset:28672
	s_waitcnt lgkmcnt(2)
	v_cmp_ne_u32_e32 vcc, v97, v119
	s_and_saveexec_b64 s[4:5], vcc
	s_cbranch_execz .LBB134_19
; %bb.17:                               ;   in Loop: Header=BB134_13 Depth=2
	s_mov_b64 s[6:7], 0
.LBB134_18:                             ;   Parent Loop BB134_7 Depth=1
                                        ;     Parent Loop BB134_13 Depth=2
                                        ; =>    This Inner Loop Header: Depth=3
	;;#ASMSTART
	s_sleep 0
	;;#ASMEND
	ds_read_b32 v96, v124 offset:28676
	s_waitcnt lgkmcnt(0)
	v_cmp_eq_u32_e32 vcc, v96, v119
	s_or_b64 s[6:7], vcc, s[6:7]
	s_andn2_b64 exec, exec, s[6:7]
	s_cbranch_execnz .LBB134_18
.LBB134_19:                             ;   in Loop: Header=BB134_13 Depth=2
	s_or_b64 exec, exec, s[4:5]
	s_movk_i32 s4, 0x6000
	v_mul_lo_u32 v96, v122, s4
	v_or_b32_e32 v96, v126, v96
	ds_read2_b32 v[100:101], v96 offset1:32
	v_add_u32_e32 v97, 0x400, v96
	ds_write_b32 v124, v125 offset:28676
	s_waitcnt lgkmcnt(1)
	v_mfma_f32_32x32x16_fp8_fp8 v[80:95], v[116:117], v[100:101], v[80:95]
	ds_read2_b32 v[100:101], v96 offset0:128 offset1:160
	s_waitcnt lgkmcnt(0)
	v_mfma_f32_32x32x16_fp8_fp8 v[80:95], v[114:115], v[100:101], v[80:95]
	ds_read2_b32 v[100:101], v97 offset1:32
	s_waitcnt lgkmcnt(0)
	v_mfma_f32_32x32x16_fp8_fp8 v[80:95], v[112:113], v[100:101], v[80:95]
	ds_read2_b32 v[100:101], v97 offset0:128 offset1:160
	v_add_u32_e32 v97, 0x800, v96
	s_waitcnt lgkmcnt(0)
	v_mfma_f32_32x32x16_fp8_fp8 v[80:95], v[110:111], v[100:101], v[80:95]
	ds_read2_b32 v[100:101], v97 offset1:32
	s_waitcnt lgkmcnt(0)
	v_mfma_f32_32x32x16_fp8_fp8 v[80:95], v[108:109], v[100:101], v[80:95]
	ds_read2_b32 v[100:101], v97 offset0:128 offset1:160
	v_add_u32_e32 v97, 0xc00, v96
	s_waitcnt lgkmcnt(0)
	v_mfma_f32_32x32x16_fp8_fp8 v[80:95], v[106:107], v[100:101], v[80:95]
	ds_read2_b32 v[100:101], v97 offset1:32
	s_waitcnt lgkmcnt(0)
	v_mfma_f32_32x32x16_fp8_fp8 v[80:95], v[104:105], v[100:101], v[80:95]
	ds_read2_b32 v[100:101], v97 offset0:128 offset1:160
	ds_read_b32 v97, v124 offset:28684
	s_waitcnt lgkmcnt(0)
	v_cmp_ne_u32_e32 vcc, v97, v119
	v_mfma_f32_32x32x16_fp8_fp8 v[80:95], v[102:103], v[100:101], v[80:95]
	s_and_saveexec_b64 s[4:5], vcc
	s_cbranch_execz .LBB134_22
; %bb.20:                               ;   in Loop: Header=BB134_13 Depth=2
	s_mov_b64 s[6:7], 0
.LBB134_21:                             ;   Parent Loop BB134_7 Depth=1
                                        ;     Parent Loop BB134_13 Depth=2
                                        ; =>    This Inner Loop Header: Depth=3
	;;#ASMSTART
	s_sleep 0
	;;#ASMEND
	ds_read_b32 v97, v124 offset:28684
	s_waitcnt lgkmcnt(0)
	v_cmp_eq_u32_e32 vcc, v97, v119
	s_or_b64 s[6:7], vcc, s[6:7]
	s_andn2_b64 exec, exec, s[6:7]
	s_cbranch_execnz .LBB134_21
.LBB134_22:                             ;   in Loop: Header=BB134_13 Depth=2
	s_or_b64 exec, exec, s[4:5]
	v_add_u32_e32 v97, 0x1000, v96
	ds_read2_b32 v[100:101], v97 offset1:32
	s_waitcnt lgkmcnt(0)
	v_mfma_f32_32x32x16_fp8_fp8 v[64:79], v[116:117], v[100:101], v[64:79]
	ds_read2_b32 v[100:101], v97 offset0:128 offset1:160
	v_add_u32_e32 v97, 0x1400, v96
	s_waitcnt lgkmcnt(0)
	v_mfma_f32_32x32x16_fp8_fp8 v[64:79], v[114:115], v[100:101], v[64:79]
	ds_read2_b32 v[100:101], v97 offset1:32
	s_waitcnt lgkmcnt(0)
	v_mfma_f32_32x32x16_fp8_fp8 v[64:79], v[112:113], v[100:101], v[64:79]
	ds_read2_b32 v[100:101], v97 offset0:128 offset1:160
	v_add_u32_e32 v97, 0x1800, v96
	s_waitcnt lgkmcnt(0)
	v_mfma_f32_32x32x16_fp8_fp8 v[64:79], v[110:111], v[100:101], v[64:79]
	ds_read2_b32 v[100:101], v97 offset1:32
	s_waitcnt lgkmcnt(0)
	v_mfma_f32_32x32x16_fp8_fp8 v[64:79], v[108:109], v[100:101], v[64:79]
	ds_read2_b32 v[100:101], v97 offset0:128 offset1:160
	v_add_u32_e32 v97, 0x1c00, v96
	s_waitcnt lgkmcnt(0)
	v_mfma_f32_32x32x16_fp8_fp8 v[64:79], v[106:107], v[100:101], v[64:79]
	ds_read2_b32 v[100:101], v97 offset1:32
	s_waitcnt lgkmcnt(0)
	v_mfma_f32_32x32x16_fp8_fp8 v[64:79], v[104:105], v[100:101], v[64:79]
	ds_read_b32 v98, v124 offset:28692
	ds_read2_b32 v[100:101], v97 offset0:128 offset1:160
	ds_write_b32 v124, v125 offset:28684
	s_waitcnt lgkmcnt(2)
	v_cmp_ne_u32_e32 vcc, v98, v119
	s_waitcnt lgkmcnt(1)
	v_mfma_f32_32x32x16_fp8_fp8 v[64:79], v[102:103], v[100:101], v[64:79]
	s_and_saveexec_b64 s[4:5], vcc
	s_cbranch_execz .LBB134_25
; %bb.23:                               ;   in Loop: Header=BB134_13 Depth=2
	s_mov_b64 s[6:7], 0
.LBB134_24:                             ;   Parent Loop BB134_7 Depth=1
                                        ;     Parent Loop BB134_13 Depth=2
                                        ; =>    This Inner Loop Header: Depth=3
	;;#ASMSTART
	s_sleep 0
	;;#ASMEND
	ds_read_b32 v97, v124 offset:28692
	s_waitcnt lgkmcnt(0)
	v_cmp_eq_u32_e32 vcc, v97, v119
	s_or_b64 s[6:7], vcc, s[6:7]
	s_andn2_b64 exec, exec, s[6:7]
	s_cbranch_execnz .LBB134_24
.LBB134_25:                             ;   in Loop: Header=BB134_13 Depth=2
	s_or_b64 exec, exec, s[4:5]
	v_add_u32_e32 v97, 0x2000, v96
	ds_read2_b32 v[100:101], v97 offset1:32
	s_waitcnt lgkmcnt(0)
	v_mfma_f32_32x32x16_fp8_fp8 v[48:63], v[116:117], v[100:101], v[48:63]
	ds_read2_b32 v[100:101], v97 offset0:128 offset1:160
	v_add_u32_e32 v97, 0x2400, v96
	s_waitcnt lgkmcnt(0)
	v_mfma_f32_32x32x16_fp8_fp8 v[48:63], v[114:115], v[100:101], v[48:63]
	ds_read2_b32 v[100:101], v97 offset1:32
	s_waitcnt lgkmcnt(0)
	v_mfma_f32_32x32x16_fp8_fp8 v[48:63], v[112:113], v[100:101], v[48:63]
	ds_read2_b32 v[100:101], v97 offset0:128 offset1:160
	v_add_u32_e32 v97, 0x2800, v96
	s_waitcnt lgkmcnt(0)
	v_mfma_f32_32x32x16_fp8_fp8 v[48:63], v[110:111], v[100:101], v[48:63]
	ds_read2_b32 v[100:101], v97 offset1:32
	s_waitcnt lgkmcnt(0)
	v_mfma_f32_32x32x16_fp8_fp8 v[48:63], v[108:109], v[100:101], v[48:63]
	ds_read2_b32 v[100:101], v97 offset0:128 offset1:160
	v_add_u32_e32 v97, 0x2c00, v96
	s_waitcnt lgkmcnt(0)
	v_mfma_f32_32x32x16_fp8_fp8 v[48:63], v[106:107], v[100:101], v[48:63]
	ds_read2_b32 v[100:101], v97 offset1:32
	s_waitcnt lgkmcnt(0)
	v_mfma_f32_32x32x16_fp8_fp8 v[48:63], v[104:105], v[100:101], v[48:63]
	ds_read_b32 v98, v124 offset:28700
	ds_read2_b32 v[100:101], v97 offset0:128 offset1:160
	ds_write_b32 v124, v125 offset:28692
	s_waitcnt lgkmcnt(2)
	v_cmp_ne_u32_e32 vcc, v98, v119
	s_waitcnt lgkmcnt(1)
	;; [unrolled: 50-line block ×4, first 2 shown]
	v_mfma_f32_32x32x16_fp8_fp8 v[16:31], v[102:103], v[100:101], v[16:31]
	s_and_saveexec_b64 s[4:5], vcc
	s_cbranch_execz .LBB134_12
; %bb.32:                               ;   in Loop: Header=BB134_13 Depth=2
	s_mov_b64 s[6:7], 0
.LBB134_33:                             ;   Parent Loop BB134_7 Depth=1
                                        ;     Parent Loop BB134_13 Depth=2
                                        ; =>    This Inner Loop Header: Depth=3
	;;#ASMSTART
	s_sleep 0
	;;#ASMEND
	ds_read_b32 v97, v124 offset:28716
	s_waitcnt lgkmcnt(0)
	v_cmp_eq_u32_e32 vcc, v97, v119
	s_or_b64 s[6:7], vcc, s[6:7]
	s_andn2_b64 exec, exec, s[6:7]
	s_cbranch_execnz .LBB134_33
	s_branch .LBB134_12
.LBB134_34:                             ;   in Loop: Header=BB134_7 Depth=1
	s_or_b64 exec, exec, s[2:3]
	scratch_load_dword v97, off, off offset:8 ; 4-byte Folded Reload
.LBB134_35:                             ;   in Loop: Header=BB134_7 Depth=1
	v_writelane_b32 v127, s48, 26
	s_nop 1
	v_writelane_b32 v127, s49, 27
	v_writelane_b32 v127, s46, 28
	s_nop 1
	v_writelane_b32 v127, s47, 29
	;; [unrolled: 3-line block ×4, first 2 shown]
	v_writelane_b32 v127, s41, 34
	v_writelane_b32 v127, s40, 35
	;; [unrolled: 1-line block ×3, first 2 shown]
	s_or_b64 exec, exec, s[0:1]
	scratch_load_dword v118, off, off offset:40 ; 4-byte Folded Reload
	scratch_load_dword v107, off, off offset:100 ; 4-byte Folded Reload
	v_cmp_le_i32_e32 vcc, s8, v99
	v_or_b32_e32 v102, 32, v99
	v_subrev_u32_e32 v121, s92, v121
	s_waitcnt vmcnt(2)
	v_cndmask_b32_e32 v96, 0, v97, vcc
	v_pk_mul_f32 v[108:109], v[96:97], v[94:95] op_sel_hi:[0,1]
	v_pk_mul_f32 v[92:93], v[96:97], v[92:93] op_sel_hi:[0,1]
	;; [unrolled: 1-line block ×8, first 2 shown]
	v_cmp_le_i32_e32 vcc, s8, v102
	v_or_b32_e32 v96, 64, v99
	s_nop 0
	v_cndmask_b32_e32 v86, 0, v97, vcc
	v_cmp_le_i32_e32 vcc, s8, v96
	v_or_b32_e32 v96, 0x60, v99
	v_pk_mul_f32 v[94:95], v[86:87], v[66:67] op_sel_hi:[0,1]
	v_cndmask_b32_e32 v66, 0, v97, vcc
	v_cmp_le_i32_e32 vcc, s8, v96
	v_or_b32_e32 v96, 0x80, v99
	v_pk_mul_f32 v[116:117], v[66:67], v[48:49] op_sel_hi:[0,1]
	;; [unrolled: 4-line block ×3, first 2 shown]
	v_pk_mul_f32 v[102:103], v[86:87], v[76:77] op_sel_hi:[0,1]
	v_pk_mul_f32 v[74:75], v[86:87], v[74:75] op_sel_hi:[0,1]
	;; [unrolled: 1-line block ×7, first 2 shown]
	v_cndmask_b32_e32 v32, 0, v97, vcc
	v_cmp_le_i32_e32 vcc, s8, v96
	v_pk_mul_f32 v[100:101], v[66:67], v[50:51] op_sel_hi:[0,1]
	v_pk_mul_f32 v[50:51], v[48:49], v[34:35] op_sel_hi:[0,1]
	;; [unrolled: 1-line block ×3, first 2 shown]
	v_cndmask_b32_e32 v16, 0, v97, vcc
	scratch_load_dword v99, off, off offset:48 ; 4-byte Folded Reload
	v_pk_mul_f32 v[14:15], v[16:17], v[14:15] op_sel_hi:[0,1]
	v_pk_mul_f32 v[12:13], v[16:17], v[12:13] op_sel_hi:[0,1]
	;; [unrolled: 1-line block ×27, first 2 shown]
	s_waitcnt vmcnt(2)
	v_cmp_eq_u32_e64 s[6:7], 1, v118
	s_nop 1
	v_cndmask_b32_e64 v16, v80, v81, s[6:7]
	v_cmp_eq_u32_e64 s[38:39], 2, v118
	v_cmp_eq_u32_e32 vcc, 3, v118
	v_cmp_eq_u32_e64 s[0:1], 4, v118
	v_cndmask_b32_e64 v16, v16, v82, s[38:39]
	v_cndmask_b32_e32 v16, v16, v83, vcc
	v_cndmask_b32_e64 v16, v16, v84, s[0:1]
	v_cmp_eq_u32_e64 s[2:3], 5, v118
	v_cmp_eq_u32_e64 s[34:35], 6, v118
	v_cmp_eq_u32_e64 s[26:27], 7, v118
	v_cndmask_b32_e64 v16, v16, v85, s[2:3]
	v_cndmask_b32_e64 v16, v16, v122, s[34:35]
	v_cndmask_b32_e64 v16, v16, v123, s[26:27]
	v_cmp_eq_u32_e64 s[24:25], 8, v118
	v_cmp_eq_u32_e64 s[22:23], 9, v118
	v_cmp_eq_u32_e64 s[20:21], 10, v118
	v_cndmask_b32_e64 v16, v16, v88, s[24:25]
	v_cndmask_b32_e64 v16, v16, v89, s[22:23]
	v_cndmask_b32_e64 v16, v16, v90, s[20:21]
	v_cmp_eq_u32_e64 s[18:19], 11, v118
	v_cmp_eq_u32_e64 s[14:15], 12, v118
	v_cmp_eq_u32_e64 s[12:13], 13, v118
	v_cndmask_b32_e64 v16, v16, v91, s[18:19]
	v_cndmask_b32_e64 v16, v16, v92, s[14:15]
	v_cndmask_b32_e64 v16, v16, v93, s[12:13]
	v_cmp_eq_u32_e64 s[10:11], 14, v118
	v_cmp_eq_u32_e64 s[8:9], 15, v118
	v_cmp_eq_u32_e64 s[42:43], 0, v118
	v_cndmask_b32_e64 v16, v16, v108, s[10:11]
	v_cndmask_b32_e64 v16, v16, v109, s[8:9]
	s_waitcnt vmcnt(1)
	ds_bpermute_b32 v16, v107, v16
	s_waitcnt lgkmcnt(0)
	v_cndmask_b32_e64 v76, v85, v16, s[2:3]
	scratch_load_dword v85, off, off offset:44 ; 4-byte Folded Reload
	v_cndmask_b32_e64 v17, v109, v16, s[8:9]
	v_cndmask_b32_e64 v48, v108, v16, s[10:11]
	;; [unrolled: 1-line block ×11, first 2 shown]
	v_cndmask_b32_e32 v83, v83, v16, vcc
	v_cndmask_b32_e64 v82, v82, v16, s[38:39]
	v_cndmask_b32_e64 v81, v81, v16, s[6:7]
	;; [unrolled: 1-line block ×3, first 2 shown]
	s_waitcnt vmcnt(1)
	v_cmp_eq_u32_e64 s[40:41], 1, v99
	s_waitcnt vmcnt(0)
	v_cmp_eq_u32_e64 s[4:5], 1, v85
	s_nop 1
	v_cndmask_b32_e64 v73, v16, v81, s[4:5]
	v_cmp_eq_u32_e64 s[28:29], 2, v85
	v_cmp_eq_u32_e64 s[30:31], 3, v85
	v_cmp_eq_u32_e64 s[36:37], 4, v85
	v_cndmask_b32_e64 v73, v73, v82, s[28:29]
	v_cndmask_b32_e64 v73, v73, v83, s[30:31]
	v_cndmask_b32_e64 v73, v73, v84, s[36:37]
	v_cmp_eq_u32_e64 s[44:45], 5, v85
	v_cmp_eq_u32_e64 s[48:49], 6, v85
	v_cmp_eq_u32_e64 s[52:53], 7, v85
	v_cndmask_b32_e64 v73, v73, v76, s[44:45]
	v_cndmask_b32_e64 v73, v73, v72, s[48:49]
	;; [unrolled: 6-line block ×5, first 2 shown]
	ds_bpermute_b32 v80, v107, v73
	s_waitcnt lgkmcnt(0)
	v_cndmask_b32_e64 v77, v70, v80, s[56:57]
	v_cndmask_b32_e64 v70, v72, v80, s[48:49]
	;; [unrolled: 1-line block ×4, first 2 shown]
	v_cndmask_b32_e32 v72, v72, v101, vcc
	v_cndmask_b32_e64 v72, v72, v52, s[0:1]
	v_cndmask_b32_e64 v72, v72, v53, s[2:3]
	;; [unrolled: 1-line block ×12, first 2 shown]
	ds_bpermute_b32 v72, v107, v72
	v_cndmask_b32_e64 v123, v48, v80, s[80:81]
	v_cndmask_b32_e64 v48, v83, v80, s[30:31]
	v_cndmask_b32_e64 v32, v17, v80, s[84:85]
	v_cndmask_b32_e64 v17, v64, v65, s[6:7]
	s_waitcnt lgkmcnt(0)
	v_cndmask_b32_e64 v96, v52, v72, s[0:1]
	v_cndmask_b32_e64 v52, v86, v87, s[6:7]
	;; [unrolled: 1-line block ×3, first 2 shown]
	v_cndmask_b32_e32 v52, v52, v51, vcc
	v_cndmask_b32_e64 v52, v52, v36, s[0:1]
	v_cndmask_b32_e64 v52, v52, v37, s[2:3]
	;; [unrolled: 1-line block ×12, first 2 shown]
	ds_bpermute_b32 v52, v107, v52
	v_cndmask_b32_e64 v17, v17, v94, s[38:39]
	v_cndmask_b32_e32 v17, v17, v95, vcc
	v_cndmask_b32_e64 v17, v17, v114, s[0:1]
	v_cndmask_b32_e64 v17, v17, v115, s[2:3]
	s_waitcnt lgkmcnt(0)
	v_cndmask_b32_e64 v83, v36, v52, s[0:1]
	v_cndmask_b32_e64 v36, v34, v35, s[6:7]
	;; [unrolled: 1-line block ×3, first 2 shown]
	v_cndmask_b32_e32 v36, v36, v19, vcc
	v_cndmask_b32_e64 v36, v36, v20, s[0:1]
	v_cndmask_b32_e64 v36, v36, v21, s[2:3]
	;; [unrolled: 1-line block ×12, first 2 shown]
	ds_bpermute_b32 v36, v107, v36
	v_cndmask_b32_e64 v17, v17, v112, s[34:35]
	v_cndmask_b32_e64 v17, v17, v113, s[26:27]
	;; [unrolled: 1-line block ×4, first 2 shown]
	s_waitcnt lgkmcnt(0)
	v_cndmask_b32_e64 v18, v18, v36, s[38:39]
	scratch_store_dword off, v18, off offset:20 ; 4-byte Folded Spill
	v_cndmask_b32_e64 v18, v0, v1, s[6:7]
	v_cndmask_b32_e64 v18, v18, v2, s[38:39]
	v_cndmask_b32_e32 v18, v18, v3, vcc
	v_cndmask_b32_e64 v18, v18, v4, s[0:1]
	v_cndmask_b32_e64 v18, v18, v5, s[2:3]
	v_cndmask_b32_e64 v18, v18, v6, s[34:35]
	v_cndmask_b32_e64 v18, v18, v7, s[26:27]
	v_cndmask_b32_e64 v18, v18, v8, s[24:25]
	v_cndmask_b32_e64 v17, v17, v74, s[20:21]
	v_cndmask_b32_e64 v18, v18, v9, s[22:23]
	v_cndmask_b32_e64 v17, v17, v75, s[18:19]
	v_cndmask_b32_e64 v18, v18, v10, s[20:21]
	v_cndmask_b32_e64 v17, v17, v102, s[14:15]
	v_cndmask_b32_e64 v18, v18, v11, s[18:19]
	v_cndmask_b32_e64 v17, v17, v103, s[12:13]
	v_cndmask_b32_e64 v18, v18, v12, s[14:15]
	v_cndmask_b32_e64 v17, v17, v78, s[10:11]
	v_cndmask_b32_e64 v18, v18, v13, s[12:13]
	v_cndmask_b32_e64 v17, v17, v79, s[8:9]
	v_cndmask_b32_e64 v18, v18, v14, s[10:11]
	v_cndmask_b32_e64 v73, v71, v80, s[52:53]
	ds_bpermute_b32 v71, v107, v17
	v_cndmask_b32_e64 v18, v18, v15, s[8:9]
	ds_bpermute_b32 v18, v107, v18
	v_cndmask_b32_e64 v17, v81, v80, s[4:5]
	v_cndmask_b32_e64 v16, v16, v80, s[16:17]
	v_cndmask_b32_e32 v19, v19, v36, vcc
	v_cndmask_b32_e64 v124, v49, v80, s[76:77]
	v_cndmask_b32_e64 v125, v66, v80, s[72:73]
	;; [unrolled: 1-line block ×5, first 2 shown]
	s_waitcnt lgkmcnt(1)
	v_cndmask_b32_e64 v106, v75, v71, s[18:19]
	v_cndmask_b32_e64 v33, v74, v71, s[20:21]
	v_cndmask_b32_e32 v74, v95, v71, vcc
	v_cndmask_b32_e64 v75, v94, v71, s[38:39]
	v_cndmask_b32_e64 v76, v65, v71, s[6:7]
	;; [unrolled: 1-line block ×13, first 2 shown]
	v_cndmask_b32_e32 v97, v101, v72, vcc
	v_cndmask_b32_e64 v98, v100, v72, s[38:39]
	v_cndmask_b32_e64 v100, v117, v72, s[6:7]
	;; [unrolled: 1-line block ×4, first 2 shown]
	scratch_store_dword off, v19, off offset:16 ; 4-byte Folded Spill
	v_cndmask_b32_e64 v81, v35, v36, s[6:7]
	v_cndmask_b32_e64 v19, v16, v17, s[40:41]
	v_cmp_eq_u32_e64 s[6:7], 2, v99
	v_cndmask_b32_e64 v79, v79, v71, s[8:9]
	v_cndmask_b32_e64 v47, v47, v52, s[8:9]
	;; [unrolled: 1-line block ×4, first 2 shown]
	s_waitcnt lgkmcnt(0)
	v_cndmask_b32_e64 v15, v15, v18, s[8:9]
	v_cmp_eq_u32_e64 s[8:9], 3, v99
	v_cndmask_b32_e64 v126, v67, v80, s[68:69]
	v_cndmask_b32_e64 v67, v69, v80, s[60:61]
	;; [unrolled: 1-line block ×9, first 2 shown]
	v_cmp_eq_u32_e64 s[10:11], 4, v99
	v_cndmask_b32_e64 v103, v103, v71, s[12:13]
	v_cndmask_b32_e64 v45, v45, v52, s[12:13]
	scratch_store_dword off, v37, off offset:8 ; 4-byte Folded Spill
	v_cndmask_b32_e64 v37, v29, v36, s[12:13]
	v_cndmask_b32_e64 v19, v19, v69, s[10:11]
	;; [unrolled: 1-line block ×3, first 2 shown]
	v_cmp_eq_u32_e64 s[12:13], 5, v99
	v_cndmask_b32_e64 v105, v102, v71, s[14:15]
	v_cndmask_b32_e64 v44, v44, v52, s[14:15]
	;; [unrolled: 1-line block ×5, first 2 shown]
	v_cmp_eq_u32_e64 s[14:15], 6, v99
	v_cndmask_b32_e64 v57, v43, v52, s[18:19]
	v_cndmask_b32_e64 v87, v27, v36, s[18:19]
	;; [unrolled: 1-line block ×4, first 2 shown]
	v_cmp_eq_u32_e64 s[18:19], 7, v99
	v_cndmask_b32_e64 v108, v111, v71, s[22:23]
	v_cndmask_b32_e64 v109, v110, v71, s[24:25]
	;; [unrolled: 1-line block ×12, first 2 shown]
	v_cmp_eq_u32_e64 s[20:21], 8, v99
	v_cndmask_b32_e64 v59, v41, v52, s[22:23]
	v_cndmask_b32_e64 v61, v25, v36, s[22:23]
	v_cndmask_b32_e64 v10, v11, v77, s[20:21]
	v_cndmask_b32_e64 v116, v9, v18, s[22:23]
	v_cmp_eq_u32_e64 s[22:23], 9, v99
	v_cndmask_b32_e64 v60, v40, v52, s[24:25]
	v_cndmask_b32_e64 v62, v24, v36, s[24:25]
	v_cndmask_b32_e64 v9, v10, v67, s[22:23]
	v_cndmask_b32_e64 v115, v8, v18, s[24:25]
	;; [unrolled: 5-line block ×4, first 2 shown]
	v_cmp_eq_u32_e64 s[34:35], 12, v99
	v_cndmask_b32_e64 v65, v21, v36, s[2:3]
	v_cndmask_b32_e64 v5, v5, v18, s[2:3]
	;; [unrolled: 1-line block ×3, first 2 shown]
	v_cmp_eq_u32_e64 s[2:3], 13, v99
	v_cndmask_b32_e64 v20, v20, v36, s[0:1]
	v_cndmask_b32_e64 v4, v4, v18, s[0:1]
	;; [unrolled: 1-line block ×3, first 2 shown]
	v_cmp_eq_u32_e64 s[0:1], 14, v99
	v_cndmask_b32_e32 v82, v51, v52, vcc
	v_cndmask_b32_e32 v3, v3, v18, vcc
	v_cndmask_b32_e64 v6, v6, v123, s[0:1]
	v_cmp_eq_u32_e32 vcc, 15, v99
	v_cndmask_b32_e64 v80, v50, v52, s[38:39]
	scratch_store_dword off, v20, off offset:12 ; 4-byte Folded Spill
	v_cndmask_b32_e32 v6, v6, v32, vcc
	ds_bpermute_b32 v7, v107, v6
	v_cndmask_b32_e64 v6, v2, v18, s[38:39]
	v_cmp_ne_u32_e64 s[38:39], 0, v118
	v_cndmask_b32_e64 v85, v34, v36, s[42:43]
	s_waitcnt lgkmcnt(0)
	v_cndmask_b32_e32 v8, v32, v7, vcc
	scratch_load_dword v32, off, off offset:52 ; 4-byte Folded Reload
	v_cndmask_b32_e64 v1, v1, v18, s[38:39]
	v_cmp_eq_u32_e64 s[38:39], 0, v99
	v_cndmask_b32_e64 v17, v17, v7, s[40:41]
	v_cndmask_b32_e64 v24, v70, v7, s[14:15]
	v_writelane_b32 v127, s38, 37
	v_cndmask_b32_e64 v28, v49, v7, s[6:7]
	v_cndmask_b32_e64 v70, v0, v18, s[42:43]
	;; [unrolled: 1-line block ×3, first 2 shown]
	v_writelane_b32 v127, s39, 38
	v_cndmask_b32_e64 v27, v48, v7, s[8:9]
	v_cndmask_b32_e64 v26, v69, v7, s[10:11]
	;; [unrolled: 1-line block ×11, first 2 shown]
	s_waitcnt vmcnt(0)
	v_cmp_eq_u32_e64 s[58:59], 1, v32
	s_nop 1
	v_cndmask_b32_e64 v0, v16, v17, s[58:59]
	v_cmp_eq_u32_e64 s[38:39], 2, v32
	v_cmp_eq_u32_e64 s[46:47], 3, v32
	v_cmp_eq_u32_e64 s[50:51], 4, v32
	v_cndmask_b32_e64 v0, v0, v28, s[38:39]
	v_cndmask_b32_e64 v0, v0, v27, s[46:47]
	v_cndmask_b32_e64 v0, v0, v26, s[50:51]
	v_cmp_eq_u32_e64 s[54:55], 5, v32
	v_cmp_eq_u32_e64 s[62:63], 6, v32
	v_cmp_eq_u32_e64 s[66:67], 7, v32
	v_cndmask_b32_e64 v0, v0, v25, s[54:55]
	v_cndmask_b32_e64 v0, v0, v24, s[62:63]
	;; [unrolled: 6-line block ×3, first 2 shown]
	v_cndmask_b32_e64 v0, v0, v20, s[78:79]
	v_cmp_eq_u32_e64 s[82:83], 11, v32
	v_cmp_eq_u32_e64 s[86:87], 12, v32
	s_mov_b64 s[96:97], s[38:39]
	v_cndmask_b32_e64 v0, v0, v19, s[82:83]
	v_cndmask_b32_e64 v0, v0, v11, s[86:87]
	v_cmp_eq_u32_e64 s[38:39], 13, v32
	v_cmp_eq_u32_e64 s[42:43], 14, v32
	;; [unrolled: 1-line block ×3, first 2 shown]
	v_cndmask_b32_e64 v0, v0, v10, s[38:39]
	v_cndmask_b32_e64 v0, v0, v9, s[42:43]
	;; [unrolled: 1-line block ×3, first 2 shown]
	ds_bpermute_b32 v18, v107, v0
	v_writelane_b32 v127, s96, 39
	s_waitcnt lgkmcnt(0)
	v_cndmask_b32_e64 v7, v9, v18, s[42:43]
	v_cndmask_b32_e64 v9, v11, v18, s[86:87]
	;; [unrolled: 1-line block ×18, first 2 shown]
	ds_bpermute_b32 v43, v107, v20
	v_writelane_b32 v127, s97, 40
	v_cndmask_b32_e64 v51, v28, v18, s[96:97]
	v_cmp_eq_u32_e64 s[96:97], 0, v32
	v_cndmask_b32_e64 v2, v8, v18, s[98:99]
	s_waitcnt lgkmcnt(0)
	v_cndmask_b32_e64 v32, v91, v43, s[72:73]
	scratch_load_dword v91, off, off offset:8 ; 4-byte Folded Reload
	v_cndmask_b32_e64 v124, v88, v43, s[84:85]
	scratch_load_dword v88, off, off offset:20 ; 4-byte Folded Reload
	;; [unrolled: 2-line block ×4, first 2 shown]
	v_cndmask_b32_e64 v8, v10, v18, s[38:39]
	v_cndmask_b32_e64 v10, v19, v18, s[82:83]
	;; [unrolled: 1-line block ×23, first 2 shown]
	ds_bpermute_b32 v19, v107, v19
	v_cndmask_b32_e64 v49, v26, v18, s[50:51]
	v_cndmask_b32_e64 v50, v27, v18, s[46:47]
	;; [unrolled: 1-line block ×4, first 2 shown]
	s_waitcnt lgkmcnt(0)
	v_cndmask_b32_e64 v26, v74, v19, s[30:31]
	v_cndmask_b32_e64 v27, v75, v19, s[28:29]
	;; [unrolled: 1-line block ×7, first 2 shown]
	v_writelane_b32 v127, s96, 41
	v_cndmask_b32_e64 v77, v79, v19, s[84:85]
	v_cndmask_b32_e64 v78, v78, v19, s[80:81]
	;; [unrolled: 1-line block ×24, first 2 shown]
	v_writelane_b32 v127, s97, 42
	s_waitcnt vmcnt(3)
	v_cndmask_b32_e64 v53, v53, v91, s[44:45]
	v_cndmask_b32_e64 v53, v53, v38, s[48:49]
	;; [unrolled: 1-line block ×11, first 2 shown]
	ds_bpermute_b32 v74, v107, v53
	v_cndmask_b32_e64 v53, v85, v81, s[4:5]
	s_waitcnt vmcnt(2)
	v_cndmask_b32_e64 v53, v53, v88, s[28:29]
	s_waitcnt vmcnt(1)
	;; [unrolled: 2-line block ×3, first 2 shown]
	v_cndmask_b32_e64 v53, v53, v90, s[36:37]
	v_cndmask_b32_e64 v53, v53, v65, s[44:45]
	;; [unrolled: 1-line block ×12, first 2 shown]
	ds_bpermute_b32 v75, v107, v53
	v_cndmask_b32_e64 v53, v70, v1, s[4:5]
	v_cndmask_b32_e64 v53, v53, v6, s[28:29]
	;; [unrolled: 1-line block ×15, first 2 shown]
	ds_bpermute_b32 v76, v107, v53
	s_waitcnt lgkmcnt(2)
	v_cndmask_b32_e64 v96, v80, v74, s[28:29]
	s_waitcnt lgkmcnt(1)
	v_cndmask_b32_e64 v101, v88, v75, s[28:29]
	v_cndmask_b32_e64 v55, v37, v75, s[76:77]
	;; [unrolled: 1-line block ×3, first 2 shown]
	s_waitcnt lgkmcnt(0)
	v_cndmask_b32_e64 v106, v13, v76, s[76:77]
	scratch_load_dword v13, off, off offset:56 ; 4-byte Folded Reload
	v_cndmask_b32_e64 v109, v117, v76, s[64:65]
	v_cndmask_b32_e64 v117, v6, v76, s[28:29]
	;; [unrolled: 1-line block ×41, first 2 shown]
	v_readlane_b32 s36, v127, 37
	v_cndmask_b32_e64 v59, v59, v74, s[60:61]
	v_cndmask_b32_e64 v61, v61, v75, s[60:61]
	v_readlane_b32 s37, v127, 38
	s_waitcnt vmcnt(0)
	v_cmp_eq_u32_e64 s[28:29], 1, v13
	s_nop 1
	v_cndmask_b32_e64 v12, v73, v52, s[28:29]
	v_cmp_eq_u32_e64 s[44:45], 2, v13
	v_cmp_eq_u32_e64 s[48:49], 3, v13
	v_cmp_eq_u32_e64 s[52:53], 4, v13
	v_cndmask_b32_e64 v12, v12, v51, s[44:45]
	v_cndmask_b32_e64 v12, v12, v50, s[48:49]
	v_cndmask_b32_e64 v12, v12, v49, s[52:53]
	v_cmp_eq_u32_e64 s[56:57], 5, v13
	v_cmp_eq_u32_e64 s[64:65], 6, v13
	v_cmp_eq_u32_e64 s[68:69], 7, v13
	v_cndmask_b32_e64 v12, v12, v48, s[56:57]
	v_cndmask_b32_e64 v12, v12, v69, s[64:65]
	;; [unrolled: 6-line block ×5, first 2 shown]
	ds_bpermute_b32 v12, v107, v12
	s_waitcnt lgkmcnt(0)
	v_cndmask_b32_e64 v87, v0, v12, s[76:77]
	v_cndmask_b32_e64 v0, v123, v28, s[40:41]
	;; [unrolled: 1-line block ×15, first 2 shown]
	v_cndmask_b32_e32 v0, v0, v77, vcc
	v_cndmask_b32_e64 v81, v2, v12, s[4:5]
	ds_bpermute_b32 v0, v107, v0
	v_cndmask_b32_e64 v2, v43, v42, s[40:41]
	v_cndmask_b32_e64 v2, v2, v41, s[6:7]
	;; [unrolled: 1-line block ×10, first 2 shown]
	s_waitcnt lgkmcnt(0)
	v_cndmask_b32_e32 v68, v77, v0, vcc
	v_cndmask_b32_e64 v69, v78, v0, s[0:1]
	v_cndmask_b32_e64 v70, v79, v0, s[2:3]
	;; [unrolled: 1-line block ×33, first 2 shown]
	v_cndmask_b32_e32 v2, v2, v124, vcc
	v_cndmask_b32_e64 v0, v0, v46, s[24:25]
	ds_bpermute_b32 v2, v107, v2
	v_cndmask_b32_e64 v0, v0, v45, s[26:27]
	v_cndmask_b32_e64 v0, v0, v44, s[34:35]
	;; [unrolled: 1-line block ×4, first 2 shown]
	v_cndmask_b32_e32 v0, v0, v47, vcc
	s_waitcnt lgkmcnt(0)
	v_cndmask_b32_e64 v14, v32, v2, s[34:35]
	ds_bpermute_b32 v32, v107, v0
	v_cndmask_b32_e64 v0, v3, v102, s[40:41]
	v_cndmask_b32_e64 v0, v0, v101, s[6:7]
	;; [unrolled: 1-line block ×14, first 2 shown]
	v_cndmask_b32_e32 v0, v0, v53, vcc
	v_cndmask_b32_e64 v15, v33, v2, s[26:27]
	ds_bpermute_b32 v33, v107, v0
	v_cndmask_b32_e64 v0, v6, v122, s[40:41]
	v_cndmask_b32_e64 v0, v0, v117, s[6:7]
	;; [unrolled: 1-line block ×14, first 2 shown]
	v_cndmask_b32_e32 v0, v0, v103, vcc
	v_cndmask_b32_e64 v16, v34, v2, s[24:25]
	ds_bpermute_b32 v34, v107, v0
	v_cndmask_b32_e64 v82, v7, v12, s[96:97]
	v_cndmask_b32_e64 v83, v8, v12, s[30:31]
	;; [unrolled: 1-line block ×11, first 2 shown]
	s_waitcnt lgkmcnt(2)
	v_cndmask_b32_e64 v28, v31, v32, s[0:1]
	s_waitcnt lgkmcnt(1)
	v_cndmask_b32_e64 v41, v54, v33, s[0:1]
	;; [unrolled: 2-line block ×3, first 2 shown]
	s_mov_b64 s[0:1], s[36:37]
	v_cndmask_b32_e64 v17, v36, v2, s[22:23]
	v_cndmask_b32_e64 v18, v35, v2, s[20:21]
	;; [unrolled: 1-line block ×5, first 2 shown]
	v_cndmask_b32_e32 v27, v47, v32, vcc
	v_cndmask_b32_e32 v40, v53, v33, vcc
	;; [unrolled: 1-line block ×3, first 2 shown]
	v_cndmask_b32_e64 v29, v30, v32, s[2:3]
	v_cndmask_b32_e64 v42, v55, v33, s[2:3]
	;; [unrolled: 1-line block ×33, first 2 shown]
	scratch_load_dword v34, off, off offset:60 ; 4-byte Folded Reload
	v_cndmask_b32_e64 v1, v1, v32, s[0:1]
	v_cndmask_b32_e64 v3, v3, v33, s[0:1]
	;; [unrolled: 1-line block ×6, first 2 shown]
	v_cndmask_b32_e32 v11, v124, v2, vcc
	v_cndmask_b32_e64 v13, v126, v2, s[2:3]
	v_cndmask_b32_e64 v19, v19, v2, s[18:19]
	;; [unrolled: 1-line block ×9, first 2 shown]
	s_waitcnt vmcnt(0)
	v_cmp_eq_u32_e64 s[0:1], 1, v34
	s_nop 1
	v_cndmask_b32_e64 v32, v80, v93, s[0:1]
	v_cmp_eq_u32_e64 s[8:9], 2, v34
	v_cmp_eq_u32_e64 s[24:25], 3, v34
	;; [unrolled: 1-line block ×3, first 2 shown]
	v_cndmask_b32_e64 v32, v32, v92, s[8:9]
	v_cndmask_b32_e64 v32, v32, v95, s[24:25]
	s_mov_b64 s[34:35], s[0:1]
	v_cndmask_b32_e64 v32, v32, v94, s[26:27]
	v_cmp_eq_u32_e64 s[0:1], 5, v34
	s_mov_b64 s[36:37], s[0:1]
	v_writelane_b32 v127, s36, 43
	v_cndmask_b32_e64 v32, v32, v91, s[0:1]
	v_cmp_eq_u32_e64 s[0:1], 6, v34
	s_mov_b64 s[40:41], s[0:1]
	v_writelane_b32 v127, s37, 44
	;; [unrolled: 4-line block ×4, first 2 shown]
	v_cndmask_b32_e64 v32, v32, v88, s[0:1]
	v_cmp_eq_u32_e64 s[0:1], 9, v34
	s_mov_b64 s[12:13], s[0:1]
	v_cmp_eq_u32_e64 s[2:3], 14, v34
	v_cndmask_b32_e64 v32, v32, v87, s[0:1]
	v_cmp_eq_u32_e64 s[0:1], 10, v34
	s_mov_b64 s[14:15], s[0:1]
	v_cmp_eq_u32_e64 s[22:23], 15, v34
	v_cndmask_b32_e64 v32, v32, v86, s[0:1]
	v_cmp_eq_u32_e64 s[0:1], 11, v34
	s_mov_b64 s[18:19], s[0:1]
	s_nop 0
	v_cndmask_b32_e64 v32, v32, v85, s[0:1]
	v_cmp_eq_u32_e64 s[0:1], 12, v34
	s_mov_b64 s[20:21], s[0:1]
	s_nop 0
	v_cndmask_b32_e64 v32, v32, v84, s[0:1]
	v_cmp_eq_u32_e64 s[0:1], 13, v34
	s_nop 1
	v_writelane_b32 v127, s0, 47
	s_nop 1
	v_writelane_b32 v127, s1, 48
	v_cndmask_b32_e64 v32, v32, v83, s[0:1]
	v_writelane_b32 v127, s2, 49
	s_nop 1
	v_writelane_b32 v127, s3, 50
	v_cndmask_b32_e64 v32, v32, v82, s[2:3]
	v_writelane_b32 v127, s22, 37
	s_nop 1
	v_cndmask_b32_e64 v32, v32, v81, s[22:23]
	ds_bpermute_b32 v32, v107, v32
	v_writelane_b32 v127, s23, 38
	s_waitcnt lgkmcnt(0)
	v_cndmask_b32_e64 v82, v82, v32, s[2:3]
	v_readlane_b32 s2, v127, 39
	v_readlane_b32 s3, v127, 40
	v_cndmask_b32_e64 v83, v83, v32, s[0:1]
	v_cmp_eq_u32_e64 s[0:1], 0, v34
	v_cndmask_b32_e64 v33, v33, v67, s[2:3]
	v_cndmask_b32_e64 v33, v33, v66, s[46:47]
	;; [unrolled: 1-line block ×14, first 2 shown]
	v_writelane_b32 v127, s0, 51
	v_cndmask_b32_e64 v81, v81, v32, s[22:23]
	v_cndmask_b32_e64 v84, v84, v32, s[20:21]
	;; [unrolled: 1-line block ×11, first 2 shown]
	ds_bpermute_b32 v33, v107, v33
	v_cndmask_b32_e64 v92, v92, v32, s[8:9]
	v_cndmask_b32_e64 v93, v93, v32, s[34:35]
	v_writelane_b32 v127, s1, 52
	v_cndmask_b32_e64 v80, v80, v32, s[0:1]
	v_cndmask_b32_e64 v32, v26, v25, s[58:59]
	s_mov_b64 s[0:1], s[2:3]
	v_cndmask_b32_e64 v32, v32, v24, s[0:1]
	v_cndmask_b32_e64 v32, v32, v23, s[46:47]
	;; [unrolled: 1-line block ×5, first 2 shown]
	s_waitcnt lgkmcnt(0)
	v_cndmask_b32_e64 v34, v9, v33, s[58:59]
	v_cndmask_b32_e64 v9, v1, v0, s[58:59]
	;; [unrolled: 1-line block ×21, first 2 shown]
	ds_bpermute_b32 v71, v107, v32
	v_cndmask_b32_e64 v9, v9, v31, s[82:83]
	v_cndmask_b32_e64 v9, v9, v30, s[86:87]
	;; [unrolled: 1-line block ×5, first 2 shown]
	s_waitcnt lgkmcnt(0)
	v_cndmask_b32_e64 v32, v16, v71, s[78:79]
	ds_bpermute_b32 v16, v107, v9
	v_cndmask_b32_e64 v9, v3, v2, s[58:59]
	v_cndmask_b32_e64 v9, v9, v8, s[0:1]
	;; [unrolled: 1-line block ×13, first 2 shown]
	v_readlane_b32 s2, v127, 41
	v_cndmask_b32_e64 v9, v9, v41, s[42:43]
	v_readlane_b32 s3, v127, 42
	v_cndmask_b32_e64 v9, v9, v40, s[98:99]
	v_cndmask_b32_e64 v68, v68, v33, s[98:99]
	;; [unrolled: 1-line block ×16, first 2 shown]
	ds_bpermute_b32 v17, v107, v9
	v_cndmask_b32_e64 v9, v6, v5, s[58:59]
	v_cndmask_b32_e64 v9, v9, v4, s[0:1]
	;; [unrolled: 1-line block ×29, first 2 shown]
	ds_bpermute_b32 v71, v107, v9
	s_waitcnt lgkmcnt(2)
	v_cndmask_b32_e64 v9, v7, v16, s[0:1]
	s_waitcnt lgkmcnt(1)
	v_cndmask_b32_e64 v8, v8, v17, s[0:1]
	v_cndmask_b32_e64 v102, v40, v17, s[98:99]
	;; [unrolled: 1-line block ×3, first 2 shown]
	s_waitcnt lgkmcnt(0)
	v_cndmask_b32_e64 v97, v4, v71, s[0:1]
	s_mov_b64 s[0:1], s[2:3]
	v_cndmask_b32_e64 v112, v53, v71, s[98:99]
	v_cndmask_b32_e64 v53, v41, v17, s[42:43]
	;; [unrolled: 1-line block ×23, first 2 shown]
	scratch_load_dword v17, off, off offset:64 ; 4-byte Folded Reload
	v_cndmask_b32_e64 v2, v1, v16, s[0:1]
	v_cndmask_b32_e64 v98, v6, v71, s[0:1]
	;; [unrolled: 1-line block ×19, first 2 shown]
	s_mov_b64 s[22:23], s[34:35]
	v_cndmask_b32_e64 v29, v29, v16, s[38:39]
	s_waitcnt vmcnt(0)
	v_cmp_eq_u32_e64 s[0:1], 1, v17
	s_nop 1
	v_cndmask_b32_e64 v0, v80, v93, s[0:1]
	s_mov_b64 s[42:43], s[0:1]
	v_cmp_eq_u32_e64 s[0:1], 2, v17
	s_mov_b64 s[46:47], s[0:1]
	v_cmp_eq_u32_e64 s[98:99], 14, v17
	v_cndmask_b32_e64 v0, v0, v92, s[0:1]
	v_cmp_eq_u32_e64 s[0:1], 3, v17
	s_mov_b64 s[50:51], s[0:1]
	v_cmp_eq_u32_e64 s[34:35], 15, v17
	v_cndmask_b32_e64 v0, v0, v95, s[0:1]
	v_cmp_eq_u32_e64 s[0:1], 4, v17
	s_mov_b64 s[54:55], s[0:1]
	v_cmp_eq_u32_e32 vcc, 0, v17
	v_cndmask_b32_e64 v0, v0, v94, s[0:1]
	v_cmp_eq_u32_e64 s[0:1], 5, v17
	s_mov_b64 s[58:59], s[0:1]
	s_nop 0
	v_cndmask_b32_e64 v0, v0, v91, s[0:1]
	v_cmp_eq_u32_e64 s[0:1], 6, v17
	s_mov_b64 s[62:63], s[0:1]
	s_nop 0
	;; [unrolled: 4-line block ×8, first 2 shown]
	v_cndmask_b32_e64 v0, v0, v84, s[0:1]
	v_cmp_eq_u32_e64 s[0:1], 13, v17
	s_nop 1
	v_writelane_b32 v127, s0, 53
	s_nop 1
	v_cndmask_b32_e64 v0, v0, v83, s[0:1]
	v_writelane_b32 v127, s1, 54
	v_cndmask_b32_e64 v0, v0, v82, s[98:99]
	v_writelane_b32 v127, s34, 41
	s_nop 1
	v_cndmask_b32_e64 v0, v0, v81, s[34:35]
	ds_bpermute_b32 v16, v107, v0
	v_cndmask_b32_e64 v0, v10, v34, s[28:29]
	v_cndmask_b32_e64 v0, v0, v67, s[44:45]
	;; [unrolled: 1-line block ×15, first 2 shown]
	s_waitcnt lgkmcnt(0)
	v_cndmask_b32_e64 v6, v81, v16, s[34:35]
	v_cndmask_b32_e64 v123, v82, v16, s[98:99]
	;; [unrolled: 1-line block ×13, first 2 shown]
	ds_bpermute_b32 v35, v107, v0
	v_cndmask_b32_e64 v0, v92, v16, s[46:47]
	v_cndmask_b32_e64 v1, v93, v16, s[42:43]
	v_cndmask_b32_e32 v65, v80, v16, vcc
	v_cndmask_b32_e64 v16, v26, v25, s[28:29]
	v_cndmask_b32_e64 v16, v16, v24, s[44:45]
	;; [unrolled: 1-line block ×15, first 2 shown]
	ds_bpermute_b32 v36, v107, v16
	s_waitcnt lgkmcnt(1)
	v_cndmask_b32_e64 v93, v74, v35, s[76:77]
	v_cndmask_b32_e64 v74, v67, v35, s[44:45]
	;; [unrolled: 1-line block ×4, first 2 shown]
	s_waitcnt lgkmcnt(0)
	v_cndmask_b32_e64 v46, v11, v36, s[4:5]
	v_cndmask_b32_e64 v37, v12, v36, s[96:97]
	;; [unrolled: 1-line block ×32, first 2 shown]
	ds_bpermute_b32 v11, v107, v11
	ds_bpermute_b32 v12, v107, v12
	v_cndmask_b32_e64 v72, v10, v35, s[60:61]
	v_cndmask_b32_e64 v10, v2, v4, s[28:29]
	;; [unrolled: 1-line block ×3, first 2 shown]
	s_waitcnt lgkmcnt(1)
	v_cndmask_b32_e64 v67, v105, v11, s[16:17]
	s_waitcnt lgkmcnt(0)
	v_cndmask_b32_e64 v105, v116, v12, s[84:85]
	v_cndmask_b32_e64 v116, v118, v11, s[80:81]
	scratch_load_dword v118, off, off offset:68 ; 4-byte Folded Reload
	v_cndmask_b32_e64 v10, v10, v60, s[48:49]
	v_cndmask_b32_e64 v10, v10, v59, s[52:53]
	v_cndmask_b32_e64 v10, v10, v58, s[56:57]
	v_cndmask_b32_e64 v10, v10, v57, s[64:65]
	v_cndmask_b32_e64 v10, v10, v47, s[68:69]
	v_cndmask_b32_e64 v10, v10, v56, s[72:73]
	v_cndmask_b32_e64 v10, v10, v55, s[76:77]
	v_cndmask_b32_e64 v10, v10, v54, s[80:81]
	v_cndmask_b32_e64 v10, v10, v31, s[84:85]
	v_cndmask_b32_e64 v10, v10, v30, s[16:17]
	v_cndmask_b32_e64 v10, v10, v29, s[30:31]
	v_cndmask_b32_e64 v10, v10, v28, s[96:97]
	v_cndmask_b32_e64 v10, v10, v27, s[4:5]
	ds_bpermute_b32 v10, v107, v10
	v_writelane_b32 v127, s35, 42
	v_cndmask_b32_e64 v92, v75, v35, s[72:73]
	v_cndmask_b32_e64 v75, v63, v11, s[52:53]
	;; [unrolled: 1-line block ×3, first 2 shown]
	s_waitcnt lgkmcnt(0)
	v_cndmask_b32_e64 v63, v2, v10, s[60:61]
	v_cndmask_b32_e64 v69, v99, v35, s[16:17]
	;; [unrolled: 1-line block ×30, first 2 shown]
	scratch_store_dword off, v13, off offset:16 ; 4-byte Folded Spill
	v_cndmask_b32_e64 v13, v112, v12, s[4:5]
	v_cndmask_b32_e64 v112, v115, v12, s[16:17]
	v_cndmask_b32_e64 v115, v106, v11, s[84:85]
	v_cndmask_b32_e64 v106, v117, v12, s[80:81]
	v_cndmask_b32_e64 v117, v108, v11, s[76:77]
	v_cndmask_b32_e64 v108, v124, v12, s[72:73]
	v_cndmask_b32_e64 v124, v110, v11, s[68:69]
	v_cndmask_b32_e64 v110, v126, v12, s[64:65]
	v_cndmask_b32_e64 v58, v58, v10, s[56:57]
	v_cndmask_b32_e64 v126, v62, v11, s[56:57]
	v_cndmask_b32_e64 v100, v100, v12, s[56:57]
	v_cndmask_b32_e64 v70, v70, v35, s[30:31]
	v_cndmask_b32_e64 v39, v14, v36, s[16:17]
	v_cndmask_b32_e64 v40, v15, v36, s[84:85]
	v_cndmask_b32_e64 v43, v18, v36, s[72:73]
	v_cndmask_b32_e64 v44, v19, v36, s[68:69]
	v_cndmask_b32_e64 v45, v20, v36, s[64:65]
	v_cndmask_b32_e64 v35, v25, v36, s[28:29]
	v_cndmask_b32_e64 v36, v26, v36, s[60:61]
	v_cndmask_b32_e64 v79, v3, v11, s[60:61]
	v_cndmask_b32_e64 v98, v98, v12, s[60:61]
	v_cndmask_b32_e64 v57, v57, v10, s[64:65]
	scratch_store_dword off, v13, off offset:8 ; 4-byte Folded Spill
	v_cndmask_b32_e64 v13, v113, v12, s[96:97]
	v_cndmask_b32_e64 v113, v114, v12, s[30:31]
	;; [unrolled: 1-line block ×7, first 2 shown]
	s_waitcnt vmcnt(2)
	v_cmp_eq_u32_e64 s[34:35], 1, v118
	v_cmp_eq_u32_e64 s[36:37], 2, v118
	v_cmp_eq_u32_e64 s[38:39], 3, v118
	v_cndmask_b32_e64 v2, v65, v1, s[34:35]
	v_cndmask_b32_e64 v2, v2, v0, s[36:37]
	v_cndmask_b32_e64 v2, v2, v95, s[38:39]
	v_cmp_eq_u32_e64 s[40:41], 4, v118
	v_cmp_eq_u32_e64 s[44:45], 5, v118
	v_cmp_eq_u32_e64 s[48:49], 6, v118
	v_cndmask_b32_e64 v2, v2, v89, s[40:41]
	v_cndmask_b32_e64 v2, v2, v88, s[44:45]
	v_cndmask_b32_e64 v2, v2, v87, s[48:49]
	;; [unrolled: 6-line block ×4, first 2 shown]
	v_cmp_eq_u32_e64 s[84:85], 13, v118
	v_cmp_eq_u32_e64 s[2:3], 14, v118
	;; [unrolled: 1-line block ×3, first 2 shown]
	v_cndmask_b32_e64 v2, v2, v64, s[84:85]
	v_writelane_b32 v127, s2, 55
	v_cndmask_b32_e64 v52, v30, v10, s[16:17]
	s_mov_b64 s[16:17], s[22:23]
	v_writelane_b32 v127, s3, 56
	v_cndmask_b32_e64 v2, v2, v123, s[2:3]
	v_writelane_b32 v127, s4, 39
	v_cndmask_b32_e64 v62, v4, v10, s[28:29]
	v_cndmask_b32_e64 v78, v7, v11, s[28:29]
	;; [unrolled: 1-line block ×3, first 2 shown]
	ds_bpermute_b32 v18, v107, v2
	v_cndmask_b32_e64 v111, v5, v12, s[28:29]
	v_writelane_b32 v127, s5, 40
	s_mov_b64 s[28:29], s[24:25]
	v_cndmask_b32_e64 v50, v28, v10, s[96:97]
	s_waitcnt lgkmcnt(0)
	v_cndmask_b32_e64 v2, v0, v18, s[36:37]
	v_cndmask_b32_e64 v0, v72, v73, s[16:17]
	;; [unrolled: 1-line block ×5, first 2 shown]
	s_mov_b64 s[30:31], s[26:27]
	v_readlane_b32 s96, v127, 43
	v_cndmask_b32_e64 v15, v6, v18, s[4:5]
	v_cndmask_b32_e64 v0, v0, v80, s[30:31]
	v_readlane_b32 s97, v127, 44
	v_readlane_b32 s4, v127, 45
	v_readlane_b32 s5, v127, 46
	v_cndmask_b32_e64 v0, v0, v90, s[96:97]
	v_readlane_b32 s24, v127, 47
	v_cndmask_b32_e64 v0, v0, v99, s[4:5]
	v_cndmask_b32_e64 v0, v0, v91, s[6:7]
	;; [unrolled: 1-line block ×7, first 2 shown]
	v_readlane_b32 s25, v127, 48
	v_readlane_b32 s26, v127, 49
	;; [unrolled: 1-line block ×3, first 2 shown]
	v_cndmask_b32_e64 v0, v0, v70, s[24:25]
	v_readlane_b32 s0, v127, 37
	v_cndmask_b32_e64 v0, v0, v17, s[26:27]
	v_readlane_b32 s1, v127, 38
	;; [unrolled: 2-line block ×3, first 2 shown]
	v_cndmask_b32_e64 v0, v0, v71, s[0:1]
	ds_bpermute_b32 v0, v107, v0
	v_readlane_b32 s3, v127, 52
	s_mov_b64 s[22:23], s[20:21]
	v_cndmask_b32_e64 v55, v55, v10, s[76:77]
	s_mov_b64 s[76:77], s[74:75]
	s_waitcnt lgkmcnt(0)
	v_cndmask_b32_e64 v19, v71, v0, s[0:1]
	v_cndmask_b32_e64 v17, v17, v0, s[26:27]
	;; [unrolled: 1-line block ×5, first 2 shown]
	s_mov_b64 s[20:21], s[18:19]
	v_cndmask_b32_e64 v23, v94, v0, s[14:15]
	s_mov_b64 s[18:19], s[14:15]
	v_cndmask_b32_e64 v24, v93, v0, s[12:13]
	;; [unrolled: 2-line block ×5, first 2 shown]
	v_cndmask_b32_e64 v28, v90, v0, s[96:97]
	v_cndmask_b32_e64 v29, v80, v0, s[30:31]
	;; [unrolled: 1-line block ×6, first 2 shown]
	s_mov_b64 s[6:7], s[42:43]
	v_cndmask_b32_e64 v47, v0, v31, s[6:7]
	s_mov_b64 s[42:43], s[46:47]
	v_cndmask_b32_e64 v47, v47, v30, s[42:43]
	;; [unrolled: 2-line block ×8, first 2 shown]
	v_cndmask_b32_e64 v47, v47, v24, s[76:77]
	s_mov_b64 s[74:75], s[78:79]
	v_cndmask_b32_e64 v54, v54, v10, s[80:81]
	v_cndmask_b32_e64 v47, v47, v23, s[74:75]
	s_mov_b64 s[80:81], s[82:83]
	v_cndmask_b32_e64 v47, v47, v22, s[80:81]
	s_mov_b64 s[82:83], s[86:87]
	v_readlane_b32 s86, v127, 53
	v_cndmask_b32_e64 v47, v47, v21, s[82:83]
	v_readlane_b32 s87, v127, 54
	v_readlane_b32 s0, v127, 41
	;; [unrolled: 1-line block ×3, first 2 shown]
	v_cndmask_b32_e64 v47, v47, v20, s[86:87]
	v_cndmask_b32_e64 v47, v47, v17, s[98:99]
	v_cndmask_b32_e64 v47, v47, v19, s[0:1]
	ds_bpermute_b32 v47, v107, v47
	scratch_store_dword off, v13, off offset:12 ; 4-byte Folded Spill
	v_cndmask_b32_e64 v13, v64, v18, s[84:85]
	v_cndmask_b32_e64 v12, v81, v18, s[72:73]
	;; [unrolled: 1-line block ×3, first 2 shown]
	s_waitcnt lgkmcnt(0)
	v_cndmask_b32_e64 v19, v19, v47, s[0:1]
	v_cndmask_b32_e64 v17, v17, v47, s[98:99]
	;; [unrolled: 1-line block ×15, first 2 shown]
	v_cndmask_b32_e32 v47, v0, v47, vcc
	v_cndmask_b32_e64 v0, v47, v73, s[34:35]
	v_cndmask_b32_e64 v0, v0, v72, s[36:37]
	;; [unrolled: 1-line block ×11, first 2 shown]
	s_mov_b64 s[74:75], s[70:71]
	v_cndmask_b32_e64 v0, v0, v21, s[72:73]
	v_readlane_b32 s70, v127, 55
	s_mov_b64 s[66:67], s[62:63]
	s_mov_b64 s[62:63], s[58:59]
	;; [unrolled: 1-line block ×4, first 2 shown]
	v_cndmask_b32_e64 v0, v0, v20, s[84:85]
	v_readlane_b32 s71, v127, 56
	v_readlane_b32 s50, v127, 39
	;; [unrolled: 1-line block ×3, first 2 shown]
	v_cndmask_b32_e64 v0, v0, v17, s[70:71]
	v_cmp_eq_u32_e64 s[0:1], 0, v118
	v_cndmask_b32_e64 v0, v0, v19, s[50:51]
	ds_bpermute_b32 v74, v107, v0
	v_cndmask_b32_e64 v0, v65, v18, s[0:1]
	v_writelane_b32 v127, s0, 57
	v_cndmask_b32_e64 v10, v83, v18, s[64:65]
	v_cndmask_b32_e64 v9, v84, v18, s[60:61]
	s_waitcnt lgkmcnt(0)
	v_cndmask_b32_e64 v31, v19, v74, s[50:51]
	v_cndmask_b32_e64 v19, v16, v74, s[38:39]
	;; [unrolled: 1-line block ×8, first 2 shown]
	s_mov_b64 s[70:71], s[4:5]
	v_cndmask_b32_e64 v16, v16, v45, s[70:71]
	v_cndmask_b32_e64 v16, v16, v44, s[10:11]
	;; [unrolled: 1-line block ×6, first 2 shown]
	v_writelane_b32 v127, s1, 58
	v_cndmask_b32_e64 v16, v16, v39, s[22:23]
	v_cndmask_b32_e64 v16, v16, v38, s[24:25]
	v_readlane_b32 s50, v127, 37
	v_cndmask_b32_e64 v16, v16, v37, s[26:27]
	v_readlane_b32 s51, v127, 38
	v_readlane_b32 s4, v127, 41
	;; [unrolled: 1-line block ×3, first 2 shown]
	v_cndmask_b32_e64 v16, v16, v46, s[50:51]
	ds_bpermute_b32 v16, v107, v16
	v_cndmask_b32_e64 v29, v20, v74, s[84:85]
	v_cndmask_b32_e64 v28, v21, v74, s[72:73]
	;; [unrolled: 1-line block ×4, first 2 shown]
	s_waitcnt lgkmcnt(0)
	v_cndmask_b32_e64 v46, v46, v16, s[50:51]
	v_cndmask_b32_e64 v37, v37, v16, s[26:27]
	;; [unrolled: 1-line block ×16, first 2 shown]
	s_mov_b64 s[50:51], s[6:7]
	v_cndmask_b32_e64 v36, v16, v35, s[50:51]
	v_cndmask_b32_e64 v36, v36, v34, s[42:43]
	;; [unrolled: 1-line block ×15, first 2 shown]
	ds_bpermute_b32 v36, v107, v36
	v_cndmask_b32_e64 v27, v22, v74, s[68:69]
	v_cndmask_b32_e64 v22, v69, v74, s[48:49]
	v_cndmask_b32_e64 v26, v23, v74, s[64:65]
	v_cndmask_b32_e64 v23, v68, v74, s[52:53]
	s_waitcnt lgkmcnt(0)
	v_cndmask_b32_e64 v46, v46, v36, s[4:5]
	s_mov_b64 s[4:5], vcc
	v_cndmask_b32_e64 v70, v35, v36, s[50:51]
	v_cndmask_b32_e64 v71, v16, v36, s[4:5]
	;; [unrolled: 1-line block ×28, first 2 shown]
	v_readlane_b32 s6, v127, 55
	v_cndmask_b32_e64 v37, v37, v36, s[98:99]
	v_cndmask_b32_e64 v16, v16, v38, s[84:85]
	v_readlane_b32 s7, v127, 56
	v_readlane_b32 s2, v127, 39
	v_readlane_b32 s3, v127, 40
	v_cndmask_b32_e64 v16, v16, v37, s[6:7]
	v_cndmask_b32_e64 v8, v85, v18, s[56:57]
	;; [unrolled: 1-line block ×10, first 2 shown]
	ds_bpermute_b32 v72, v107, v16
	v_cndmask_b32_e64 v16, v47, v74, s[0:1]
	v_readlane_b32 s0, v127, 37
	v_readlane_b32 s1, v127, 38
	v_cndmask_b32_e64 v17, v73, v74, s[34:35]
	s_waitcnt lgkmcnt(0)
	v_cndmask_b32_e64 v36, v32, v72, s[40:41]
	v_cndmask_b32_e64 v32, v63, v62, s[16:17]
	;; [unrolled: 1-line block ×9, first 2 shown]
	s_mov_b64 s[6:7], s[10:11]
	v_cndmask_b32_e64 v32, v32, v114, s[6:7]
	s_mov_b64 s[10:11], s[12:13]
	v_cndmask_b32_e64 v32, v32, v56, s[10:11]
	;; [unrolled: 2-line block ×6, first 2 shown]
	v_cndmask_b32_e64 v32, v32, v51, s[24:25]
	v_cndmask_b32_e64 v32, v32, v50, s[26:27]
	;; [unrolled: 1-line block ×3, first 2 shown]
	ds_bpermute_b32 v32, v107, v32
	v_cndmask_b32_e64 v37, v48, v72, s[44:45]
	v_readlane_b32 s2, v127, 41
	v_readlane_b32 s3, v127, 42
	v_cndmask_b32_e64 v35, v33, v72, s[38:39]
	s_waitcnt lgkmcnt(0)
	v_cndmask_b32_e64 v48, v49, v32, s[0:1]
	v_readlane_b32 s0, v127, 51
	v_readlane_b32 s1, v127, 52
	v_cndmask_b32_e64 v49, v50, v32, s[26:27]
	v_cndmask_b32_e64 v50, v51, v32, s[24:25]
	;; [unrolled: 1-line block ×30, first 2 shown]
	ds_bpermute_b32 v63, v107, v63
	v_cndmask_b32_e64 v33, v70, v72, s[34:35]
	v_cndmask_b32_e64 v45, v38, v72, s[84:85]
	;; [unrolled: 1-line block ×4, first 2 shown]
	s_waitcnt lgkmcnt(0)
	v_cndmask_b32_e64 v74, v62, v63, s[50:51]
	v_cndmask_b32_e64 v81, v32, v63, s[4:5]
	;; [unrolled: 1-line block ×30, first 2 shown]
	s_mov_b64 vcc, s[42:43]
	v_cndmask_b32_e64 v32, v32, v51, s[72:73]
	v_readlane_b32 s42, v127, 55
	s_mov_b64 s[20:21], s[18:19]
	s_mov_b64 s[18:19], s[14:15]
	;; [unrolled: 1-line block ×5, first 2 shown]
	v_cndmask_b32_e64 v49, v49, v63, s[98:99]
	v_cndmask_b32_e64 v32, v32, v50, s[84:85]
	v_readlane_b32 s43, v127, 56
	v_readlane_b32 s6, v127, 39
	v_cndmask_b32_e64 v48, v48, v63, s[2:3]
	v_cndmask_b32_e64 v32, v32, v49, s[42:43]
	v_readlane_b32 s7, v127, 40
	s_mov_b64 s[2:3], s[4:5]
	v_readlane_b32 s4, v127, 57
	v_cndmask_b32_e64 v32, v32, v48, s[6:7]
	ds_bpermute_b32 v82, v107, v32
	v_readlane_b32 s5, v127, 58
	v_cndmask_b32_e64 v34, v34, v72, s[36:37]
	s_waitcnt lgkmcnt(0)
	v_cndmask_b32_e64 v56, v55, v82, s[56:57]
	v_cndmask_b32_e64 v55, v64, v82, s[52:53]
	scratch_load_dword v64, off, off offset:16 ; 4-byte Folded Reload
	v_cndmask_b32_e64 v63, v48, v82, s[6:7]
	v_cndmask_b32_e64 v48, v79, v78, s[16:17]
	;; [unrolled: 1-line block ×14, first 2 shown]
	s_mov_b64 s[6:7], s[42:43]
	v_cndmask_b32_e64 v48, v48, v66, s[24:25]
	v_readlane_b32 s42, v127, 37
	v_cndmask_b32_e64 v48, v48, v102, s[26:27]
	v_readlane_b32 s43, v127, 38
	v_cndmask_b32_e64 v32, v71, v72, s[4:5]
	v_cndmask_b32_e64 v61, v50, v82, s[84:85]
	;; [unrolled: 1-line block ×12, first 2 shown]
	s_waitcnt vmcnt(0)
	v_cndmask_b32_e64 v48, v48, v64, s[42:43]
	ds_bpermute_b32 v48, v107, v48
	s_waitcnt lgkmcnt(0)
	v_cndmask_b32_e64 v64, v64, v48, s[42:43]
	v_cndmask_b32_e64 v65, v102, v48, s[26:27]
	v_cndmask_b32_e64 v66, v66, v48, s[24:25]
	v_cndmask_b32_e64 v67, v67, v48, s[22:23]
	v_cndmask_b32_e64 v68, v115, v48, s[20:21]
	v_cndmask_b32_e64 v69, v116, v48, s[18:19]
	v_cndmask_b32_e64 v70, v117, v48, s[14:15]
	v_cndmask_b32_e64 v71, v122, v48, s[12:13]
	v_cndmask_b32_e64 v72, v124, v48, s[10:11]
	v_cndmask_b32_e64 v73, v125, v48, s[70:71]
	v_cndmask_b32_e64 v74, v126, v48, s[96:97]
	v_cndmask_b32_e64 v75, v75, v48, s[30:31]
	v_cndmask_b32_e64 v76, v76, v48, s[28:29]
	v_cndmask_b32_e64 v77, v77, v48, s[8:9]
	v_cndmask_b32_e64 v78, v78, v48, s[16:17]
	v_cndmask_b32_e64 v48, v79, v48, s[0:1]
	s_mov_b64 s[42:43], s[50:51]
	v_cndmask_b32_e64 v79, v48, v78, s[42:43]
	s_mov_b64 s[0:1], vcc
	v_cndmask_b32_e64 v79, v79, v77, s[0:1]
	v_cndmask_b32_e64 v79, v79, v76, s[46:47]
	s_mov_b64 s[50:51], s[54:55]
	v_cndmask_b32_e64 v79, v79, v75, s[50:51]
	s_mov_b64 s[54:55], s[58:59]
	;; [unrolled: 2-line block ×7, first 2 shown]
	v_cndmask_b32_e64 v79, v79, v69, s[74:75]
	v_cndmask_b32_e64 v79, v79, v68, s[80:81]
	;; [unrolled: 1-line block ×4, first 2 shown]
	v_readlane_b32 s76, v127, 41
	v_cndmask_b32_e64 v79, v79, v65, s[98:99]
	v_readlane_b32 s77, v127, 42
	s_mov_b64 vcc, s[50:51]
	s_mov_b64 s[78:79], s[80:81]
	v_cndmask_b32_e64 v79, v79, v64, s[76:77]
	ds_bpermute_b32 v79, v107, v79
	s_waitcnt lgkmcnt(0)
	v_cndmask_b32_e64 v83, v64, v79, s[76:77]
	v_cndmask_b32_e64 v90, v78, v79, s[42:43]
	;; [unrolled: 1-line block ×27, first 2 shown]
	s_mov_b64 s[76:77], s[84:85]
	v_cndmask_b32_e64 v65, v65, v79, s[98:99]
	v_cndmask_b32_e64 v48, v48, v66, s[76:77]
	v_readlane_b32 s84, v127, 39
	v_cndmask_b32_e64 v48, v48, v65, s[6:7]
	v_readlane_b32 s85, v127, 40
	s_mov_b64 s[50:51], s[0:1]
	v_readlane_b32 s0, v127, 45
	v_cndmask_b32_e64 v48, v48, v83, s[84:85]
	ds_bpermute_b32 v80, v107, v48
	v_cndmask_b32_e64 v48, v81, v82, s[4:5]
	scratch_load_dword v82, off, off offset:8 ; 4-byte Folded Reload
	v_cndmask_b32_e64 v81, v98, v111, s[16:17]
	v_cndmask_b32_e64 v81, v81, v97, s[8:9]
	s_waitcnt lgkmcnt(0)
	v_cndmask_b32_e64 v79, v83, v80, s[84:85]
	scratch_load_dword v83, off, off offset:12 ; 4-byte Folded Reload
	v_cndmask_b32_e64 v81, v81, v96, s[28:29]
	v_cndmask_b32_e64 v81, v81, v101, s[30:31]
	v_cndmask_b32_e64 v81, v81, v100, s[96:97]
	v_readlane_b32 s1, v127, 46
	v_cndmask_b32_e64 v78, v65, v80, s[6:7]
	s_mov_b64 s[80:81], s[6:7]
	v_cndmask_b32_e64 v81, v81, v110, s[0:1]
	v_cndmask_b32_e64 v81, v81, v109, s[10:11]
	;; [unrolled: 1-line block ×8, first 2 shown]
	v_readlane_b32 s6, v127, 37
	v_readlane_b32 s7, v127, 38
	v_cndmask_b32_e64 v77, v66, v80, s[76:77]
	v_cndmask_b32_e64 v76, v67, v80, s[72:73]
	;; [unrolled: 1-line block ×14, first 2 shown]
	s_waitcnt vmcnt(0)
	v_cndmask_b32_e64 v81, v81, v83, s[26:27]
	v_cndmask_b32_e64 v81, v81, v82, s[6:7]
	ds_bpermute_b32 v81, v107, v81
	s_waitcnt lgkmcnt(0)
	v_cndmask_b32_e64 v91, v110, v81, s[0:1]
	v_readlane_b32 s0, v127, 51
	v_readlane_b32 s1, v127, 52
	v_cndmask_b32_e64 v82, v82, v81, s[6:7]
	v_cndmask_b32_e64 v83, v83, v81, s[26:27]
	;; [unrolled: 1-line block ×18, first 2 shown]
	v_cndmask_b32_e32 v97, v97, v93, vcc
	v_cndmask_b32_e64 v97, v97, v92, s[54:55]
	v_cndmask_b32_e64 v97, v97, v91, s[58:59]
	;; [unrolled: 1-line block ×9, first 2 shown]
	v_readlane_b32 s0, v127, 41
	v_cndmask_b32_e64 v97, v97, v83, s[98:99]
	v_readlane_b32 s1, v127, 42
	v_readlane_b32 s16, v127, 36
	;; [unrolled: 1-line block ×3, first 2 shown]
	v_cndmask_b32_e64 v97, v97, v82, s[0:1]
	ds_bpermute_b32 v97, v107, v97
	v_readlane_b32 s24, v127, 12
	v_readlane_b32 s28, v127, 17
	s_mov_b32 s6, 0
	s_mov_b32 s8, 0
	s_waitcnt lgkmcnt(0)
	v_cndmask_b32_e64 v82, v82, v97, s[0:1]
	v_cndmask_b32_e64 v83, v83, v97, s[98:99]
	;; [unrolled: 1-line block ×11, first 2 shown]
	v_cndmask_b32_e32 v103, v93, v97, vcc
	v_cndmask_b32_e64 v105, v94, v97, s[46:47]
	v_cndmask_b32_e64 v106, v95, v97, s[50:51]
	;; [unrolled: 1-line block ×19, first 2 shown]
	ds_bpermute_b32 v107, v107, v81
	s_mul_i32 s0, s16, s89
	s_ashr_i32 s1, s0, 31
	s_lshl_b64 s[0:1], s[0:1], 1
	v_readlane_b32 s42, v127, 32
	s_waitcnt lgkmcnt(0)
	v_cndmask_b32_e64 v95, v82, v107, s[84:85]
	v_cndmask_b32_e64 v94, v83, v107, s[80:81]
	;; [unrolled: 1-line block ×16, first 2 shown]
	scratch_load_dwordx2 v[106:107], off, off ; 8-byte Folded Reload
	scratch_load_dword v123, off, off offset:32 ; 4-byte Folded Reload
	scratch_load_dword v126, off, off offset:36 ; 4-byte Folded Reload
	;; [unrolled: 1-line block ×3, first 2 shown]
	v_readlane_b32 s52, v127, 2
	v_readlane_b32 s56, v127, 6
	;; [unrolled: 1-line block ×4, first 2 shown]
	s_add_u32 s2, s56, s0
	v_readlane_b32 s45, v127, 31
	s_addc_u32 s3, s57, s1
	s_ashr_i32 s45, s44, 31
	s_lshl_b64 s[0:1], s[44:45], 1
	s_add_u32 s0, s2, s0
	s_addc_u32 s1, s3, s1
	v_readlane_b32 s40, v127, 35
	v_readlane_b32 s46, v127, 28
	;; [unrolled: 1-line block ×8, first 2 shown]
	s_max_i32 s7, s40, 0
	v_readlane_b32 s12, v127, 1
	v_readlane_b32 s15, v127, 11
	;; [unrolled: 1-line block ×18, first 2 shown]
                                        ; implicit-def: $sgpr2_sgpr3
	s_waitcnt vmcnt(3)
	v_lshl_add_u64 v[102:103], s[0:1], 0, v[106:107]
	s_mov_b64 s[0:1], 0
	s_branch .LBB134_37
.LBB134_36:                             ;   in Loop: Header=BB134_37 Depth=2
	s_or_b64 exec, exec, s[4:5]
	s_and_b64 s[4:5], exec, s[2:3]
	s_or_b64 s[0:1], s[4:5], s[0:1]
	s_andn2_b64 exec, exec, s[0:1]
	s_cbranch_execz .LBB134_39
.LBB134_37:                             ;   Parent Loop BB134_7 Depth=1
                                        ; =>  This Inner Loop Header: Depth=2
	s_and_b32 s4, s8, 2
	s_and_b32 s5, s6, 24
	s_or_b32 s4, s5, s4
	s_waitcnt vmcnt(0)
	v_or_b32_e32 v96, s4, v118
	v_add_u32_e32 v97, s7, v96
	v_cmp_gt_u32_e32 vcc, 32, v97
	s_or_b64 s[2:3], s[2:3], exec
	s_and_saveexec_b64 s[4:5], vcc
	s_cbranch_execz .LBB134_36
; %bb.38:                               ;   in Loop: Header=BB134_37 Depth=2
	s_add_i32 s9, s8, 1
	s_set_gpr_idx_on s8, gpr_idx(SRC0)
	v_mov_b32_e32 v97, v0
	s_set_gpr_idx_off
	v_cvt_f16_f32_e32 v98, v97
	s_set_gpr_idx_on s9, gpr_idx(SRC0)
	v_mov_b32_e32 v97, v0
	s_set_gpr_idx_off
	v_cvt_f16_f32_sdwa v100, v97 dst_sel:WORD_1 dst_unused:UNUSED_PAD src0_sel:DWORD
	v_mul_lo_u32 v96, v96, s89
	v_ashrrev_i32_e32 v97, 31, v96
	v_lshl_add_u64 v[96:97], v[96:97], 1, v[102:103]
	v_or_b32_e32 v98, v100, v98
	;;#ASMSTART
	global_atomic_pk_add_f16 v[96:97], v98, off
	
	;;#ASMEND
	s_set_gpr_idx_on s8, gpr_idx(SRC0)
	v_mov_b32_e32 v98, v16
	s_set_gpr_idx_off
	v_cvt_f16_f32_e32 v98, v98
	s_set_gpr_idx_on s9, gpr_idx(SRC0)
	v_mov_b32_e32 v100, v16
	s_set_gpr_idx_off
	v_cvt_f16_f32_sdwa v105, v100 dst_sel:WORD_1 dst_unused:UNUSED_PAD src0_sel:DWORD
	v_lshl_add_u64 v[100:101], v[96:97], 0, 64
	s_mov_b64 s[10:11], 0x80
	s_add_i32 s6, s6, 4
	v_or_b32_e32 v98, v105, v98
	;;#ASMSTART
	global_atomic_pk_add_f16 v[100:101], v98, off
	
	;;#ASMEND
	s_set_gpr_idx_on s8, gpr_idx(SRC0)
	v_mov_b32_e32 v98, v32
	s_set_gpr_idx_off
	v_cvt_f16_f32_e32 v98, v98
	s_set_gpr_idx_on s9, gpr_idx(SRC0)
	v_mov_b32_e32 v100, v32
	s_set_gpr_idx_off
	v_cvt_f16_f32_sdwa v105, v100 dst_sel:WORD_1 dst_unused:UNUSED_PAD src0_sel:DWORD
	v_lshl_add_u64 v[100:101], v[96:97], 0, s[10:11]
	s_mov_b64 s[10:11], 0xc0
	v_or_b32_e32 v98, v105, v98
	;;#ASMSTART
	global_atomic_pk_add_f16 v[100:101], v98, off
	
	;;#ASMEND
	s_set_gpr_idx_on s8, gpr_idx(SRC0)
	v_mov_b32_e32 v98, v48
	s_set_gpr_idx_off
	v_cvt_f16_f32_e32 v98, v98
	s_set_gpr_idx_on s9, gpr_idx(SRC0)
	v_mov_b32_e32 v100, v48
	s_set_gpr_idx_off
	v_cvt_f16_f32_sdwa v105, v100 dst_sel:WORD_1 dst_unused:UNUSED_PAD src0_sel:DWORD
	v_lshl_add_u64 v[100:101], v[96:97], 0, s[10:11]
	s_mov_b64 s[10:11], 0x100
	;; [unrolled: 15-line block ×3, first 2 shown]
	v_lshl_add_u64 v[96:97], v[96:97], 0, s[10:11]
	v_or_b32_e32 v98, v105, v98
	;;#ASMSTART
	global_atomic_pk_add_f16 v[100:101], v98, off
	
	;;#ASMEND
	s_set_gpr_idx_on s8, gpr_idx(SRC0)
	v_mov_b32_e32 v98, v80
	s_set_gpr_idx_off
	v_cvt_f16_f32_e32 v98, v98
	s_set_gpr_idx_on s9, gpr_idx(SRC0)
	v_mov_b32_e32 v100, v80
	s_set_gpr_idx_off
	s_add_i32 s8, s8, 2
	v_cvt_f16_f32_sdwa v100, v100 dst_sel:WORD_1 dst_unused:UNUSED_PAD src0_sel:DWORD
	s_cmp_eq_u32 s8, 16
	s_cselect_b64 s[10:11], -1, 0
	s_andn2_b64 s[2:3], s[2:3], exec
	s_and_b64 s[10:11], s[10:11], exec
	s_or_b64 s[2:3], s[2:3], s[10:11]
	v_or_b32_e32 v98, v100, v98
	;;#ASMSTART
	global_atomic_pk_add_f16 v[96:97], v98, off
	
	;;#ASMEND
	s_branch .LBB134_36
.LBB134_39:                             ;   in Loop: Header=BB134_7 Depth=1
	s_or_b64 exec, exec, s[0:1]
	scratch_load_dword v21, off, off offset:24 ; 4-byte Folded Reload
	scratch_load_dword v99, off, off offset:28 ; 4-byte Folded Reload
	scratch_load_dwordx2 v[22:23], off, off offset:72 ; 8-byte Folded Reload
	scratch_load_dword v24, off, off offset:88 ; 4-byte Folded Reload
	scratch_load_dword v25, off, off offset:92 ; 4-byte Folded Reload
	v_readlane_b32 s11, v127, 0
.LBB134_40:                             ;   in Loop: Header=BB134_7 Depth=1
	s_or_b64 exec, exec, s[48:49]
.LBB134_41:                             ;   in Loop: Header=BB134_7 Depth=1
	s_andn2_saveexec_b64 s[0:1], s[46:47]
	s_cbranch_execz .LBB134_50
; %bb.42:                               ;   in Loop: Header=BB134_7 Depth=1
	s_mul_i32 s10, s92, 6
	v_cmp_gt_i32_e32 vcc, s10, v121
	s_and_saveexec_b64 s[2:3], vcc
	s_cbranch_execz .LBB134_49
; %bb.43:                               ;   in Loop: Header=BB134_7 Depth=1
	scratch_load_dwordx2 v[0:1], off, off offset:80 ; 8-byte Folded Reload
	s_mul_i32 s4, s44, s91
	s_ashr_i32 s5, s4, 31
	s_add_u32 s4, s54, s4
	s_addc_u32 s5, s55, s5
	s_ashr_i32 s6, s41, 31
	s_add_u32 s4, s4, s41
	s_addc_u32 s5, s5, s6
	s_waitcnt vmcnt(0)
	v_lshl_add_u64 v[0:1], s[4:5], 0, v[0:1]
	v_lshl_add_u64 v[16:17], v[0:1], 0, v[22:23]
	s_mov_b64 s[4:5], 0
	s_branch .LBB134_45
.LBB134_44:                             ;   in Loop: Header=BB134_45 Depth=2
	s_or_b64 exec, exec, s[6:7]
	v_lshl_or_b32 v20, v18, 12, v24
	;;#ASMSTART
	s_waitcnt vmcnt(3)
	;;#ASMEND
	ds_write2_b32 v20, v12, v13 offset1:32
	ds_write2_b32 v20, v14, v15 offset0:64 offset1:96
	v_add_u32_e32 v12, 0x400, v20
	;;#ASMSTART
	s_waitcnt vmcnt(2)
	;;#ASMEND
	ds_write2_b32 v12, v8, v9 offset1:32
	ds_write2_b32 v12, v10, v11 offset0:64 offset1:96
	v_add_u32_e32 v8, 0x800, v20
	;; [unrolled: 6-line block ×3, first 2 shown]
	v_add_u32_e32 v121, s94, v121
	;;#ASMSTART
	s_waitcnt vmcnt(0)
	;;#ASMEND
	ds_write2_b32 v4, v0, v1 offset1:32
	ds_write2_b32 v4, v2, v3 offset0:64 offset1:96
	v_add_u32_e32 v0, 1, v119
	v_add_u32_e32 v104, s94, v18
	v_cmp_le_i32_e32 vcc, s10, v121
	ds_write_b32 v19, v0 offset:4
	v_add_u32_e32 v0, 2, v119
	s_or_b64 s[4:5], vcc, s[4:5]
	v_cmp_lt_i32_e32 vcc, 5, v104
	s_nop 1
	v_cndmask_b32_e32 v119, v119, v0, vcc
	s_andn2_b64 exec, exec, s[4:5]
	s_cbranch_execz .LBB134_48
.LBB134_45:                             ;   Parent Loop BB134_7 Depth=1
                                        ; =>  This Loop Header: Depth=2
                                        ;       Child Loop BB134_47 Depth 3
	v_cmp_gt_i32_e32 vcc, 6, v104
	s_mov_b32 s6, 0x2aaaaaab
	s_nop 0
	v_cndmask_b32_e64 v0, -6, 0, vcc
	v_add_u32_e32 v18, v0, v104
	v_mul_hi_i32 v0, v121, s6
	v_lshrrev_b32_e32 v1, 31, v0
	v_add_u32_e32 v0, v0, v1
	v_mul_lo_u32 v1, v0, 6
	v_sub_u32_e32 v2, v121, v1
	v_lshlrev_b32_e32 v0, 7, v0
	v_ashrrev_i32_e32 v1, 31, v0
	v_mul_lo_u32 v2, s31, v2
	v_lshl_add_u64 v[0:1], v[16:17], 0, v[0:1]
	v_ashrrev_i32_e32 v3, 31, v2
	v_lshl_add_u64 v[0:1], v[0:1], 0, v[2:3]
	v_lshlrev_b32_e32 v19, 2, v18
	;;#ASMSTART
	global_load_dwordx4 v[12:15], v[0:1], off offset:0   sc0 sc1 nt  
	global_load_dwordx4 v[8:11], v[0:1], off offset:32  sc0 sc1 nt  
	global_load_dwordx4 v[4:7], v[0:1], off offset:64  sc0 sc1 nt  
	;; [unrolled: 1-line block ×3, first 2 shown]
	
	;;#ASMEND
	ds_read_b32 v20, v19 offset:28676
	v_add_u32_e32 v19, 0x7000, v19
	s_waitcnt lgkmcnt(0)
	v_cmp_ne_u32_e32 vcc, v20, v119
	s_and_saveexec_b64 s[6:7], vcc
	s_cbranch_execz .LBB134_44
; %bb.46:                               ;   in Loop: Header=BB134_45 Depth=2
	s_mov_b64 s[8:9], 0
.LBB134_47:                             ;   Parent Loop BB134_7 Depth=1
                                        ;     Parent Loop BB134_45 Depth=2
                                        ; =>    This Inner Loop Header: Depth=3
	;;#ASMSTART
	s_sleep 0
	;;#ASMEND
	ds_read_b32 v20, v19 offset:4
	s_waitcnt lgkmcnt(0)
	v_cmp_eq_u32_e32 vcc, v20, v119
	s_or_b64 s[8:9], vcc, s[8:9]
	s_andn2_b64 exec, exec, s[8:9]
	s_cbranch_execnz .LBB134_47
	s_branch .LBB134_44
.LBB134_48:                             ;   in Loop: Header=BB134_7 Depth=1
	s_or_b64 exec, exec, s[4:5]
.LBB134_49:                             ;   in Loop: Header=BB134_7 Depth=1
	s_or_b64 exec, exec, s[2:3]
	v_subrev_u32_e32 v121, s10, v121
.LBB134_50:                             ;   in Loop: Header=BB134_7 Depth=1
	s_or_b64 exec, exec, s[0:1]
.LBB134_51:                             ;   in Loop: Header=BB134_7 Depth=1
	s_andn2_saveexec_b64 s[0:1], s[42:43]
	s_cbranch_execz .LBB134_6
; %bb.52:                               ;   in Loop: Header=BB134_7 Depth=1
	v_cmp_gt_i32_e32 vcc, s92, v121
	s_and_saveexec_b64 s[2:3], vcc
	s_cbranch_execz .LBB134_5
; %bb.53:                               ;   in Loop: Header=BB134_7 Depth=1
	s_mul_i32 s4, s16, s90
	s_ashr_i32 s5, s4, 31
	s_add_u32 s4, s52, s4
	s_addc_u32 s5, s53, s5
	s_ashr_i32 s6, s41, 31
	s_waitcnt vmcnt(3)
	v_mul_lo_u32 v0, s90, v99
	s_waitcnt vmcnt(0)
	v_cmp_le_i32_e32 vcc, s40, v25
	s_add_u32 s4, s4, s41
	s_addc_u32 s5, s5, s6
	v_cndmask_b32_e32 v0, 0, v0, vcc
	v_ashrrev_i32_e32 v1, 31, v0
	v_lshl_add_u64 v[0:1], s[4:5], 0, v[0:1]
	v_lshl_add_u64 v[16:17], v[0:1], 0, v[22:23]
	s_mov_b64 s[4:5], 0
	s_branch .LBB134_55
.LBB134_54:                             ;   in Loop: Header=BB134_55 Depth=2
	s_or_b64 exec, exec, s[6:7]
	v_lshl_add_u32 v20, v18, 12, v120
	;;#ASMSTART
	s_waitcnt vmcnt(3)
	;;#ASMEND
	ds_write2_b32 v20, v12, v13 offset1:32
	ds_write2_b32 v20, v14, v15 offset0:64 offset1:96
	v_add_u32_e32 v12, 0x400, v20
	;;#ASMSTART
	s_waitcnt vmcnt(2)
	;;#ASMEND
	ds_write2_b32 v12, v8, v9 offset1:32
	ds_write2_b32 v12, v10, v11 offset0:64 offset1:96
	v_add_u32_e32 v8, 0x800, v20
	;; [unrolled: 6-line block ×3, first 2 shown]
	v_add_u32_e32 v121, s93, v121
	;;#ASMSTART
	s_waitcnt vmcnt(0)
	;;#ASMEND
	ds_write2_b32 v4, v0, v1 offset1:32
	ds_write2_b32 v4, v2, v3 offset0:64 offset1:96
	v_add_u32_e32 v0, 1, v119
	v_add_u32_e32 v104, s93, v18
	v_cmp_le_i32_e32 vcc, s92, v121
	ds_write_b32 v19, v0
	v_add_u32_e32 v0, 2, v119
	s_or_b64 s[4:5], vcc, s[4:5]
	v_cmp_lt_i32_e32 vcc, 0, v104
	s_nop 1
	v_cndmask_b32_e32 v119, v119, v0, vcc
	s_andn2_b64 exec, exec, s[4:5]
	s_cbranch_execz .LBB134_4
.LBB134_55:                             ;   Parent Loop BB134_7 Depth=1
                                        ; =>  This Loop Header: Depth=2
                                        ;       Child Loop BB134_57 Depth 3
	v_cmp_lt_i32_e32 vcc, 0, v104
	v_lshlrev_b32_e32 v0, 7, v121
	v_ashrrev_i32_e32 v1, 31, v0
	v_subbrev_co_u32_e32 v18, vcc, 0, v104, vcc
	v_lshl_add_u64 v[0:1], v[16:17], 0, v[0:1]
	v_lshlrev_b32_e32 v19, 2, v18
	;;#ASMSTART
	global_load_dwordx4 v[12:15], v[0:1], off offset:0   
	global_load_dwordx4 v[8:11], v[0:1], off offset:32  
	;; [unrolled: 1-line block ×4, first 2 shown]
	
	;;#ASMEND
	ds_read_b32 v20, v19 offset:28672
	v_add_u32_e32 v19, 0x7000, v19
	s_waitcnt lgkmcnt(0)
	v_cmp_ne_u32_e32 vcc, v20, v119
	s_and_saveexec_b64 s[6:7], vcc
	s_cbranch_execz .LBB134_54
; %bb.56:                               ;   in Loop: Header=BB134_55 Depth=2
	s_mov_b64 s[8:9], 0
.LBB134_57:                             ;   Parent Loop BB134_7 Depth=1
                                        ;     Parent Loop BB134_55 Depth=2
                                        ; =>    This Inner Loop Header: Depth=3
	;;#ASMSTART
	s_sleep 0
	;;#ASMEND
	ds_read_b32 v20, v19
	s_waitcnt lgkmcnt(0)
	v_cmp_eq_u32_e32 vcc, v20, v119
	s_or_b64 s[8:9], vcc, s[8:9]
	s_andn2_b64 exec, exec, s[8:9]
	s_cbranch_execnz .LBB134_57
	s_branch .LBB134_54
.LBB134_58:
	s_endpgm
	.section	.rodata,"a",@progbits
	.p2align	6, 0x0
	.amdhsa_kernel _Z19_skinny_gemm_kernelILi1ELi6ELi1ELi32ELi8EEvPKhS1_P6__halfPKfiiiiiiii
		.amdhsa_group_segment_fixed_size 28700
		.amdhsa_private_segment_fixed_size 108
		.amdhsa_kernarg_size 64
		.amdhsa_user_sgpr_count 2
		.amdhsa_user_sgpr_dispatch_ptr 0
		.amdhsa_user_sgpr_queue_ptr 0
		.amdhsa_user_sgpr_kernarg_segment_ptr 1
		.amdhsa_user_sgpr_dispatch_id 0
		.amdhsa_user_sgpr_kernarg_preload_length 0
		.amdhsa_user_sgpr_kernarg_preload_offset 0
		.amdhsa_user_sgpr_private_segment_size 0
		.amdhsa_uses_dynamic_stack 0
		.amdhsa_enable_private_segment 1
		.amdhsa_system_sgpr_workgroup_id_x 1
		.amdhsa_system_sgpr_workgroup_id_y 0
		.amdhsa_system_sgpr_workgroup_id_z 0
		.amdhsa_system_sgpr_workgroup_info 0
		.amdhsa_system_vgpr_workitem_id 0
		.amdhsa_next_free_vgpr 128
		.amdhsa_next_free_sgpr 100
		.amdhsa_accum_offset 128
		.amdhsa_reserve_vcc 1
		.amdhsa_float_round_mode_32 0
		.amdhsa_float_round_mode_16_64 0
		.amdhsa_float_denorm_mode_32 3
		.amdhsa_float_denorm_mode_16_64 3
		.amdhsa_dx10_clamp 1
		.amdhsa_ieee_mode 1
		.amdhsa_fp16_overflow 0
		.amdhsa_tg_split 0
		.amdhsa_exception_fp_ieee_invalid_op 0
		.amdhsa_exception_fp_denorm_src 0
		.amdhsa_exception_fp_ieee_div_zero 0
		.amdhsa_exception_fp_ieee_overflow 0
		.amdhsa_exception_fp_ieee_underflow 0
		.amdhsa_exception_fp_ieee_inexact 0
		.amdhsa_exception_int_div_zero 0
	.end_amdhsa_kernel
	.section	.text._Z19_skinny_gemm_kernelILi1ELi6ELi1ELi32ELi8EEvPKhS1_P6__halfPKfiiiiiiii,"axG",@progbits,_Z19_skinny_gemm_kernelILi1ELi6ELi1ELi32ELi8EEvPKhS1_P6__halfPKfiiiiiiii,comdat
.Lfunc_end134:
	.size	_Z19_skinny_gemm_kernelILi1ELi6ELi1ELi32ELi8EEvPKhS1_P6__halfPKfiiiiiiii, .Lfunc_end134-_Z19_skinny_gemm_kernelILi1ELi6ELi1ELi32ELi8EEvPKhS1_P6__halfPKfiiiiiiii
                                        ; -- End function
	.set _Z19_skinny_gemm_kernelILi1ELi6ELi1ELi32ELi8EEvPKhS1_P6__halfPKfiiiiiiii.num_vgpr, 128
	.set _Z19_skinny_gemm_kernelILi1ELi6ELi1ELi32ELi8EEvPKhS1_P6__halfPKfiiiiiiii.num_agpr, 0
	.set _Z19_skinny_gemm_kernelILi1ELi6ELi1ELi32ELi8EEvPKhS1_P6__halfPKfiiiiiiii.numbered_sgpr, 100
	.set _Z19_skinny_gemm_kernelILi1ELi6ELi1ELi32ELi8EEvPKhS1_P6__halfPKfiiiiiiii.num_named_barrier, 0
	.set _Z19_skinny_gemm_kernelILi1ELi6ELi1ELi32ELi8EEvPKhS1_P6__halfPKfiiiiiiii.private_seg_size, 108
	.set _Z19_skinny_gemm_kernelILi1ELi6ELi1ELi32ELi8EEvPKhS1_P6__halfPKfiiiiiiii.uses_vcc, 1
	.set _Z19_skinny_gemm_kernelILi1ELi6ELi1ELi32ELi8EEvPKhS1_P6__halfPKfiiiiiiii.uses_flat_scratch, 0
	.set _Z19_skinny_gemm_kernelILi1ELi6ELi1ELi32ELi8EEvPKhS1_P6__halfPKfiiiiiiii.has_dyn_sized_stack, 0
	.set _Z19_skinny_gemm_kernelILi1ELi6ELi1ELi32ELi8EEvPKhS1_P6__halfPKfiiiiiiii.has_recursion, 0
	.set _Z19_skinny_gemm_kernelILi1ELi6ELi1ELi32ELi8EEvPKhS1_P6__halfPKfiiiiiiii.has_indirect_call, 0
	.section	.AMDGPU.csdata,"",@progbits
; Kernel info:
; codeLenInByte = 21436
; TotalNumSgprs: 106
; NumVgprs: 128
; NumAgprs: 0
; TotalNumVgprs: 128
; ScratchSize: 108
; MemoryBound: 0
; FloatMode: 240
; IeeeMode: 1
; LDSByteSize: 28700 bytes/workgroup (compile time only)
; SGPRBlocks: 13
; VGPRBlocks: 15
; NumSGPRsForWavesPerEU: 106
; NumVGPRsForWavesPerEU: 128
; AccumOffset: 128
; Occupancy: 4
; WaveLimiterHint : 0
; COMPUTE_PGM_RSRC2:SCRATCH_EN: 1
; COMPUTE_PGM_RSRC2:USER_SGPR: 2
; COMPUTE_PGM_RSRC2:TRAP_HANDLER: 0
; COMPUTE_PGM_RSRC2:TGID_X_EN: 1
; COMPUTE_PGM_RSRC2:TGID_Y_EN: 0
; COMPUTE_PGM_RSRC2:TGID_Z_EN: 0
; COMPUTE_PGM_RSRC2:TIDIG_COMP_CNT: 0
; COMPUTE_PGM_RSRC3_GFX90A:ACCUM_OFFSET: 31
; COMPUTE_PGM_RSRC3_GFX90A:TG_SPLIT: 0
	.section	.text._Z19_skinny_gemm_kernelILi1ELi6ELi2ELi8ELi4EEvPKhS1_P6__halfPKfiiiiiiii,"axG",@progbits,_Z19_skinny_gemm_kernelILi1ELi6ELi2ELi8ELi4EEvPKhS1_P6__halfPKfiiiiiiii,comdat
	.protected	_Z19_skinny_gemm_kernelILi1ELi6ELi2ELi8ELi4EEvPKhS1_P6__halfPKfiiiiiiii ; -- Begin function _Z19_skinny_gemm_kernelILi1ELi6ELi2ELi8ELi4EEvPKhS1_P6__halfPKfiiiiiiii
	.globl	_Z19_skinny_gemm_kernelILi1ELi6ELi2ELi8ELi4EEvPKhS1_P6__halfPKfiiiiiiii
	.p2align	8
	.type	_Z19_skinny_gemm_kernelILi1ELi6ELi2ELi8ELi4EEvPKhS1_P6__halfPKfiiiiiiii,@function
_Z19_skinny_gemm_kernelILi1ELi6ELi2ELi8ELi4EEvPKhS1_P6__halfPKfiiiiiiii: ; @_Z19_skinny_gemm_kernelILi1ELi6ELi2ELi8ELi4EEvPKhS1_P6__halfPKfiiiiiiii
; %bb.0:
	v_cmp_gt_u32_e32 vcc, 14, v0
	v_lshlrev_b32_e32 v1, 2, v0
	s_and_saveexec_b64 s[4:5], vcc
; %bb.1:
	v_mov_b32_e32 v2, 0
	ds_write_b32 v1, v2 offset:53248
; %bb.2:
	s_or_b64 exec, exec, s[4:5]
	s_load_dwordx8 s[12:19], s[0:1], 0x20
	s_mov_b32 s50, 0x2aaaaaab
	s_waitcnt lgkmcnt(0)
	s_barrier
	s_add_i32 s3, s12, 7
	s_ashr_i32 s5, s3, 31
	s_lshr_b32 s5, s5, 29
	s_add_i32 s4, s13, 0x5f
	s_add_i32 s3, s3, s5
	s_ashr_i32 s33, s3, 3
	s_mul_hi_i32 s3, s4, 0x2aaaaaab
	s_lshr_b32 s4, s3, 31
	s_ashr_i32 s48, s3, 4
	s_add_i32 s48, s48, s4
	s_mul_i32 s3, s48, s33
	s_mul_i32 s3, s3, s16
	s_add_i32 s4, s3, 0x12f
	s_mul_hi_i32 s4, s4, 0x6bca1af3
	s_lshr_b32 s5, s4, 31
	s_ashr_i32 s4, s4, 7
	s_add_i32 s4, s4, s5
	s_add_i32 s5, s2, 1
	s_mul_i32 s5, s4, s5
	v_cvt_f64_i32_e32 v[2:3], s3
	v_cvt_f64_u32_e32 v[4:5], s5
	v_min_f64 v[2:3], v[2:3], v[4:5]
	v_cvt_i32_f64_e32 v25, v[2:3]
	s_mul_i32 s49, s4, s2
	v_cmp_ge_i32_e32 vcc, s49, v25
	s_cbranch_vccnz .LBB135_56
; %bb.3:
	v_lshrrev_b32_e32 v2, 6, v0
	s_add_i32 s4, s18, s17
	s_load_dwordx8 s[20:27], s[0:1], 0x0
	v_cmp_le_i32_e64 s[0:1], s4, v2
	v_mov_b32_e32 v3, s17
	v_cmp_le_i32_e64 s[2:3], s17, v2
	v_mov_b32_e32 v4, s18
	v_cndmask_b32_e64 v4, 0, v4, s[0:1]
	v_cndmask_b32_e64 v3, 0, v3, s[2:3]
	s_abs_i32 s5, s16
	v_add_u32_e32 v3, v3, v4
	v_cvt_f32_u32_e32 v4, s5
	v_sub_u32_e32 v38, v2, v3
	s_ashr_i32 s6, s14, 31
	s_lshr_b32 s6, s6, 24
	v_rcp_iflag_f32_e32 v3, v4
	s_sub_i32 s9, 0, s5
	s_add_i32 s6, s14, s6
	s_ashr_i32 s6, s6, 8
	v_mul_f32_e32 v3, 0x4f7ffffe, v3
	v_cvt_u32_f32_e32 v3, v3
	s_abs_i32 s8, s6
	s_xor_b32 s7, s6, s16
	s_ashr_i32 s7, s7, 31
	v_readfirstlane_b32 s10, v3
	s_mul_i32 s9, s9, s10
	s_mul_hi_u32 s9, s10, s9
	s_add_i32 s10, s10, s9
	s_mul_hi_u32 s9, s8, s10
	s_mul_i32 s10, s9, s5
	s_sub_i32 s8, s8, s10
	s_add_i32 s10, s9, 1
	s_sub_i32 s11, s8, s5
	s_cmp_ge_u32 s8, s5
	s_cselect_b32 s9, s10, s9
	s_cselect_b32 s8, s11, s8
	s_add_i32 s10, s9, 1
	s_cmp_ge_u32 s8, s5
	s_cselect_b32 s5, s10, s9
	s_xor_b32 s5, s5, s7
	s_sub_i32 s51, s5, s7
	s_add_i32 s16, s16, -1
	s_mul_i32 s5, s51, s16
	s_add_i32 s4, s4, s19
	s_sub_i32 s52, s6, s5
	v_cmp_gt_i32_e64 s[4:5], s4, v2
	v_and_b32_e32 v2, 1, v0
	v_lshlrev_b32_e32 v3, 1, v0
	v_and_b32_e32 v3, 0x7c, v3
	v_lshlrev_b32_e32 v4, 8, v2
	v_lshlrev_b32_e32 v5, 4, v0
	s_mov_b32 s7, 0xc000
	s_movk_i32 s6, 0x7c
	v_and_b32_e32 v6, 0x200, v5
	v_or3_b32 v46, v3, v4, s7
	v_lshrrev_b32_e32 v3, 3, v0
	v_cmp_eq_u32_e32 vcc, 0, v2
	v_and_or_b32 v47, v1, s6, v6
	v_lshlrev_b32_e32 v1, 1, v2
	v_and_or_b32 v2, v3, 6, v2
	v_sub_u32_e32 v52, 8, v2
	v_mul_lo_u32 v26, s13, v2
	v_bfe_u32 v2, v0, 2, 4
	v_lshlrev_b32_e32 v4, 8, v0
	v_lshlrev_b32_e32 v6, 6, v0
	v_mul_lo_u32 v32, s15, v2
	v_and_b32_e32 v2, 60, v0
	v_and_b32_e32 v4, 0x200, v4
	;; [unrolled: 1-line block ×3, first 2 shown]
	s_abs_i32 s54, s33
	v_or3_b32 v53, v2, v4, v6
	v_cvt_f32_u32_e32 v6, s54
	v_lshlrev_b32_e32 v4, 7, v0
	v_and_b32_e32 v24, 14, v0
	v_bitop3_b32 v48, v0, 1, v0 bitop3:0xc
	v_sub_u32_e32 v1, v0, v1
	v_bfe_u32 v2, v0, 3, 3
	v_and_b32_e32 v4, 0x200, v4
	v_lshlrev_b32_e32 v0, 5, v0
	v_lshl_or_b32 v4, v2, 2, v4
	v_and_b32_e32 v0, 0x60, v0
	v_or3_b32 v54, v4, v0, s7
	v_rcp_iflag_f32_e32 v0, v6
	s_abs_i32 s55, s48
	v_mul_lo_u32 v56, s14, v2
	v_cvt_f32_u32_e32 v2, s55
	v_mul_f32_e32 v0, 0x4f7ffffe, v0
	v_cvt_u32_f32_e32 v0, v0
	s_sub_i32 s6, 0, s54
	v_rcp_iflag_f32_e32 v2, v2
	v_add_u32_e32 v1, 1, v1
	v_readfirstlane_b32 s7, v0
	s_mul_i32 s6, s6, s7
	v_mul_f32_e32 v0, 0x4f7ffffe, v2
	v_cvt_u32_f32_e32 v0, v0
	s_mul_hi_u32 s6, s7, s6
	s_add_i32 s57, s7, s6
	s_sub_i32 s6, 0, s55
	v_readfirstlane_b32 s7, v0
	v_mbcnt_lo_u32_b32 v0, -1, 0
	v_and_b32_e32 v1, 63, v1
	s_mul_i32 s6, s6, s7
	v_mbcnt_hi_u32_b32 v0, -1, v0
	v_mov_b32_e32 v7, 0xeeee
	v_mov_b32_e32 v8, 0x4444
	;; [unrolled: 1-line block ×3, first 2 shown]
	s_mul_hi_u32 s6, s7, s6
	v_and_or_b32 v0, v0, 64, v1
	v_cndmask_b32_e64 v44, 0, 1, s[0:1]
	s_mov_b32 s29, 0
	v_cndmask_b32_e32 v45, v7, v8, vcc
	v_or_b32_e32 v49, 48, v24
	v_or_b32_e32 v50, 64, v24
	;; [unrolled: 1-line block ×3, first 2 shown]
	v_ashrrev_i32_e32 v27, 31, v26
	v_and_b32_e32 v30, 48, v5
	v_ashrrev_i32_e32 v33, 31, v32
	v_mov_b32_e32 v31, v29
	s_lshl_b32 s53, s15, 4
	v_bitop3_b32 v55, v3, 7, v3 bitop3:0xc
	v_and_b32_e32 v34, 0x70, v5
	v_mov_b32_e32 v35, v29
	s_lshl_b32 s28, s17, 8
	s_ashr_i32 s56, s33, 31
	s_ashr_i32 s58, s48, 31
	s_add_i32 s59, s7, s6
	s_movk_i32 s60, 0x6000
	s_mov_b64 s[30:31], 0x60
	s_mov_b64 s[34:35], 0x80
	;; [unrolled: 1-line block ×3, first 2 shown]
	v_lshlrev_b32_e32 v57, 2, v0
	v_mov_b32_e32 v58, v38
	s_branch .LBB135_7
.LBB135_4:                              ;   in Loop: Header=BB135_7 Depth=1
	s_or_b64 exec, exec, s[10:11]
.LBB135_5:                              ;   in Loop: Header=BB135_7 Depth=1
	s_or_b64 exec, exec, s[8:9]
	v_subrev_u32_e32 v58, s61, v58
.LBB135_6:                              ;   in Loop: Header=BB135_7 Depth=1
	s_or_b64 exec, exec, s[6:7]
	s_add_i32 s49, s49, 1
	v_cmp_ge_i32_e32 vcc, s49, v25
	s_cbranch_vccnz .LBB135_56
.LBB135_7:                              ; =>This Loop Header: Depth=1
                                        ;     Child Loop BB135_13 Depth 2
                                        ;       Child Loop BB135_15 Depth 3
                                        ;       Child Loop BB135_18 Depth 3
                                        ;       Child Loop BB135_21 Depth 3
                                        ;       Child Loop BB135_24 Depth 3
                                        ;       Child Loop BB135_27 Depth 3
                                        ;       Child Loop BB135_30 Depth 3
                                        ;       Child Loop BB135_33 Depth 3
                                        ;     Child Loop BB135_43 Depth 2
                                        ;       Child Loop BB135_45 Depth 3
                                        ;     Child Loop BB135_53 Depth 2
                                        ;       Child Loop BB135_55 Depth 3
	s_abs_i32 s7, s49
	s_mul_hi_u32 s8, s7, s57
	s_mul_i32 s9, s8, s54
	s_ashr_i32 s6, s49, 31
	s_sub_i32 s7, s7, s9
	s_xor_b32 s6, s6, s56
	s_add_i32 s9, s8, 1
	s_sub_i32 s10, s7, s54
	s_cmp_ge_u32 s7, s54
	s_cselect_b32 s8, s9, s8
	s_cselect_b32 s7, s10, s7
	s_add_i32 s9, s8, 1
	s_cmp_ge_u32 s7, s54
	s_cselect_b32 s7, s9, s8
	s_xor_b32 s7, s7, s6
	s_sub_i32 s6, s7, s6
	s_abs_i32 s8, s6
	s_mul_i32 s7, s6, s33
	s_mul_hi_u32 s9, s8, s59
	s_sub_i32 s7, s49, s7
	s_mul_i32 s10, s9, s55
	s_lshl_b32 s62, s7, 3
	s_ashr_i32 s7, s6, 31
	s_sub_i32 s8, s8, s10
	s_xor_b32 s7, s7, s58
	s_add_i32 s10, s9, 1
	s_sub_i32 s11, s8, s55
	s_cmp_ge_u32 s8, s55
	s_cselect_b32 s9, s10, s9
	s_cselect_b32 s8, s11, s8
	s_add_i32 s10, s9, 1
	s_cmp_ge_u32 s8, s55
	s_cselect_b32 s8, s10, s9
	s_xor_b32 s8, s8, s7
	s_sub_i32 s7, s8, s7
	s_mul_i32 s8, s7, s51
	s_lshl_b32 s63, s8, 8
	s_cmp_eq_u32 s7, s16
	s_cselect_b32 s61, s52, s51
	s_sub_i32 s64, s62, s12
	s_add_i32 s64, s64, 8
	s_and_saveexec_b64 s[8:9], s[2:3]
	s_xor_b64 s[38:39], exec, s[8:9]
	s_cbranch_execz .LBB135_49
; %bb.8:                                ;   in Loop: Header=BB135_7 Depth=1
	s_mul_i32 s7, s7, s48
	s_sub_i32 s6, s6, s7
	s_mulk_i32 s6, 0x60
	s_sub_i32 s41, s6, s13
	s_addk_i32 s41, 0x60
	s_max_i32 s7, s41, 0
	s_sub_i32 s40, s6, s7
	s_and_saveexec_b64 s[6:7], s[0:1]
	s_xor_b64 s[42:43], exec, s[6:7]
	s_cbranch_execz .LBB135_39
; %bb.9:                                ;   in Loop: Header=BB135_7 Depth=1
	s_and_saveexec_b64 s[44:45], s[4:5]
	s_cbranch_execz .LBB135_38
; %bb.10:                               ;   in Loop: Header=BB135_7 Depth=1
	s_waitcnt lgkmcnt(0)
	global_load_dword v28, v29, s[26:27]
	v_mov_b32_e32 v23, 0
	v_cmp_gt_i32_e32 vcc, s61, v58
	v_mov_b32_e32 v22, v23
	v_mov_b32_e32 v21, v23
	;; [unrolled: 1-line block ×23, first 2 shown]
	s_and_saveexec_b64 s[6:7], vcc
	s_cbranch_execz .LBB135_35
; %bb.11:                               ;   in Loop: Header=BB135_7 Depth=1
	v_mov_b32_e32 v0, 0
	s_mov_b64 s[8:9], 0
	v_mov_b32_e32 v1, v0
	v_mov_b32_e32 v2, v0
	v_mov_b32_e32 v3, v0
	v_mov_b32_e32 v4, v0
	v_mov_b32_e32 v5, v0
	v_mov_b32_e32 v6, v0
	v_mov_b32_e32 v7, v0
	v_mov_b32_e32 v8, v0
	v_mov_b32_e32 v9, v0
	v_mov_b32_e32 v10, v0
	v_mov_b32_e32 v11, v0
	v_mov_b32_e32 v12, v0
	v_mov_b32_e32 v13, v0
	v_mov_b32_e32 v14, v0
	v_mov_b32_e32 v15, v0
	v_mov_b32_e32 v16, v0
	v_mov_b32_e32 v17, v0
	v_mov_b32_e32 v18, v0
	v_mov_b32_e32 v19, v0
	v_mov_b32_e32 v20, v0
	v_mov_b32_e32 v21, v0
	v_mov_b32_e32 v22, v0
	v_mov_b32_e32 v23, v0
	s_branch .LBB135_13
.LBB135_12:                             ;   in Loop: Header=BB135_13 Depth=2
	s_or_b64 exec, exec, s[10:11]
	v_add_u32_e32 v63, 0x5000, v62
	ds_read2_b32 v[64:65], v63 offset1:32
	ds_read2_b32 v[66:67], v63 offset0:64 offset1:96
	v_add_u32_e32 v63, 0x5400, v62
	ds_read2_b32 v[68:69], v63 offset1:32
	ds_read2_b32 v[70:71], v63 offset0:64 offset1:96
	v_add_u32_e32 v58, s19, v58
	v_cmp_le_i32_e32 vcc, s61, v58
	s_waitcnt lgkmcnt(2)
	v_smfmac_f32_16x16x64_fp8_fp8 v[0:3], v[42:43], v[64:67], v45 cbsz:7 abid:1
	v_add_u32_e32 v42, 0x5800, v62
	ds_read2_b32 v[64:65], v42 offset1:32
	ds_read2_b32 v[66:67], v42 offset0:64 offset1:96
	v_add_u32_e32 v42, 0x5c00, v62
	s_waitcnt lgkmcnt(2)
	v_smfmac_f32_16x16x64_fp8_fp8 v[0:3], v[40:41], v[68:71], v45 cbsz:7 abid:1
	ds_read2_b32 v[40:41], v42 offset1:32
	ds_read2_b32 v[42:43], v42 offset0:64 offset1:96
	s_or_b64 s[8:9], vcc, s[8:9]
	ds_write_b32 v61, v60 offset:53276
	s_waitcnt lgkmcnt(3)
	v_smfmac_f32_16x16x64_fp8_fp8 v[0:3], v[38:39], v[64:67], v45 cbsz:7 abid:1
	v_add_u32_e32 v38, s19, v59
	v_add_u32_e32 v39, 2, v44
	v_cmp_lt_i32_e32 vcc, 1, v38
	s_waitcnt lgkmcnt(1)
	v_smfmac_f32_16x16x64_fp8_fp8 v[0:3], v[36:37], v[40:43], v45 cbsz:7 abid:1
	v_cndmask_b32_e32 v44, v44, v39, vcc
	s_andn2_b64 exec, exec, s[8:9]
	s_cbranch_execz .LBB135_34
.LBB135_13:                             ;   Parent Loop BB135_7 Depth=1
                                        ; =>  This Loop Header: Depth=2
                                        ;       Child Loop BB135_15 Depth 3
                                        ;       Child Loop BB135_18 Depth 3
                                        ;       Child Loop BB135_21 Depth 3
                                        ;       Child Loop BB135_24 Depth 3
                                        ;       Child Loop BB135_27 Depth 3
                                        ;       Child Loop BB135_30 Depth 3
                                        ;       Child Loop BB135_33 Depth 3
	v_cmp_gt_i32_e32 vcc, 2, v38
	s_nop 1
	v_cndmask_b32_e64 v36, -2, 0, vcc
	v_add_u32_e32 v59, v36, v38
	v_lshlrev_b32_e32 v36, 2, v59
	ds_read_b32 v37, v36 offset:53248
	v_add_u32_e32 v61, 0xd000, v36
	s_waitcnt lgkmcnt(0)
	v_cmp_ne_u32_e32 vcc, v37, v44
	s_and_saveexec_b64 s[10:11], vcc
	s_cbranch_execz .LBB135_16
; %bb.14:                               ;   in Loop: Header=BB135_13 Depth=2
	s_mov_b64 s[46:47], 0
.LBB135_15:                             ;   Parent Loop BB135_7 Depth=1
                                        ;     Parent Loop BB135_13 Depth=2
                                        ; =>    This Inner Loop Header: Depth=3
	;;#ASMSTART
	s_sleep 0
	;;#ASMEND
	ds_read_b32 v36, v61
	s_waitcnt lgkmcnt(0)
	v_cmp_eq_u32_e32 vcc, v36, v44
	s_or_b64 s[46:47], vcc, s[46:47]
	s_andn2_b64 exec, exec, s[46:47]
	s_cbranch_execnz .LBB135_15
.LBB135_16:                             ;   in Loop: Header=BB135_13 Depth=2
	s_or_b64 exec, exec, s[10:11]
	v_lshl_add_u32 v36, v59, 11, v46
	ds_read2_b32 v[42:43], v36 offset1:32
	ds_read2_b32 v[40:41], v36 offset0:128 offset1:160
	v_add_u32_e32 v36, 0x400, v36
	v_add_u32_e32 v60, 1, v44
	ds_read2_b32 v[38:39], v36 offset1:32
	ds_read2_b32 v[36:37], v36 offset0:128 offset1:160
	;;#ASMSTART
	s_waitcnt lgkmcnt(0)
	;;#ASMEND
	ds_write_b32 v61, v60
	v_mul_lo_u32 v61, v59, 24
	ds_read_b32 v62, v61 offset:53256
	s_waitcnt lgkmcnt(0)
	v_cmp_ne_u32_e32 vcc, v62, v44
	s_and_saveexec_b64 s[10:11], vcc
	s_cbranch_execz .LBB135_19
; %bb.17:                               ;   in Loop: Header=BB135_13 Depth=2
	s_mov_b64 s[46:47], 0
.LBB135_18:                             ;   Parent Loop BB135_7 Depth=1
                                        ;     Parent Loop BB135_13 Depth=2
                                        ; =>    This Inner Loop Header: Depth=3
	;;#ASMSTART
	s_sleep 0
	;;#ASMEND
	ds_read_b32 v62, v61 offset:53256
	s_waitcnt lgkmcnt(0)
	v_cmp_eq_u32_e32 vcc, v62, v44
	s_or_b64 s[46:47], vcc, s[46:47]
	s_andn2_b64 exec, exec, s[46:47]
	s_cbranch_execnz .LBB135_18
.LBB135_19:                             ;   in Loop: Header=BB135_13 Depth=2
	s_or_b64 exec, exec, s[10:11]
	v_mul_lo_u32 v62, v59, s60
	v_or_b32_e32 v62, v47, v62
	ds_read2_b32 v[64:65], v62 offset1:32
	ds_read2_b32 v[66:67], v62 offset0:64 offset1:96
	v_add_u32_e32 v63, 0x400, v62
	ds_read2_b32 v[68:69], v63 offset1:32
	ds_read2_b32 v[70:71], v63 offset0:64 offset1:96
	v_add_u32_e32 v63, 0x800, v62
	s_waitcnt lgkmcnt(2)
	v_smfmac_f32_16x16x64_fp8_fp8 v[20:23], v[42:43], v[64:67], v45 cbsz:7 abid:1
	ds_read2_b32 v[64:65], v63 offset1:32
	ds_read2_b32 v[66:67], v63 offset0:64 offset1:96
	v_add_u32_e32 v63, 0xc00, v62
	s_waitcnt lgkmcnt(2)
	v_smfmac_f32_16x16x64_fp8_fp8 v[20:23], v[40:41], v[68:71], v45 cbsz:7 abid:1
	ds_read2_b32 v[68:69], v63 offset1:32
	ds_read2_b32 v[70:71], v63 offset0:64 offset1:96
	ds_read_b32 v63, v61 offset:53260
	ds_write_b32 v61, v60 offset:53256
	s_waitcnt lgkmcnt(4)
	v_smfmac_f32_16x16x64_fp8_fp8 v[20:23], v[38:39], v[64:67], v45 cbsz:7 abid:1
	s_waitcnt lgkmcnt(1)
	v_cmp_ne_u32_e32 vcc, v63, v44
	v_smfmac_f32_16x16x64_fp8_fp8 v[20:23], v[36:37], v[68:71], v45 cbsz:7 abid:1
	s_and_saveexec_b64 s[10:11], vcc
	s_cbranch_execz .LBB135_22
; %bb.20:                               ;   in Loop: Header=BB135_13 Depth=2
	s_mov_b64 s[46:47], 0
.LBB135_21:                             ;   Parent Loop BB135_7 Depth=1
                                        ;     Parent Loop BB135_13 Depth=2
                                        ; =>    This Inner Loop Header: Depth=3
	;;#ASMSTART
	s_sleep 0
	;;#ASMEND
	ds_read_b32 v63, v61 offset:53260
	s_waitcnt lgkmcnt(0)
	v_cmp_eq_u32_e32 vcc, v63, v44
	s_or_b64 s[46:47], vcc, s[46:47]
	s_andn2_b64 exec, exec, s[46:47]
	s_cbranch_execnz .LBB135_21
.LBB135_22:                             ;   in Loop: Header=BB135_13 Depth=2
	s_or_b64 exec, exec, s[10:11]
	v_add_u32_e32 v63, 0x1000, v62
	ds_read2_b32 v[64:65], v63 offset1:32
	ds_read2_b32 v[66:67], v63 offset0:64 offset1:96
	v_add_u32_e32 v63, 0x1400, v62
	ds_read2_b32 v[68:69], v63 offset1:32
	ds_read2_b32 v[70:71], v63 offset0:64 offset1:96
	v_add_u32_e32 v63, 0x1800, v62
	s_waitcnt lgkmcnt(2)
	v_smfmac_f32_16x16x64_fp8_fp8 v[16:19], v[42:43], v[64:67], v45 cbsz:7 abid:1
	ds_read2_b32 v[64:65], v63 offset1:32
	ds_read2_b32 v[66:67], v63 offset0:64 offset1:96
	v_add_u32_e32 v63, 0x1c00, v62
	s_waitcnt lgkmcnt(2)
	v_smfmac_f32_16x16x64_fp8_fp8 v[16:19], v[40:41], v[68:71], v45 cbsz:7 abid:1
	ds_read2_b32 v[68:69], v63 offset1:32
	ds_read2_b32 v[70:71], v63 offset0:64 offset1:96
	ds_read_b32 v63, v61 offset:53264
	ds_write_b32 v61, v60 offset:53260
	s_waitcnt lgkmcnt(4)
	v_smfmac_f32_16x16x64_fp8_fp8 v[16:19], v[38:39], v[64:67], v45 cbsz:7 abid:1
	s_waitcnt lgkmcnt(1)
	v_cmp_ne_u32_e32 vcc, v63, v44
	v_smfmac_f32_16x16x64_fp8_fp8 v[16:19], v[36:37], v[68:71], v45 cbsz:7 abid:1
	s_and_saveexec_b64 s[10:11], vcc
	s_cbranch_execz .LBB135_25
; %bb.23:                               ;   in Loop: Header=BB135_13 Depth=2
	s_mov_b64 s[46:47], 0
.LBB135_24:                             ;   Parent Loop BB135_7 Depth=1
                                        ;     Parent Loop BB135_13 Depth=2
                                        ; =>    This Inner Loop Header: Depth=3
	;;#ASMSTART
	s_sleep 0
	;;#ASMEND
	ds_read_b32 v63, v61 offset:53264
	s_waitcnt lgkmcnt(0)
	v_cmp_eq_u32_e32 vcc, v63, v44
	s_or_b64 s[46:47], vcc, s[46:47]
	s_andn2_b64 exec, exec, s[46:47]
	s_cbranch_execnz .LBB135_24
.LBB135_25:                             ;   in Loop: Header=BB135_13 Depth=2
	s_or_b64 exec, exec, s[10:11]
	v_add_u32_e32 v63, 0x2000, v62
	;; [unrolled: 41-line block ×4, first 2 shown]
	ds_read2_b32 v[64:65], v63 offset1:32
	ds_read2_b32 v[66:67], v63 offset0:64 offset1:96
	v_add_u32_e32 v63, 0x4400, v62
	ds_read2_b32 v[68:69], v63 offset1:32
	ds_read2_b32 v[70:71], v63 offset0:64 offset1:96
	v_add_u32_e32 v63, 0x4800, v62
	s_waitcnt lgkmcnt(2)
	v_smfmac_f32_16x16x64_fp8_fp8 v[4:7], v[42:43], v[64:67], v45 cbsz:7 abid:1
	ds_read2_b32 v[64:65], v63 offset1:32
	ds_read2_b32 v[66:67], v63 offset0:64 offset1:96
	v_add_u32_e32 v63, 0x4c00, v62
	s_waitcnt lgkmcnt(2)
	v_smfmac_f32_16x16x64_fp8_fp8 v[4:7], v[40:41], v[68:71], v45 cbsz:7 abid:1
	ds_read2_b32 v[68:69], v63 offset1:32
	ds_read2_b32 v[70:71], v63 offset0:64 offset1:96
	ds_read_b32 v63, v61 offset:53276
	ds_write_b32 v61, v60 offset:53272
	s_waitcnt lgkmcnt(4)
	v_smfmac_f32_16x16x64_fp8_fp8 v[4:7], v[38:39], v[64:67], v45 cbsz:7 abid:1
	s_waitcnt lgkmcnt(1)
	v_cmp_ne_u32_e32 vcc, v63, v44
	v_smfmac_f32_16x16x64_fp8_fp8 v[4:7], v[36:37], v[68:71], v45 cbsz:7 abid:1
	s_and_saveexec_b64 s[10:11], vcc
	s_cbranch_execz .LBB135_12
; %bb.32:                               ;   in Loop: Header=BB135_13 Depth=2
	s_mov_b64 s[46:47], 0
.LBB135_33:                             ;   Parent Loop BB135_7 Depth=1
                                        ;     Parent Loop BB135_13 Depth=2
                                        ; =>    This Inner Loop Header: Depth=3
	;;#ASMSTART
	s_sleep 0
	;;#ASMEND
	ds_read_b32 v63, v61 offset:53276
	s_waitcnt lgkmcnt(0)
	v_cmp_eq_u32_e32 vcc, v63, v44
	s_or_b64 s[46:47], vcc, s[46:47]
	s_andn2_b64 exec, exec, s[46:47]
	s_cbranch_execnz .LBB135_33
	s_branch .LBB135_12
.LBB135_34:                             ;   in Loop: Header=BB135_7 Depth=1
	s_or_b64 exec, exec, s[8:9]
.LBB135_35:                             ;   in Loop: Header=BB135_7 Depth=1
	s_or_b64 exec, exec, s[6:7]
	v_cmp_le_i32_e32 vcc, s41, v24
	v_mov_b32_e32 v40, v21
	v_mov_b32_e32 v41, v22
	;; [unrolled: 1-line block ×3, first 2 shown]
	s_waitcnt vmcnt(0)
	v_cndmask_b32_e32 v36, 0, v28, vcc
	v_pk_add_f32 v[20:21], v[40:41], v[20:21]
	v_cmp_eq_u32_e32 vcc, 1, v48
	v_pk_mul_f32 v[20:21], v[36:37], v[20:21] op_sel_hi:[0,1]
	v_cmp_eq_u32_e64 s[6:7], 2, v48
	v_cndmask_b32_e32 v36, v20, v21, vcc
	v_cmp_eq_u32_e64 s[8:9], 3, v48
	v_cndmask_b32_e64 v22, v36, v22, s[6:7]
	v_mov_b32_e32 v40, v17
	v_cndmask_b32_e64 v22, v22, v23, s[8:9]
	v_or_b32_e32 v23, 16, v24
	v_cmp_le_i32_e64 s[10:11], s41, v23
	v_mov_b32_e32 v41, v18
	v_mov_b32_e32 v17, v19
	v_cndmask_b32_e64 v36, 0, v28, s[10:11]
	v_pk_add_f32 v[16:17], v[40:41], v[16:17]
	v_mov_b32_e32 v40, v13
	v_pk_mul_f32 v[16:17], v[36:37], v[16:17] op_sel_hi:[0,1]
	v_cndmask_b32_e32 v23, v16, v17, vcc
	v_cndmask_b32_e64 v18, v23, v18, s[6:7]
	v_cndmask_b32_e64 v18, v18, v19, s[8:9]
	v_or_b32_e32 v19, 32, v24
	v_cmp_le_i32_e64 s[10:11], s41, v19
	v_mov_b32_e32 v41, v14
	v_mov_b32_e32 v13, v15
	v_cndmask_b32_e64 v36, 0, v28, s[10:11]
	v_pk_add_f32 v[12:13], v[40:41], v[12:13]
	v_cmp_le_i32_e64 s[10:11], s41, v49
	v_pk_mul_f32 v[12:13], v[36:37], v[12:13] op_sel_hi:[0,1]
	v_mov_b32_e32 v40, v9
	v_mov_b32_e32 v41, v10
	;; [unrolled: 1-line block ×3, first 2 shown]
	v_cndmask_b32_e32 v19, v12, v13, vcc
	v_cndmask_b32_e64 v36, 0, v28, s[10:11]
	v_pk_add_f32 v[8:9], v[40:41], v[8:9]
	v_cndmask_b32_e64 v14, v19, v14, s[6:7]
	v_pk_mul_f32 v[8:9], v[36:37], v[8:9] op_sel_hi:[0,1]
	v_cmp_le_i32_e64 s[10:11], s41, v50
	v_mov_b32_e32 v40, v5
	v_mov_b32_e32 v41, v6
	;; [unrolled: 1-line block ×3, first 2 shown]
	v_cndmask_b32_e64 v14, v14, v15, s[8:9]
	v_cndmask_b32_e32 v15, v8, v9, vcc
	v_cndmask_b32_e64 v36, 0, v28, s[10:11]
	v_pk_add_f32 v[4:5], v[40:41], v[4:5]
	v_cndmask_b32_e64 v10, v15, v10, s[6:7]
	v_pk_mul_f32 v[4:5], v[36:37], v[4:5] op_sel_hi:[0,1]
	v_cndmask_b32_e64 v10, v10, v11, s[8:9]
	v_cndmask_b32_e32 v11, v4, v5, vcc
	v_cmp_le_i32_e32 vcc, s41, v51
	v_mov_b32_e32 v36, v1
	v_mov_b32_e32 v37, v2
	;; [unrolled: 1-line block ×3, first 2 shown]
	v_cndmask_b32_e32 v28, 0, v28, vcc
	v_pk_add_f32 v[0:1], v[36:37], v[0:1]
	v_cndmask_b32_e64 v6, v11, v6, s[6:7]
	v_pk_mul_f32 v[0:1], v[28:29], v[0:1] op_sel_hi:[0,1]
	v_cmp_ne_u32_e32 vcc, 0, v48
	v_cndmask_b32_e64 v6, v6, v7, s[8:9]
	ds_bpermute_b32 v22, v57, v22
	v_cndmask_b32_e32 v7, v0, v1, vcc
	v_cndmask_b32_e64 v2, v7, v2, s[6:7]
	v_cndmask_b32_e64 v2, v2, v3, s[8:9]
	ds_bpermute_b32 v18, v57, v18
	ds_bpermute_b32 v14, v57, v14
	;; [unrolled: 1-line block ×5, first 2 shown]
	v_cmp_lt_i32_e32 vcc, s64, v52
	s_and_saveexec_b64 s[8:9], vcc
	s_cbranch_execz .LBB135_37
; %bb.36:                               ;   in Loop: Header=BB135_7 Depth=1
	s_mul_i32 s6, s62, s13
	s_ashr_i32 s7, s6, 31
	s_lshl_b64 s[6:7], s[6:7], 1
	s_add_u32 s10, s24, s6
	s_addc_u32 s11, s25, s7
	s_ashr_i32 s41, s40, 31
	s_lshl_b64 s[6:7], s[40:41], 1
	s_add_u32 s10, s10, s6
	s_addc_u32 s11, s11, s7
	v_cmp_ne_u32_e32 vcc, 0, v48
	v_cmp_eq_u32_e64 s[6:7], 0, v48
	v_lshlrev_b32_e32 v28, 1, v24
	s_waitcnt lgkmcnt(1)
	v_cndmask_b32_e32 v5, v5, v6, vcc
	v_cndmask_b32_e64 v4, v4, v6, s[6:7]
	v_cndmask_b32_e32 v6, v9, v10, vcc
	v_cndmask_b32_e64 v8, v8, v10, s[6:7]
	;; [unrolled: 2-line block ×4, first 2 shown]
	v_cvt_f16_f32_e32 v13, v13
	v_cvt_f16_f32_sdwa v12, v12 dst_sel:WORD_1 dst_unused:UNUSED_PAD src0_sel:DWORD
	s_waitcnt lgkmcnt(0)
	v_cndmask_b32_e32 v7, v1, v2, vcc
	v_cndmask_b32_e64 v11, v0, v2, s[6:7]
	v_cndmask_b32_e32 v2, v17, v18, vcc
	v_cndmask_b32_e64 v3, v16, v18, s[6:7]
	v_cvt_f16_f32_e32 v14, v3
	v_cvt_f16_f32_sdwa v15, v2 dst_sel:WORD_1 dst_unused:UNUSED_PAD src0_sel:DWORD
	v_cvt_f16_f32_e32 v8, v8
	v_cvt_f16_f32_sdwa v6, v6 dst_sel:WORD_1 dst_unused:UNUSED_PAD src0_sel:DWORD
	v_lshl_add_u64 v[0:1], v[26:27], 1, s[10:11]
	v_cvt_f16_f32_e32 v10, v10
	v_cvt_f16_f32_sdwa v9, v9 dst_sel:WORD_1 dst_unused:UNUSED_PAD src0_sel:DWORD
	v_lshl_add_u64 v[0:1], v[0:1], 0, v[28:29]
	v_or_b32_e32 v2, v12, v13
	;;#ASMSTART
	global_atomic_pk_add_f16 v[0:1], v2, off
	
	;;#ASMEND
	v_lshl_add_u64 v[2:3], v[0:1], 0, 32
	v_or_b32_e32 v12, v15, v14
	;;#ASMSTART
	global_atomic_pk_add_f16 v[2:3], v12, off
	
	;;#ASMEND
	v_lshl_add_u64 v[2:3], v[0:1], 0, 64
	v_or_b32_e32 v6, v6, v8
	v_or_b32_e32 v9, v9, v10
	;;#ASMSTART
	global_atomic_pk_add_f16 v[2:3], v9, off
	
	;;#ASMEND
	v_lshl_add_u64 v[2:3], v[0:1], 0, s[30:31]
	;;#ASMSTART
	global_atomic_pk_add_f16 v[2:3], v6, off
	
	;;#ASMEND
	v_cvt_f16_f32_e32 v4, v4
	v_cvt_f16_f32_sdwa v5, v5 dst_sel:WORD_1 dst_unused:UNUSED_PAD src0_sel:DWORD
	v_cvt_f16_f32_e32 v6, v11
	v_cvt_f16_f32_sdwa v7, v7 dst_sel:WORD_1 dst_unused:UNUSED_PAD src0_sel:DWORD
	v_lshl_add_u64 v[2:3], v[0:1], 0, s[34:35]
	v_or_b32_e32 v4, v5, v4
	;;#ASMSTART
	global_atomic_pk_add_f16 v[2:3], v4, off
	
	;;#ASMEND
	v_lshl_add_u64 v[0:1], v[0:1], 0, s[36:37]
	v_or_b32_e32 v2, v7, v6
	;;#ASMSTART
	global_atomic_pk_add_f16 v[0:1], v2, off
	
	;;#ASMEND
.LBB135_37:                             ;   in Loop: Header=BB135_7 Depth=1
	s_or_b64 exec, exec, s[8:9]
	v_subrev_u32_e32 v58, s61, v58
.LBB135_38:                             ;   in Loop: Header=BB135_7 Depth=1
	s_or_b64 exec, exec, s[44:45]
.LBB135_39:                             ;   in Loop: Header=BB135_7 Depth=1
	s_andn2_saveexec_b64 s[6:7], s[42:43]
	s_cbranch_execz .LBB135_48
; %bb.40:                               ;   in Loop: Header=BB135_7 Depth=1
	s_mul_i32 s44, s61, 6
	v_cmp_gt_i32_e32 vcc, s44, v58
	s_and_saveexec_b64 s[8:9], vcc
	s_cbranch_execz .LBB135_47
; %bb.41:                               ;   in Loop: Header=BB135_7 Depth=1
	s_mul_i32 s10, s40, s15
	s_ashr_i32 s11, s10, 31
	s_waitcnt lgkmcnt(0)
	s_add_u32 s10, s22, s10
	s_addc_u32 s11, s23, s11
	s_ashr_i32 s40, s63, 31
	s_add_u32 s10, s10, s63
	s_addc_u32 s11, s11, s40
	v_lshl_add_u64 v[0:1], s[10:11], 0, v[32:33]
	v_lshl_add_u64 v[16:17], v[0:1], 0, v[30:31]
	s_mov_b64 s[10:11], 0
	s_branch .LBB135_43
.LBB135_42:                             ;   in Loop: Header=BB135_43 Depth=2
	s_or_b64 exec, exec, s[40:41]
	v_lshl_or_b32 v20, v18, 12, v53
	;;#ASMSTART
	s_waitcnt vmcnt(3)
	;;#ASMEND
	ds_write2_b32 v20, v12, v13 offset1:32
	ds_write2_b32 v20, v14, v15 offset0:64 offset1:96
	v_add_u32_e32 v12, 0x400, v20
	;;#ASMSTART
	s_waitcnt vmcnt(2)
	;;#ASMEND
	ds_write2_b32 v12, v8, v9 offset1:32
	ds_write2_b32 v12, v10, v11 offset0:64 offset1:96
	v_add_u32_e32 v8, 0x800, v20
	;; [unrolled: 6-line block ×3, first 2 shown]
	v_add_u32_e32 v58, s18, v58
	;;#ASMSTART
	s_waitcnt vmcnt(0)
	;;#ASMEND
	ds_write2_b32 v4, v0, v1 offset1:32
	ds_write2_b32 v4, v2, v3 offset0:64 offset1:96
	v_add_u32_e32 v0, 1, v44
	v_add_u32_e32 v38, s18, v18
	v_cmp_le_i32_e32 vcc, s44, v58
	ds_write_b32 v19, v0 offset:8
	v_add_u32_e32 v0, 2, v44
	s_or_b64 s[10:11], vcc, s[10:11]
	v_cmp_lt_i32_e32 vcc, 11, v38
	s_nop 1
	v_cndmask_b32_e32 v44, v44, v0, vcc
	s_andn2_b64 exec, exec, s[10:11]
	s_cbranch_execz .LBB135_46
.LBB135_43:                             ;   Parent Loop BB135_7 Depth=1
                                        ; =>  This Loop Header: Depth=2
                                        ;       Child Loop BB135_45 Depth 3
	v_cmp_gt_i32_e32 vcc, 12, v38
	s_nop 1
	v_cndmask_b32_e64 v0, -12, 0, vcc
	v_add_u32_e32 v18, v0, v38
	v_mul_hi_i32 v0, v58, s50
	v_lshrrev_b32_e32 v1, 31, v0
	v_add_u32_e32 v0, v0, v1
	v_mul_lo_u32 v1, v0, 6
	v_sub_u32_e32 v2, v58, v1
	v_lshlrev_b32_e32 v0, 8, v0
	v_ashrrev_i32_e32 v1, 31, v0
	v_mul_lo_u32 v2, s53, v2
	v_lshl_add_u64 v[0:1], v[16:17], 0, v[0:1]
	v_ashrrev_i32_e32 v3, 31, v2
	v_lshl_add_u64 v[0:1], v[0:1], 0, v[2:3]
	v_lshlrev_b32_e32 v19, 2, v18
	;;#ASMSTART
	global_load_dwordx4 v[12:15], v[0:1], off offset:0    sc0 sc1 nt  
	global_load_dwordx4 v[8:11], v[0:1], off offset:64   sc0 sc1 nt  
	global_load_dwordx4 v[4:7], v[0:1], off offset:128  sc0 sc1 nt  
	global_load_dwordx4 v[0:3], v[0:1], off offset:192  sc0 sc1 nt  
	
	;;#ASMEND
	ds_read_b32 v20, v19 offset:53256
	v_add_u32_e32 v19, 0xd000, v19
	s_waitcnt lgkmcnt(0)
	v_cmp_ne_u32_e32 vcc, v20, v44
	s_and_saveexec_b64 s[40:41], vcc
	s_cbranch_execz .LBB135_42
; %bb.44:                               ;   in Loop: Header=BB135_43 Depth=2
	s_mov_b64 s[42:43], 0
.LBB135_45:                             ;   Parent Loop BB135_7 Depth=1
                                        ;     Parent Loop BB135_43 Depth=2
                                        ; =>    This Inner Loop Header: Depth=3
	;;#ASMSTART
	s_sleep 0
	;;#ASMEND
	ds_read_b32 v20, v19 offset:8
	s_waitcnt lgkmcnt(0)
	v_cmp_eq_u32_e32 vcc, v20, v44
	s_or_b64 s[42:43], vcc, s[42:43]
	s_andn2_b64 exec, exec, s[42:43]
	s_cbranch_execnz .LBB135_45
	s_branch .LBB135_42
.LBB135_46:                             ;   in Loop: Header=BB135_7 Depth=1
	s_or_b64 exec, exec, s[10:11]
.LBB135_47:                             ;   in Loop: Header=BB135_7 Depth=1
	s_or_b64 exec, exec, s[8:9]
	v_subrev_u32_e32 v58, s44, v58
.LBB135_48:                             ;   in Loop: Header=BB135_7 Depth=1
	s_or_b64 exec, exec, s[6:7]
.LBB135_49:                             ;   in Loop: Header=BB135_7 Depth=1
	s_andn2_saveexec_b64 s[6:7], s[38:39]
	s_cbranch_execz .LBB135_6
; %bb.50:                               ;   in Loop: Header=BB135_7 Depth=1
	v_cmp_gt_i32_e32 vcc, s61, v58
	s_and_saveexec_b64 s[8:9], vcc
	s_cbranch_execz .LBB135_5
; %bb.51:                               ;   in Loop: Header=BB135_7 Depth=1
	s_mul_i32 s62, s62, s14
	s_ashr_i32 s10, s62, 31
	s_waitcnt lgkmcnt(0)
	s_add_u32 s11, s20, s62
	s_addc_u32 s38, s21, s10
	s_ashr_i32 s39, s63, 31
	v_cmp_le_i32_e32 vcc, s64, v55
	s_add_u32 s10, s11, s63
	s_addc_u32 s11, s38, s39
	v_cndmask_b32_e32 v0, 0, v56, vcc
	v_ashrrev_i32_e32 v1, 31, v0
	v_lshl_add_u64 v[0:1], s[10:11], 0, v[0:1]
	v_lshlrev_b32_e32 v2, 8, v58
	v_lshl_add_u64 v[0:1], v[0:1], 0, v[34:35]
	v_ashrrev_i32_e32 v3, 31, v2
	v_lshl_add_u64 v[8:9], v[0:1], 0, v[2:3]
	s_mov_b64 s[10:11], 0
	s_branch .LBB135_53
.LBB135_52:                             ;   in Loop: Header=BB135_53 Depth=2
	s_or_b64 exec, exec, s[38:39]
	;;#ASMSTART
	s_waitcnt vmcnt(1)
	v_pack_b32_f16 v12, v4, v5, op_sel:[0,0]
	v_pack_b32_f16 v13, v4, v5, op_sel:[1,1]
	;; [unrolled: 1-line block ×4, first 2 shown]
	v_swap_b32 v12, v4
	v_swap_b32 v13, v6
	;; [unrolled: 1-line block ×4, first 2 shown]
	;;#ASMEND
	v_add_u32_e32 v58, s17, v58
	v_lshl_add_u32 v12, v10, 11, v54
	ds_write2_b32 v12, v4, v5 offset1:32
	ds_write2_b32 v12, v6, v7 offset0:64 offset1:96
	;;#ASMSTART
	s_waitcnt vmcnt(0)
	v_pack_b32_f16 v4, v0, v1, op_sel:[0,0]
	v_pack_b32_f16 v5, v0, v1, op_sel:[1,1]
	;; [unrolled: 1-line block ×4, first 2 shown]
	v_swap_b32 v4, v0
	v_swap_b32 v5, v2
	;; [unrolled: 1-line block ×4, first 2 shown]
	;;#ASMEND
	v_add_u32_e32 v38, s17, v10
	v_add_u32_e32 v4, 0x400, v12
	ds_write2_b32 v4, v0, v1 offset1:32
	ds_write2_b32 v4, v2, v3 offset0:64 offset1:96
	v_add_u32_e32 v0, 1, v44
	v_cmp_le_i32_e32 vcc, s61, v58
	ds_write_b32 v11, v0
	v_add_u32_e32 v0, 2, v44
	s_or_b64 s[10:11], vcc, s[10:11]
	v_cmp_lt_i32_e32 vcc, 1, v38
	v_lshl_add_u64 v[8:9], v[8:9], 0, s[28:29]
	s_nop 0
	v_cndmask_b32_e32 v44, v44, v0, vcc
	s_andn2_b64 exec, exec, s[10:11]
	s_cbranch_execz .LBB135_4
.LBB135_53:                             ;   Parent Loop BB135_7 Depth=1
                                        ; =>  This Loop Header: Depth=2
                                        ;       Child Loop BB135_55 Depth 3
	v_cmp_gt_i32_e32 vcc, 2, v38
	s_nop 1
	v_cndmask_b32_e64 v0, -2, 0, vcc
	v_add_u32_e32 v10, v0, v38
	v_lshlrev_b32_e32 v11, 2, v10
	;;#ASMSTART
	global_load_dwordx4 v[4:7], v[8:9], off offset:0  
	global_load_dwordx4 v[0:3], v[8:9], off offset:128
	
	;;#ASMEND
	ds_read_b32 v12, v11 offset:53248
	v_add_u32_e32 v11, 0xd000, v11
	s_waitcnt lgkmcnt(0)
	v_cmp_ne_u32_e32 vcc, v12, v44
	s_and_saveexec_b64 s[38:39], vcc
	s_cbranch_execz .LBB135_52
; %bb.54:                               ;   in Loop: Header=BB135_53 Depth=2
	s_mov_b64 s[40:41], 0
.LBB135_55:                             ;   Parent Loop BB135_7 Depth=1
                                        ;     Parent Loop BB135_53 Depth=2
                                        ; =>    This Inner Loop Header: Depth=3
	;;#ASMSTART
	s_sleep 0
	;;#ASMEND
	ds_read_b32 v12, v11
	s_waitcnt lgkmcnt(0)
	v_cmp_eq_u32_e32 vcc, v12, v44
	s_or_b64 s[40:41], vcc, s[40:41]
	s_andn2_b64 exec, exec, s[40:41]
	s_cbranch_execnz .LBB135_55
	s_branch .LBB135_52
.LBB135_56:
	s_endpgm
	.section	.rodata,"a",@progbits
	.p2align	6, 0x0
	.amdhsa_kernel _Z19_skinny_gemm_kernelILi1ELi6ELi2ELi8ELi4EEvPKhS1_P6__halfPKfiiiiiiii
		.amdhsa_group_segment_fixed_size 53304
		.amdhsa_private_segment_fixed_size 0
		.amdhsa_kernarg_size 64
		.amdhsa_user_sgpr_count 2
		.amdhsa_user_sgpr_dispatch_ptr 0
		.amdhsa_user_sgpr_queue_ptr 0
		.amdhsa_user_sgpr_kernarg_segment_ptr 1
		.amdhsa_user_sgpr_dispatch_id 0
		.amdhsa_user_sgpr_kernarg_preload_length 0
		.amdhsa_user_sgpr_kernarg_preload_offset 0
		.amdhsa_user_sgpr_private_segment_size 0
		.amdhsa_uses_dynamic_stack 0
		.amdhsa_enable_private_segment 0
		.amdhsa_system_sgpr_workgroup_id_x 1
		.amdhsa_system_sgpr_workgroup_id_y 0
		.amdhsa_system_sgpr_workgroup_id_z 0
		.amdhsa_system_sgpr_workgroup_info 0
		.amdhsa_system_vgpr_workitem_id 0
		.amdhsa_next_free_vgpr 72
		.amdhsa_next_free_sgpr 65
		.amdhsa_accum_offset 72
		.amdhsa_reserve_vcc 1
		.amdhsa_float_round_mode_32 0
		.amdhsa_float_round_mode_16_64 0
		.amdhsa_float_denorm_mode_32 3
		.amdhsa_float_denorm_mode_16_64 3
		.amdhsa_dx10_clamp 1
		.amdhsa_ieee_mode 1
		.amdhsa_fp16_overflow 0
		.amdhsa_tg_split 0
		.amdhsa_exception_fp_ieee_invalid_op 0
		.amdhsa_exception_fp_denorm_src 0
		.amdhsa_exception_fp_ieee_div_zero 0
		.amdhsa_exception_fp_ieee_overflow 0
		.amdhsa_exception_fp_ieee_underflow 0
		.amdhsa_exception_fp_ieee_inexact 0
		.amdhsa_exception_int_div_zero 0
	.end_amdhsa_kernel
	.section	.text._Z19_skinny_gemm_kernelILi1ELi6ELi2ELi8ELi4EEvPKhS1_P6__halfPKfiiiiiiii,"axG",@progbits,_Z19_skinny_gemm_kernelILi1ELi6ELi2ELi8ELi4EEvPKhS1_P6__halfPKfiiiiiiii,comdat
.Lfunc_end135:
	.size	_Z19_skinny_gemm_kernelILi1ELi6ELi2ELi8ELi4EEvPKhS1_P6__halfPKfiiiiiiii, .Lfunc_end135-_Z19_skinny_gemm_kernelILi1ELi6ELi2ELi8ELi4EEvPKhS1_P6__halfPKfiiiiiiii
                                        ; -- End function
	.set _Z19_skinny_gemm_kernelILi1ELi6ELi2ELi8ELi4EEvPKhS1_P6__halfPKfiiiiiiii.num_vgpr, 72
	.set _Z19_skinny_gemm_kernelILi1ELi6ELi2ELi8ELi4EEvPKhS1_P6__halfPKfiiiiiiii.num_agpr, 0
	.set _Z19_skinny_gemm_kernelILi1ELi6ELi2ELi8ELi4EEvPKhS1_P6__halfPKfiiiiiiii.numbered_sgpr, 65
	.set _Z19_skinny_gemm_kernelILi1ELi6ELi2ELi8ELi4EEvPKhS1_P6__halfPKfiiiiiiii.num_named_barrier, 0
	.set _Z19_skinny_gemm_kernelILi1ELi6ELi2ELi8ELi4EEvPKhS1_P6__halfPKfiiiiiiii.private_seg_size, 0
	.set _Z19_skinny_gemm_kernelILi1ELi6ELi2ELi8ELi4EEvPKhS1_P6__halfPKfiiiiiiii.uses_vcc, 1
	.set _Z19_skinny_gemm_kernelILi1ELi6ELi2ELi8ELi4EEvPKhS1_P6__halfPKfiiiiiiii.uses_flat_scratch, 0
	.set _Z19_skinny_gemm_kernelILi1ELi6ELi2ELi8ELi4EEvPKhS1_P6__halfPKfiiiiiiii.has_dyn_sized_stack, 0
	.set _Z19_skinny_gemm_kernelILi1ELi6ELi2ELi8ELi4EEvPKhS1_P6__halfPKfiiiiiiii.has_recursion, 0
	.set _Z19_skinny_gemm_kernelILi1ELi6ELi2ELi8ELi4EEvPKhS1_P6__halfPKfiiiiiiii.has_indirect_call, 0
	.section	.AMDGPU.csdata,"",@progbits
; Kernel info:
; codeLenInByte = 4984
; TotalNumSgprs: 71
; NumVgprs: 72
; NumAgprs: 0
; TotalNumVgprs: 72
; ScratchSize: 0
; MemoryBound: 0
; FloatMode: 240
; IeeeMode: 1
; LDSByteSize: 53304 bytes/workgroup (compile time only)
; SGPRBlocks: 8
; VGPRBlocks: 8
; NumSGPRsForWavesPerEU: 71
; NumVGPRsForWavesPerEU: 72
; AccumOffset: 72
; Occupancy: 7
; WaveLimiterHint : 0
; COMPUTE_PGM_RSRC2:SCRATCH_EN: 0
; COMPUTE_PGM_RSRC2:USER_SGPR: 2
; COMPUTE_PGM_RSRC2:TRAP_HANDLER: 0
; COMPUTE_PGM_RSRC2:TGID_X_EN: 1
; COMPUTE_PGM_RSRC2:TGID_Y_EN: 0
; COMPUTE_PGM_RSRC2:TGID_Z_EN: 0
; COMPUTE_PGM_RSRC2:TIDIG_COMP_CNT: 0
; COMPUTE_PGM_RSRC3_GFX90A:ACCUM_OFFSET: 17
; COMPUTE_PGM_RSRC3_GFX90A:TG_SPLIT: 0
	.section	.text._Z19_skinny_gemm_kernelILi1ELi6ELi2ELi16ELi4EEvPKhS1_P6__halfPKfiiiiiiii,"axG",@progbits,_Z19_skinny_gemm_kernelILi1ELi6ELi2ELi16ELi4EEvPKhS1_P6__halfPKfiiiiiiii,comdat
	.protected	_Z19_skinny_gemm_kernelILi1ELi6ELi2ELi16ELi4EEvPKhS1_P6__halfPKfiiiiiiii ; -- Begin function _Z19_skinny_gemm_kernelILi1ELi6ELi2ELi16ELi4EEvPKhS1_P6__halfPKfiiiiiiii
	.globl	_Z19_skinny_gemm_kernelILi1ELi6ELi2ELi16ELi4EEvPKhS1_P6__halfPKfiiiiiiii
	.p2align	8
	.type	_Z19_skinny_gemm_kernelILi1ELi6ELi2ELi16ELi4EEvPKhS1_P6__halfPKfiiiiiiii,@function
_Z19_skinny_gemm_kernelILi1ELi6ELi2ELi16ELi4EEvPKhS1_P6__halfPKfiiiiiiii: ; @_Z19_skinny_gemm_kernelILi1ELi6ELi2ELi16ELi4EEvPKhS1_P6__halfPKfiiiiiiii
; %bb.0:
	v_cmp_gt_u32_e32 vcc, 14, v0
	v_lshlrev_b32_e32 v1, 2, v0
	s_and_saveexec_b64 s[4:5], vcc
; %bb.1:
	v_mov_b32_e32 v2, 0
	ds_write_b32 v1, v2 offset:28672
; %bb.2:
	s_or_b64 exec, exec, s[4:5]
	s_load_dwordx8 s[20:27], s[0:1], 0x20
	s_mov_b32 s56, 0x2aaaaaab
	s_waitcnt lgkmcnt(0)
	s_barrier
	s_add_i32 s3, s20, 15
	s_ashr_i32 s5, s3, 31
	s_lshr_b32 s5, s5, 28
	s_add_i32 s4, s21, 0x5f
	s_add_i32 s3, s3, s5
	s_ashr_i32 s33, s3, 4
	s_mul_hi_i32 s3, s4, 0x2aaaaaab
	s_lshr_b32 s4, s3, 31
	s_ashr_i32 s54, s3, 4
	s_add_i32 s54, s54, s4
	s_mul_i32 s3, s54, s33
	s_mul_i32 s3, s3, s24
	s_add_i32 s4, s3, 0x12f
	s_mul_hi_i32 s4, s4, 0x6bca1af3
	s_lshr_b32 s5, s4, 31
	s_ashr_i32 s4, s4, 7
	s_add_i32 s4, s4, s5
	s_add_i32 s5, s2, 1
	s_mul_i32 s5, s4, s5
	v_cvt_f64_i32_e32 v[2:3], s3
	v_cvt_f64_u32_e32 v[4:5], s5
	v_min_f64 v[2:3], v[2:3], v[4:5]
	v_cvt_i32_f64_e32 v25, v[2:3]
	s_mul_i32 s55, s4, s2
	v_cmp_ge_i32_e32 vcc, s55, v25
	s_cbranch_vccnz .LBB136_57
; %bb.3:
	v_lshrrev_b32_e32 v2, 6, v0
	s_add_i32 s4, s26, s25
	s_load_dwordx8 s[36:43], s[0:1], 0x0
	v_cmp_le_i32_e64 s[0:1], s4, v2
	v_mov_b32_e32 v3, s25
	v_cmp_le_i32_e64 s[2:3], s25, v2
	v_mov_b32_e32 v4, s26
	v_cndmask_b32_e64 v4, 0, v4, s[0:1]
	v_cndmask_b32_e64 v3, 0, v3, s[2:3]
	s_abs_i32 s5, s24
	v_add_u32_e32 v3, v3, v4
	v_cvt_f32_u32_e32 v4, s5
	v_sub_u32_e32 v32, v2, v3
	s_ashr_i32 s6, s22, 31
	s_lshr_b32 s6, s6, 25
	v_rcp_iflag_f32_e32 v3, v4
	s_sub_i32 s9, 0, s5
	s_add_i32 s6, s22, s6
	s_ashr_i32 s6, s6, 7
	v_mul_f32_e32 v3, 0x4f7ffffe, v3
	v_cvt_u32_f32_e32 v3, v3
	s_abs_i32 s8, s6
	s_xor_b32 s7, s6, s24
	s_ashr_i32 s7, s7, 31
	v_readfirstlane_b32 s10, v3
	s_mul_i32 s9, s9, s10
	s_mul_hi_u32 s9, s10, s9
	s_add_i32 s10, s10, s9
	s_mul_hi_u32 s9, s8, s10
	s_mul_i32 s10, s9, s5
	s_sub_i32 s8, s8, s10
	s_add_i32 s10, s9, 1
	s_sub_i32 s11, s8, s5
	s_cmp_ge_u32 s8, s5
	s_cselect_b32 s9, s10, s9
	s_cselect_b32 s8, s11, s8
	s_add_i32 s10, s9, 1
	s_cmp_ge_u32 s8, s5
	s_cselect_b32 s5, s10, s9
	s_xor_b32 s5, s5, s7
	s_sub_i32 s57, s5, s7
	s_add_i32 s24, s24, -1
	s_mul_i32 s5, s57, s24
	s_add_i32 s4, s4, s27
	s_sub_i32 s58, s6, s5
	v_cmp_gt_i32_e64 s[4:5], s4, v2
	v_lshlrev_b32_e32 v2, 1, v0
	v_lshlrev_b32_e32 v3, 4, v0
	v_and_b32_e32 v1, 60, v1
	v_and_b32_e32 v2, 64, v2
	v_and_b32_e32 v4, 0x100, v3
	s_abs_i32 s59, s33
	v_or3_b32 v47, v1, v2, v4
	v_and_b32_e32 v1, 1, v0
	v_cvt_f32_u32_e32 v6, s59
	v_lshlrev_b32_e32 v2, 1, v1
	v_lshrrev_b32_e32 v4, 2, v0
	v_and_b32_e32 v24, 14, v0
	v_sub_u32_e32 v2, v0, v2
	v_and_or_b32 v49, v4, 12, v1
	v_bitop3_b32 v50, v0, 1, v0 bitop3:0xc
	v_bitop3_b32 v51, v0, 3, 1 bitop3:0x6c
	v_and_b32_e32 v28, 48, v3
	v_bfe_u32 v1, v0, 2, 4
	v_and_b32_e32 v3, 60, v0
	v_lshlrev_b32_e32 v5, 8, v0
	v_lshlrev_b32_e32 v0, 6, v0
	v_and_b32_e32 v5, 0x200, v5
	v_and_b32_e32 v0, 64, v0
	v_or3_b32 v57, v3, v5, v0
	v_rcp_iflag_f32_e32 v0, v6
	s_abs_i32 s61, s54
	v_mul_lo_u32 v30, s23, v1
	v_mul_lo_u32 v59, s22, v1
	v_cvt_f32_u32_e32 v1, s61
	v_mul_f32_e32 v0, 0x4f7ffffe, v0
	v_cvt_u32_f32_e32 v0, v0
	v_mad_u64_u32 v[26:27], s[6:7], s21, v49, v[24:25]
	v_rcp_iflag_f32_e32 v1, v1
	v_readfirstlane_b32 s7, v0
	s_sub_i32 s6, 0, s59
	s_mul_i32 s6, s6, s7
	v_mul_f32_e32 v0, 0x4f7ffffe, v1
	v_cvt_u32_f32_e32 v0, v0
	s_mul_hi_u32 s6, s7, s6
	v_add_u32_e32 v2, 1, v2
	s_add_i32 s63, s7, s6
	s_sub_i32 s6, 0, s61
	v_readfirstlane_b32 s7, v0
	v_mbcnt_lo_u32_b32 v0, -1, 0
	v_and_b32_e32 v2, 63, v2
	s_mul_i32 s6, s6, s7
	v_mbcnt_hi_u32_b32 v0, -1, v0
	s_mul_hi_u32 s6, s7, s6
	v_and_or_b32 v0, v0, 64, v2
	v_cndmask_b32_e64 v46, 0, 1, s[0:1]
	v_or_b32_e32 v48, 0x6000, v47
	v_or_b32_e32 v52, 16, v24
	v_or_b32_e32 v53, 32, v24
	v_or_b32_e32 v54, 48, v24
	v_or_b32_e32 v55, 64, v24
	v_or_b32_e32 v56, 0x50, v24
	v_ashrrev_i32_e32 v27, 31, v26
	s_ashr_i32 s29, s21, 31
	s_mov_b32 s28, s21
	v_ashrrev_i32_e32 v31, 31, v30
	v_mov_b32_e32 v29, 0
	s_lshl_b32 s60, s23, 4
	v_bitop3_b32 v58, v4, 15, v4 bitop3:0xc
	v_or_b32_e32 v60, 0x6000, v57
	s_ashr_i32 s62, s33, 31
	s_ashr_i32 s64, s54, 31
	s_add_i32 s65, s7, s6
	s_movk_i32 s66, 0x3000
	s_mov_b64 s[30:31], 0x60
	s_mov_b64 s[34:35], 0x80
	s_mov_b64 s[44:45], 0xa0
	v_lshlrev_b32_e32 v61, 2, v0
	v_mov_b32_e32 v62, v32
	s_branch .LBB136_7
.LBB136_4:                              ;   in Loop: Header=BB136_7 Depth=1
	s_or_b64 exec, exec, s[10:11]
.LBB136_5:                              ;   in Loop: Header=BB136_7 Depth=1
	s_or_b64 exec, exec, s[8:9]
	v_subrev_u32_e32 v62, s67, v62
.LBB136_6:                              ;   in Loop: Header=BB136_7 Depth=1
	s_or_b64 exec, exec, s[6:7]
	s_add_i32 s55, s55, 1
	v_cmp_ge_i32_e32 vcc, s55, v25
	s_cbranch_vccnz .LBB136_57
.LBB136_7:                              ; =>This Loop Header: Depth=1
                                        ;     Child Loop BB136_13 Depth 2
                                        ;       Child Loop BB136_15 Depth 3
                                        ;       Child Loop BB136_18 Depth 3
	;; [unrolled: 1-line block ×7, first 2 shown]
                                        ;     Child Loop BB136_44 Depth 2
                                        ;       Child Loop BB136_46 Depth 3
                                        ;     Child Loop BB136_54 Depth 2
                                        ;       Child Loop BB136_56 Depth 3
	s_abs_i32 s7, s55
	s_mul_hi_u32 s8, s7, s63
	s_mul_i32 s9, s8, s59
	s_ashr_i32 s6, s55, 31
	s_sub_i32 s7, s7, s9
	s_xor_b32 s6, s6, s62
	s_add_i32 s9, s8, 1
	s_sub_i32 s10, s7, s59
	s_cmp_ge_u32 s7, s59
	s_cselect_b32 s8, s9, s8
	s_cselect_b32 s7, s10, s7
	s_add_i32 s9, s8, 1
	s_cmp_ge_u32 s7, s59
	s_cselect_b32 s7, s9, s8
	s_xor_b32 s7, s7, s6
	s_sub_i32 s6, s7, s6
	s_abs_i32 s8, s6
	s_mul_i32 s7, s6, s33
	s_mul_hi_u32 s9, s8, s65
	s_sub_i32 s7, s55, s7
	s_mul_i32 s10, s9, s61
	s_lshl_b32 s68, s7, 4
	s_ashr_i32 s7, s6, 31
	s_sub_i32 s8, s8, s10
	s_xor_b32 s7, s7, s64
	s_add_i32 s10, s9, 1
	s_sub_i32 s11, s8, s61
	s_cmp_ge_u32 s8, s61
	s_cselect_b32 s9, s10, s9
	s_cselect_b32 s8, s11, s8
	s_add_i32 s10, s9, 1
	s_cmp_ge_u32 s8, s61
	s_cselect_b32 s8, s10, s9
	s_xor_b32 s8, s8, s7
	s_sub_i32 s7, s8, s7
	s_mul_i32 s8, s7, s57
	s_lshl_b32 s69, s8, 7
	s_cmp_eq_u32 s7, s24
	s_cselect_b32 s67, s58, s57
	s_sub_i32 s70, s68, s20
	s_add_i32 s70, s70, 16
	s_and_saveexec_b64 s[8:9], s[2:3]
	s_xor_b64 s[46:47], exec, s[8:9]
	s_cbranch_execz .LBB136_50
; %bb.8:                                ;   in Loop: Header=BB136_7 Depth=1
	s_mul_i32 s7, s7, s54
	s_sub_i32 s6, s6, s7
	s_mulk_i32 s6, 0x60
	s_sub_i32 s49, s6, s21
	s_addk_i32 s49, 0x60
	s_max_i32 s7, s49, 0
	s_sub_i32 s48, s6, s7
	s_and_saveexec_b64 s[6:7], s[0:1]
	s_xor_b64 s[50:51], exec, s[6:7]
	s_cbranch_execz .LBB136_40
; %bb.9:                                ;   in Loop: Header=BB136_7 Depth=1
	s_and_saveexec_b64 s[52:53], s[4:5]
	s_cbranch_execz .LBB136_39
; %bb.10:                               ;   in Loop: Header=BB136_7 Depth=1
	s_waitcnt lgkmcnt(0)
	global_load_dword v63, v29, s[42:43]
	v_mov_b32_e32 v23, 0
	v_cmp_gt_i32_e32 vcc, s67, v62
	v_mov_b32_e32 v22, v23
	v_mov_b32_e32 v21, v23
	;; [unrolled: 1-line block ×23, first 2 shown]
	s_and_saveexec_b64 s[6:7], vcc
	s_cbranch_execz .LBB136_35
; %bb.11:                               ;   in Loop: Header=BB136_7 Depth=1
	v_mov_b32_e32 v0, 0
	s_mov_b64 s[8:9], 0
	v_mov_b32_e32 v1, v0
	v_mov_b32_e32 v2, v0
	;; [unrolled: 1-line block ×23, first 2 shown]
	s_branch .LBB136_13
.LBB136_12:                             ;   in Loop: Header=BB136_13 Depth=2
	s_or_b64 exec, exec, s[10:11]
	v_add_u32_e32 v41, 0x2800, v40
	ds_read2_b32 v[42:43], v41 offset1:32
	v_add_u32_e32 v62, s27, v62
	v_cmp_le_i32_e32 vcc, s67, v62
	s_or_b64 s[8:9], vcc, s[8:9]
	s_waitcnt lgkmcnt(0)
	v_mfma_f32_16x16x32_fp8_fp8 v[0:3], v[34:35], v[42:43], v[0:3]
	ds_read2_b32 v[34:35], v41 offset0:128 offset1:160
	v_add_u32_e32 v42, 0x2c00, v40
	ds_read2_b32 v[40:41], v42 offset1:32
	s_waitcnt lgkmcnt(1)
	v_mfma_f32_16x16x32_fp8_fp8 v[0:3], v[32:33], v[34:35], v[0:3]
	ds_read2_b32 v[34:35], v42 offset0:128 offset1:160
	v_add_u32_e32 v32, s27, v65
	v_add_u32_e32 v33, 2, v46
	s_waitcnt lgkmcnt(1)
	v_mfma_f32_16x16x32_fp8_fp8 v[0:3], v[38:39], v[40:41], v[0:3]
	v_cmp_lt_i32_e32 vcc, 1, v32
	;;#ASMSTART
	s_waitcnt lgkmcnt(0)
	;;#ASMEND
	ds_write_b32 v64, v66 offset:28700
	s_waitcnt lgkmcnt(1)
	v_mfma_f32_16x16x32_fp8_fp8 v[0:3], v[36:37], v[34:35], v[0:3]
	v_cndmask_b32_e32 v46, v46, v33, vcc
	s_andn2_b64 exec, exec, s[8:9]
	s_cbranch_execz .LBB136_34
.LBB136_13:                             ;   Parent Loop BB136_7 Depth=1
                                        ; =>  This Loop Header: Depth=2
                                        ;       Child Loop BB136_15 Depth 3
                                        ;       Child Loop BB136_18 Depth 3
	;; [unrolled: 1-line block ×7, first 2 shown]
	v_cmp_gt_i32_e32 vcc, 2, v32
	s_nop 1
	v_cndmask_b32_e64 v33, -2, 0, vcc
	v_add_u32_e32 v65, v33, v32
	v_mul_lo_u32 v64, v65, 24
	ds_read_b32 v32, v64 offset:28680
	s_waitcnt lgkmcnt(0)
	v_cmp_ne_u32_e32 vcc, v32, v46
	s_and_saveexec_b64 s[10:11], vcc
	s_cbranch_execz .LBB136_16
; %bb.14:                               ;   in Loop: Header=BB136_13 Depth=2
	s_mov_b64 s[12:13], 0
.LBB136_15:                             ;   Parent Loop BB136_7 Depth=1
                                        ;     Parent Loop BB136_13 Depth=2
                                        ; =>    This Inner Loop Header: Depth=3
	;;#ASMSTART
	s_sleep 0
	;;#ASMEND
	ds_read_b32 v32, v64 offset:28680
	s_waitcnt lgkmcnt(0)
	v_cmp_eq_u32_e32 vcc, v32, v46
	s_or_b64 s[12:13], vcc, s[12:13]
	s_andn2_b64 exec, exec, s[12:13]
	s_cbranch_execnz .LBB136_15
.LBB136_16:                             ;   in Loop: Header=BB136_13 Depth=2
	s_or_b64 exec, exec, s[10:11]
	v_mul_lo_u32 v67, v65, s66
	v_or_b32_e32 v32, v47, v67
	ds_read2_b32 v[36:37], v32 offset1:32
	ds_read2_b32 v[40:41], v32 offset0:128 offset1:160
	v_add_u32_e32 v32, 0x400, v32
	v_add_u32_e32 v66, 1, v46
	ds_read2_b32 v[44:45], v32 offset1:32
	ds_read2_b32 v[42:43], v32 offset0:128 offset1:160
	;;#ASMSTART
	s_waitcnt lgkmcnt(0)
	;;#ASMEND
	ds_write_b32 v64, v66 offset:28680
	v_lshlrev_b32_e32 v32, 2, v65
	ds_read_b32 v33, v32 offset:28672
	v_add_u32_e32 v68, 0x7000, v32
	s_waitcnt lgkmcnt(0)
	v_cmp_ne_u32_e32 vcc, v33, v46
	s_and_saveexec_b64 s[10:11], vcc
	s_cbranch_execz .LBB136_19
; %bb.17:                               ;   in Loop: Header=BB136_13 Depth=2
	s_mov_b64 s[12:13], 0
.LBB136_18:                             ;   Parent Loop BB136_7 Depth=1
                                        ;     Parent Loop BB136_13 Depth=2
                                        ; =>    This Inner Loop Header: Depth=3
	;;#ASMSTART
	s_sleep 0
	;;#ASMEND
	ds_read_b32 v32, v68
	s_waitcnt lgkmcnt(0)
	v_cmp_eq_u32_e32 vcc, v32, v46
	s_or_b64 s[12:13], vcc, s[12:13]
	s_andn2_b64 exec, exec, s[12:13]
	s_cbranch_execnz .LBB136_18
.LBB136_19:                             ;   in Loop: Header=BB136_13 Depth=2
	s_or_b64 exec, exec, s[10:11]
	v_lshl_add_u32 v38, v65, 11, v48
	ds_read2_b32 v[34:35], v38 offset1:32
	ds_read2_b32 v[32:33], v38 offset0:128 offset1:160
	v_add_u32_e32 v69, 0x400, v38
	ds_read2_b32 v[38:39], v69 offset1:32
	ds_write_b32 v68, v66
	s_waitcnt lgkmcnt(3)
	v_mfma_f32_16x16x32_fp8_fp8 v[20:23], v[34:35], v[36:37], v[20:23]
	ds_read2_b32 v[36:37], v69 offset0:128 offset1:160
	s_waitcnt lgkmcnt(3)
	v_mfma_f32_16x16x32_fp8_fp8 v[20:23], v[32:33], v[40:41], v[20:23]
	ds_read_b32 v40, v64 offset:28684
	s_waitcnt lgkmcnt(0)
	v_cmp_ne_u32_e32 vcc, v40, v46
	v_mfma_f32_16x16x32_fp8_fp8 v[20:23], v[38:39], v[44:45], v[20:23]
	v_mfma_f32_16x16x32_fp8_fp8 v[20:23], v[36:37], v[42:43], v[20:23]
	s_and_saveexec_b64 s[10:11], vcc
	s_cbranch_execz .LBB136_22
; %bb.20:                               ;   in Loop: Header=BB136_13 Depth=2
	s_mov_b64 s[12:13], 0
.LBB136_21:                             ;   Parent Loop BB136_7 Depth=1
                                        ;     Parent Loop BB136_13 Depth=2
                                        ; =>    This Inner Loop Header: Depth=3
	;;#ASMSTART
	s_sleep 0
	;;#ASMEND
	ds_read_b32 v40, v64 offset:28684
	s_waitcnt lgkmcnt(0)
	v_cmp_eq_u32_e32 vcc, v40, v46
	s_or_b64 s[12:13], vcc, s[12:13]
	s_andn2_b64 exec, exec, s[12:13]
	s_cbranch_execnz .LBB136_21
.LBB136_22:                             ;   in Loop: Header=BB136_13 Depth=2
	s_or_b64 exec, exec, s[10:11]
	v_add_u32_e32 v40, v47, v67
	v_add_u32_e32 v41, 0x800, v40
	ds_read2_b32 v[42:43], v41 offset1:32
	s_waitcnt lgkmcnt(0)
	v_mfma_f32_16x16x32_fp8_fp8 v[16:19], v[34:35], v[42:43], v[16:19]
	ds_read2_b32 v[42:43], v41 offset0:128 offset1:160
	v_add_u32_e32 v41, 0xc00, v40
	s_waitcnt lgkmcnt(0)
	v_mfma_f32_16x16x32_fp8_fp8 v[16:19], v[32:33], v[42:43], v[16:19]
	ds_read2_b32 v[42:43], v41 offset1:32
	ds_read2_b32 v[44:45], v41 offset0:128 offset1:160
	;;#ASMSTART
	s_waitcnt lgkmcnt(0)
	;;#ASMEND
	ds_read_b32 v41, v64 offset:28688
	s_waitcnt lgkmcnt(2)
	v_mfma_f32_16x16x32_fp8_fp8 v[16:19], v[38:39], v[42:43], v[16:19]
	ds_write_b32 v64, v66 offset:28684
	s_waitcnt lgkmcnt(1)
	v_cmp_ne_u32_e32 vcc, v41, v46
	v_mfma_f32_16x16x32_fp8_fp8 v[16:19], v[36:37], v[44:45], v[16:19]
	s_and_saveexec_b64 s[10:11], vcc
	s_cbranch_execz .LBB136_25
; %bb.23:                               ;   in Loop: Header=BB136_13 Depth=2
	s_mov_b64 s[12:13], 0
.LBB136_24:                             ;   Parent Loop BB136_7 Depth=1
                                        ;     Parent Loop BB136_13 Depth=2
                                        ; =>    This Inner Loop Header: Depth=3
	;;#ASMSTART
	s_sleep 0
	;;#ASMEND
	ds_read_b32 v41, v64 offset:28688
	s_waitcnt lgkmcnt(0)
	v_cmp_eq_u32_e32 vcc, v41, v46
	s_or_b64 s[12:13], vcc, s[12:13]
	s_andn2_b64 exec, exec, s[12:13]
	s_cbranch_execnz .LBB136_24
.LBB136_25:                             ;   in Loop: Header=BB136_13 Depth=2
	s_or_b64 exec, exec, s[10:11]
	v_add_u32_e32 v41, 0x1000, v40
	ds_read2_b32 v[42:43], v41 offset1:32
	s_waitcnt lgkmcnt(0)
	v_mfma_f32_16x16x32_fp8_fp8 v[12:15], v[34:35], v[42:43], v[12:15]
	ds_read2_b32 v[42:43], v41 offset0:128 offset1:160
	v_add_u32_e32 v41, 0x1400, v40
	s_waitcnt lgkmcnt(0)
	v_mfma_f32_16x16x32_fp8_fp8 v[12:15], v[32:33], v[42:43], v[12:15]
	ds_read2_b32 v[42:43], v41 offset1:32
	ds_read2_b32 v[44:45], v41 offset0:128 offset1:160
	;;#ASMSTART
	s_waitcnt lgkmcnt(0)
	;;#ASMEND
	ds_read_b32 v41, v64 offset:28692
	s_waitcnt lgkmcnt(2)
	v_mfma_f32_16x16x32_fp8_fp8 v[12:15], v[38:39], v[42:43], v[12:15]
	ds_write_b32 v64, v66 offset:28688
	s_waitcnt lgkmcnt(1)
	v_cmp_ne_u32_e32 vcc, v41, v46
	v_mfma_f32_16x16x32_fp8_fp8 v[12:15], v[36:37], v[44:45], v[12:15]
	s_and_saveexec_b64 s[10:11], vcc
	s_cbranch_execz .LBB136_28
; %bb.26:                               ;   in Loop: Header=BB136_13 Depth=2
	s_mov_b64 s[12:13], 0
.LBB136_27:                             ;   Parent Loop BB136_7 Depth=1
                                        ;     Parent Loop BB136_13 Depth=2
                                        ; =>    This Inner Loop Header: Depth=3
	;;#ASMSTART
	s_sleep 0
	;;#ASMEND
	ds_read_b32 v41, v64 offset:28692
	s_waitcnt lgkmcnt(0)
	v_cmp_eq_u32_e32 vcc, v41, v46
	s_or_b64 s[12:13], vcc, s[12:13]
	s_andn2_b64 exec, exec, s[12:13]
	s_cbranch_execnz .LBB136_27
.LBB136_28:                             ;   in Loop: Header=BB136_13 Depth=2
	s_or_b64 exec, exec, s[10:11]
	;; [unrolled: 38-line block ×3, first 2 shown]
	v_add_u32_e32 v41, 0x2000, v40
	ds_read2_b32 v[42:43], v41 offset1:32
	s_waitcnt lgkmcnt(0)
	v_mfma_f32_16x16x32_fp8_fp8 v[4:7], v[34:35], v[42:43], v[4:7]
	ds_read2_b32 v[42:43], v41 offset0:128 offset1:160
	v_add_u32_e32 v41, 0x2400, v40
	s_waitcnt lgkmcnt(0)
	v_mfma_f32_16x16x32_fp8_fp8 v[4:7], v[32:33], v[42:43], v[4:7]
	ds_read2_b32 v[42:43], v41 offset1:32
	ds_read2_b32 v[44:45], v41 offset0:128 offset1:160
	;;#ASMSTART
	s_waitcnt lgkmcnt(0)
	;;#ASMEND
	ds_read_b32 v41, v64 offset:28700
	s_waitcnt lgkmcnt(2)
	v_mfma_f32_16x16x32_fp8_fp8 v[4:7], v[38:39], v[42:43], v[4:7]
	ds_write_b32 v64, v66 offset:28696
	s_waitcnt lgkmcnt(1)
	v_cmp_ne_u32_e32 vcc, v41, v46
	v_mfma_f32_16x16x32_fp8_fp8 v[4:7], v[36:37], v[44:45], v[4:7]
	s_and_saveexec_b64 s[10:11], vcc
	s_cbranch_execz .LBB136_12
; %bb.32:                               ;   in Loop: Header=BB136_13 Depth=2
	s_mov_b64 s[12:13], 0
.LBB136_33:                             ;   Parent Loop BB136_7 Depth=1
                                        ;     Parent Loop BB136_13 Depth=2
                                        ; =>    This Inner Loop Header: Depth=3
	;;#ASMSTART
	s_sleep 0
	;;#ASMEND
	ds_read_b32 v41, v64 offset:28700
	s_waitcnt lgkmcnt(0)
	v_cmp_eq_u32_e32 vcc, v41, v46
	s_or_b64 s[12:13], vcc, s[12:13]
	s_andn2_b64 exec, exec, s[12:13]
	s_cbranch_execnz .LBB136_33
	s_branch .LBB136_12
.LBB136_34:                             ;   in Loop: Header=BB136_7 Depth=1
	s_or_b64 exec, exec, s[8:9]
.LBB136_35:                             ;   in Loop: Header=BB136_7 Depth=1
	s_or_b64 exec, exec, s[6:7]
	v_cmp_le_i32_e32 vcc, s49, v24
	v_cmp_eq_u32_e64 s[12:13], 1, v50
	v_cmp_eq_u32_e64 s[6:7], 3, v50
	s_waitcnt vmcnt(0)
	v_cndmask_b32_e32 v34, 0, v63, vcc
	v_pk_mul_f32 v[22:23], v[34:35], v[22:23] op_sel_hi:[0,1]
	v_pk_mul_f32 v[34:35], v[34:35], v[20:21] op_sel_hi:[0,1]
	v_cndmask_b32_e64 v20, v34, v35, s[12:13]
	v_cmp_eq_u32_e32 vcc, 2, v50
	v_cmp_eq_u32_e64 s[8:9], 0, v50
	v_cmp_le_i32_e64 s[14:15], s49, v52
	v_cndmask_b32_e32 v20, v20, v22, vcc
	v_cndmask_b32_e64 v20, v20, v23, s[6:7]
	ds_bpermute_b32 v33, v61, v20
	v_cmp_eq_u32_e64 s[10:11], 1, v51
	v_cmp_le_i32_e64 s[18:19], s49, v53
	v_cmp_eq_u32_e64 s[16:17], 3, v51
	s_waitcnt lgkmcnt(0)
	v_cndmask_b32_e64 v20, v23, v33, s[6:7]
	v_cndmask_b32_e64 v23, v34, v33, s[8:9]
	;; [unrolled: 1-line block ×3, first 2 shown]
	v_cndmask_b32_e32 v21, v22, v33, vcc
	v_cndmask_b32_e64 v22, v35, v33, s[12:13]
	v_pk_mul_f32 v[18:19], v[34:35], v[18:19] op_sel_hi:[0,1]
	v_pk_mul_f32 v[34:35], v[34:35], v[16:17] op_sel_hi:[0,1]
	v_cndmask_b32_e64 v16, v34, v35, s[12:13]
	v_cndmask_b32_e32 v16, v16, v18, vcc
	v_cndmask_b32_e64 v16, v16, v19, s[6:7]
	ds_bpermute_b32 v36, v61, v16
	v_cndmask_b32_e64 v33, v23, v22, s[10:11]
	v_cmp_eq_u32_e64 s[14:15], 2, v51
	s_waitcnt lgkmcnt(0)
	v_cndmask_b32_e64 v17, v19, v36, s[6:7]
	v_cndmask_b32_e64 v16, v33, v21, s[14:15]
	;; [unrolled: 1-line block ×5, first 2 shown]
	v_pk_mul_f32 v[14:15], v[34:35], v[14:15] op_sel_hi:[0,1]
	v_pk_mul_f32 v[34:35], v[34:35], v[12:13] op_sel_hi:[0,1]
	v_cndmask_b32_e64 v12, v34, v35, s[12:13]
	v_cndmask_b32_e32 v12, v12, v14, vcc
	v_cndmask_b32_e64 v12, v12, v15, s[6:7]
	v_cndmask_b32_e32 v18, v18, v36, vcc
	ds_bpermute_b32 v36, v61, v12
	v_cmp_le_i32_e64 s[18:19], s49, v54
	v_cndmask_b32_e64 v12, v33, v19, s[10:11]
	v_cndmask_b32_e64 v12, v12, v18, s[14:15]
	;; [unrolled: 1-line block ×3, first 2 shown]
	s_waitcnt lgkmcnt(0)
	v_cndmask_b32_e64 v13, v15, v36, s[6:7]
	v_cndmask_b32_e32 v14, v14, v36, vcc
	v_cndmask_b32_e64 v15, v35, v36, s[12:13]
	v_cndmask_b32_e64 v34, v34, v36, s[8:9]
	;; [unrolled: 1-line block ×3, first 2 shown]
	v_pk_mul_f32 v[38:39], v[36:37], v[8:9] op_sel_hi:[0,1]
	v_pk_mul_f32 v[10:11], v[36:37], v[10:11] op_sel_hi:[0,1]
	v_cndmask_b32_e64 v8, v38, v39, s[12:13]
	v_cndmask_b32_e32 v8, v8, v10, vcc
	v_cndmask_b32_e64 v8, v8, v11, s[6:7]
	ds_bpermute_b32 v35, v61, v8
	v_cmp_le_i32_e64 s[18:19], s49, v55
	v_cndmask_b32_e64 v8, v34, v15, s[10:11]
	v_cndmask_b32_e64 v8, v8, v14, s[14:15]
	;; [unrolled: 1-line block ×3, first 2 shown]
	s_waitcnt lgkmcnt(0)
	v_cndmask_b32_e64 v37, v38, v35, s[8:9]
	v_cndmask_b32_e64 v38, 0, v63, s[18:19]
	v_pk_mul_f32 v[40:41], v[38:39], v[4:5] op_sel_hi:[0,1]
	v_pk_mul_f32 v[6:7], v[38:39], v[6:7] op_sel_hi:[0,1]
	v_cndmask_b32_e64 v4, v40, v41, s[12:13]
	v_cndmask_b32_e32 v4, v4, v6, vcc
	v_cndmask_b32_e64 v4, v4, v7, s[6:7]
	v_cndmask_b32_e64 v9, v11, v35, s[6:7]
	ds_bpermute_b32 v11, v61, v4
	v_cmp_le_i32_e64 s[18:19], s49, v56
	v_cndmask_b32_e64 v36, v39, v35, s[12:13]
	v_cndmask_b32_e32 v10, v10, v35, vcc
	v_cndmask_b32_e64 v4, v37, v36, s[10:11]
	s_waitcnt lgkmcnt(0)
	v_cndmask_b32_e64 v39, v40, v11, s[8:9]
	v_cndmask_b32_e64 v40, 0, v63, s[18:19]
	v_cndmask_b32_e64 v38, v41, v11, s[12:13]
	v_pk_mul_f32 v[42:43], v[40:41], v[2:3] op_sel_hi:[0,1]
	v_pk_mul_f32 v[40:41], v[40:41], v[0:1] op_sel_hi:[0,1]
	v_cndmask_b32_e64 v0, v40, v41, s[12:13]
	v_cndmask_b32_e32 v0, v0, v42, vcc
	v_cndmask_b32_e64 v0, v0, v43, s[6:7]
	ds_bpermute_b32 v1, v61, v0
	v_cndmask_b32_e32 v6, v6, v11, vcc
	v_cndmask_b32_e64 v0, v39, v38, s[10:11]
	v_cndmask_b32_e64 v5, v7, v11, s[6:7]
	v_cndmask_b32_e64 v0, v0, v6, s[14:15]
	v_cndmask_b32_e64 v0, v0, v5, s[16:17]
	s_waitcnt lgkmcnt(0)
	v_cndmask_b32_e32 v7, v42, v1, vcc
	v_cmp_ne_u32_e32 vcc, 0, v50
	ds_bpermute_b32 v2, v61, v0
	v_cndmask_b32_e64 v3, v43, v1, s[6:7]
	v_cndmask_b32_e32 v0, v41, v1, vcc
	v_cndmask_b32_e64 v1, v40, v1, s[8:9]
	v_cndmask_b32_e64 v11, v1, v0, s[10:11]
	v_cndmask_b32_e64 v4, v4, v10, s[14:15]
	v_cndmask_b32_e64 v11, v11, v7, s[14:15]
	v_cndmask_b32_e64 v8, v8, v13, s[16:17]
	v_cndmask_b32_e64 v4, v4, v9, s[16:17]
	v_cndmask_b32_e64 v11, v11, v3, s[16:17]
	ds_bpermute_b32 v16, v61, v16
	ds_bpermute_b32 v12, v61, v12
	;; [unrolled: 1-line block ×5, first 2 shown]
	s_max_i32 s6, s70, 0
	v_add_u32_e32 v35, s6, v49
	v_cmp_gt_u32_e32 vcc, 16, v35
	s_and_saveexec_b64 s[12:13], vcc
	s_cbranch_execz .LBB136_38
; %bb.36:                               ;   in Loop: Header=BB136_7 Depth=1
	v_cmp_eq_u32_e64 s[8:9], 1, v51
	v_cmp_eq_u32_e64 s[10:11], 0, v51
	v_cmp_eq_u32_e32 vcc, 3, v51
	s_waitcnt lgkmcnt(4)
	v_cndmask_b32_e64 v22, v22, v16, s[8:9]
	s_waitcnt lgkmcnt(3)
	v_cndmask_b32_e64 v19, v19, v12, s[8:9]
	;; [unrolled: 2-line block ×4, first 2 shown]
	v_cndmask_b32_e64 v38, v38, v2, s[8:9]
	s_waitcnt lgkmcnt(0)
	v_cndmask_b32_e64 v40, v0, v11, s[8:9]
	s_mul_i32 s8, s68, s21
	s_ashr_i32 s9, s8, 31
	s_lshl_b64 s[8:9], s[8:9], 1
	v_cndmask_b32_e64 v23, v23, v16, s[10:11]
	v_cndmask_b32_e64 v33, v33, v12, s[10:11]
	;; [unrolled: 1-line block ×6, first 2 shown]
	s_add_u32 s10, s40, s8
	s_addc_u32 s11, s41, s9
	s_ashr_i32 s49, s48, 31
	v_cvt_f16_f32_e32 v23, v23
	v_cvt_f16_f32_sdwa v22, v22 dst_sel:WORD_1 dst_unused:UNUSED_PAD src0_sel:DWORD
	v_cvt_f16_f32_e32 v33, v33
	v_cvt_f16_f32_sdwa v19, v19 dst_sel:WORD_1 dst_unused:UNUSED_PAD src0_sel:DWORD
	s_lshl_b64 s[8:9], s[48:49], 1
	s_add_u32 s8, s10, s8
	s_addc_u32 s9, s11, s9
	v_lshl_add_u64 v[0:1], v[26:27], 1, s[8:9]
	v_or_b32_e32 v22, v22, v23
	v_or_b32_e32 v19, v19, v33
	;;#ASMSTART
	global_atomic_pk_add_f16 v[0:1], v22, off
	
	;;#ASMEND
	v_lshl_add_u64 v[22:23], v[0:1], 0, 32
	;;#ASMSTART
	global_atomic_pk_add_f16 v[22:23], v19, off
	
	;;#ASMEND
	v_cvt_f16_f32_e32 v19, v34
	v_cvt_f16_f32_sdwa v15, v15 dst_sel:WORD_1 dst_unused:UNUSED_PAD src0_sel:DWORD
	v_cvt_f16_f32_e32 v33, v37
	v_cvt_f16_f32_sdwa v34, v36 dst_sel:WORD_1 dst_unused:UNUSED_PAD src0_sel:DWORD
	v_lshl_add_u64 v[22:23], v[0:1], 0, 64
	v_or_b32_e32 v15, v15, v19
	;;#ASMSTART
	global_atomic_pk_add_f16 v[22:23], v15, off
	
	;;#ASMEND
	v_or_b32_e32 v15, v34, v33
	v_lshl_add_u64 v[22:23], v[0:1], 0, s[30:31]
	;;#ASMSTART
	global_atomic_pk_add_f16 v[22:23], v15, off
	
	;;#ASMEND
	v_cvt_f16_f32_e32 v15, v39
	v_cvt_f16_f32_sdwa v19, v38 dst_sel:WORD_1 dst_unused:UNUSED_PAD src0_sel:DWORD
	v_cvt_f16_f32_e32 v33, v41
	v_cvt_f16_f32_sdwa v34, v40 dst_sel:WORD_1 dst_unused:UNUSED_PAD src0_sel:DWORD
	v_cmp_eq_u32_e64 s[6:7], 2, v51
	v_lshl_add_u64 v[22:23], v[0:1], 0, s[34:35]
	v_or_b32_e32 v15, v19, v15
	v_cmp_gt_u32_e64 s[8:9], 14, v35
	;;#ASMSTART
	global_atomic_pk_add_f16 v[22:23], v15, off
	
	;;#ASMEND
	v_lshl_add_u64 v[22:23], v[0:1], 0, s[44:45]
	v_or_b32_e32 v15, v34, v33
	;;#ASMSTART
	global_atomic_pk_add_f16 v[22:23], v15, off
	
	;;#ASMEND
	s_and_b64 exec, exec, s[8:9]
	s_cbranch_execz .LBB136_38
; %bb.37:                               ;   in Loop: Header=BB136_7 Depth=1
	v_cndmask_b32_e32 v15, v20, v16, vcc
	v_cndmask_b32_e64 v16, v21, v16, s[6:7]
	v_cndmask_b32_e32 v17, v17, v12, vcc
	v_cndmask_b32_e64 v12, v18, v12, s[6:7]
	;; [unrolled: 2-line block ×5, first 2 shown]
	v_cvt_f16_f32_e32 v2, v16
	v_cvt_f16_f32_sdwa v3, v15 dst_sel:WORD_1 dst_unused:UNUSED_PAD src0_sel:DWORD
	v_cvt_f16_f32_e32 v11, v12
	v_cvt_f16_f32_sdwa v12, v17 dst_sel:WORD_1 dst_unused:UNUSED_PAD src0_sel:DWORD
	v_cndmask_b32_e32 v13, v13, v8, vcc
	v_cndmask_b32_e64 v8, v14, v8, s[6:7]
	v_lshl_add_u64 v[0:1], s[28:29], 2, v[0:1]
	v_or_b32_e32 v2, v3, v2
	v_or_b32_e32 v11, v12, v11
	v_cvt_f16_f32_e32 v4, v4
	v_cvt_f16_f32_sdwa v9, v9 dst_sel:WORD_1 dst_unused:UNUSED_PAD src0_sel:DWORD
	;;#ASMSTART
	global_atomic_pk_add_f16 v[0:1], v2, off
	
	;;#ASMEND
	v_lshl_add_u64 v[2:3], v[0:1], 0, 32
	;;#ASMSTART
	global_atomic_pk_add_f16 v[2:3], v11, off
	
	;;#ASMEND
	v_cvt_f16_f32_e32 v8, v8
	v_cvt_f16_f32_sdwa v11, v13 dst_sel:WORD_1 dst_unused:UNUSED_PAD src0_sel:DWORD
	v_lshl_add_u64 v[2:3], v[0:1], 0, 64
	v_or_b32_e32 v4, v9, v4
	v_cvt_f16_f32_sdwa v5, v5 dst_sel:WORD_1 dst_unused:UNUSED_PAD src0_sel:DWORD
	v_or_b32_e32 v8, v11, v8
	;;#ASMSTART
	global_atomic_pk_add_f16 v[2:3], v8, off
	
	;;#ASMEND
	v_lshl_add_u64 v[2:3], v[0:1], 0, s[30:31]
	;;#ASMSTART
	global_atomic_pk_add_f16 v[2:3], v4, off
	
	;;#ASMEND
	v_cvt_f16_f32_e32 v4, v6
	v_cvt_f16_f32_e32 v6, v7
	v_cvt_f16_f32_sdwa v7, v10 dst_sel:WORD_1 dst_unused:UNUSED_PAD src0_sel:DWORD
	v_lshl_add_u64 v[2:3], v[0:1], 0, s[34:35]
	v_or_b32_e32 v4, v5, v4
	;;#ASMSTART
	global_atomic_pk_add_f16 v[2:3], v4, off
	
	;;#ASMEND
	v_lshl_add_u64 v[0:1], v[0:1], 0, s[44:45]
	v_or_b32_e32 v2, v7, v6
	;;#ASMSTART
	global_atomic_pk_add_f16 v[0:1], v2, off
	
	;;#ASMEND
.LBB136_38:                             ;   in Loop: Header=BB136_7 Depth=1
	s_or_b64 exec, exec, s[12:13]
	v_subrev_u32_e32 v62, s67, v62
.LBB136_39:                             ;   in Loop: Header=BB136_7 Depth=1
	s_or_b64 exec, exec, s[52:53]
.LBB136_40:                             ;   in Loop: Header=BB136_7 Depth=1
	s_andn2_saveexec_b64 s[6:7], s[50:51]
	s_cbranch_execz .LBB136_49
; %bb.41:                               ;   in Loop: Header=BB136_7 Depth=1
	s_mul_i32 s16, s67, 6
	v_cmp_gt_i32_e32 vcc, s16, v62
	s_and_saveexec_b64 s[8:9], vcc
	s_cbranch_execz .LBB136_48
; %bb.42:                               ;   in Loop: Header=BB136_7 Depth=1
	s_mul_i32 s10, s48, s23
	s_ashr_i32 s11, s10, 31
	s_waitcnt lgkmcnt(0)
	s_add_u32 s10, s38, s10
	s_addc_u32 s11, s39, s11
	s_ashr_i32 s12, s69, 31
	s_add_u32 s10, s10, s69
	s_addc_u32 s11, s11, s12
	v_lshl_add_u64 v[0:1], s[10:11], 0, v[30:31]
	v_lshl_add_u64 v[8:9], v[0:1], 0, v[28:29]
	s_mov_b64 s[10:11], 0
	s_branch .LBB136_44
.LBB136_43:                             ;   in Loop: Header=BB136_44 Depth=2
	s_or_b64 exec, exec, s[12:13]
	v_lshl_or_b32 v12, v10, 11, v57
	;;#ASMSTART
	s_waitcnt vmcnt(1)
	;;#ASMEND
	ds_write2_b32 v12, v4, v5 offset1:32
	ds_write2_b32 v12, v6, v7 offset0:64 offset1:96
	v_add_u32_e32 v4, 0x400, v12
	v_add_u32_e32 v62, s26, v62
	;;#ASMSTART
	s_waitcnt vmcnt(0)
	;;#ASMEND
	ds_write2_b32 v4, v0, v1 offset1:32
	ds_write2_b32 v4, v2, v3 offset0:64 offset1:96
	v_add_u32_e32 v0, 1, v46
	v_add_u32_e32 v32, s26, v10
	v_cmp_le_i32_e32 vcc, s16, v62
	ds_write_b32 v11, v0 offset:8
	v_add_u32_e32 v0, 2, v46
	s_or_b64 s[10:11], vcc, s[10:11]
	v_cmp_lt_i32_e32 vcc, 11, v32
	s_nop 1
	v_cndmask_b32_e32 v46, v46, v0, vcc
	s_andn2_b64 exec, exec, s[10:11]
	s_cbranch_execz .LBB136_47
.LBB136_44:                             ;   Parent Loop BB136_7 Depth=1
                                        ; =>  This Loop Header: Depth=2
                                        ;       Child Loop BB136_46 Depth 3
	v_cmp_gt_i32_e32 vcc, 12, v32
	s_nop 1
	v_cndmask_b32_e64 v0, -12, 0, vcc
	v_add_u32_e32 v10, v0, v32
	v_mul_hi_i32 v0, v62, s56
	v_lshrrev_b32_e32 v1, 31, v0
	v_add_u32_e32 v0, v0, v1
	v_mul_lo_u32 v1, v0, 6
	v_sub_u32_e32 v2, v62, v1
	v_lshlrev_b32_e32 v0, 7, v0
	v_ashrrev_i32_e32 v1, 31, v0
	v_mul_lo_u32 v2, s60, v2
	v_lshl_add_u64 v[0:1], v[8:9], 0, v[0:1]
	v_ashrrev_i32_e32 v3, 31, v2
	v_lshl_add_u64 v[0:1], v[0:1], 0, v[2:3]
	v_lshlrev_b32_e32 v11, 2, v10
	;;#ASMSTART
	global_load_dwordx4 v[4:7], v[0:1], off offset:0   sc0 sc1 nt  
	global_load_dwordx4 v[0:3], v[0:1], off offset:64  sc0 sc1 nt  
	
	;;#ASMEND
	ds_read_b32 v12, v11 offset:28680
	v_add_u32_e32 v11, 0x7000, v11
	s_waitcnt lgkmcnt(0)
	v_cmp_ne_u32_e32 vcc, v12, v46
	s_and_saveexec_b64 s[12:13], vcc
	s_cbranch_execz .LBB136_43
; %bb.45:                               ;   in Loop: Header=BB136_44 Depth=2
	s_mov_b64 s[14:15], 0
.LBB136_46:                             ;   Parent Loop BB136_7 Depth=1
                                        ;     Parent Loop BB136_44 Depth=2
                                        ; =>    This Inner Loop Header: Depth=3
	;;#ASMSTART
	s_sleep 0
	;;#ASMEND
	ds_read_b32 v12, v11 offset:8
	s_waitcnt lgkmcnt(0)
	v_cmp_eq_u32_e32 vcc, v12, v46
	s_or_b64 s[14:15], vcc, s[14:15]
	s_andn2_b64 exec, exec, s[14:15]
	s_cbranch_execnz .LBB136_46
	s_branch .LBB136_43
.LBB136_47:                             ;   in Loop: Header=BB136_7 Depth=1
	s_or_b64 exec, exec, s[10:11]
.LBB136_48:                             ;   in Loop: Header=BB136_7 Depth=1
	s_or_b64 exec, exec, s[8:9]
	v_subrev_u32_e32 v62, s16, v62
.LBB136_49:                             ;   in Loop: Header=BB136_7 Depth=1
	s_or_b64 exec, exec, s[6:7]
.LBB136_50:                             ;   in Loop: Header=BB136_7 Depth=1
	s_andn2_saveexec_b64 s[6:7], s[46:47]
	s_cbranch_execz .LBB136_6
; %bb.51:                               ;   in Loop: Header=BB136_7 Depth=1
	v_cmp_gt_i32_e32 vcc, s67, v62
	s_and_saveexec_b64 s[8:9], vcc
	s_cbranch_execz .LBB136_5
; %bb.52:                               ;   in Loop: Header=BB136_7 Depth=1
	s_mul_i32 s68, s68, s22
	s_ashr_i32 s10, s68, 31
	s_waitcnt lgkmcnt(0)
	s_add_u32 s11, s36, s68
	s_addc_u32 s12, s37, s10
	s_ashr_i32 s13, s69, 31
	v_cmp_le_i32_e32 vcc, s70, v58
	s_add_u32 s10, s11, s69
	s_addc_u32 s11, s12, s13
	v_cndmask_b32_e32 v0, 0, v59, vcc
	v_ashrrev_i32_e32 v1, 31, v0
	v_lshl_add_u64 v[0:1], s[10:11], 0, v[0:1]
	v_lshl_add_u64 v[8:9], v[0:1], 0, v[28:29]
	s_mov_b64 s[10:11], 0
	s_branch .LBB136_54
.LBB136_53:                             ;   in Loop: Header=BB136_54 Depth=2
	s_or_b64 exec, exec, s[12:13]
	v_lshl_add_u32 v12, v10, 11, v60
	;;#ASMSTART
	s_waitcnt vmcnt(1)
	;;#ASMEND
	ds_write2_b32 v12, v4, v5 offset1:32
	ds_write2_b32 v12, v6, v7 offset0:64 offset1:96
	v_add_u32_e32 v4, 0x400, v12
	v_add_u32_e32 v62, s25, v62
	;;#ASMSTART
	s_waitcnt vmcnt(0)
	;;#ASMEND
	ds_write2_b32 v4, v0, v1 offset1:32
	ds_write2_b32 v4, v2, v3 offset0:64 offset1:96
	v_add_u32_e32 v0, 1, v46
	v_add_u32_e32 v32, s25, v10
	v_cmp_le_i32_e32 vcc, s67, v62
	ds_write_b32 v11, v0
	v_add_u32_e32 v0, 2, v46
	s_or_b64 s[10:11], vcc, s[10:11]
	v_cmp_lt_i32_e32 vcc, 1, v32
	s_nop 1
	v_cndmask_b32_e32 v46, v46, v0, vcc
	s_andn2_b64 exec, exec, s[10:11]
	s_cbranch_execz .LBB136_4
.LBB136_54:                             ;   Parent Loop BB136_7 Depth=1
                                        ; =>  This Loop Header: Depth=2
                                        ;       Child Loop BB136_56 Depth 3
	v_cmp_gt_i32_e32 vcc, 2, v32
	s_nop 1
	v_cndmask_b32_e64 v0, -2, 0, vcc
	v_add_u32_e32 v10, v0, v32
	v_lshlrev_b32_e32 v0, 7, v62
	v_ashrrev_i32_e32 v1, 31, v0
	v_lshl_add_u64 v[0:1], v[8:9], 0, v[0:1]
	v_lshlrev_b32_e32 v11, 2, v10
	;;#ASMSTART
	global_load_dwordx4 v[4:7], v[0:1], off offset:0   
	global_load_dwordx4 v[0:3], v[0:1], off offset:64  
	
	;;#ASMEND
	ds_read_b32 v12, v11 offset:28672
	v_add_u32_e32 v11, 0x7000, v11
	s_waitcnt lgkmcnt(0)
	v_cmp_ne_u32_e32 vcc, v12, v46
	s_and_saveexec_b64 s[12:13], vcc
	s_cbranch_execz .LBB136_53
; %bb.55:                               ;   in Loop: Header=BB136_54 Depth=2
	s_mov_b64 s[14:15], 0
.LBB136_56:                             ;   Parent Loop BB136_7 Depth=1
                                        ;     Parent Loop BB136_54 Depth=2
                                        ; =>    This Inner Loop Header: Depth=3
	;;#ASMSTART
	s_sleep 0
	;;#ASMEND
	ds_read_b32 v12, v11
	s_waitcnt lgkmcnt(0)
	v_cmp_eq_u32_e32 vcc, v12, v46
	s_or_b64 s[14:15], vcc, s[14:15]
	s_andn2_b64 exec, exec, s[14:15]
	s_cbranch_execnz .LBB136_56
	s_branch .LBB136_53
.LBB136_57:
	s_endpgm
	.section	.rodata,"a",@progbits
	.p2align	6, 0x0
	.amdhsa_kernel _Z19_skinny_gemm_kernelILi1ELi6ELi2ELi16ELi4EEvPKhS1_P6__halfPKfiiiiiiii
		.amdhsa_group_segment_fixed_size 28728
		.amdhsa_private_segment_fixed_size 0
		.amdhsa_kernarg_size 64
		.amdhsa_user_sgpr_count 2
		.amdhsa_user_sgpr_dispatch_ptr 0
		.amdhsa_user_sgpr_queue_ptr 0
		.amdhsa_user_sgpr_kernarg_segment_ptr 1
		.amdhsa_user_sgpr_dispatch_id 0
		.amdhsa_user_sgpr_kernarg_preload_length 0
		.amdhsa_user_sgpr_kernarg_preload_offset 0
		.amdhsa_user_sgpr_private_segment_size 0
		.amdhsa_uses_dynamic_stack 0
		.amdhsa_enable_private_segment 0
		.amdhsa_system_sgpr_workgroup_id_x 1
		.amdhsa_system_sgpr_workgroup_id_y 0
		.amdhsa_system_sgpr_workgroup_id_z 0
		.amdhsa_system_sgpr_workgroup_info 0
		.amdhsa_system_vgpr_workitem_id 0
		.amdhsa_next_free_vgpr 70
		.amdhsa_next_free_sgpr 71
		.amdhsa_accum_offset 72
		.amdhsa_reserve_vcc 1
		.amdhsa_float_round_mode_32 0
		.amdhsa_float_round_mode_16_64 0
		.amdhsa_float_denorm_mode_32 3
		.amdhsa_float_denorm_mode_16_64 3
		.amdhsa_dx10_clamp 1
		.amdhsa_ieee_mode 1
		.amdhsa_fp16_overflow 0
		.amdhsa_tg_split 0
		.amdhsa_exception_fp_ieee_invalid_op 0
		.amdhsa_exception_fp_denorm_src 0
		.amdhsa_exception_fp_ieee_div_zero 0
		.amdhsa_exception_fp_ieee_overflow 0
		.amdhsa_exception_fp_ieee_underflow 0
		.amdhsa_exception_fp_ieee_inexact 0
		.amdhsa_exception_int_div_zero 0
	.end_amdhsa_kernel
	.section	.text._Z19_skinny_gemm_kernelILi1ELi6ELi2ELi16ELi4EEvPKhS1_P6__halfPKfiiiiiiii,"axG",@progbits,_Z19_skinny_gemm_kernelILi1ELi6ELi2ELi16ELi4EEvPKhS1_P6__halfPKfiiiiiiii,comdat
.Lfunc_end136:
	.size	_Z19_skinny_gemm_kernelILi1ELi6ELi2ELi16ELi4EEvPKhS1_P6__halfPKfiiiiiiii, .Lfunc_end136-_Z19_skinny_gemm_kernelILi1ELi6ELi2ELi16ELi4EEvPKhS1_P6__halfPKfiiiiiiii
                                        ; -- End function
	.set _Z19_skinny_gemm_kernelILi1ELi6ELi2ELi16ELi4EEvPKhS1_P6__halfPKfiiiiiiii.num_vgpr, 70
	.set _Z19_skinny_gemm_kernelILi1ELi6ELi2ELi16ELi4EEvPKhS1_P6__halfPKfiiiiiiii.num_agpr, 0
	.set _Z19_skinny_gemm_kernelILi1ELi6ELi2ELi16ELi4EEvPKhS1_P6__halfPKfiiiiiiii.numbered_sgpr, 71
	.set _Z19_skinny_gemm_kernelILi1ELi6ELi2ELi16ELi4EEvPKhS1_P6__halfPKfiiiiiiii.num_named_barrier, 0
	.set _Z19_skinny_gemm_kernelILi1ELi6ELi2ELi16ELi4EEvPKhS1_P6__halfPKfiiiiiiii.private_seg_size, 0
	.set _Z19_skinny_gemm_kernelILi1ELi6ELi2ELi16ELi4EEvPKhS1_P6__halfPKfiiiiiiii.uses_vcc, 1
	.set _Z19_skinny_gemm_kernelILi1ELi6ELi2ELi16ELi4EEvPKhS1_P6__halfPKfiiiiiiii.uses_flat_scratch, 0
	.set _Z19_skinny_gemm_kernelILi1ELi6ELi2ELi16ELi4EEvPKhS1_P6__halfPKfiiiiiiii.has_dyn_sized_stack, 0
	.set _Z19_skinny_gemm_kernelILi1ELi6ELi2ELi16ELi4EEvPKhS1_P6__halfPKfiiiiiiii.has_recursion, 0
	.set _Z19_skinny_gemm_kernelILi1ELi6ELi2ELi16ELi4EEvPKhS1_P6__halfPKfiiiiiiii.has_indirect_call, 0
	.section	.AMDGPU.csdata,"",@progbits
; Kernel info:
; codeLenInByte = 5032
; TotalNumSgprs: 77
; NumVgprs: 70
; NumAgprs: 0
; TotalNumVgprs: 70
; ScratchSize: 0
; MemoryBound: 0
; FloatMode: 240
; IeeeMode: 1
; LDSByteSize: 28728 bytes/workgroup (compile time only)
; SGPRBlocks: 9
; VGPRBlocks: 8
; NumSGPRsForWavesPerEU: 77
; NumVGPRsForWavesPerEU: 70
; AccumOffset: 72
; Occupancy: 7
; WaveLimiterHint : 0
; COMPUTE_PGM_RSRC2:SCRATCH_EN: 0
; COMPUTE_PGM_RSRC2:USER_SGPR: 2
; COMPUTE_PGM_RSRC2:TRAP_HANDLER: 0
; COMPUTE_PGM_RSRC2:TGID_X_EN: 1
; COMPUTE_PGM_RSRC2:TGID_Y_EN: 0
; COMPUTE_PGM_RSRC2:TGID_Z_EN: 0
; COMPUTE_PGM_RSRC2:TIDIG_COMP_CNT: 0
; COMPUTE_PGM_RSRC3_GFX90A:ACCUM_OFFSET: 17
; COMPUTE_PGM_RSRC3_GFX90A:TG_SPLIT: 0
	.section	.text._Z19_skinny_gemm_kernelILi1ELi6ELi2ELi16ELi8EEvPKhS1_P6__halfPKfiiiiiiii,"axG",@progbits,_Z19_skinny_gemm_kernelILi1ELi6ELi2ELi16ELi8EEvPKhS1_P6__halfPKfiiiiiiii,comdat
	.protected	_Z19_skinny_gemm_kernelILi1ELi6ELi2ELi16ELi8EEvPKhS1_P6__halfPKfiiiiiiii ; -- Begin function _Z19_skinny_gemm_kernelILi1ELi6ELi2ELi16ELi8EEvPKhS1_P6__halfPKfiiiiiiii
	.globl	_Z19_skinny_gemm_kernelILi1ELi6ELi2ELi16ELi8EEvPKhS1_P6__halfPKfiiiiiiii
	.p2align	8
	.type	_Z19_skinny_gemm_kernelILi1ELi6ELi2ELi16ELi8EEvPKhS1_P6__halfPKfiiiiiiii,@function
_Z19_skinny_gemm_kernelILi1ELi6ELi2ELi16ELi8EEvPKhS1_P6__halfPKfiiiiiiii: ; @_Z19_skinny_gemm_kernelILi1ELi6ELi2ELi16ELi8EEvPKhS1_P6__halfPKfiiiiiiii
; %bb.0:
	v_cmp_gt_u32_e32 vcc, 14, v0
	v_lshlrev_b32_e32 v1, 2, v0
	s_and_saveexec_b64 s[4:5], vcc
; %bb.1:
	v_mov_b32_e32 v2, 0
	ds_write_b32 v1, v2 offset:57344
; %bb.2:
	s_or_b64 exec, exec, s[4:5]
	s_load_dwordx8 s[20:27], s[0:1], 0x20
	s_mov_b32 s56, 0x2aaaaaab
	s_waitcnt lgkmcnt(0)
	s_barrier
	s_add_i32 s3, s20, 15
	s_ashr_i32 s5, s3, 31
	s_lshr_b32 s5, s5, 28
	s_add_i32 s4, s21, 0x5f
	s_add_i32 s3, s3, s5
	s_ashr_i32 s33, s3, 4
	s_mul_hi_i32 s3, s4, 0x2aaaaaab
	s_lshr_b32 s4, s3, 31
	s_ashr_i32 s54, s3, 4
	s_add_i32 s54, s54, s4
	s_mul_i32 s3, s54, s33
	s_mul_i32 s3, s3, s24
	s_add_i32 s4, s3, 0x12f
	s_mul_hi_i32 s4, s4, 0x6bca1af3
	s_lshr_b32 s5, s4, 31
	s_ashr_i32 s4, s4, 7
	s_add_i32 s4, s4, s5
	s_add_i32 s5, s2, 1
	s_mul_i32 s5, s4, s5
	v_cvt_f64_i32_e32 v[2:3], s3
	v_cvt_f64_u32_e32 v[4:5], s5
	v_min_f64 v[2:3], v[2:3], v[4:5]
	v_cvt_i32_f64_e32 v25, v[2:3]
	s_mul_i32 s55, s4, s2
	v_cmp_ge_i32_e32 vcc, s55, v25
	s_cbranch_vccnz .LBB137_57
; %bb.3:
	v_lshrrev_b32_e32 v2, 6, v0
	s_add_i32 s4, s26, s25
	s_load_dwordx8 s[36:43], s[0:1], 0x0
	v_cmp_le_i32_e64 s[0:1], s4, v2
	v_mov_b32_e32 v3, s25
	v_cmp_le_i32_e64 s[2:3], s25, v2
	v_mov_b32_e32 v4, s26
	v_cndmask_b32_e64 v4, 0, v4, s[0:1]
	v_cndmask_b32_e64 v3, 0, v3, s[2:3]
	s_abs_i32 s5, s24
	v_add_u32_e32 v3, v3, v4
	v_cvt_f32_u32_e32 v4, s5
	v_sub_u32_e32 v32, v2, v3
	s_ashr_i32 s6, s22, 31
	s_lshr_b32 s6, s6, 24
	v_rcp_iflag_f32_e32 v3, v4
	s_sub_i32 s9, 0, s5
	s_add_i32 s6, s22, s6
	s_ashr_i32 s6, s6, 8
	v_mul_f32_e32 v3, 0x4f7ffffe, v3
	v_cvt_u32_f32_e32 v3, v3
	s_abs_i32 s8, s6
	s_xor_b32 s7, s6, s24
	s_ashr_i32 s7, s7, 31
	v_readfirstlane_b32 s10, v3
	s_mul_i32 s9, s9, s10
	s_mul_hi_u32 s9, s10, s9
	s_add_i32 s10, s10, s9
	s_mul_hi_u32 s9, s8, s10
	s_mul_i32 s10, s9, s5
	s_sub_i32 s8, s8, s10
	s_add_i32 s10, s9, 1
	s_sub_i32 s11, s8, s5
	s_cmp_ge_u32 s8, s5
	s_cselect_b32 s9, s10, s9
	s_cselect_b32 s8, s11, s8
	s_add_i32 s10, s9, 1
	s_cmp_ge_u32 s8, s5
	s_cselect_b32 s5, s10, s9
	s_xor_b32 s5, s5, s7
	s_sub_i32 s57, s5, s7
	s_add_i32 s24, s24, -1
	s_mul_i32 s5, s57, s24
	s_add_i32 s4, s4, s27
	s_sub_i32 s58, s6, s5
	v_cmp_gt_i32_e64 s[4:5], s4, v2
	v_lshlrev_b32_e32 v2, 1, v0
	v_lshlrev_b32_e32 v3, 4, v0
	v_and_b32_e32 v1, 60, v1
	v_and_b32_e32 v2, 64, v2
	;; [unrolled: 1-line block ×3, first 2 shown]
	s_abs_i32 s59, s33
	v_or3_b32 v59, v1, v2, v4
	v_and_b32_e32 v1, 1, v0
	v_cvt_f32_u32_e32 v6, s59
	v_lshlrev_b32_e32 v2, 1, v1
	v_lshrrev_b32_e32 v4, 2, v0
	v_and_b32_e32 v24, 14, v0
	v_sub_u32_e32 v2, v0, v2
	v_and_or_b32 v60, v4, 12, v1
	v_bitop3_b32 v61, v0, 1, v0 bitop3:0xc
	v_bitop3_b32 v62, v0, 3, 1 bitop3:0x6c
	v_and_b32_e32 v28, 48, v3
	v_bfe_u32 v1, v0, 2, 4
	v_and_b32_e32 v3, 60, v0
	v_lshlrev_b32_e32 v5, 8, v0
	v_lshlrev_b32_e32 v0, 6, v0
	v_and_b32_e32 v5, 0x200, v5
	v_and_b32_e32 v0, 64, v0
	v_or3_b32 v68, v3, v5, v0
	v_rcp_iflag_f32_e32 v0, v6
	s_abs_i32 s61, s54
	v_mul_lo_u32 v30, s23, v1
	v_mul_lo_u32 v70, s22, v1
	v_cvt_f32_u32_e32 v1, s61
	v_mul_f32_e32 v0, 0x4f7ffffe, v0
	v_cvt_u32_f32_e32 v0, v0
	v_mad_u64_u32 v[26:27], s[6:7], s21, v60, v[24:25]
	v_rcp_iflag_f32_e32 v1, v1
	v_readfirstlane_b32 s7, v0
	s_sub_i32 s6, 0, s59
	s_mul_i32 s6, s6, s7
	v_mul_f32_e32 v0, 0x4f7ffffe, v1
	v_cvt_u32_f32_e32 v0, v0
	s_mul_hi_u32 s6, s7, s6
	v_add_u32_e32 v2, 1, v2
	s_add_i32 s63, s7, s6
	s_sub_i32 s6, 0, s61
	v_readfirstlane_b32 s7, v0
	v_mbcnt_lo_u32_b32 v0, -1, 0
	v_and_b32_e32 v2, 63, v2
	s_mul_i32 s6, s6, s7
	v_mbcnt_hi_u32_b32 v0, -1, v0
	s_mul_hi_u32 s6, s7, s6
	v_and_or_b32 v0, v0, 64, v2
	v_cndmask_b32_e64 v58, 0, 1, s[0:1]
	v_or_b32_e32 v63, 16, v24
	v_or_b32_e32 v64, 32, v24
	;; [unrolled: 1-line block ×5, first 2 shown]
	v_ashrrev_i32_e32 v27, 31, v26
	s_ashr_i32 s29, s21, 31
	s_mov_b32 s28, s21
	v_ashrrev_i32_e32 v31, 31, v30
	v_mov_b32_e32 v29, 0
	s_lshl_b32 s60, s23, 4
	v_bitop3_b32 v69, v4, 15, v4 bitop3:0xc
	v_or_b32_e32 v71, 0xc000, v68
	s_ashr_i32 s62, s33, 31
	s_ashr_i32 s64, s54, 31
	s_add_i32 s65, s7, s6
	s_movk_i32 s66, 0x6000
	s_mov_b64 s[30:31], 0x60
	s_mov_b64 s[34:35], 0x80
	;; [unrolled: 1-line block ×3, first 2 shown]
	v_lshlrev_b32_e32 v72, 2, v0
	v_mov_b32_e32 v73, v32
	s_branch .LBB137_7
.LBB137_4:                              ;   in Loop: Header=BB137_7 Depth=1
	s_or_b64 exec, exec, s[10:11]
.LBB137_5:                              ;   in Loop: Header=BB137_7 Depth=1
	s_or_b64 exec, exec, s[8:9]
	v_subrev_u32_e32 v73, s67, v73
.LBB137_6:                              ;   in Loop: Header=BB137_7 Depth=1
	s_or_b64 exec, exec, s[6:7]
	s_add_i32 s55, s55, 1
	v_cmp_ge_i32_e32 vcc, s55, v25
	s_cbranch_vccnz .LBB137_57
.LBB137_7:                              ; =>This Loop Header: Depth=1
                                        ;     Child Loop BB137_13 Depth 2
                                        ;       Child Loop BB137_15 Depth 3
                                        ;       Child Loop BB137_18 Depth 3
	;; [unrolled: 1-line block ×7, first 2 shown]
                                        ;     Child Loop BB137_44 Depth 2
                                        ;       Child Loop BB137_46 Depth 3
                                        ;     Child Loop BB137_54 Depth 2
                                        ;       Child Loop BB137_56 Depth 3
	s_abs_i32 s7, s55
	s_mul_hi_u32 s8, s7, s63
	s_mul_i32 s9, s8, s59
	s_ashr_i32 s6, s55, 31
	s_sub_i32 s7, s7, s9
	s_xor_b32 s6, s6, s62
	s_add_i32 s9, s8, 1
	s_sub_i32 s10, s7, s59
	s_cmp_ge_u32 s7, s59
	s_cselect_b32 s8, s9, s8
	s_cselect_b32 s7, s10, s7
	s_add_i32 s9, s8, 1
	s_cmp_ge_u32 s7, s59
	s_cselect_b32 s7, s9, s8
	s_xor_b32 s7, s7, s6
	s_sub_i32 s6, s7, s6
	s_abs_i32 s8, s6
	s_mul_i32 s7, s6, s33
	s_mul_hi_u32 s9, s8, s65
	s_sub_i32 s7, s55, s7
	s_mul_i32 s10, s9, s61
	s_lshl_b32 s68, s7, 4
	s_ashr_i32 s7, s6, 31
	s_sub_i32 s8, s8, s10
	s_xor_b32 s7, s7, s64
	s_add_i32 s10, s9, 1
	s_sub_i32 s11, s8, s61
	s_cmp_ge_u32 s8, s61
	s_cselect_b32 s9, s10, s9
	s_cselect_b32 s8, s11, s8
	s_add_i32 s10, s9, 1
	s_cmp_ge_u32 s8, s61
	s_cselect_b32 s8, s10, s9
	s_xor_b32 s8, s8, s7
	s_sub_i32 s7, s8, s7
	s_mul_i32 s8, s7, s57
	s_lshl_b32 s69, s8, 8
	s_cmp_eq_u32 s7, s24
	s_cselect_b32 s67, s58, s57
	s_sub_i32 s70, s68, s20
	s_add_i32 s70, s70, 16
	s_and_saveexec_b64 s[8:9], s[2:3]
	s_xor_b64 s[46:47], exec, s[8:9]
	s_cbranch_execz .LBB137_50
; %bb.8:                                ;   in Loop: Header=BB137_7 Depth=1
	s_mul_i32 s7, s7, s54
	s_sub_i32 s6, s6, s7
	s_mulk_i32 s6, 0x60
	s_sub_i32 s49, s6, s21
	s_addk_i32 s49, 0x60
	s_max_i32 s7, s49, 0
	s_sub_i32 s48, s6, s7
	s_and_saveexec_b64 s[6:7], s[0:1]
	s_xor_b64 s[50:51], exec, s[6:7]
	s_cbranch_execz .LBB137_40
; %bb.9:                                ;   in Loop: Header=BB137_7 Depth=1
	s_and_saveexec_b64 s[52:53], s[4:5]
	s_cbranch_execz .LBB137_39
; %bb.10:                               ;   in Loop: Header=BB137_7 Depth=1
	s_waitcnt lgkmcnt(0)
	global_load_dword v74, v29, s[42:43]
	v_mov_b32_e32 v23, 0
	v_cmp_gt_i32_e32 vcc, s67, v73
	v_mov_b32_e32 v22, v23
	v_mov_b32_e32 v21, v23
	;; [unrolled: 1-line block ×23, first 2 shown]
	s_and_saveexec_b64 s[6:7], vcc
	s_cbranch_execz .LBB137_35
; %bb.11:                               ;   in Loop: Header=BB137_7 Depth=1
	v_mov_b32_e32 v0, 0
	s_mov_b64 s[8:9], 0
	v_mov_b32_e32 v1, v0
	v_mov_b32_e32 v2, v0
	;; [unrolled: 1-line block ×23, first 2 shown]
	s_branch .LBB137_13
.LBB137_12:                             ;   in Loop: Header=BB137_13 Depth=2
	s_or_b64 exec, exec, s[10:11]
	v_add_u32_e32 v50, 0x5000, v77
	ds_read2_b32 v[48:49], v50 offset1:32
	v_add_u32_e32 v73, s27, v73
	v_cmp_le_i32_e32 vcc, s67, v73
	s_or_b64 s[8:9], vcc, s[8:9]
	s_waitcnt lgkmcnt(0)
	v_mfma_f32_16x16x32_fp8_fp8 v[0:3], v[32:33], v[48:49], v[0:3]
	ds_read2_b32 v[32:33], v50 offset0:128 offset1:160
	v_add_u32_e32 v48, 0x5400, v77
	s_waitcnt lgkmcnt(0)
	v_mfma_f32_16x16x32_fp8_fp8 v[0:3], v[34:35], v[32:33], v[0:3]
	ds_read2_b32 v[32:33], v48 offset1:32
	v_add_u32_e32 v34, 0x5800, v77
	s_waitcnt lgkmcnt(0)
	v_mfma_f32_16x16x32_fp8_fp8 v[0:3], v[44:45], v[32:33], v[0:3]
	ds_read2_b32 v[32:33], v48 offset0:128 offset1:160
	s_waitcnt lgkmcnt(0)
	v_mfma_f32_16x16x32_fp8_fp8 v[0:3], v[42:43], v[32:33], v[0:3]
	ds_read2_b32 v[32:33], v34 offset1:32
	v_add_u32_e32 v42, 0x5c00, v77
	s_waitcnt lgkmcnt(0)
	v_mfma_f32_16x16x32_fp8_fp8 v[0:3], v[46:47], v[32:33], v[0:3]
	ds_read2_b32 v[32:33], v34 offset0:128 offset1:160
	ds_read2_b32 v[34:35], v42 offset1:32
	s_waitcnt lgkmcnt(1)
	v_mfma_f32_16x16x32_fp8_fp8 v[0:3], v[40:41], v[32:33], v[0:3]
	ds_read2_b32 v[40:41], v42 offset0:128 offset1:160
	v_add_u32_e32 v32, s27, v76
	v_add_u32_e32 v33, 2, v58
	s_waitcnt lgkmcnt(1)
	v_mfma_f32_16x16x32_fp8_fp8 v[0:3], v[38:39], v[34:35], v[0:3]
	v_cmp_lt_i32_e32 vcc, 1, v32
	;;#ASMSTART
	s_waitcnt lgkmcnt(0)
	;;#ASMEND
	ds_write_b32 v75, v78 offset:57372
	s_waitcnt lgkmcnt(1)
	v_mfma_f32_16x16x32_fp8_fp8 v[0:3], v[36:37], v[40:41], v[0:3]
	v_cndmask_b32_e32 v58, v58, v33, vcc
	s_andn2_b64 exec, exec, s[8:9]
	s_cbranch_execz .LBB137_34
.LBB137_13:                             ;   Parent Loop BB137_7 Depth=1
                                        ; =>  This Loop Header: Depth=2
                                        ;       Child Loop BB137_15 Depth 3
                                        ;       Child Loop BB137_18 Depth 3
	;; [unrolled: 1-line block ×7, first 2 shown]
	v_cmp_gt_i32_e32 vcc, 2, v32
	s_nop 1
	v_cndmask_b32_e64 v33, -2, 0, vcc
	v_add_u32_e32 v76, v33, v32
	v_mul_lo_u32 v75, v76, 24
	ds_read_b32 v32, v75 offset:57352
	s_waitcnt lgkmcnt(0)
	v_cmp_ne_u32_e32 vcc, v32, v58
	s_and_saveexec_b64 s[10:11], vcc
	s_cbranch_execz .LBB137_16
; %bb.14:                               ;   in Loop: Header=BB137_13 Depth=2
	s_mov_b64 s[12:13], 0
.LBB137_15:                             ;   Parent Loop BB137_7 Depth=1
                                        ;     Parent Loop BB137_13 Depth=2
                                        ; =>    This Inner Loop Header: Depth=3
	;;#ASMSTART
	s_sleep 0
	;;#ASMEND
	ds_read_b32 v32, v75 offset:57352
	s_waitcnt lgkmcnt(0)
	v_cmp_eq_u32_e32 vcc, v32, v58
	s_or_b64 s[12:13], vcc, s[12:13]
	s_andn2_b64 exec, exec, s[12:13]
	s_cbranch_execnz .LBB137_15
.LBB137_16:                             ;   in Loop: Header=BB137_13 Depth=2
	s_or_b64 exec, exec, s[10:11]
	v_mul_lo_u32 v32, v76, s66
	v_or_b32_e32 v77, v59, v32
	v_add_u32_e32 v32, 0x400, v77
	ds_read2_b32 v[36:37], v77 offset1:32
	ds_read2_b32 v[38:39], v77 offset0:128 offset1:160
	ds_read2_b32 v[40:41], v32 offset1:32
	ds_read2_b32 v[48:49], v32 offset0:128 offset1:160
	v_add_u32_e32 v32, 0x800, v77
	ds_read2_b32 v[50:51], v32 offset1:32
	ds_read2_b32 v[52:53], v32 offset0:128 offset1:160
	v_add_u32_e32 v32, 0xc00, v77
	v_add_u32_e32 v78, 1, v58
	ds_read2_b32 v[56:57], v32 offset1:32
	ds_read2_b32 v[54:55], v32 offset0:128 offset1:160
	;;#ASMSTART
	s_waitcnt lgkmcnt(0)
	;;#ASMEND
	ds_write_b32 v75, v78 offset:57352
	v_lshlrev_b32_e32 v32, 2, v76
	ds_read_b32 v33, v32 offset:57344
	v_add_u32_e32 v79, 0xe000, v32
	s_waitcnt lgkmcnt(0)
	v_cmp_ne_u32_e32 vcc, v33, v58
	s_and_saveexec_b64 s[10:11], vcc
	s_cbranch_execz .LBB137_19
; %bb.17:                               ;   in Loop: Header=BB137_13 Depth=2
	s_mov_b64 s[12:13], 0
.LBB137_18:                             ;   Parent Loop BB137_7 Depth=1
                                        ;     Parent Loop BB137_13 Depth=2
                                        ; =>    This Inner Loop Header: Depth=3
	;;#ASMSTART
	s_sleep 0
	;;#ASMEND
	ds_read_b32 v32, v79
	s_waitcnt lgkmcnt(0)
	v_cmp_eq_u32_e32 vcc, v32, v58
	s_or_b64 s[12:13], vcc, s[12:13]
	s_andn2_b64 exec, exec, s[12:13]
	s_cbranch_execnz .LBB137_18
.LBB137_19:                             ;   in Loop: Header=BB137_13 Depth=2
	s_or_b64 exec, exec, s[10:11]
	v_or_b32_e32 v32, 0xc000, v59
	v_lshl_add_u32 v80, v76, 12, v32
	ds_read2_b32 v[32:33], v80 offset1:32
	ds_read2_b32 v[34:35], v80 offset0:128 offset1:160
	v_add_u32_e32 v42, 0x400, v80
	ds_read2_b32 v[44:45], v42 offset1:32
	ds_read2_b32 v[42:43], v42 offset0:128 offset1:160
	s_waitcnt lgkmcnt(3)
	v_mfma_f32_16x16x32_fp8_fp8 v[20:23], v[32:33], v[36:37], v[20:23]
	v_add_u32_e32 v36, 0x800, v80
	ds_read2_b32 v[46:47], v36 offset1:32
	ds_write_b32 v79, v78
	s_waitcnt lgkmcnt(4)
	v_mfma_f32_16x16x32_fp8_fp8 v[20:23], v[34:35], v[38:39], v[20:23]
	s_waitcnt lgkmcnt(3)
	v_mfma_f32_16x16x32_fp8_fp8 v[20:23], v[44:45], v[40:41], v[20:23]
	ds_read2_b32 v[40:41], v36 offset0:128 offset1:160
	v_add_u32_e32 v36, 0xc00, v80
	ds_read2_b32 v[38:39], v36 offset1:32
	s_waitcnt lgkmcnt(4)
	v_mfma_f32_16x16x32_fp8_fp8 v[20:23], v[42:43], v[48:49], v[20:23]
	ds_read2_b32 v[36:37], v36 offset0:128 offset1:160
	ds_read_b32 v48, v75 offset:57356
	s_waitcnt lgkmcnt(0)
	v_cmp_ne_u32_e32 vcc, v48, v58
	v_mfma_f32_16x16x32_fp8_fp8 v[20:23], v[46:47], v[50:51], v[20:23]
	v_mfma_f32_16x16x32_fp8_fp8 v[20:23], v[40:41], v[52:53], v[20:23]
	;; [unrolled: 1-line block ×4, first 2 shown]
	s_and_saveexec_b64 s[10:11], vcc
	s_cbranch_execz .LBB137_22
; %bb.20:                               ;   in Loop: Header=BB137_13 Depth=2
	s_mov_b64 s[12:13], 0
.LBB137_21:                             ;   Parent Loop BB137_7 Depth=1
                                        ;     Parent Loop BB137_13 Depth=2
                                        ; =>    This Inner Loop Header: Depth=3
	;;#ASMSTART
	s_sleep 0
	;;#ASMEND
	ds_read_b32 v48, v75 offset:57356
	s_waitcnt lgkmcnt(0)
	v_cmp_eq_u32_e32 vcc, v48, v58
	s_or_b64 s[12:13], vcc, s[12:13]
	s_andn2_b64 exec, exec, s[12:13]
	s_cbranch_execnz .LBB137_21
.LBB137_22:                             ;   in Loop: Header=BB137_13 Depth=2
	s_or_b64 exec, exec, s[10:11]
	v_add_u32_e32 v50, 0x1000, v77
	ds_read2_b32 v[48:49], v50 offset1:32
	s_waitcnt lgkmcnt(0)
	v_mfma_f32_16x16x32_fp8_fp8 v[16:19], v[32:33], v[48:49], v[16:19]
	ds_read2_b32 v[48:49], v50 offset0:128 offset1:160
	v_add_u32_e32 v50, 0x1400, v77
	s_waitcnt lgkmcnt(0)
	v_mfma_f32_16x16x32_fp8_fp8 v[16:19], v[34:35], v[48:49], v[16:19]
	ds_read2_b32 v[48:49], v50 offset1:32
	s_waitcnt lgkmcnt(0)
	v_mfma_f32_16x16x32_fp8_fp8 v[16:19], v[44:45], v[48:49], v[16:19]
	ds_read2_b32 v[48:49], v50 offset0:128 offset1:160
	v_add_u32_e32 v50, 0x1800, v77
	s_waitcnt lgkmcnt(0)
	v_mfma_f32_16x16x32_fp8_fp8 v[16:19], v[42:43], v[48:49], v[16:19]
	ds_read2_b32 v[48:49], v50 offset1:32
	s_waitcnt lgkmcnt(0)
	v_mfma_f32_16x16x32_fp8_fp8 v[16:19], v[46:47], v[48:49], v[16:19]
	ds_read2_b32 v[48:49], v50 offset0:128 offset1:160
	v_add_u32_e32 v50, 0x1c00, v77
	s_waitcnt lgkmcnt(0)
	v_mfma_f32_16x16x32_fp8_fp8 v[16:19], v[40:41], v[48:49], v[16:19]
	ds_read2_b32 v[48:49], v50 offset1:32
	ds_read2_b32 v[50:51], v50 offset0:128 offset1:160
	;;#ASMSTART
	s_waitcnt lgkmcnt(0)
	;;#ASMEND
	ds_write_b32 v75, v78 offset:57356
	s_waitcnt lgkmcnt(2)
	v_mfma_f32_16x16x32_fp8_fp8 v[16:19], v[38:39], v[48:49], v[16:19]
	ds_read_b32 v48, v75 offset:57360
	s_waitcnt lgkmcnt(0)
	v_cmp_ne_u32_e32 vcc, v48, v58
	v_mfma_f32_16x16x32_fp8_fp8 v[16:19], v[36:37], v[50:51], v[16:19]
	s_and_saveexec_b64 s[10:11], vcc
	s_cbranch_execz .LBB137_25
; %bb.23:                               ;   in Loop: Header=BB137_13 Depth=2
	s_mov_b64 s[12:13], 0
.LBB137_24:                             ;   Parent Loop BB137_7 Depth=1
                                        ;     Parent Loop BB137_13 Depth=2
                                        ; =>    This Inner Loop Header: Depth=3
	;;#ASMSTART
	s_sleep 0
	;;#ASMEND
	ds_read_b32 v48, v75 offset:57360
	s_waitcnt lgkmcnt(0)
	v_cmp_eq_u32_e32 vcc, v48, v58
	s_or_b64 s[12:13], vcc, s[12:13]
	s_andn2_b64 exec, exec, s[12:13]
	s_cbranch_execnz .LBB137_24
.LBB137_25:                             ;   in Loop: Header=BB137_13 Depth=2
	s_or_b64 exec, exec, s[10:11]
	v_add_u32_e32 v50, 0x2000, v77
	ds_read2_b32 v[48:49], v50 offset1:32
	s_waitcnt lgkmcnt(0)
	v_mfma_f32_16x16x32_fp8_fp8 v[12:15], v[32:33], v[48:49], v[12:15]
	ds_read2_b32 v[48:49], v50 offset0:128 offset1:160
	v_add_u32_e32 v50, 0x2400, v77
	s_waitcnt lgkmcnt(0)
	v_mfma_f32_16x16x32_fp8_fp8 v[12:15], v[34:35], v[48:49], v[12:15]
	ds_read2_b32 v[48:49], v50 offset1:32
	s_waitcnt lgkmcnt(0)
	v_mfma_f32_16x16x32_fp8_fp8 v[12:15], v[44:45], v[48:49], v[12:15]
	ds_read2_b32 v[48:49], v50 offset0:128 offset1:160
	v_add_u32_e32 v50, 0x2800, v77
	s_waitcnt lgkmcnt(0)
	v_mfma_f32_16x16x32_fp8_fp8 v[12:15], v[42:43], v[48:49], v[12:15]
	ds_read2_b32 v[48:49], v50 offset1:32
	s_waitcnt lgkmcnt(0)
	v_mfma_f32_16x16x32_fp8_fp8 v[12:15], v[46:47], v[48:49], v[12:15]
	ds_read2_b32 v[48:49], v50 offset0:128 offset1:160
	v_add_u32_e32 v50, 0x2c00, v77
	s_waitcnt lgkmcnt(0)
	v_mfma_f32_16x16x32_fp8_fp8 v[12:15], v[40:41], v[48:49], v[12:15]
	ds_read2_b32 v[48:49], v50 offset1:32
	ds_read2_b32 v[50:51], v50 offset0:128 offset1:160
	;;#ASMSTART
	s_waitcnt lgkmcnt(0)
	;;#ASMEND
	ds_write_b32 v75, v78 offset:57360
	s_waitcnt lgkmcnt(2)
	v_mfma_f32_16x16x32_fp8_fp8 v[12:15], v[38:39], v[48:49], v[12:15]
	ds_read_b32 v48, v75 offset:57364
	s_waitcnt lgkmcnt(0)
	v_cmp_ne_u32_e32 vcc, v48, v58
	v_mfma_f32_16x16x32_fp8_fp8 v[12:15], v[36:37], v[50:51], v[12:15]
	;; [unrolled: 52-line block ×4, first 2 shown]
	s_and_saveexec_b64 s[10:11], vcc
	s_cbranch_execz .LBB137_12
; %bb.32:                               ;   in Loop: Header=BB137_13 Depth=2
	s_mov_b64 s[12:13], 0
.LBB137_33:                             ;   Parent Loop BB137_7 Depth=1
                                        ;     Parent Loop BB137_13 Depth=2
                                        ; =>    This Inner Loop Header: Depth=3
	;;#ASMSTART
	s_sleep 0
	;;#ASMEND
	ds_read_b32 v48, v75 offset:57372
	s_waitcnt lgkmcnt(0)
	v_cmp_eq_u32_e32 vcc, v48, v58
	s_or_b64 s[12:13], vcc, s[12:13]
	s_andn2_b64 exec, exec, s[12:13]
	s_cbranch_execnz .LBB137_33
	s_branch .LBB137_12
.LBB137_34:                             ;   in Loop: Header=BB137_7 Depth=1
	s_or_b64 exec, exec, s[8:9]
.LBB137_35:                             ;   in Loop: Header=BB137_7 Depth=1
	s_or_b64 exec, exec, s[6:7]
	v_cmp_le_i32_e32 vcc, s49, v24
	v_cmp_eq_u32_e64 s[12:13], 1, v61
	v_cmp_eq_u32_e64 s[6:7], 3, v61
	s_waitcnt vmcnt(0)
	v_cndmask_b32_e32 v34, 0, v74, vcc
	v_pk_mul_f32 v[22:23], v[34:35], v[22:23] op_sel_hi:[0,1]
	v_pk_mul_f32 v[34:35], v[34:35], v[20:21] op_sel_hi:[0,1]
	v_cndmask_b32_e64 v20, v34, v35, s[12:13]
	v_cmp_eq_u32_e32 vcc, 2, v61
	v_cmp_eq_u32_e64 s[8:9], 0, v61
	v_cmp_le_i32_e64 s[14:15], s49, v63
	v_cndmask_b32_e32 v20, v20, v22, vcc
	v_cndmask_b32_e64 v20, v20, v23, s[6:7]
	ds_bpermute_b32 v33, v72, v20
	v_cmp_eq_u32_e64 s[10:11], 1, v62
	v_cmp_le_i32_e64 s[18:19], s49, v64
	v_cmp_eq_u32_e64 s[16:17], 3, v62
	s_waitcnt lgkmcnt(0)
	v_cndmask_b32_e64 v20, v23, v33, s[6:7]
	v_cndmask_b32_e64 v23, v34, v33, s[8:9]
	;; [unrolled: 1-line block ×3, first 2 shown]
	v_cndmask_b32_e32 v21, v22, v33, vcc
	v_cndmask_b32_e64 v22, v35, v33, s[12:13]
	v_pk_mul_f32 v[18:19], v[34:35], v[18:19] op_sel_hi:[0,1]
	v_pk_mul_f32 v[34:35], v[34:35], v[16:17] op_sel_hi:[0,1]
	v_cndmask_b32_e64 v16, v34, v35, s[12:13]
	v_cndmask_b32_e32 v16, v16, v18, vcc
	v_cndmask_b32_e64 v16, v16, v19, s[6:7]
	ds_bpermute_b32 v36, v72, v16
	v_cndmask_b32_e64 v33, v23, v22, s[10:11]
	v_cmp_eq_u32_e64 s[14:15], 2, v62
	s_waitcnt lgkmcnt(0)
	v_cndmask_b32_e64 v17, v19, v36, s[6:7]
	v_cndmask_b32_e64 v16, v33, v21, s[14:15]
	;; [unrolled: 1-line block ×5, first 2 shown]
	v_pk_mul_f32 v[14:15], v[34:35], v[14:15] op_sel_hi:[0,1]
	v_pk_mul_f32 v[34:35], v[34:35], v[12:13] op_sel_hi:[0,1]
	v_cndmask_b32_e64 v12, v34, v35, s[12:13]
	v_cndmask_b32_e32 v12, v12, v14, vcc
	v_cndmask_b32_e64 v12, v12, v15, s[6:7]
	v_cndmask_b32_e32 v18, v18, v36, vcc
	ds_bpermute_b32 v36, v72, v12
	v_cmp_le_i32_e64 s[18:19], s49, v65
	v_cndmask_b32_e64 v12, v33, v19, s[10:11]
	v_cndmask_b32_e64 v12, v12, v18, s[14:15]
	;; [unrolled: 1-line block ×3, first 2 shown]
	s_waitcnt lgkmcnt(0)
	v_cndmask_b32_e64 v13, v15, v36, s[6:7]
	v_cndmask_b32_e32 v14, v14, v36, vcc
	v_cndmask_b32_e64 v15, v35, v36, s[12:13]
	v_cndmask_b32_e64 v34, v34, v36, s[8:9]
	v_cndmask_b32_e64 v36, 0, v74, s[18:19]
	v_pk_mul_f32 v[38:39], v[36:37], v[8:9] op_sel_hi:[0,1]
	v_pk_mul_f32 v[10:11], v[36:37], v[10:11] op_sel_hi:[0,1]
	v_cndmask_b32_e64 v8, v38, v39, s[12:13]
	v_cndmask_b32_e32 v8, v8, v10, vcc
	v_cndmask_b32_e64 v8, v8, v11, s[6:7]
	ds_bpermute_b32 v35, v72, v8
	v_cmp_le_i32_e64 s[18:19], s49, v66
	v_cndmask_b32_e64 v8, v34, v15, s[10:11]
	v_cndmask_b32_e64 v8, v8, v14, s[14:15]
	;; [unrolled: 1-line block ×3, first 2 shown]
	s_waitcnt lgkmcnt(0)
	v_cndmask_b32_e64 v37, v38, v35, s[8:9]
	v_cndmask_b32_e64 v38, 0, v74, s[18:19]
	v_pk_mul_f32 v[40:41], v[38:39], v[4:5] op_sel_hi:[0,1]
	v_pk_mul_f32 v[6:7], v[38:39], v[6:7] op_sel_hi:[0,1]
	v_cndmask_b32_e64 v4, v40, v41, s[12:13]
	v_cndmask_b32_e32 v4, v4, v6, vcc
	v_cndmask_b32_e64 v4, v4, v7, s[6:7]
	v_cndmask_b32_e64 v9, v11, v35, s[6:7]
	ds_bpermute_b32 v11, v72, v4
	v_cmp_le_i32_e64 s[18:19], s49, v67
	v_cndmask_b32_e64 v36, v39, v35, s[12:13]
	v_cndmask_b32_e32 v10, v10, v35, vcc
	v_cndmask_b32_e64 v4, v37, v36, s[10:11]
	s_waitcnt lgkmcnt(0)
	v_cndmask_b32_e64 v39, v40, v11, s[8:9]
	v_cndmask_b32_e64 v40, 0, v74, s[18:19]
	;; [unrolled: 1-line block ×3, first 2 shown]
	v_pk_mul_f32 v[42:43], v[40:41], v[2:3] op_sel_hi:[0,1]
	v_pk_mul_f32 v[40:41], v[40:41], v[0:1] op_sel_hi:[0,1]
	v_cndmask_b32_e64 v0, v40, v41, s[12:13]
	v_cndmask_b32_e32 v0, v0, v42, vcc
	v_cndmask_b32_e64 v0, v0, v43, s[6:7]
	ds_bpermute_b32 v1, v72, v0
	v_cndmask_b32_e32 v6, v6, v11, vcc
	v_cndmask_b32_e64 v0, v39, v38, s[10:11]
	v_cndmask_b32_e64 v5, v7, v11, s[6:7]
	;; [unrolled: 1-line block ×4, first 2 shown]
	s_waitcnt lgkmcnt(0)
	v_cndmask_b32_e32 v7, v42, v1, vcc
	v_cmp_ne_u32_e32 vcc, 0, v61
	ds_bpermute_b32 v2, v72, v0
	v_cndmask_b32_e64 v3, v43, v1, s[6:7]
	v_cndmask_b32_e32 v0, v41, v1, vcc
	v_cndmask_b32_e64 v1, v40, v1, s[8:9]
	v_cndmask_b32_e64 v11, v1, v0, s[10:11]
	;; [unrolled: 1-line block ×7, first 2 shown]
	ds_bpermute_b32 v16, v72, v16
	ds_bpermute_b32 v12, v72, v12
	;; [unrolled: 1-line block ×5, first 2 shown]
	s_max_i32 s6, s70, 0
	v_add_u32_e32 v35, s6, v60
	v_cmp_gt_u32_e32 vcc, 16, v35
	s_and_saveexec_b64 s[12:13], vcc
	s_cbranch_execz .LBB137_38
; %bb.36:                               ;   in Loop: Header=BB137_7 Depth=1
	v_cmp_eq_u32_e64 s[8:9], 1, v62
	v_cmp_eq_u32_e64 s[10:11], 0, v62
	v_cmp_eq_u32_e32 vcc, 3, v62
	s_waitcnt lgkmcnt(4)
	v_cndmask_b32_e64 v22, v22, v16, s[8:9]
	s_waitcnt lgkmcnt(3)
	v_cndmask_b32_e64 v19, v19, v12, s[8:9]
	;; [unrolled: 2-line block ×4, first 2 shown]
	v_cndmask_b32_e64 v38, v38, v2, s[8:9]
	s_waitcnt lgkmcnt(0)
	v_cndmask_b32_e64 v40, v0, v11, s[8:9]
	s_mul_i32 s8, s68, s21
	s_ashr_i32 s9, s8, 31
	s_lshl_b64 s[8:9], s[8:9], 1
	v_cndmask_b32_e64 v23, v23, v16, s[10:11]
	v_cndmask_b32_e64 v33, v33, v12, s[10:11]
	;; [unrolled: 1-line block ×6, first 2 shown]
	s_add_u32 s10, s40, s8
	s_addc_u32 s11, s41, s9
	s_ashr_i32 s49, s48, 31
	v_cvt_f16_f32_e32 v23, v23
	v_cvt_f16_f32_sdwa v22, v22 dst_sel:WORD_1 dst_unused:UNUSED_PAD src0_sel:DWORD
	v_cvt_f16_f32_e32 v33, v33
	v_cvt_f16_f32_sdwa v19, v19 dst_sel:WORD_1 dst_unused:UNUSED_PAD src0_sel:DWORD
	s_lshl_b64 s[8:9], s[48:49], 1
	s_add_u32 s8, s10, s8
	s_addc_u32 s9, s11, s9
	v_lshl_add_u64 v[0:1], v[26:27], 1, s[8:9]
	v_or_b32_e32 v22, v22, v23
	v_or_b32_e32 v19, v19, v33
	;;#ASMSTART
	global_atomic_pk_add_f16 v[0:1], v22, off
	
	;;#ASMEND
	v_lshl_add_u64 v[22:23], v[0:1], 0, 32
	;;#ASMSTART
	global_atomic_pk_add_f16 v[22:23], v19, off
	
	;;#ASMEND
	v_cvt_f16_f32_e32 v19, v34
	v_cvt_f16_f32_sdwa v15, v15 dst_sel:WORD_1 dst_unused:UNUSED_PAD src0_sel:DWORD
	v_cvt_f16_f32_e32 v33, v37
	v_cvt_f16_f32_sdwa v34, v36 dst_sel:WORD_1 dst_unused:UNUSED_PAD src0_sel:DWORD
	v_lshl_add_u64 v[22:23], v[0:1], 0, 64
	v_or_b32_e32 v15, v15, v19
	;;#ASMSTART
	global_atomic_pk_add_f16 v[22:23], v15, off
	
	;;#ASMEND
	v_or_b32_e32 v15, v34, v33
	v_lshl_add_u64 v[22:23], v[0:1], 0, s[30:31]
	;;#ASMSTART
	global_atomic_pk_add_f16 v[22:23], v15, off
	
	;;#ASMEND
	v_cvt_f16_f32_e32 v15, v39
	v_cvt_f16_f32_sdwa v19, v38 dst_sel:WORD_1 dst_unused:UNUSED_PAD src0_sel:DWORD
	v_cvt_f16_f32_e32 v33, v41
	v_cvt_f16_f32_sdwa v34, v40 dst_sel:WORD_1 dst_unused:UNUSED_PAD src0_sel:DWORD
	v_cmp_eq_u32_e64 s[6:7], 2, v62
	v_lshl_add_u64 v[22:23], v[0:1], 0, s[34:35]
	v_or_b32_e32 v15, v19, v15
	v_cmp_gt_u32_e64 s[8:9], 14, v35
	;;#ASMSTART
	global_atomic_pk_add_f16 v[22:23], v15, off
	
	;;#ASMEND
	v_lshl_add_u64 v[22:23], v[0:1], 0, s[44:45]
	v_or_b32_e32 v15, v34, v33
	;;#ASMSTART
	global_atomic_pk_add_f16 v[22:23], v15, off
	
	;;#ASMEND
	s_and_b64 exec, exec, s[8:9]
	s_cbranch_execz .LBB137_38
; %bb.37:                               ;   in Loop: Header=BB137_7 Depth=1
	v_cndmask_b32_e32 v15, v20, v16, vcc
	v_cndmask_b32_e64 v16, v21, v16, s[6:7]
	v_cndmask_b32_e32 v17, v17, v12, vcc
	v_cndmask_b32_e64 v12, v18, v12, s[6:7]
	;; [unrolled: 2-line block ×5, first 2 shown]
	v_cvt_f16_f32_e32 v2, v16
	v_cvt_f16_f32_sdwa v3, v15 dst_sel:WORD_1 dst_unused:UNUSED_PAD src0_sel:DWORD
	v_cvt_f16_f32_e32 v11, v12
	v_cvt_f16_f32_sdwa v12, v17 dst_sel:WORD_1 dst_unused:UNUSED_PAD src0_sel:DWORD
	v_cndmask_b32_e32 v13, v13, v8, vcc
	v_cndmask_b32_e64 v8, v14, v8, s[6:7]
	v_lshl_add_u64 v[0:1], s[28:29], 2, v[0:1]
	v_or_b32_e32 v2, v3, v2
	v_or_b32_e32 v11, v12, v11
	v_cvt_f16_f32_e32 v4, v4
	v_cvt_f16_f32_sdwa v9, v9 dst_sel:WORD_1 dst_unused:UNUSED_PAD src0_sel:DWORD
	;;#ASMSTART
	global_atomic_pk_add_f16 v[0:1], v2, off
	
	;;#ASMEND
	v_lshl_add_u64 v[2:3], v[0:1], 0, 32
	;;#ASMSTART
	global_atomic_pk_add_f16 v[2:3], v11, off
	
	;;#ASMEND
	v_cvt_f16_f32_e32 v8, v8
	v_cvt_f16_f32_sdwa v11, v13 dst_sel:WORD_1 dst_unused:UNUSED_PAD src0_sel:DWORD
	v_lshl_add_u64 v[2:3], v[0:1], 0, 64
	v_or_b32_e32 v4, v9, v4
	v_cvt_f16_f32_sdwa v5, v5 dst_sel:WORD_1 dst_unused:UNUSED_PAD src0_sel:DWORD
	v_or_b32_e32 v8, v11, v8
	;;#ASMSTART
	global_atomic_pk_add_f16 v[2:3], v8, off
	
	;;#ASMEND
	v_lshl_add_u64 v[2:3], v[0:1], 0, s[30:31]
	;;#ASMSTART
	global_atomic_pk_add_f16 v[2:3], v4, off
	
	;;#ASMEND
	v_cvt_f16_f32_e32 v4, v6
	v_cvt_f16_f32_e32 v6, v7
	v_cvt_f16_f32_sdwa v7, v10 dst_sel:WORD_1 dst_unused:UNUSED_PAD src0_sel:DWORD
	v_lshl_add_u64 v[2:3], v[0:1], 0, s[34:35]
	v_or_b32_e32 v4, v5, v4
	;;#ASMSTART
	global_atomic_pk_add_f16 v[2:3], v4, off
	
	;;#ASMEND
	v_lshl_add_u64 v[0:1], v[0:1], 0, s[44:45]
	v_or_b32_e32 v2, v7, v6
	;;#ASMSTART
	global_atomic_pk_add_f16 v[0:1], v2, off
	
	;;#ASMEND
.LBB137_38:                             ;   in Loop: Header=BB137_7 Depth=1
	s_or_b64 exec, exec, s[12:13]
	v_subrev_u32_e32 v73, s67, v73
.LBB137_39:                             ;   in Loop: Header=BB137_7 Depth=1
	s_or_b64 exec, exec, s[52:53]
.LBB137_40:                             ;   in Loop: Header=BB137_7 Depth=1
	s_andn2_saveexec_b64 s[6:7], s[50:51]
	s_cbranch_execz .LBB137_49
; %bb.41:                               ;   in Loop: Header=BB137_7 Depth=1
	s_mul_i32 s16, s67, 6
	v_cmp_gt_i32_e32 vcc, s16, v73
	s_and_saveexec_b64 s[8:9], vcc
	s_cbranch_execz .LBB137_48
; %bb.42:                               ;   in Loop: Header=BB137_7 Depth=1
	s_mul_i32 s10, s48, s23
	s_ashr_i32 s11, s10, 31
	s_waitcnt lgkmcnt(0)
	s_add_u32 s10, s38, s10
	s_addc_u32 s11, s39, s11
	s_ashr_i32 s12, s69, 31
	s_add_u32 s10, s10, s69
	s_addc_u32 s11, s11, s12
	v_lshl_add_u64 v[0:1], s[10:11], 0, v[30:31]
	v_lshl_add_u64 v[16:17], v[0:1], 0, v[28:29]
	s_mov_b64 s[10:11], 0
	s_branch .LBB137_44
.LBB137_43:                             ;   in Loop: Header=BB137_44 Depth=2
	s_or_b64 exec, exec, s[12:13]
	v_lshl_or_b32 v20, v18, 12, v68
	;;#ASMSTART
	s_waitcnt vmcnt(3)
	;;#ASMEND
	ds_write2_b32 v20, v12, v13 offset1:32
	ds_write2_b32 v20, v14, v15 offset0:64 offset1:96
	v_add_u32_e32 v12, 0x400, v20
	;;#ASMSTART
	s_waitcnt vmcnt(2)
	;;#ASMEND
	ds_write2_b32 v12, v8, v9 offset1:32
	ds_write2_b32 v12, v10, v11 offset0:64 offset1:96
	v_add_u32_e32 v8, 0x800, v20
	;; [unrolled: 6-line block ×3, first 2 shown]
	v_add_u32_e32 v73, s26, v73
	;;#ASMSTART
	s_waitcnt vmcnt(0)
	;;#ASMEND
	ds_write2_b32 v4, v0, v1 offset1:32
	ds_write2_b32 v4, v2, v3 offset0:64 offset1:96
	v_add_u32_e32 v0, 1, v58
	v_add_u32_e32 v32, s26, v18
	v_cmp_le_i32_e32 vcc, s16, v73
	ds_write_b32 v19, v0 offset:8
	v_add_u32_e32 v0, 2, v58
	s_or_b64 s[10:11], vcc, s[10:11]
	v_cmp_lt_i32_e32 vcc, 11, v32
	s_nop 1
	v_cndmask_b32_e32 v58, v58, v0, vcc
	s_andn2_b64 exec, exec, s[10:11]
	s_cbranch_execz .LBB137_47
.LBB137_44:                             ;   Parent Loop BB137_7 Depth=1
                                        ; =>  This Loop Header: Depth=2
                                        ;       Child Loop BB137_46 Depth 3
	v_cmp_gt_i32_e32 vcc, 12, v32
	s_nop 1
	v_cndmask_b32_e64 v0, -12, 0, vcc
	v_add_u32_e32 v18, v0, v32
	v_mul_hi_i32 v0, v73, s56
	v_lshrrev_b32_e32 v1, 31, v0
	v_add_u32_e32 v0, v0, v1
	v_mul_lo_u32 v1, v0, 6
	v_sub_u32_e32 v2, v73, v1
	v_lshlrev_b32_e32 v0, 8, v0
	v_ashrrev_i32_e32 v1, 31, v0
	v_mul_lo_u32 v2, s60, v2
	v_lshl_add_u64 v[0:1], v[16:17], 0, v[0:1]
	v_ashrrev_i32_e32 v3, 31, v2
	v_lshl_add_u64 v[0:1], v[0:1], 0, v[2:3]
	v_lshlrev_b32_e32 v19, 2, v18
	;;#ASMSTART
	global_load_dwordx4 v[12:15], v[0:1], off offset:0    sc0 sc1 nt  
	global_load_dwordx4 v[8:11], v[0:1], off offset:64   sc0 sc1 nt  
	global_load_dwordx4 v[4:7], v[0:1], off offset:128  sc0 sc1 nt  
	global_load_dwordx4 v[0:3], v[0:1], off offset:192  sc0 sc1 nt  
	
	;;#ASMEND
	ds_read_b32 v20, v19 offset:57352
	v_add_u32_e32 v19, 0xe000, v19
	s_waitcnt lgkmcnt(0)
	v_cmp_ne_u32_e32 vcc, v20, v58
	s_and_saveexec_b64 s[12:13], vcc
	s_cbranch_execz .LBB137_43
; %bb.45:                               ;   in Loop: Header=BB137_44 Depth=2
	s_mov_b64 s[14:15], 0
.LBB137_46:                             ;   Parent Loop BB137_7 Depth=1
                                        ;     Parent Loop BB137_44 Depth=2
                                        ; =>    This Inner Loop Header: Depth=3
	;;#ASMSTART
	s_sleep 0
	;;#ASMEND
	ds_read_b32 v20, v19 offset:8
	s_waitcnt lgkmcnt(0)
	v_cmp_eq_u32_e32 vcc, v20, v58
	s_or_b64 s[14:15], vcc, s[14:15]
	s_andn2_b64 exec, exec, s[14:15]
	s_cbranch_execnz .LBB137_46
	s_branch .LBB137_43
.LBB137_47:                             ;   in Loop: Header=BB137_7 Depth=1
	s_or_b64 exec, exec, s[10:11]
.LBB137_48:                             ;   in Loop: Header=BB137_7 Depth=1
	s_or_b64 exec, exec, s[8:9]
	v_subrev_u32_e32 v73, s16, v73
.LBB137_49:                             ;   in Loop: Header=BB137_7 Depth=1
	s_or_b64 exec, exec, s[6:7]
.LBB137_50:                             ;   in Loop: Header=BB137_7 Depth=1
	s_andn2_saveexec_b64 s[6:7], s[46:47]
	s_cbranch_execz .LBB137_6
; %bb.51:                               ;   in Loop: Header=BB137_7 Depth=1
	v_cmp_gt_i32_e32 vcc, s67, v73
	s_and_saveexec_b64 s[8:9], vcc
	s_cbranch_execz .LBB137_5
; %bb.52:                               ;   in Loop: Header=BB137_7 Depth=1
	s_mul_i32 s68, s68, s22
	s_ashr_i32 s10, s68, 31
	s_waitcnt lgkmcnt(0)
	s_add_u32 s11, s36, s68
	s_addc_u32 s12, s37, s10
	s_ashr_i32 s13, s69, 31
	v_cmp_le_i32_e32 vcc, s70, v69
	s_add_u32 s10, s11, s69
	s_addc_u32 s11, s12, s13
	v_cndmask_b32_e32 v0, 0, v70, vcc
	v_ashrrev_i32_e32 v1, 31, v0
	v_lshl_add_u64 v[0:1], s[10:11], 0, v[0:1]
	v_lshl_add_u64 v[16:17], v[0:1], 0, v[28:29]
	s_mov_b64 s[10:11], 0
	s_branch .LBB137_54
.LBB137_53:                             ;   in Loop: Header=BB137_54 Depth=2
	s_or_b64 exec, exec, s[12:13]
	v_lshl_add_u32 v20, v18, 12, v71
	;;#ASMSTART
	s_waitcnt vmcnt(3)
	;;#ASMEND
	ds_write2_b32 v20, v12, v13 offset1:32
	ds_write2_b32 v20, v14, v15 offset0:64 offset1:96
	v_add_u32_e32 v12, 0x400, v20
	;;#ASMSTART
	s_waitcnt vmcnt(2)
	;;#ASMEND
	ds_write2_b32 v12, v8, v9 offset1:32
	ds_write2_b32 v12, v10, v11 offset0:64 offset1:96
	v_add_u32_e32 v8, 0x800, v20
	;; [unrolled: 6-line block ×3, first 2 shown]
	v_add_u32_e32 v73, s25, v73
	;;#ASMSTART
	s_waitcnt vmcnt(0)
	;;#ASMEND
	ds_write2_b32 v4, v0, v1 offset1:32
	ds_write2_b32 v4, v2, v3 offset0:64 offset1:96
	v_add_u32_e32 v0, 1, v58
	v_add_u32_e32 v32, s25, v18
	v_cmp_le_i32_e32 vcc, s67, v73
	ds_write_b32 v19, v0
	v_add_u32_e32 v0, 2, v58
	s_or_b64 s[10:11], vcc, s[10:11]
	v_cmp_lt_i32_e32 vcc, 1, v32
	s_nop 1
	v_cndmask_b32_e32 v58, v58, v0, vcc
	s_andn2_b64 exec, exec, s[10:11]
	s_cbranch_execz .LBB137_4
.LBB137_54:                             ;   Parent Loop BB137_7 Depth=1
                                        ; =>  This Loop Header: Depth=2
                                        ;       Child Loop BB137_56 Depth 3
	v_cmp_gt_i32_e32 vcc, 2, v32
	s_nop 1
	v_cndmask_b32_e64 v0, -2, 0, vcc
	v_add_u32_e32 v18, v0, v32
	v_lshlrev_b32_e32 v0, 8, v73
	v_ashrrev_i32_e32 v1, 31, v0
	v_lshl_add_u64 v[0:1], v[16:17], 0, v[0:1]
	v_lshlrev_b32_e32 v19, 2, v18
	;;#ASMSTART
	global_load_dwordx4 v[12:15], v[0:1], off offset:0    
	global_load_dwordx4 v[8:11], v[0:1], off offset:64   
	;; [unrolled: 1-line block ×4, first 2 shown]
	
	;;#ASMEND
	ds_read_b32 v20, v19 offset:57344
	v_add_u32_e32 v19, 0xe000, v19
	s_waitcnt lgkmcnt(0)
	v_cmp_ne_u32_e32 vcc, v20, v58
	s_and_saveexec_b64 s[12:13], vcc
	s_cbranch_execz .LBB137_53
; %bb.55:                               ;   in Loop: Header=BB137_54 Depth=2
	s_mov_b64 s[14:15], 0
.LBB137_56:                             ;   Parent Loop BB137_7 Depth=1
                                        ;     Parent Loop BB137_54 Depth=2
                                        ; =>    This Inner Loop Header: Depth=3
	;;#ASMSTART
	s_sleep 0
	;;#ASMEND
	ds_read_b32 v20, v19
	s_waitcnt lgkmcnt(0)
	v_cmp_eq_u32_e32 vcc, v20, v58
	s_or_b64 s[14:15], vcc, s[14:15]
	s_andn2_b64 exec, exec, s[14:15]
	s_cbranch_execnz .LBB137_56
	s_branch .LBB137_53
.LBB137_57:
	s_endpgm
	.section	.rodata,"a",@progbits
	.p2align	6, 0x0
	.amdhsa_kernel _Z19_skinny_gemm_kernelILi1ELi6ELi2ELi16ELi8EEvPKhS1_P6__halfPKfiiiiiiii
		.amdhsa_group_segment_fixed_size 57400
		.amdhsa_private_segment_fixed_size 0
		.amdhsa_kernarg_size 64
		.amdhsa_user_sgpr_count 2
		.amdhsa_user_sgpr_dispatch_ptr 0
		.amdhsa_user_sgpr_queue_ptr 0
		.amdhsa_user_sgpr_kernarg_segment_ptr 1
		.amdhsa_user_sgpr_dispatch_id 0
		.amdhsa_user_sgpr_kernarg_preload_length 0
		.amdhsa_user_sgpr_kernarg_preload_offset 0
		.amdhsa_user_sgpr_private_segment_size 0
		.amdhsa_uses_dynamic_stack 0
		.amdhsa_enable_private_segment 0
		.amdhsa_system_sgpr_workgroup_id_x 1
		.amdhsa_system_sgpr_workgroup_id_y 0
		.amdhsa_system_sgpr_workgroup_id_z 0
		.amdhsa_system_sgpr_workgroup_info 0
		.amdhsa_system_vgpr_workitem_id 0
		.amdhsa_next_free_vgpr 81
		.amdhsa_next_free_sgpr 71
		.amdhsa_accum_offset 84
		.amdhsa_reserve_vcc 1
		.amdhsa_float_round_mode_32 0
		.amdhsa_float_round_mode_16_64 0
		.amdhsa_float_denorm_mode_32 3
		.amdhsa_float_denorm_mode_16_64 3
		.amdhsa_dx10_clamp 1
		.amdhsa_ieee_mode 1
		.amdhsa_fp16_overflow 0
		.amdhsa_tg_split 0
		.amdhsa_exception_fp_ieee_invalid_op 0
		.amdhsa_exception_fp_denorm_src 0
		.amdhsa_exception_fp_ieee_div_zero 0
		.amdhsa_exception_fp_ieee_overflow 0
		.amdhsa_exception_fp_ieee_underflow 0
		.amdhsa_exception_fp_ieee_inexact 0
		.amdhsa_exception_int_div_zero 0
	.end_amdhsa_kernel
	.section	.text._Z19_skinny_gemm_kernelILi1ELi6ELi2ELi16ELi8EEvPKhS1_P6__halfPKfiiiiiiii,"axG",@progbits,_Z19_skinny_gemm_kernelILi1ELi6ELi2ELi16ELi8EEvPKhS1_P6__halfPKfiiiiiiii,comdat
.Lfunc_end137:
	.size	_Z19_skinny_gemm_kernelILi1ELi6ELi2ELi16ELi8EEvPKhS1_P6__halfPKfiiiiiiii, .Lfunc_end137-_Z19_skinny_gemm_kernelILi1ELi6ELi2ELi16ELi8EEvPKhS1_P6__halfPKfiiiiiiii
                                        ; -- End function
	.set _Z19_skinny_gemm_kernelILi1ELi6ELi2ELi16ELi8EEvPKhS1_P6__halfPKfiiiiiiii.num_vgpr, 81
	.set _Z19_skinny_gemm_kernelILi1ELi6ELi2ELi16ELi8EEvPKhS1_P6__halfPKfiiiiiiii.num_agpr, 0
	.set _Z19_skinny_gemm_kernelILi1ELi6ELi2ELi16ELi8EEvPKhS1_P6__halfPKfiiiiiiii.numbered_sgpr, 71
	.set _Z19_skinny_gemm_kernelILi1ELi6ELi2ELi16ELi8EEvPKhS1_P6__halfPKfiiiiiiii.num_named_barrier, 0
	.set _Z19_skinny_gemm_kernelILi1ELi6ELi2ELi16ELi8EEvPKhS1_P6__halfPKfiiiiiiii.private_seg_size, 0
	.set _Z19_skinny_gemm_kernelILi1ELi6ELi2ELi16ELi8EEvPKhS1_P6__halfPKfiiiiiiii.uses_vcc, 1
	.set _Z19_skinny_gemm_kernelILi1ELi6ELi2ELi16ELi8EEvPKhS1_P6__halfPKfiiiiiiii.uses_flat_scratch, 0
	.set _Z19_skinny_gemm_kernelILi1ELi6ELi2ELi16ELi8EEvPKhS1_P6__halfPKfiiiiiiii.has_dyn_sized_stack, 0
	.set _Z19_skinny_gemm_kernelILi1ELi6ELi2ELi16ELi8EEvPKhS1_P6__halfPKfiiiiiiii.has_recursion, 0
	.set _Z19_skinny_gemm_kernelILi1ELi6ELi2ELi16ELi8EEvPKhS1_P6__halfPKfiiiiiiii.has_indirect_call, 0
	.section	.AMDGPU.csdata,"",@progbits
; Kernel info:
; codeLenInByte = 5868
; TotalNumSgprs: 77
; NumVgprs: 81
; NumAgprs: 0
; TotalNumVgprs: 81
; ScratchSize: 0
; MemoryBound: 0
; FloatMode: 240
; IeeeMode: 1
; LDSByteSize: 57400 bytes/workgroup (compile time only)
; SGPRBlocks: 9
; VGPRBlocks: 10
; NumSGPRsForWavesPerEU: 77
; NumVGPRsForWavesPerEU: 81
; AccumOffset: 84
; Occupancy: 5
; WaveLimiterHint : 0
; COMPUTE_PGM_RSRC2:SCRATCH_EN: 0
; COMPUTE_PGM_RSRC2:USER_SGPR: 2
; COMPUTE_PGM_RSRC2:TRAP_HANDLER: 0
; COMPUTE_PGM_RSRC2:TGID_X_EN: 1
; COMPUTE_PGM_RSRC2:TGID_Y_EN: 0
; COMPUTE_PGM_RSRC2:TGID_Z_EN: 0
; COMPUTE_PGM_RSRC2:TIDIG_COMP_CNT: 0
; COMPUTE_PGM_RSRC3_GFX90A:ACCUM_OFFSET: 20
; COMPUTE_PGM_RSRC3_GFX90A:TG_SPLIT: 0
	.section	.text._Z19_skinny_gemm_kernelILi1ELi6ELi2ELi32ELi4EEvPKhS1_P6__halfPKfiiiiiiii,"axG",@progbits,_Z19_skinny_gemm_kernelILi1ELi6ELi2ELi32ELi4EEvPKhS1_P6__halfPKfiiiiiiii,comdat
	.protected	_Z19_skinny_gemm_kernelILi1ELi6ELi2ELi32ELi4EEvPKhS1_P6__halfPKfiiiiiiii ; -- Begin function _Z19_skinny_gemm_kernelILi1ELi6ELi2ELi32ELi4EEvPKhS1_P6__halfPKfiiiiiiii
	.globl	_Z19_skinny_gemm_kernelILi1ELi6ELi2ELi32ELi4EEvPKhS1_P6__halfPKfiiiiiiii
	.p2align	8
	.type	_Z19_skinny_gemm_kernelILi1ELi6ELi2ELi32ELi4EEvPKhS1_P6__halfPKfiiiiiiii,@function
_Z19_skinny_gemm_kernelILi1ELi6ELi2ELi32ELi4EEvPKhS1_P6__halfPKfiiiiiiii: ; @_Z19_skinny_gemm_kernelILi1ELi6ELi2ELi32ELi4EEvPKhS1_P6__halfPKfiiiiiiii
; %bb.0:
	v_cmp_gt_u32_e32 vcc, 14, v0
	s_and_saveexec_b64 s[4:5], vcc
; %bb.1:
	v_lshlrev_b32_e32 v1, 2, v0
	v_mov_b32_e32 v2, 0
	ds_write_b32 v1, v2 offset:28672
; %bb.2:
	s_or_b64 exec, exec, s[4:5]
	s_load_dwordx8 s[88:95], s[0:1], 0x20
	s_waitcnt lgkmcnt(0)
	s_barrier
	s_add_i32 s3, s88, 31
	s_ashr_i32 s5, s3, 31
	s_add_i32 s4, s89, 0xbf
	s_lshr_b32 s5, s5, 27
	s_mul_hi_i32 s4, s4, 0x2aaaaaab
	s_add_i32 s3, s3, s5
	s_ashr_i32 s11, s3, 5
	s_lshr_b32 s3, s4, 31
	s_ashr_i32 s4, s4, 5
	s_add_i32 s12, s4, s3
	s_mul_i32 s3, s12, s11
	s_mul_i32 s3, s3, s92
	s_add_i32 s4, s3, 0x12f
	s_mul_hi_i32 s4, s4, 0x6bca1af3
	s_lshr_b32 s5, s4, 31
	s_ashr_i32 s4, s4, 7
	s_add_i32 s4, s4, s5
	s_add_i32 s5, s2, 1
	s_mul_i32 s5, s4, s5
	v_cvt_f64_i32_e32 v[2:3], s3
	v_cvt_f64_u32_e32 v[4:5], s5
	v_min_f64 v[2:3], v[2:3], v[4:5]
	v_cvt_i32_f64_e32 v13, v[2:3]
	s_mul_i32 s33, s4, s2
	v_cmp_ge_i32_e32 vcc, s33, v13
	s_cbranch_vccnz .LBB138_58
; %bb.3:
	s_load_dwordx8 s[52:59], s[0:1], 0x0
	v_lshrrev_b32_e32 v1, 6, v0
	s_add_i32 s0, s94, s93
	v_cmp_le_i32_e64 s[14:15], s0, v1
	v_mov_b32_e32 v2, s93
	v_cmp_le_i32_e64 s[24:25], s93, v1
	v_mov_b32_e32 v3, s94
	v_cndmask_b32_e64 v3, 0, v3, s[14:15]
	v_cndmask_b32_e64 v2, 0, v2, s[24:25]
	s_abs_i32 s1, s92
	v_add_u32_e32 v2, v2, v3
	v_cvt_f32_u32_e32 v3, s1
	v_sub_u32_e32 v104, v1, v2
	s_ashr_i32 s2, s90, 31
	s_lshr_b32 s2, s2, 26
	v_rcp_iflag_f32_e32 v2, v3
	s_sub_i32 s5, 0, s1
	s_add_i32 s2, s90, s2
	s_ashr_i32 s2, s2, 6
	v_mul_f32_e32 v2, 0x4f7ffffe, v2
	v_cvt_u32_f32_e32 v2, v2
	s_abs_i32 s4, s2
	s_xor_b32 s3, s2, s92
	s_ashr_i32 s3, s3, 31
	v_readfirstlane_b32 s6, v2
	s_mul_i32 s5, s5, s6
	s_mul_hi_u32 s5, s6, s5
	s_add_i32 s6, s6, s5
	s_mul_hi_u32 s5, s4, s6
	s_mul_i32 s6, s5, s1
	s_sub_i32 s4, s4, s6
	s_add_i32 s6, s5, 1
	s_sub_i32 s7, s4, s1
	s_cmp_ge_u32 s4, s1
	s_cselect_b32 s5, s6, s5
	s_cselect_b32 s4, s7, s4
	s_add_i32 s6, s5, 1
	s_cmp_ge_u32 s4, s1
	s_cselect_b32 s1, s6, s5
	s_add_i32 s0, s0, s95
	v_and_b32_e32 v120, 31, v0
	v_lshrrev_b32_e32 v2, 3, v0
	v_cmp_gt_i32_e64 s[28:29], s0, v1
	v_lshlrev_b32_e32 v1, 2, v120
	v_and_b32_e32 v3, 4, v2
	v_lshlrev_b32_e32 v2, 6, v3
	v_or_b32_e32 v4, 0x6000, v1
	v_and_b32_e32 v5, 1, v0
	v_or_b32_e32 v115, v4, v2
	v_or_b32_e32 v116, v1, v2
	v_lshlrev_b32_e32 v2, 1, v5
	v_sub_u32_e32 v2, v0, v2
	v_mul_lo_u32 v8, s91, v120
	v_add_u32_e32 v2, 1, v2
	v_ashrrev_i32_e32 v9, 31, v8
	s_abs_i32 s30, s11
                                        ; implicit-def: $vgpr127 : SGPR spill to VGPR lane
	v_and_b32_e32 v6, 63, v2
	v_bitop3_b32 v2, v0, 1, v0 bitop3:0xc
	scratch_store_dwordx2 off, v[8:9], off offset:92 ; 8-byte Folded Spill
	v_cvt_f32_u32_e32 v8, s30
	v_writelane_b32 v127, s11, 0
	scratch_store_dword off, v2, off offset:52 ; 4-byte Folded Spill
	v_bitop3_b32 v2, v0, 3, 1 bitop3:0x6c
	v_lshrrev_b32_e32 v7, 1, v0
	v_writelane_b32 v127, s12, 1
	scratch_store_dword off, v2, off offset:56 ; 4-byte Folded Spill
	v_bitop3_b32 v2, v0, 5, 1 bitop3:0x6c
	v_and_b32_e32 v14, 16, v7
	v_lshlrev_b32_e32 v7, 4, v0
	s_waitcnt lgkmcnt(0)
	v_writelane_b32 v127, s52, 2
	scratch_store_dword off, v2, off offset:60 ; 4-byte Folded Spill
	v_bitop3_b32 v2, v0, 7, 1 bitop3:0x6c
	v_and_b32_e32 v7, 0x200, v7
	v_writelane_b32 v127, s53, 3
	scratch_store_dword off, v2, off offset:64 ; 4-byte Folded Spill
	v_bitop3_b32 v2, v0, 9, 1 bitop3:0x6c
	v_or_b32_e32 v16, v1, v7
	v_rcp_iflag_f32_e32 v1, v8
	v_writelane_b32 v127, s54, 4
	scratch_store_dword off, v2, off offset:68 ; 4-byte Folded Spill
	v_bitop3_b32 v2, v0, 11, 1 bitop3:0x6c
	v_writelane_b32 v127, s55, 5
	scratch_store_dword off, v2, off offset:72 ; 4-byte Folded Spill
	v_bitop3_b32 v2, v0, 13, 1 bitop3:0x6c
	;; [unrolled: 3-line block ×3, first 2 shown]
	s_abs_i32 s34, s12
	v_writelane_b32 v127, s57, 7
	scratch_store_dword off, v2, off offset:80 ; 4-byte Folded Spill
	v_and_b32_e32 v2, 30, v0
	v_bitop3_b32 v17, v0, 31, v0 bitop3:0xc
	v_mul_f32_e32 v0, 0x4f7ffffe, v1
	v_cvt_f32_u32_e32 v1, s34
	v_writelane_b32 v127, s58, 8
	v_writelane_b32 v127, s59, 9
	v_cndmask_b32_e64 v111, 0, 1, s[14:15]
	v_writelane_b32 v127, s14, 10
	s_xor_b32 s1, s1, s3
	v_cvt_u32_f32_e32 v0, v0
	v_writelane_b32 v127, s15, 11
	v_rcp_iflag_f32_e32 v1, v1
	v_writelane_b32 v127, s24, 12
	s_sub_i32 s13, s1, s3
	s_add_i32 s26, s92, -1
	v_writelane_b32 v127, s25, 13
	s_mul_i32 s1, s13, s26
	v_writelane_b32 v127, s13, 14
	s_sub_i32 s27, s2, s1
	v_writelane_b32 v127, s26, 15
	v_readfirstlane_b32 s1, v0
	v_mul_f32_e32 v0, 0x4f7ffffe, v1
	v_writelane_b32 v127, s27, 16
	v_cvt_u32_f32_e32 v0, v0
	v_writelane_b32 v127, s28, 17
	s_sub_i32 s0, 0, s30
	s_lshl_b32 s31, s91, 5
	v_writelane_b32 v127, s29, 18
	s_mul_i32 s0, s0, s1
	v_writelane_b32 v127, s30, 19
	s_mul_hi_u32 s0, s1, s0
	v_writelane_b32 v127, s31, 20
	s_ashr_i32 s35, s11, 31
	s_add_i32 s36, s1, s0
	s_sub_i32 s0, 0, s34
	v_readfirstlane_b32 s1, v0
	v_writelane_b32 v127, s34, 21
	s_mul_i32 s0, s0, s1
	v_mbcnt_lo_u32_b32 v0, -1, 0
	v_writelane_b32 v127, s35, 22
	s_ashr_i32 s37, s12, 31
	s_mul_hi_u32 s0, s1, s0
	v_mbcnt_hi_u32_b32 v0, -1, v0
	v_writelane_b32 v127, s36, 23
	v_mov_b32_e32 v123, 0
	s_add_i32 s38, s1, s0
	v_and_or_b32 v0, v0, 64, v6
	v_writelane_b32 v127, s37, 24
	v_mov_b32_e32 v15, v123
	v_or_b32_e32 v125, v4, v7
	v_lshlrev_b32_e32 v122, 1, v2
	v_lshlrev_b32_e32 v118, 2, v0
	v_mov_b32_e32 v101, v104
	v_writelane_b32 v127, s38, 25
	v_or_b32_e32 v100, v5, v3
	scratch_store_dword off, v13, off offset:36 ; 4-byte Folded Spill
	scratch_store_dword off, v120, off offset:40 ; 4-byte Folded Spill
	;; [unrolled: 1-line block ×4, first 2 shown]
	scratch_store_dwordx2 off, v[14:15], off offset:84 ; 8-byte Folded Spill
	scratch_store_dword off, v16, off offset:100 ; 4-byte Folded Spill
	scratch_store_dword off, v17, off offset:104 ; 4-byte Folded Spill
	scratch_store_dword off, v100, off offset:108 ; 4-byte Folded Spill
	s_branch .LBB138_7
.LBB138_4:                              ;   in Loop: Header=BB138_7 Depth=1
	s_or_b64 exec, exec, s[4:5]
.LBB138_5:                              ;   in Loop: Header=BB138_7 Depth=1
	s_or_b64 exec, exec, s[2:3]
	v_subrev_u32_e32 v101, s92, v101
.LBB138_6:                              ;   in Loop: Header=BB138_7 Depth=1
	s_or_b64 exec, exec, s[0:1]
	s_add_i32 s33, s33, 1
	s_waitcnt vmcnt(4)
	v_cmp_ge_i32_e32 vcc, s33, v13
	s_cbranch_vccnz .LBB138_58
.LBB138_7:                              ; =>This Loop Header: Depth=1
                                        ;     Child Loop BB138_13 Depth 2
                                        ;       Child Loop BB138_15 Depth 3
                                        ;       Child Loop BB138_18 Depth 3
	;; [unrolled: 1-line block ×7, first 2 shown]
                                        ;     Child Loop BB138_37 Depth 2
                                        ;     Child Loop BB138_45 Depth 2
                                        ;       Child Loop BB138_47 Depth 3
                                        ;     Child Loop BB138_55 Depth 2
                                        ;       Child Loop BB138_57 Depth 3
	s_abs_i32 s1, s33
	s_mul_hi_u32 s2, s1, s36
	s_mul_i32 s3, s2, s30
	s_ashr_i32 s0, s33, 31
	s_sub_i32 s1, s1, s3
	s_xor_b32 s0, s0, s35
	s_add_i32 s3, s2, 1
	s_sub_i32 s4, s1, s30
	s_cmp_ge_u32 s1, s30
	s_cselect_b32 s2, s3, s2
	s_cselect_b32 s1, s4, s1
	s_add_i32 s3, s2, 1
	s_cmp_ge_u32 s1, s30
	s_cselect_b32 s1, s3, s2
	s_xor_b32 s1, s1, s0
	s_sub_i32 s0, s1, s0
	s_abs_i32 s2, s0
	s_mul_i32 s1, s0, s11
	s_mul_hi_u32 s3, s2, s38
	s_sub_i32 s1, s33, s1
	s_mul_i32 s4, s3, s34
	s_lshl_b32 s39, s1, 5
	s_ashr_i32 s1, s0, 31
	s_sub_i32 s2, s2, s4
	s_xor_b32 s1, s1, s37
	s_add_i32 s4, s3, 1
	s_sub_i32 s5, s2, s34
	s_cmp_ge_u32 s2, s34
	s_cselect_b32 s3, s4, s3
	s_cselect_b32 s2, s5, s2
	s_add_i32 s4, s3, 1
	s_cmp_ge_u32 s2, s34
	s_cselect_b32 s2, s4, s3
	s_xor_b32 s2, s2, s1
	s_sub_i32 s1, s2, s1
	s_mul_i32 s2, s1, s13
	s_lshl_b32 s41, s2, 6
	s_cmp_eq_u32 s1, s26
	s_cselect_b32 s92, s27, s13
	s_sub_i32 s2, s39, s88
	s_add_i32 s40, s2, 32
	s_and_saveexec_b64 s[2:3], s[24:25]
	s_xor_b64 s[42:43], exec, s[2:3]
	s_cbranch_execz .LBB138_51
; %bb.8:                                ;   in Loop: Header=BB138_7 Depth=1
	s_mul_i32 s1, s1, s12
	s_sub_i32 s0, s0, s1
	s_mulk_i32 s0, 0xc0
	s_sub_i32 s8, s0, s89
	s_addk_i32 s8, 0xc0
	s_max_i32 s1, s8, 0
	s_sub_i32 s44, s0, s1
	s_and_saveexec_b64 s[0:1], s[14:15]
	s_xor_b64 s[46:47], exec, s[0:1]
	s_cbranch_execz .LBB138_41
; %bb.9:                                ;   in Loop: Header=BB138_7 Depth=1
	s_and_saveexec_b64 s[48:49], s[28:29]
	s_cbranch_execz .LBB138_40
; %bb.10:                               ;   in Loop: Header=BB138_7 Depth=1
	global_load_dword v124, v123, s[58:59]
	v_mov_b32_e32 v95, 0
	v_cmp_gt_i32_e32 vcc, s92, v101
	v_mov_b32_e32 v94, v95
	v_mov_b32_e32 v93, v95
	;; [unrolled: 1-line block ×77, first 2 shown]
	s_waitcnt vmcnt(1)
	v_mov_b32_e32 v17, v95
	v_mov_b32_e32 v16, v95
	;; [unrolled: 1-line block ×18, first 2 shown]
	s_and_saveexec_b64 s[0:1], vcc
	s_cbranch_execz .LBB138_35
; %bb.11:                               ;   in Loop: Header=BB138_7 Depth=1
	v_mov_b32_e32 v0, 0
	s_mov_b64 s[2:3], 0
	v_mov_b32_e32 v1, v0
	v_mov_b32_e32 v2, v0
	;; [unrolled: 1-line block ×95, first 2 shown]
	s_branch .LBB138_13
.LBB138_12:                             ;   in Loop: Header=BB138_13 Depth=2
	s_or_b64 exec, exec, s[4:5]
	v_add_u32_e32 v110, 0x2800, v99
	ds_read2_b32 v[112:113], v110 offset1:32
	v_add_u32_e32 v99, 0x2c00, v99
	v_add_u32_e32 v101, s95, v101
	s_waitcnt lgkmcnt(0)
	v_mfma_f32_32x32x16_fp8_fp8 v[0:15], v[108:109], v[112:113], v[0:15]
	ds_read2_b32 v[108:109], v110 offset0:128 offset1:160
	s_waitcnt lgkmcnt(0)
	v_mfma_f32_32x32x16_fp8_fp8 v[0:15], v[106:107], v[108:109], v[0:15]
	ds_read2_b32 v[106:107], v99 offset1:32
	ds_read2_b32 v[108:109], v99 offset0:128 offset1:160
	ds_write_b32 v97, v98 offset:28716
	s_waitcnt lgkmcnt(2)
	v_mfma_f32_32x32x16_fp8_fp8 v[0:15], v[104:105], v[106:107], v[0:15]
	v_add_u32_e32 v104, s95, v96
	v_add_u32_e32 v96, 2, v111
	v_cmp_lt_i32_e32 vcc, 1, v104
	s_nop 1
	v_cndmask_b32_e32 v111, v111, v96, vcc
	v_cmp_le_i32_e32 vcc, s92, v101
	s_waitcnt lgkmcnt(1)
	v_mfma_f32_32x32x16_fp8_fp8 v[0:15], v[102:103], v[108:109], v[0:15]
	s_or_b64 s[2:3], vcc, s[2:3]
	s_andn2_b64 exec, exec, s[2:3]
	s_cbranch_execz .LBB138_34
.LBB138_13:                             ;   Parent Loop BB138_7 Depth=1
                                        ; =>  This Loop Header: Depth=2
                                        ;       Child Loop BB138_15 Depth 3
                                        ;       Child Loop BB138_18 Depth 3
	;; [unrolled: 1-line block ×7, first 2 shown]
	v_cmp_gt_i32_e32 vcc, 2, v104
	s_nop 1
	v_cndmask_b32_e64 v96, -2, 0, vcc
	v_add_u32_e32 v96, v96, v104
	v_mul_lo_u32 v97, v96, 48
	ds_read_b32 v98, v97 offset:28672
	s_waitcnt lgkmcnt(0)
	v_cmp_ne_u32_e32 vcc, v98, v111
	s_and_saveexec_b64 s[4:5], vcc
	s_cbranch_execz .LBB138_16
; %bb.14:                               ;   in Loop: Header=BB138_13 Depth=2
	s_mov_b64 s[6:7], 0
.LBB138_15:                             ;   Parent Loop BB138_7 Depth=1
                                        ;     Parent Loop BB138_13 Depth=2
                                        ; =>    This Inner Loop Header: Depth=3
	;;#ASMSTART
	s_sleep 0
	;;#ASMEND
	ds_read_b32 v98, v97 offset:28672
	s_waitcnt lgkmcnt(0)
	v_cmp_eq_u32_e32 vcc, v98, v111
	s_or_b64 s[6:7], vcc, s[6:7]
	s_andn2_b64 exec, exec, s[6:7]
	s_cbranch_execnz .LBB138_15
.LBB138_16:                             ;   in Loop: Header=BB138_13 Depth=2
	s_or_b64 exec, exec, s[4:5]
	v_lshl_add_u32 v98, v96, 11, v115
	ds_read2_b32 v[108:109], v98 offset1:32
	ds_read2_b32 v[106:107], v98 offset0:128 offset1:160
	v_add_u32_e32 v98, 0x400, v98
	ds_read2_b32 v[104:105], v98 offset1:32
	ds_read_b32 v99, v97 offset:28676
	ds_read2_b32 v[102:103], v98 offset0:128 offset1:160
	v_add_u32_e32 v98, 1, v111
	ds_write_b32 v97, v98 offset:28672
	s_waitcnt lgkmcnt(2)
	v_cmp_ne_u32_e32 vcc, v99, v111
	s_and_saveexec_b64 s[4:5], vcc
	s_cbranch_execz .LBB138_19
; %bb.17:                               ;   in Loop: Header=BB138_13 Depth=2
	s_mov_b64 s[6:7], 0
.LBB138_18:                             ;   Parent Loop BB138_7 Depth=1
                                        ;     Parent Loop BB138_13 Depth=2
                                        ; =>    This Inner Loop Header: Depth=3
	;;#ASMSTART
	s_sleep 0
	;;#ASMEND
	ds_read_b32 v99, v97 offset:28676
	s_waitcnt lgkmcnt(0)
	v_cmp_eq_u32_e32 vcc, v99, v111
	s_or_b64 s[6:7], vcc, s[6:7]
	s_andn2_b64 exec, exec, s[6:7]
	s_cbranch_execnz .LBB138_18
.LBB138_19:                             ;   in Loop: Header=BB138_13 Depth=2
	s_or_b64 exec, exec, s[4:5]
	s_movk_i32 s4, 0x3000
	v_mul_lo_u32 v99, v96, s4
	v_or_b32_e32 v110, v116, v99
	ds_read2_b32 v[112:113], v110 offset1:32
	ds_write_b32 v97, v98 offset:28676
	s_waitcnt lgkmcnt(1)
	v_mfma_f32_32x32x16_fp8_fp8 v[80:95], v[108:109], v[112:113], v[80:95]
	ds_read2_b32 v[112:113], v110 offset0:128 offset1:160
	v_add_u32_e32 v110, 0x400, v110
	s_waitcnt lgkmcnt(0)
	v_mfma_f32_32x32x16_fp8_fp8 v[80:95], v[106:107], v[112:113], v[80:95]
	ds_read2_b32 v[112:113], v110 offset1:32
	s_waitcnt lgkmcnt(0)
	v_mfma_f32_32x32x16_fp8_fp8 v[80:95], v[104:105], v[112:113], v[80:95]
	ds_read2_b32 v[112:113], v110 offset0:128 offset1:160
	ds_read_b32 v110, v97 offset:28684
	s_waitcnt lgkmcnt(0)
	v_cmp_ne_u32_e32 vcc, v110, v111
	v_mfma_f32_32x32x16_fp8_fp8 v[80:95], v[102:103], v[112:113], v[80:95]
	s_and_saveexec_b64 s[4:5], vcc
	s_cbranch_execz .LBB138_22
; %bb.20:                               ;   in Loop: Header=BB138_13 Depth=2
	s_mov_b64 s[6:7], 0
.LBB138_21:                             ;   Parent Loop BB138_7 Depth=1
                                        ;     Parent Loop BB138_13 Depth=2
                                        ; =>    This Inner Loop Header: Depth=3
	;;#ASMSTART
	s_sleep 0
	;;#ASMEND
	ds_read_b32 v110, v97 offset:28684
	s_waitcnt lgkmcnt(0)
	v_cmp_eq_u32_e32 vcc, v110, v111
	s_or_b64 s[6:7], vcc, s[6:7]
	s_andn2_b64 exec, exec, s[6:7]
	s_cbranch_execnz .LBB138_21
.LBB138_22:                             ;   in Loop: Header=BB138_13 Depth=2
	s_or_b64 exec, exec, s[4:5]
	v_add_u32_e32 v99, v116, v99
	v_add_u32_e32 v110, 0x800, v99
	ds_read2_b32 v[112:113], v110 offset1:32
	ds_write_b32 v97, v98 offset:28684
	s_waitcnt lgkmcnt(1)
	v_mfma_f32_32x32x16_fp8_fp8 v[64:79], v[108:109], v[112:113], v[64:79]
	ds_read2_b32 v[112:113], v110 offset0:128 offset1:160
	v_add_u32_e32 v110, 0xc00, v99
	s_waitcnt lgkmcnt(0)
	v_mfma_f32_32x32x16_fp8_fp8 v[64:79], v[106:107], v[112:113], v[64:79]
	ds_read2_b32 v[112:113], v110 offset1:32
	s_waitcnt lgkmcnt(0)
	v_mfma_f32_32x32x16_fp8_fp8 v[64:79], v[104:105], v[112:113], v[64:79]
	ds_read2_b32 v[112:113], v110 offset0:128 offset1:160
	ds_read_b32 v110, v97 offset:28692
	s_waitcnt lgkmcnt(0)
	v_cmp_ne_u32_e32 vcc, v110, v111
	v_mfma_f32_32x32x16_fp8_fp8 v[64:79], v[102:103], v[112:113], v[64:79]
	s_and_saveexec_b64 s[4:5], vcc
	s_cbranch_execz .LBB138_25
; %bb.23:                               ;   in Loop: Header=BB138_13 Depth=2
	s_mov_b64 s[6:7], 0
.LBB138_24:                             ;   Parent Loop BB138_7 Depth=1
                                        ;     Parent Loop BB138_13 Depth=2
                                        ; =>    This Inner Loop Header: Depth=3
	;;#ASMSTART
	s_sleep 0
	;;#ASMEND
	ds_read_b32 v110, v97 offset:28692
	s_waitcnt lgkmcnt(0)
	v_cmp_eq_u32_e32 vcc, v110, v111
	s_or_b64 s[6:7], vcc, s[6:7]
	s_andn2_b64 exec, exec, s[6:7]
	s_cbranch_execnz .LBB138_24
.LBB138_25:                             ;   in Loop: Header=BB138_13 Depth=2
	s_or_b64 exec, exec, s[4:5]
	v_add_u32_e32 v110, 0x1000, v99
	ds_read2_b32 v[112:113], v110 offset1:32
	s_waitcnt lgkmcnt(0)
	v_mfma_f32_32x32x16_fp8_fp8 v[48:63], v[108:109], v[112:113], v[48:63]
	ds_read2_b32 v[112:113], v110 offset0:128 offset1:160
	v_add_u32_e32 v110, 0x1400, v99
	s_waitcnt lgkmcnt(0)
	v_mfma_f32_32x32x16_fp8_fp8 v[48:63], v[106:107], v[112:113], v[48:63]
	ds_read2_b32 v[112:113], v110 offset1:32
	s_waitcnt lgkmcnt(0)
	v_mfma_f32_32x32x16_fp8_fp8 v[48:63], v[104:105], v[112:113], v[48:63]
	ds_read_b32 v114, v97 offset:28700
	ds_read2_b32 v[112:113], v110 offset0:128 offset1:160
	ds_write_b32 v97, v98 offset:28692
	s_waitcnt lgkmcnt(2)
	v_cmp_ne_u32_e32 vcc, v114, v111
	s_waitcnt lgkmcnt(1)
	v_mfma_f32_32x32x16_fp8_fp8 v[48:63], v[102:103], v[112:113], v[48:63]
	s_and_saveexec_b64 s[4:5], vcc
	s_cbranch_execz .LBB138_28
; %bb.26:                               ;   in Loop: Header=BB138_13 Depth=2
	s_mov_b64 s[6:7], 0
.LBB138_27:                             ;   Parent Loop BB138_7 Depth=1
                                        ;     Parent Loop BB138_13 Depth=2
                                        ; =>    This Inner Loop Header: Depth=3
	;;#ASMSTART
	s_sleep 0
	;;#ASMEND
	ds_read_b32 v110, v97 offset:28700
	s_waitcnt lgkmcnt(0)
	v_cmp_eq_u32_e32 vcc, v110, v111
	s_or_b64 s[6:7], vcc, s[6:7]
	s_andn2_b64 exec, exec, s[6:7]
	s_cbranch_execnz .LBB138_27
.LBB138_28:                             ;   in Loop: Header=BB138_13 Depth=2
	s_or_b64 exec, exec, s[4:5]
	v_add_u32_e32 v110, 0x1800, v99
	ds_read2_b32 v[112:113], v110 offset1:32
	s_waitcnt lgkmcnt(0)
	v_mfma_f32_32x32x16_fp8_fp8 v[32:47], v[108:109], v[112:113], v[32:47]
	ds_read2_b32 v[112:113], v110 offset0:128 offset1:160
	v_add_u32_e32 v110, 0x1c00, v99
	s_waitcnt lgkmcnt(0)
	v_mfma_f32_32x32x16_fp8_fp8 v[32:47], v[106:107], v[112:113], v[32:47]
	ds_read2_b32 v[112:113], v110 offset1:32
	s_waitcnt lgkmcnt(0)
	v_mfma_f32_32x32x16_fp8_fp8 v[32:47], v[104:105], v[112:113], v[32:47]
	ds_read_b32 v114, v97 offset:28708
	ds_read2_b32 v[112:113], v110 offset0:128 offset1:160
	ds_write_b32 v97, v98 offset:28700
	s_waitcnt lgkmcnt(2)
	v_cmp_ne_u32_e32 vcc, v114, v111
	s_waitcnt lgkmcnt(1)
	;; [unrolled: 36-line block ×3, first 2 shown]
	v_mfma_f32_32x32x16_fp8_fp8 v[16:31], v[102:103], v[112:113], v[16:31]
	s_and_saveexec_b64 s[4:5], vcc
	s_cbranch_execz .LBB138_12
; %bb.32:                               ;   in Loop: Header=BB138_13 Depth=2
	s_mov_b64 s[6:7], 0
.LBB138_33:                             ;   Parent Loop BB138_7 Depth=1
                                        ;     Parent Loop BB138_13 Depth=2
                                        ; =>    This Inner Loop Header: Depth=3
	;;#ASMSTART
	s_sleep 0
	;;#ASMEND
	ds_read_b32 v110, v97 offset:28716
	s_waitcnt lgkmcnt(0)
	v_cmp_eq_u32_e32 vcc, v110, v111
	s_or_b64 s[6:7], vcc, s[6:7]
	s_andn2_b64 exec, exec, s[6:7]
	s_cbranch_execnz .LBB138_33
	s_branch .LBB138_12
.LBB138_34:                             ;   in Loop: Header=BB138_7 Depth=1
	s_or_b64 exec, exec, s[2:3]
.LBB138_35:                             ;   in Loop: Header=BB138_7 Depth=1
	v_writelane_b32 v127, s48, 26
	s_nop 1
	v_writelane_b32 v127, s49, 27
	v_writelane_b32 v127, s46, 28
	s_nop 1
	v_writelane_b32 v127, s47, 29
	;; [unrolled: 3-line block ×4, first 2 shown]
	v_writelane_b32 v127, s41, 34
	v_writelane_b32 v127, s40, 35
	;; [unrolled: 1-line block ×3, first 2 shown]
	s_or_b64 exec, exec, s[0:1]
	scratch_load_dword v100, off, off offset:52 ; 4-byte Folded Reload
	scratch_load_dword v117, off, off offset:60 ; 4-byte Folded Reload
	v_cmp_le_i32_e32 vcc, s8, v120
	v_or_b32_e32 v102, 32, v120
	scratch_store_dwordx2 off, v[122:123], off ; 8-byte Folded Spill
	s_waitcnt vmcnt(3)
	v_cndmask_b32_e32 v96, 0, v124, vcc
	v_cmp_le_i32_e32 vcc, s8, v102
	v_pk_mul_f32 v[106:107], v[96:97], v[94:95] op_sel_hi:[0,1]
	v_pk_mul_f32 v[108:109], v[96:97], v[92:93] op_sel_hi:[0,1]
	;; [unrolled: 1-line block ×8, first 2 shown]
	v_cndmask_b32_e32 v96, 0, v124, vcc
	v_pk_mul_f32 v[78:79], v[96:97], v[78:79] op_sel_hi:[0,1]
	v_pk_mul_f32 v[76:77], v[96:97], v[76:77] op_sel_hi:[0,1]
	;; [unrolled: 1-line block ×8, first 2 shown]
	v_or_b32_e32 v96, 64, v120
	v_cmp_le_i32_e32 vcc, s8, v96
	v_or_b32_e32 v96, 0x60, v120
	v_subrev_u32_e32 v101, s92, v101
	v_cndmask_b32_e32 v66, 0, v124, vcc
	v_cmp_le_i32_e32 vcc, s8, v96
	v_or_b32_e32 v96, 0x80, v120
	v_pk_mul_f32 v[64:65], v[66:67], v[48:49] op_sel_hi:[0,1]
	v_cndmask_b32_e32 v48, 0, v124, vcc
	v_cmp_le_i32_e32 vcc, s8, v96
	v_or_b32_e32 v96, 0xa0, v120
	v_pk_mul_f32 v[46:47], v[48:49], v[46:47] op_sel_hi:[0,1]
	v_pk_mul_f32 v[44:45], v[48:49], v[44:45] op_sel_hi:[0,1]
	;; [unrolled: 1-line block ×8, first 2 shown]
	v_cndmask_b32_e32 v48, 0, v124, vcc
	v_cmp_le_i32_e32 vcc, s8, v96
	v_pk_mul_f32 v[30:31], v[48:49], v[30:31] op_sel_hi:[0,1]
	v_pk_mul_f32 v[28:29], v[48:49], v[28:29] op_sel_hi:[0,1]
	;; [unrolled: 1-line block ×8, first 2 shown]
	v_cndmask_b32_e32 v48, 0, v124, vcc
	v_pk_mul_f32 v[14:15], v[48:49], v[14:15] op_sel_hi:[0,1]
	v_pk_mul_f32 v[12:13], v[48:49], v[12:13] op_sel_hi:[0,1]
	;; [unrolled: 1-line block ×15, first 2 shown]
	s_waitcnt vmcnt(2)
	v_cmp_eq_u32_e64 s[6:7], 1, v100
	s_nop 1
	v_cndmask_b32_e64 v48, v80, v81, s[6:7]
	v_cmp_eq_u32_e64 s[38:39], 2, v100
	v_cmp_eq_u32_e32 vcc, 3, v100
	v_cmp_eq_u32_e64 s[0:1], 4, v100
	v_cndmask_b32_e64 v48, v48, v82, s[38:39]
	v_cndmask_b32_e32 v48, v48, v83, vcc
	v_cndmask_b32_e64 v48, v48, v84, s[0:1]
	v_cmp_eq_u32_e64 s[2:3], 5, v100
	v_cmp_eq_u32_e64 s[34:35], 6, v100
	v_cmp_eq_u32_e64 s[26:27], 7, v100
	v_cndmask_b32_e64 v48, v48, v85, s[2:3]
	v_cndmask_b32_e64 v48, v48, v86, s[34:35]
	v_cndmask_b32_e64 v48, v48, v87, s[26:27]
	v_cmp_eq_u32_e64 s[24:25], 8, v100
	v_cmp_eq_u32_e64 s[22:23], 9, v100
	v_cmp_eq_u32_e64 s[20:21], 10, v100
	v_cndmask_b32_e64 v48, v48, v88, s[24:25]
	v_cndmask_b32_e64 v48, v48, v89, s[22:23]
	;; [unrolled: 6-line block ×4, first 2 shown]
	ds_bpermute_b32 v48, v118, v48
	s_waitcnt vmcnt(1)
	v_cmp_eq_u32_e64 s[40:41], 1, v117
	s_waitcnt lgkmcnt(0)
	v_cndmask_b32_e64 v75, v86, v48, s[34:35]
	scratch_load_dword v86, off, off offset:56 ; 4-byte Folded Reload
	v_cndmask_b32_e64 v49, v107, v48, s[8:9]
	v_cndmask_b32_e64 v66, v106, v48, s[10:11]
	v_cndmask_b32_e64 v67, v109, v48, s[12:13]
	v_cndmask_b32_e64 v68, v108, v48, s[14:15]
	v_cndmask_b32_e64 v69, v91, v48, s[18:19]
	v_cndmask_b32_e64 v70, v90, v48, s[20:21]
	v_cndmask_b32_e64 v71, v89, v48, s[22:23]
	v_cndmask_b32_e64 v72, v88, v48, s[24:25]
	v_cndmask_b32_e64 v73, v87, v48, s[26:27]
	v_cndmask_b32_e64 v85, v85, v48, s[2:3]
	v_cndmask_b32_e64 v84, v84, v48, s[0:1]
	v_cndmask_b32_e32 v83, v83, v48, vcc
	v_cndmask_b32_e64 v82, v82, v48, s[38:39]
	v_cndmask_b32_e64 v81, v81, v48, s[6:7]
	;; [unrolled: 1-line block ×3, first 2 shown]
	s_waitcnt vmcnt(0)
	v_cmp_eq_u32_e64 s[4:5], 1, v86
	s_nop 1
	v_cndmask_b32_e64 v74, v48, v81, s[4:5]
	v_cmp_eq_u32_e64 s[28:29], 2, v86
	v_cmp_eq_u32_e64 s[30:31], 3, v86
	v_cmp_eq_u32_e64 s[36:37], 4, v86
	v_cndmask_b32_e64 v74, v74, v82, s[28:29]
	v_cndmask_b32_e64 v74, v74, v83, s[30:31]
	v_cndmask_b32_e64 v74, v74, v84, s[36:37]
	v_cmp_eq_u32_e64 s[44:45], 5, v86
	v_cmp_eq_u32_e64 s[48:49], 6, v86
	v_cmp_eq_u32_e64 s[52:53], 7, v86
	v_cndmask_b32_e64 v74, v74, v85, s[44:45]
	v_cndmask_b32_e64 v74, v74, v75, s[48:49]
	;; [unrolled: 6-line block ×5, first 2 shown]
	ds_bpermute_b32 v80, v118, v74
	s_waitcnt lgkmcnt(0)
	v_cndmask_b32_e64 v121, v49, v80, s[84:85]
	v_cndmask_b32_e64 v74, v72, v80, s[56:57]
	;; [unrolled: 1-line block ×8, first 2 shown]
	v_cndmask_b32_e32 v49, v49, v99, vcc
	v_cndmask_b32_e32 v75, v75, v51, vcc
	v_cndmask_b32_e64 v49, v49, v94, s[0:1]
	v_cndmask_b32_e64 v75, v75, v52, s[0:1]
	;; [unrolled: 1-line block ×34, first 2 shown]
	ds_bpermute_b32 v82, v118, v49
	v_cndmask_b32_e64 v49, v81, v80, s[4:5]
	v_cndmask_b32_e64 v48, v48, v80, s[16:17]
	ds_bpermute_b32 v80, v118, v75
	s_waitcnt lgkmcnt(1)
	v_cndmask_b32_e64 v106, v77, v82, s[12:13]
	v_cndmask_b32_e32 v75, v99, v82, vcc
	v_cndmask_b32_e64 v77, v93, v82, s[6:7]
	s_waitcnt lgkmcnt(0)
	v_cndmask_b32_e64 v96, v52, v80, s[0:1]
	v_cndmask_b32_e64 v52, v32, v33, s[6:7]
	;; [unrolled: 1-line block ×3, first 2 shown]
	v_cndmask_b32_e32 v52, v52, v35, vcc
	v_cndmask_b32_e64 v52, v52, v36, s[0:1]
	v_cndmask_b32_e64 v52, v52, v37, s[2:3]
	;; [unrolled: 1-line block ×12, first 2 shown]
	ds_bpermute_b32 v52, v118, v52
	v_cndmask_b32_e64 v99, v65, v80, s[6:7]
	v_cndmask_b32_e64 v79, v79, v82, s[8:9]
	;; [unrolled: 1-line block ×4, first 2 shown]
	s_waitcnt lgkmcnt(0)
	v_cndmask_b32_e64 v83, v33, v52, s[6:7]
	scratch_load_dword v33, off, off offset:64 ; 4-byte Folded Reload
	v_cndmask_b32_e64 v36, v36, v52, s[0:1]
	scratch_store_dword off, v36, off offset:12 ; 4-byte Folded Spill
	v_cndmask_b32_e64 v36, v16, v17, s[6:7]
	v_cndmask_b32_e64 v36, v36, v18, s[38:39]
	v_cndmask_b32_e32 v36, v36, v19, vcc
	v_cndmask_b32_e64 v36, v36, v20, s[0:1]
	v_cndmask_b32_e64 v36, v36, v21, s[2:3]
	;; [unrolled: 1-line block ×12, first 2 shown]
	ds_bpermute_b32 v36, v118, v36
	v_cndmask_b32_e64 v47, v47, v52, s[8:9]
	v_cndmask_b32_e64 v37, v37, v52, s[2:3]
	;; [unrolled: 1-line block ×4, first 2 shown]
	s_waitcnt lgkmcnt(0)
	v_cndmask_b32_e64 v17, v17, v36, s[6:7]
	scratch_store_dword off, v17, off offset:32 ; 4-byte Folded Spill
	v_cndmask_b32_e64 v17, v0, v1, s[6:7]
	v_cndmask_b32_e64 v17, v17, v2, s[38:39]
	v_cndmask_b32_e32 v17, v17, v3, vcc
	v_cndmask_b32_e64 v17, v17, v4, s[0:1]
	v_cndmask_b32_e64 v17, v17, v5, s[2:3]
	;; [unrolled: 1-line block ×12, first 2 shown]
	ds_bpermute_b32 v17, v118, v17
	v_cndmask_b32_e64 v85, v16, v36, s[42:43]
	v_cndmask_b32_e64 v16, v48, v49, s[40:41]
	v_cmp_eq_u32_e64 s[6:7], 2, v117
	v_cndmask_b32_e64 v31, v31, v36, s[8:9]
	s_waitcnt lgkmcnt(0)
	v_cndmask_b32_e64 v15, v15, v17, s[8:9]
	v_cndmask_b32_e64 v16, v16, v69, s[6:7]
	v_cmp_eq_u32_e64 s[8:9], 3, v117
	scratch_store_dword off, v37, off offset:8 ; 4-byte Folded Spill
	v_cndmask_b32_e64 v37, v30, v36, s[10:11]
	v_cndmask_b32_e64 v16, v16, v68, s[8:9]
	;; [unrolled: 1-line block ×3, first 2 shown]
	v_cmp_eq_u32_e64 s[10:11], 4, v117
	v_cndmask_b32_e64 v90, v61, v80, s[12:13]
	v_cndmask_b32_e64 v45, v45, v52, s[12:13]
	v_cndmask_b32_e64 v65, v38, v52, s[34:35]
	v_cndmask_b32_e64 v38, v29, v36, s[12:13]
	v_cndmask_b32_e64 v16, v16, v71, s[10:11]
	v_cndmask_b32_e64 v13, v13, v17, s[12:13]
	v_cmp_eq_u32_e64 s[12:13], 5, v117
	v_cndmask_b32_e64 v107, v76, v82, s[14:15]
	v_cndmask_b32_e64 v110, v113, v82, s[22:23]
	;; [unrolled: 1-line block ×10, first 2 shown]
	v_cmp_eq_u32_e64 s[14:15], 6, v117
	v_cndmask_b32_e64 v108, v103, v82, s[18:19]
	v_cndmask_b32_e64 v116, v94, v82, s[0:1]
	;; [unrolled: 1-line block ×9, first 2 shown]
	v_cmp_eq_u32_e64 s[18:19], 7, v117
	v_cndmask_b32_e64 v109, v102, v82, s[20:21]
	v_cndmask_b32_e64 v93, v58, v80, s[20:21]
	;; [unrolled: 1-line block ×6, first 2 shown]
	v_cmp_eq_u32_e64 s[20:21], 8, v117
	v_cndmask_b32_e64 v59, v41, v52, s[22:23]
	v_cndmask_b32_e64 v61, v25, v36, s[22:23]
	v_cndmask_b32_e64 v10, v16, v74, s[20:21]
	v_cndmask_b32_e64 v119, v9, v17, s[22:23]
	v_cmp_eq_u32_e64 s[22:23], 9, v117
	v_cndmask_b32_e64 v112, v112, v82, s[24:25]
	v_cndmask_b32_e64 v60, v40, v52, s[24:25]
	v_cndmask_b32_e64 v62, v24, v36, s[24:25]
	v_cndmask_b32_e64 v9, v10, v67, s[22:23]
	v_cndmask_b32_e64 v29, v8, v17, s[24:25]
	v_cmp_eq_u32_e64 s[24:25], 10, v117
	v_cndmask_b32_e64 v55, v55, v80, s[26:27]
	;; [unrolled: 6-line block ×3, first 2 shown]
	v_cndmask_b32_e64 v54, v54, v80, s[34:35]
	v_cndmask_b32_e64 v102, v64, v80, s[42:43]
	;; [unrolled: 1-line block ×5, first 2 shown]
	v_cmp_eq_u32_e64 s[34:35], 12, v117
	v_cndmask_b32_e64 v53, v53, v80, s[2:3]
	v_cndmask_b32_e64 v81, v21, v36, s[2:3]
	v_cndmask_b32_e64 v6, v7, v124, s[34:35]
	v_cndmask_b32_e64 v5, v5, v17, s[2:3]
	v_cmp_eq_u32_e64 s[2:3], 13, v117
	v_cndmask_b32_e64 v20, v20, v36, s[0:1]
	v_cndmask_b32_e64 v4, v4, v17, s[0:1]
	;; [unrolled: 1-line block ×3, first 2 shown]
	v_cmp_eq_u32_e64 s[0:1], 14, v117
	v_cndmask_b32_e32 v97, v51, v80, vcc
	v_cndmask_b32_e32 v35, v35, v52, vcc
	;; [unrolled: 1-line block ×3, first 2 shown]
	v_cndmask_b32_e64 v6, v6, v122, s[0:1]
	v_cndmask_b32_e32 v3, v3, v17, vcc
	v_cmp_eq_u32_e32 vcc, 15, v117
	v_cndmask_b32_e64 v76, v98, v82, s[38:39]
	v_cndmask_b32_e64 v98, v50, v80, s[38:39]
	v_cndmask_b32_e32 v6, v6, v121, vcc
	ds_bpermute_b32 v7, v118, v6
	v_cndmask_b32_e64 v84, v34, v52, s[38:39]
	v_cndmask_b32_e64 v18, v18, v36, s[38:39]
	;; [unrolled: 1-line block ×3, first 2 shown]
	v_cmp_ne_u32_e64 s[38:39], 0, v100
	v_cndmask_b32_e64 v82, v32, v52, s[42:43]
	s_waitcnt lgkmcnt(0)
	v_cndmask_b32_e64 v28, v49, v7, s[40:41]
	v_cndmask_b32_e64 v1, v1, v17, s[38:39]
	v_cmp_eq_u32_e64 s[38:39], 0, v117
	s_waitcnt vmcnt(3)
	v_cmp_eq_u32_e64 s[58:59], 1, v33
	v_cndmask_b32_e64 v27, v69, v7, s[6:7]
	v_writelane_b32 v127, s38, 37
	v_cndmask_b32_e64 v80, v0, v17, s[42:43]
	v_cndmask_b32_e64 v26, v68, v7, s[8:9]
	;; [unrolled: 1-line block ×3, first 2 shown]
	v_writelane_b32 v127, s39, 38
	v_cndmask_b32_e64 v0, v32, v28, s[58:59]
	v_cmp_eq_u32_e64 s[38:39], 2, v33
	v_cmp_eq_u32_e64 s[46:47], 3, v33
	v_cndmask_b32_e64 v25, v71, v7, s[10:11]
	v_cndmask_b32_e64 v0, v0, v27, s[38:39]
	;; [unrolled: 1-line block ×3, first 2 shown]
	v_cmp_eq_u32_e64 s[50:51], 4, v33
	v_cndmask_b32_e64 v24, v70, v7, s[12:13]
	v_cmp_eq_u32_e64 s[54:55], 5, v33
	v_cndmask_b32_e64 v0, v0, v25, s[50:51]
	v_cndmask_b32_e64 v23, v73, v7, s[14:15]
	;; [unrolled: 1-line block ×3, first 2 shown]
	v_cmp_eq_u32_e64 s[62:63], 6, v33
	v_cndmask_b32_e64 v22, v72, v7, s[18:19]
	v_cmp_eq_u32_e64 s[66:67], 7, v33
	v_cndmask_b32_e64 v0, v0, v23, s[62:63]
	v_cndmask_b32_e64 v21, v74, v7, s[20:21]
	;; [unrolled: 1-line block ×3, first 2 shown]
	v_cmp_eq_u32_e64 s[70:71], 8, v33
	scratch_store_dword off, v20, off offset:16 ; 4-byte Folded Spill
	v_cndmask_b32_e64 v20, v67, v7, s[22:23]
	v_cndmask_b32_e64 v0, v0, v21, s[70:71]
	v_cmp_eq_u32_e64 s[74:75], 9, v33
	scratch_store_dword off, v19, off offset:24 ; 4-byte Folded Spill
	v_cndmask_b32_e64 v19, v66, v7, s[24:25]
	v_cndmask_b32_e64 v0, v0, v20, s[74:75]
	;; [unrolled: 4-line block ×3, first 2 shown]
	v_cmp_eq_u32_e64 s[82:83], 11, v33
	v_cndmask_b32_e64 v16, v124, v7, s[34:35]
	v_cmp_eq_u32_e64 s[86:87], 12, v33
	v_cndmask_b32_e64 v0, v0, v18, s[82:83]
	v_cndmask_b32_e64 v10, v123, v7, s[2:3]
	s_mov_b64 s[96:97], s[38:39]
	v_cndmask_b32_e64 v0, v0, v16, s[86:87]
	v_cmp_eq_u32_e64 s[38:39], 13, v33
	v_cndmask_b32_e64 v9, v122, v7, s[0:1]
	v_cmp_eq_u32_e64 s[42:43], 14, v33
	v_cndmask_b32_e64 v0, v0, v10, s[38:39]
	v_cndmask_b32_e32 v8, v121, v7, vcc
	v_cndmask_b32_e64 v0, v0, v9, s[42:43]
	v_cmp_eq_u32_e64 s[98:99], 15, v33
	v_writelane_b32 v127, s96, 39
	scratch_store_dword off, v35, off offset:20 ; 4-byte Folded Spill
	v_cndmask_b32_e64 v0, v0, v8, s[98:99]
	ds_bpermute_b32 v17, v118, v0
	v_writelane_b32 v127, s97, 40
	s_waitcnt lgkmcnt(0)
	v_cndmask_b32_e64 v51, v27, v17, s[96:97]
	v_cmp_eq_u32_e64 s[96:97], 0, v33
	v_cndmask_b32_e64 v2, v8, v17, s[98:99]
	v_cndmask_b32_e64 v7, v9, v17, s[42:43]
	;; [unrolled: 1-line block ×14, first 2 shown]
	v_writelane_b32 v127, s96, 41
	v_cndmask_b32_e64 v16, v78, v77, s[4:5]
	v_cndmask_b32_e64 v16, v16, v76, s[28:29]
	;; [unrolled: 1-line block ×31, first 2 shown]
	ds_bpermute_b32 v41, v118, v17
	ds_bpermute_b32 v19, v118, v16
	v_writelane_b32 v127, s97, 42
	s_waitcnt lgkmcnt(1)
	v_cndmask_b32_e64 v124, v89, v41, s[80:81]
	scratch_load_dword v89, off, off offset:20 ; 4-byte Folded Reload
	s_waitcnt lgkmcnt(0)
	v_cndmask_b32_e64 v121, v78, v19, s[16:17]
	scratch_load_dword v78, off, off offset:12 ; 4-byte Folded Reload
	v_cndmask_b32_e64 v122, v88, v41, s[84:85]
	v_cndmask_b32_e64 v32, v90, v41, s[76:77]
	;; [unrolled: 1-line block ×5, first 2 shown]
	scratch_load_dword v88, off, off offset:32 ; 4-byte Folded Reload
	scratch_load_dword v90, off, off offset:28 ; 4-byte Folded Reload
	;; [unrolled: 1-line block ×5, first 2 shown]
	v_cndmask_b32_e64 v21, v53, v41, s[44:45]
	v_cndmask_b32_e64 v53, v82, v83, s[4:5]
	v_cndmask_b32_e64 v53, v53, v84, s[28:29]
	v_cndmask_b32_e64 v26, v75, v19, s[30:31]
	v_cndmask_b32_e64 v27, v76, v19, s[28:29]
	v_cndmask_b32_e64 v28, v77, v19, s[4:5]
	v_cndmask_b32_e64 v18, v108, v19, s[68:69]
	v_cndmask_b32_e64 v79, v79, v19, s[84:85]
	v_cndmask_b32_e64 v66, v105, v19, s[80:81]
	v_cndmask_b32_e64 v67, v106, v19, s[76:77]
	v_cndmask_b32_e64 v71, v107, v19, s[72:73]
	v_cndmask_b32_e64 v73, v109, v19, s[64:65]
	v_cndmask_b32_e64 v23, v110, v19, s[60:61]
	v_cndmask_b32_e64 v24, v112, v19, s[56:57]
	v_cndmask_b32_e64 v42, v113, v19, s[52:53]
	v_cndmask_b32_e64 v25, v114, v19, s[48:49]
	v_cndmask_b32_e64 v43, v115, v19, s[44:45]
	v_cndmask_b32_e64 v16, v116, v19, s[36:37]
	v_cndmask_b32_e64 v17, v94, v41, s[60:61]
	v_cndmask_b32_e64 v35, v95, v41, s[56:57]
	v_cndmask_b32_e64 v19, v55, v41, s[52:53]
	v_cndmask_b32_e64 v20, v54, v41, s[48:49]
	v_cndmask_b32_e64 v22, v96, v41, s[36:37]
	v_cndmask_b32_e64 v40, v97, v41, s[30:31]
	v_cndmask_b32_e64 v123, v98, v41, s[28:29]
	v_cndmask_b32_e64 v126, v99, v41, s[4:5]
	v_cndmask_b32_e64 v41, v102, v41, s[16:17]
	s_waitcnt vmcnt(6)
	v_cndmask_b32_e64 v53, v53, v89, s[30:31]
	s_waitcnt vmcnt(5)
	v_cndmask_b32_e64 v53, v53, v78, s[36:37]
	;; [unrolled: 2-line block ×3, first 2 shown]
	v_cndmask_b32_e64 v53, v53, v65, s[48:49]
	v_cndmask_b32_e64 v53, v53, v39, s[52:53]
	;; [unrolled: 1-line block ×10, first 2 shown]
	ds_bpermute_b32 v75, v118, v53
	v_cndmask_b32_e64 v53, v85, v88, s[4:5]
	v_cndmask_b32_e64 v53, v53, v90, s[28:29]
	;; [unrolled: 1-line block ×15, first 2 shown]
	ds_bpermute_b32 v76, v118, v53
	v_cndmask_b32_e64 v53, v80, v1, s[4:5]
	v_cndmask_b32_e64 v53, v53, v6, s[28:29]
	;; [unrolled: 1-line block ×15, first 2 shown]
	ds_bpermute_b32 v77, v118, v53
	s_waitcnt lgkmcnt(2)
	v_cndmask_b32_e64 v96, v84, v75, s[28:29]
	s_waitcnt lgkmcnt(1)
	v_cndmask_b32_e64 v102, v90, v76, s[28:29]
	v_cndmask_b32_e64 v54, v37, v76, s[80:81]
	;; [unrolled: 1-line block ×3, first 2 shown]
	s_waitcnt lgkmcnt(0)
	v_cndmask_b32_e64 v108, v12, v77, s[72:73]
	scratch_load_dword v12, off, off offset:68 ; 4-byte Folded Reload
	v_cndmask_b32_e64 v112, v119, v77, s[60:61]
	v_cndmask_b32_e64 v119, v6, v77, s[28:29]
	;; [unrolled: 1-line block ×41, first 2 shown]
	v_readlane_b32 s36, v127, 37
	v_cndmask_b32_e64 v59, v59, v75, s[60:61]
	v_cndmask_b32_e64 v61, v61, v76, s[60:61]
	v_readlane_b32 s37, v127, 38
	s_waitcnt vmcnt(0)
	v_cmp_eq_u32_e64 s[28:29], 1, v12
	s_nop 1
	v_cndmask_b32_e64 v11, v74, v52, s[28:29]
	v_cmp_eq_u32_e64 s[44:45], 2, v12
	v_cmp_eq_u32_e64 s[48:49], 3, v12
	v_cmp_eq_u32_e64 s[52:53], 4, v12
	v_cndmask_b32_e64 v11, v11, v51, s[44:45]
	v_cndmask_b32_e64 v11, v11, v50, s[48:49]
	v_cndmask_b32_e64 v11, v11, v49, s[52:53]
	v_cmp_eq_u32_e64 s[56:57], 5, v12
	v_cmp_eq_u32_e64 s[64:65], 6, v12
	v_cmp_eq_u32_e64 s[68:69], 7, v12
	v_cndmask_b32_e64 v11, v11, v48, s[56:57]
	v_cndmask_b32_e64 v11, v11, v70, s[64:65]
	;; [unrolled: 6-line block ×5, first 2 shown]
	ds_bpermute_b32 v11, v118, v11
	s_waitcnt lgkmcnt(0)
	v_cndmask_b32_e64 v86, v0, v11, s[80:81]
	v_cndmask_b32_e64 v0, v121, v28, s[40:41]
	;; [unrolled: 1-line block ×15, first 2 shown]
	v_cndmask_b32_e32 v0, v0, v79, vcc
	v_cndmask_b32_e64 v81, v2, v11, s[4:5]
	ds_bpermute_b32 v0, v118, v0
	v_cndmask_b32_e64 v2, v41, v126, s[40:41]
	v_cndmask_b32_e64 v2, v2, v123, s[6:7]
	;; [unrolled: 1-line block ×12, first 2 shown]
	s_waitcnt lgkmcnt(0)
	v_cndmask_b32_e32 v68, v79, v0, vcc
	v_cndmask_b32_e64 v69, v66, v0, s[0:1]
	v_cndmask_b32_e64 v70, v67, v0, s[2:3]
	;; [unrolled: 1-line block ×33, first 2 shown]
	v_cndmask_b32_e32 v2, v2, v122, vcc
	v_cndmask_b32_e64 v0, v0, v46, s[24:25]
	ds_bpermute_b32 v2, v118, v2
	v_cndmask_b32_e64 v0, v0, v45, s[26:27]
	v_cndmask_b32_e64 v0, v0, v44, s[34:35]
	;; [unrolled: 1-line block ×4, first 2 shown]
	v_cndmask_b32_e32 v0, v0, v47, vcc
	s_waitcnt lgkmcnt(0)
	v_cndmask_b32_e64 v13, v32, v2, s[2:3]
	ds_bpermute_b32 v32, v118, v0
	v_cndmask_b32_e64 v0, v3, v103, s[40:41]
	v_cndmask_b32_e64 v0, v0, v102, s[6:7]
	;; [unrolled: 1-line block ×4, first 2 shown]
	s_waitcnt lgkmcnt(0)
	v_cndmask_b32_e64 v29, v14, v32, s[2:3]
	scratch_load_dword v14, off, off offset:72 ; 4-byte Folded Reload
	v_cndmask_b32_e64 v0, v0, v65, s[12:13]
	v_cndmask_b32_e64 v0, v0, v64, s[14:15]
	;; [unrolled: 1-line block ×10, first 2 shown]
	v_cndmask_b32_e32 v0, v0, v53, vcc
	v_cndmask_b32_e64 v82, v7, v11, s[96:97]
	v_cndmask_b32_e64 v83, v8, v11, s[30:31]
	;; [unrolled: 1-line block ×7, first 2 shown]
	v_cndmask_b32_e32 v11, v122, v2, vcc
	v_cndmask_b32_e64 v122, v33, v2, s[34:35]
	ds_bpermute_b32 v33, v118, v0
	v_cndmask_b32_e64 v0, v6, v120, s[40:41]
	v_cndmask_b32_e64 v0, v0, v119, s[6:7]
	;; [unrolled: 1-line block ×14, first 2 shown]
	v_cndmask_b32_e32 v0, v0, v105, vcc
	v_cndmask_b32_e64 v15, v34, v2, s[26:27]
	ds_bpermute_b32 v34, v118, v0
	v_cndmask_b32_e64 v12, v124, v2, s[0:1]
	v_cndmask_b32_e64 v26, v41, v2, s[36:37]
	;; [unrolled: 1-line block ×3, first 2 shown]
	s_waitcnt lgkmcnt(1)
	v_cndmask_b32_e64 v41, v54, v33, s[0:1]
	s_waitcnt lgkmcnt(0)
	v_cndmask_b32_e64 v54, v106, v34, s[0:1]
	s_mov_b64 s[0:1], s[36:37]
	v_cndmask_b32_e64 v1, v1, v32, s[0:1]
	v_cndmask_b32_e64 v3, v3, v33, s[0:1]
	;; [unrolled: 1-line block ×5, first 2 shown]
	v_cndmask_b32_e32 v27, v47, v32, vcc
	v_cndmask_b32_e64 v42, v55, v33, s[2:3]
	v_cndmask_b32_e64 v55, v107, v34, s[2:3]
	v_cndmask_b32_e64 v30, v44, v32, s[34:35]
	v_cndmask_b32_e64 v43, v56, v33, s[34:35]
	v_cndmask_b32_e64 v56, v108, v34, s[34:35]
	v_cndmask_b32_e64 v31, v45, v32, s[26:27]
	v_cndmask_b32_e64 v44, v57, v33, s[26:27]
	v_cndmask_b32_e64 v57, v109, v34, s[26:27]
	v_cndmask_b32_e64 v107, v46, v32, s[24:25]
	v_cndmask_b32_e64 v108, v59, v32, s[22:23]
	v_cndmask_b32_e64 v109, v60, v32, s[20:21]
	v_cndmask_b32_e64 v121, v39, v32, s[18:19]
	v_cndmask_b32_e64 v36, v38, v32, s[14:15]
	v_cndmask_b32_e64 v37, v37, v32, s[12:13]
	v_cndmask_b32_e64 v50, v65, v33, s[12:13]
	v_cndmask_b32_e64 v38, v5, v32, s[10:11]
	v_cndmask_b32_e64 v39, v4, v32, s[8:9]
	v_cndmask_b32_e64 v52, v99, v33, s[8:9]
	v_cndmask_b32_e64 v65, v117, v34, s[8:9]
	v_cndmask_b32_e64 v7, v96, v32, s[6:7]
	v_cndmask_b32_e64 v0, v97, v32, s[40:41]
	v_cndmask_b32_e64 v45, v58, v33, s[24:25]
	v_cndmask_b32_e64 v58, v110, v34, s[24:25]
	v_cndmask_b32_e64 v17, v17, v2, s[22:23]
	v_cndmask_b32_e64 v18, v35, v2, s[20:21]
	v_cndmask_b32_e64 v19, v19, v2, s[18:19]
	v_cndmask_b32_e64 v20, v20, v2, s[14:15]
	v_cndmask_b32_e64 v21, v21, v2, s[12:13]
	v_cndmask_b32_e64 v22, v22, v2, s[10:11]
	s_waitcnt vmcnt(0)
	v_cmp_eq_u32_e64 s[0:1], 1, v14
	v_cmp_eq_u32_e64 s[8:9], 2, v14
	;; [unrolled: 1-line block ×3, first 2 shown]
	v_cndmask_b32_e64 v32, v80, v93, s[0:1]
	v_cndmask_b32_e64 v32, v32, v92, s[8:9]
	;; [unrolled: 1-line block ×3, first 2 shown]
	v_cmp_eq_u32_e64 s[26:27], 4, v14
	s_mov_b64 s[34:35], s[0:1]
	v_cmp_eq_u32_e64 s[0:1], 5, v14
	v_cndmask_b32_e64 v32, v32, v94, s[26:27]
	s_mov_b64 s[36:37], s[0:1]
	v_cndmask_b32_e64 v32, v32, v91, s[0:1]
	v_cmp_eq_u32_e64 s[0:1], 6, v14
	v_cndmask_b32_e64 v24, v123, v2, s[6:7]
	v_cndmask_b32_e64 v25, v126, v2, s[40:41]
	v_cndmask_b32_e64 v2, v103, v33, s[40:41]
	v_cndmask_b32_e64 v5, v120, v34, s[40:41]
	v_cndmask_b32_e64 v32, v32, v90, s[0:1]
	s_mov_b64 s[40:41], s[0:1]
	v_cmp_eq_u32_e64 s[0:1], 7, v14
	v_cndmask_b32_e64 v8, v102, v33, s[6:7]
	v_cndmask_b32_e64 v4, v119, v34, s[6:7]
	;; [unrolled: 1-line block ×3, first 2 shown]
	s_mov_b64 s[6:7], s[0:1]
	v_cmp_eq_u32_e64 s[0:1], 8, v14
	v_cndmask_b32_e64 v49, v64, v33, s[14:15]
	v_cndmask_b32_e64 v51, v98, v33, s[10:11]
	;; [unrolled: 1-line block ×4, first 2 shown]
	s_mov_b64 s[10:11], s[0:1]
	v_cmp_eq_u32_e64 s[0:1], 9, v14
	v_cndmask_b32_e64 v48, v63, v33, s[18:19]
	v_cndmask_b32_e64 v63, v116, v34, s[12:13]
	v_writelane_b32 v127, s36, 43
	v_cndmask_b32_e64 v32, v32, v87, s[0:1]
	s_mov_b64 s[12:13], s[0:1]
	v_cmp_eq_u32_e64 s[0:1], 10, v14
	v_cndmask_b32_e64 v47, v62, v33, s[20:21]
	v_cndmask_b32_e64 v62, v115, v34, s[14:15]
	v_writelane_b32 v127, s37, 44
	v_cndmask_b32_e64 v32, v32, v86, s[0:1]
	;; [unrolled: 6-line block ×3, first 2 shown]
	s_mov_b64 s[18:19], s[0:1]
	v_cmp_eq_u32_e64 s[0:1], 12, v14
	v_cndmask_b32_e64 v60, v113, v34, s[20:21]
	v_writelane_b32 v127, s41, 46
	v_cndmask_b32_e64 v32, v32, v84, s[0:1]
	s_mov_b64 s[20:21], s[0:1]
	v_cmp_eq_u32_e64 s[0:1], 13, v14
	v_cmp_eq_u32_e64 s[2:3], 14, v14
	v_cndmask_b32_e64 v59, v112, v34, s[22:23]
	v_writelane_b32 v127, s0, 47
	v_cmp_eq_u32_e64 s[22:23], 15, v14
	v_cndmask_b32_e32 v40, v53, v33, vcc
	v_writelane_b32 v127, s1, 48
	v_cndmask_b32_e64 v32, v32, v83, s[0:1]
	v_writelane_b32 v127, s2, 49
	v_cndmask_b32_e64 v33, v10, v9, s[58:59]
	v_cndmask_b32_e32 v53, v105, v34, vcc
	v_writelane_b32 v127, s3, 50
	v_cndmask_b32_e64 v32, v32, v82, s[2:3]
	v_writelane_b32 v127, s22, 37
	s_nop 1
	v_cndmask_b32_e64 v32, v32, v81, s[22:23]
	ds_bpermute_b32 v32, v118, v32
	v_writelane_b32 v127, s23, 38
	s_waitcnt lgkmcnt(0)
	v_cndmask_b32_e64 v82, v82, v32, s[2:3]
	v_readlane_b32 s2, v127, 39
	v_readlane_b32 s3, v127, 40
	v_cndmask_b32_e64 v83, v83, v32, s[0:1]
	v_cmp_eq_u32_e64 s[0:1], 0, v14
	v_cndmask_b32_e64 v33, v33, v67, s[2:3]
	v_cndmask_b32_e64 v33, v33, v66, s[46:47]
	v_cndmask_b32_e64 v33, v33, v79, s[50:51]
	v_cndmask_b32_e64 v33, v33, v78, s[54:55]
	v_cndmask_b32_e64 v33, v33, v77, s[62:63]
	v_cndmask_b32_e64 v33, v33, v76, s[66:67]
	v_cndmask_b32_e64 v33, v33, v75, s[70:71]
	v_cndmask_b32_e64 v33, v33, v74, s[74:75]
	v_cndmask_b32_e64 v33, v33, v73, s[78:79]
	v_cndmask_b32_e64 v33, v33, v72, s[82:83]
	v_cndmask_b32_e64 v33, v33, v71, s[86:87]
	v_cndmask_b32_e64 v33, v33, v70, s[38:39]
	v_cndmask_b32_e64 v33, v33, v69, s[42:43]
	v_cndmask_b32_e64 v33, v33, v68, s[98:99]
	v_writelane_b32 v127, s0, 51
	v_cndmask_b32_e64 v81, v81, v32, s[22:23]
	v_cndmask_b32_e64 v84, v84, v32, s[20:21]
	v_cndmask_b32_e64 v85, v85, v32, s[18:19]
	v_cndmask_b32_e64 v86, v86, v32, s[14:15]
	v_cndmask_b32_e64 v87, v87, v32, s[12:13]
	v_cndmask_b32_e64 v88, v88, v32, s[10:11]
	v_cndmask_b32_e64 v89, v89, v32, s[6:7]
	v_cndmask_b32_e64 v90, v90, v32, s[40:41]
	v_cndmask_b32_e64 v91, v91, v32, s[36:37]
	v_cndmask_b32_e64 v94, v94, v32, s[26:27]
	v_cndmask_b32_e64 v95, v95, v32, s[24:25]
	ds_bpermute_b32 v33, v118, v33
	v_cndmask_b32_e64 v92, v92, v32, s[8:9]
	v_cndmask_b32_e64 v93, v93, v32, s[34:35]
	v_writelane_b32 v127, s1, 52
	v_cndmask_b32_e64 v80, v80, v32, s[0:1]
	v_cndmask_b32_e64 v32, v26, v25, s[58:59]
	s_mov_b64 s[0:1], s[2:3]
	v_cndmask_b32_e64 v32, v32, v24, s[0:1]
	v_cndmask_b32_e64 v32, v32, v23, s[46:47]
	;; [unrolled: 1-line block ×5, first 2 shown]
	s_waitcnt lgkmcnt(0)
	v_cndmask_b32_e64 v35, v9, v33, s[58:59]
	v_cndmask_b32_e64 v9, v1, v0, s[58:59]
	;; [unrolled: 1-line block ×21, first 2 shown]
	ds_bpermute_b32 v73, v118, v32
	v_cndmask_b32_e64 v9, v9, v31, s[82:83]
	v_cndmask_b32_e64 v9, v9, v30, s[86:87]
	;; [unrolled: 1-line block ×5, first 2 shown]
	s_waitcnt lgkmcnt(0)
	v_cndmask_b32_e64 v32, v16, v73, s[78:79]
	ds_bpermute_b32 v16, v118, v9
	v_cndmask_b32_e64 v9, v3, v2, s[58:59]
	v_cndmask_b32_e64 v9, v9, v8, s[0:1]
	;; [unrolled: 1-line block ×13, first 2 shown]
	v_readlane_b32 s2, v127, 41
	v_cndmask_b32_e64 v9, v9, v41, s[42:43]
	v_readlane_b32 s3, v127, 42
	v_cndmask_b32_e64 v9, v9, v40, s[98:99]
	v_cndmask_b32_e64 v68, v68, v33, s[98:99]
	;; [unrolled: 1-line block ×16, first 2 shown]
	ds_bpermute_b32 v17, v118, v9
	v_cndmask_b32_e64 v9, v6, v5, s[58:59]
	v_cndmask_b32_e64 v9, v9, v4, s[0:1]
	;; [unrolled: 1-line block ×16, first 2 shown]
	ds_bpermute_b32 v18, v118, v9
	v_cndmask_b32_e64 v24, v24, v73, s[0:1]
	s_waitcnt lgkmcnt(2)
	v_cndmask_b32_e64 v9, v7, v16, s[0:1]
	s_waitcnt lgkmcnt(1)
	v_cndmask_b32_e64 v8, v8, v17, s[0:1]
	v_cndmask_b32_e64 v102, v40, v17, s[98:99]
	s_waitcnt lgkmcnt(0)
	v_cndmask_b32_e64 v115, v4, v18, s[0:1]
	s_mov_b64 s[0:1], s[2:3]
	v_cndmask_b32_e64 v97, v53, v18, s[98:99]
	v_cndmask_b32_e64 v53, v41, v17, s[42:43]
	v_cndmask_b32_e64 v98, v54, v18, s[42:43]
	v_cndmask_b32_e64 v103, v42, v17, s[38:39]
	v_cndmask_b32_e64 v99, v55, v18, s[38:39]
	v_cndmask_b32_e64 v105, v43, v17, s[86:87]
	v_cndmask_b32_e64 v112, v56, v18, s[86:87]
	v_cndmask_b32_e64 v106, v44, v17, s[82:83]
	v_cndmask_b32_e64 v54, v107, v16, s[78:79]
	v_cndmask_b32_e64 v107, v45, v17, s[78:79]
	v_cndmask_b32_e64 v55, v108, v16, s[74:75]
	v_cndmask_b32_e64 v108, v46, v17, s[74:75]
	v_cndmask_b32_e64 v56, v109, v16, s[70:71]
	v_cndmask_b32_e64 v109, v47, v17, s[70:71]
	v_cndmask_b32_e64 v124, v48, v17, s[66:67]
	v_cndmask_b32_e64 v117, v61, v18, s[66:67]
	v_cndmask_b32_e64 v61, v49, v17, s[62:63]
	v_cndmask_b32_e64 v119, v62, v18, s[62:63]
	v_cndmask_b32_e64 v62, v50, v17, s[54:55]
	v_cndmask_b32_e64 v120, v63, v18, s[54:55]
	v_cndmask_b32_e64 v63, v51, v17, s[50:51]
	v_cndmask_b32_e64 v96, v52, v17, s[46:47]
	v_cndmask_b32_e64 v7, v2, v17, s[58:59]
	v_cndmask_b32_e64 v3, v3, v17, s[0:1]
	scratch_load_dword v17, off, off offset:76 ; 4-byte Folded Reload
	v_cndmask_b32_e64 v25, v25, v73, s[58:59]
	v_cndmask_b32_e64 v26, v26, v73, s[2:3]
	;; [unrolled: 1-line block ×44, first 2 shown]
	ds_bpermute_b32 v49, v118, v37
	v_cndmask_b32_e64 v30, v30, v16, s[86:87]
	v_cndmask_b32_e64 v27, v27, v16, s[98:99]
	s_mov_b64 s[22:23], s[34:35]
	v_cndmask_b32_e64 v29, v29, v16, s[38:39]
	s_waitcnt lgkmcnt(0)
	v_cndmask_b32_e64 v46, v11, v49, s[4:5]
	v_cndmask_b32_e64 v37, v12, v49, s[96:97]
	;; [unrolled: 1-line block ×30, first 2 shown]
	s_waitcnt vmcnt(0)
	v_cmp_eq_u32_e64 s[0:1], 1, v17
	s_mov_b64 s[42:43], s[0:1]
	v_cmp_eq_u32_e64 s[98:99], 14, v17
	v_cndmask_b32_e64 v0, v80, v93, s[0:1]
	v_cmp_eq_u32_e64 s[0:1], 2, v17
	s_mov_b64 s[46:47], s[0:1]
	v_cmp_eq_u32_e64 s[34:35], 15, v17
	v_cndmask_b32_e64 v0, v0, v92, s[0:1]
	v_cmp_eq_u32_e64 s[0:1], 3, v17
	s_mov_b64 s[50:51], s[0:1]
	v_cndmask_b32_e64 v11, v11, v102, s[4:5]
	v_cndmask_b32_e64 v0, v0, v95, s[0:1]
	v_cmp_eq_u32_e64 s[0:1], 4, v17
	s_mov_b64 s[54:55], s[0:1]
	v_cndmask_b32_e64 v12, v12, v97, s[4:5]
	v_cndmask_b32_e64 v0, v0, v94, s[0:1]
	v_cmp_eq_u32_e64 s[0:1], 5, v17
	s_mov_b64 s[58:59], s[0:1]
	ds_bpermute_b32 v11, v118, v11
	v_cndmask_b32_e64 v0, v0, v91, s[0:1]
	v_cmp_eq_u32_e64 s[0:1], 6, v17
	s_mov_b64 s[62:63], s[0:1]
	ds_bpermute_b32 v12, v118, v12
	v_cndmask_b32_e64 v0, v0, v90, s[0:1]
	v_cmp_eq_u32_e64 s[0:1], 7, v17
	s_mov_b64 s[66:67], s[0:1]
	v_cmp_eq_u32_e32 vcc, 0, v17
	v_cndmask_b32_e64 v0, v0, v89, s[0:1]
	v_cmp_eq_u32_e64 s[0:1], 8, v17
	s_mov_b64 s[70:71], s[0:1]
	v_cndmask_b32_e64 v38, v13, v49, s[30:31]
	v_cndmask_b32_e64 v0, v0, v88, s[0:1]
	v_cmp_eq_u32_e64 s[0:1], 9, v17
	s_mov_b64 s[74:75], s[0:1]
	s_waitcnt lgkmcnt(0)
	v_cndmask_b32_e64 v13, v97, v12, s[4:5]
	v_cndmask_b32_e64 v0, v0, v87, s[0:1]
	v_cmp_eq_u32_e64 s[0:1], 10, v17
	s_mov_b64 s[78:79], s[0:1]
	v_cndmask_b32_e64 v43, v34, v49, s[72:73]
	v_cndmask_b32_e64 v0, v0, v86, s[0:1]
	v_cmp_eq_u32_e64 s[0:1], 11, v17
	s_mov_b64 s[82:83], s[0:1]
	;; [unrolled: 4-line block ×3, first 2 shown]
	scratch_store_dword off, v13, off offset:8 ; 4-byte Folded Spill
	v_cndmask_b32_e64 v0, v0, v84, s[0:1]
	v_cmp_eq_u32_e64 s[0:1], 13, v17
	v_cndmask_b32_e64 v13, v98, v12, s[96:97]
	v_cndmask_b32_e64 v98, v112, v12, s[16:17]
	v_writelane_b32 v127, s0, 53
	v_cndmask_b32_e64 v112, v115, v12, s[44:45]
	v_cndmask_b32_e64 v42, v33, v49, s[76:77]
	;; [unrolled: 1-line block ×3, first 2 shown]
	v_writelane_b32 v127, s1, 54
	v_cndmask_b32_e64 v0, v0, v82, s[98:99]
	v_writelane_b32 v127, s34, 41
	v_cndmask_b32_e64 v33, v23, v49, s[48:49]
	v_cndmask_b32_e64 v41, v32, v49, s[80:81]
	;; [unrolled: 1-line block ×3, first 2 shown]
	ds_bpermute_b32 v16, v118, v0
	v_cndmask_b32_e64 v0, v10, v35, s[28:29]
	v_cndmask_b32_e64 v0, v0, v67, s[44:45]
	v_cndmask_b32_e64 v0, v0, v66, s[48:49]
	v_cndmask_b32_e64 v0, v0, v79, s[52:53]
	v_cndmask_b32_e64 v0, v0, v78, s[56:57]
	v_cndmask_b32_e64 v0, v0, v77, s[64:65]
	v_cndmask_b32_e64 v0, v0, v76, s[68:69]
	v_cndmask_b32_e64 v0, v0, v75, s[72:73]
	v_cndmask_b32_e64 v0, v0, v126, s[76:77]
	v_cndmask_b32_e64 v0, v0, v123, s[80:81]
	v_cndmask_b32_e64 v0, v0, v72, s[84:85]
	v_cndmask_b32_e64 v0, v0, v71, s[16:17]
	v_cndmask_b32_e64 v0, v0, v70, s[30:31]
	v_cndmask_b32_e64 v0, v0, v69, s[96:97]
	v_cndmask_b32_e64 v0, v0, v68, s[4:5]
	ds_bpermute_b32 v36, v118, v0
	s_waitcnt lgkmcnt(1)
	v_cndmask_b32_e64 v64, v82, v16, s[98:99]
	v_cndmask_b32_e64 v82, v84, v16, s[86:87]
	;; [unrolled: 1-line block ×4, first 2 shown]
	s_waitcnt lgkmcnt(0)
	v_cndmask_b32_e64 v18, v72, v36, s[84:85]
	v_cndmask_b32_e64 v72, v123, v36, s[80:81]
	;; [unrolled: 1-line block ×7, first 2 shown]
	scratch_load_dword v124, off, off offset:80 ; 4-byte Folded Reload
	v_cndmask_b32_e64 v88, v90, v16, s[62:63]
	v_cndmask_b32_e64 v90, v94, v16, s[54:55]
	;; [unrolled: 1-line block ×19, first 2 shown]
	ds_bpermute_b32 v10, v118, v10
	v_writelane_b32 v127, s35, 42
	v_cndmask_b32_e64 v6, v81, v16, s[34:35]
	v_cndmask_b32_e64 v1, v93, v16, s[42:43]
	v_cndmask_b32_e32 v65, v80, v16, vcc
	v_cndmask_b32_e64 v0, v92, v16, s[46:47]
	v_cndmask_b32_e64 v74, v70, v36, s[30:31]
	;; [unrolled: 1-line block ×5, first 2 shown]
	s_waitcnt lgkmcnt(0)
	v_cndmask_b32_e64 v63, v2, v10, s[60:61]
	v_cndmask_b32_e64 v81, v83, v16, s[0:1]
	;; [unrolled: 1-line block ×50, first 2 shown]
	s_waitcnt vmcnt(0)
	v_cmp_eq_u32_e64 s[34:35], 1, v124
	v_cmp_eq_u32_e64 s[36:37], 2, v124
	v_cmp_eq_u32_e64 s[38:39], 3, v124
	v_cndmask_b32_e64 v2, v65, v1, s[34:35]
	v_cndmask_b32_e64 v2, v2, v0, s[36:37]
	v_cndmask_b32_e64 v2, v2, v91, s[38:39]
	v_cmp_eq_u32_e64 s[40:41], 4, v124
	v_cmp_eq_u32_e64 s[44:45], 5, v124
	v_cmp_eq_u32_e64 s[48:49], 6, v124
	v_cndmask_b32_e64 v2, v2, v90, s[40:41]
	v_cndmask_b32_e64 v2, v2, v89, s[44:45]
	v_cndmask_b32_e64 v2, v2, v88, s[48:49]
	;; [unrolled: 6-line block ×4, first 2 shown]
	v_cmp_eq_u32_e64 s[84:85], 13, v124
	v_cmp_eq_u32_e64 s[2:3], 14, v124
	v_cndmask_b32_e64 v49, v27, v10, s[4:5]
	v_cndmask_b32_e64 v2, v2, v81, s[84:85]
	v_writelane_b32 v127, s2, 55
	v_cndmask_b32_e64 v95, v102, v11, s[4:5]
	v_cmp_eq_u32_e64 s[4:5], 15, v124
	v_writelane_b32 v127, s3, 56
	v_cndmask_b32_e64 v2, v2, v64, s[2:3]
	v_writelane_b32 v127, s4, 39
	v_cndmask_b32_e64 v52, v30, v10, s[16:17]
	s_mov_b64 s[16:17], s[22:23]
	v_cndmask_b32_e64 v2, v2, v6, s[4:5]
	ds_bpermute_b32 v19, v118, v2
	v_cndmask_b32_e64 v102, v113, v12, s[80:81]
	v_cndmask_b32_e64 v62, v4, v10, s[28:29]
	;; [unrolled: 1-line block ×4, first 2 shown]
	s_waitcnt lgkmcnt(0)
	v_cndmask_b32_e64 v2, v0, v19, s[36:37]
	v_cndmask_b32_e64 v0, v75, v76, s[16:17]
	v_writelane_b32 v127, s5, 40
	v_cndmask_b32_e64 v0, v0, v77, s[8:9]
	s_mov_b64 s[28:29], s[24:25]
	v_cndmask_b32_e64 v50, v28, v10, s[96:97]
	v_cndmask_b32_e64 v51, v29, v10, s[30:31]
	;; [unrolled: 1-line block ×3, first 2 shown]
	s_mov_b64 s[30:31], s[26:27]
	v_readlane_b32 s96, v127, 43
	v_cndmask_b32_e64 v15, v6, v19, s[4:5]
	v_cndmask_b32_e64 v0, v0, v92, s[30:31]
	v_readlane_b32 s97, v127, 44
	v_readlane_b32 s4, v127, 45
	;; [unrolled: 1-line block ×3, first 2 shown]
	v_cndmask_b32_e64 v0, v0, v93, s[96:97]
	v_readlane_b32 s24, v127, 47
	v_cndmask_b32_e64 v0, v0, v123, s[4:5]
	v_cndmask_b32_e64 v0, v0, v126, s[6:7]
	;; [unrolled: 1-line block ×7, first 2 shown]
	v_readlane_b32 s25, v127, 48
	v_readlane_b32 s26, v127, 49
	;; [unrolled: 1-line block ×3, first 2 shown]
	v_cndmask_b32_e64 v0, v0, v74, s[24:25]
	v_readlane_b32 s0, v127, 37
	v_cndmask_b32_e64 v0, v0, v17, s[26:27]
	v_readlane_b32 s1, v127, 38
	;; [unrolled: 2-line block ×3, first 2 shown]
	v_cndmask_b32_e64 v0, v0, v16, s[0:1]
	ds_bpermute_b32 v0, v118, v0
	v_readlane_b32 s3, v127, 52
	s_mov_b64 s[22:23], s[20:21]
	v_cndmask_b32_e64 v55, v55, v10, s[76:77]
	s_mov_b64 s[76:77], s[74:75]
	s_waitcnt lgkmcnt(0)
	v_cndmask_b32_e64 v16, v16, v0, s[0:1]
	v_cndmask_b32_e64 v17, v17, v0, s[26:27]
	;; [unrolled: 1-line block ×5, first 2 shown]
	s_mov_b64 s[20:21], s[18:19]
	v_cndmask_b32_e64 v22, v72, v0, s[14:15]
	s_mov_b64 s[18:19], s[14:15]
	v_cndmask_b32_e64 v23, v71, v0, s[12:13]
	;; [unrolled: 2-line block ×5, first 2 shown]
	v_cndmask_b32_e64 v27, v93, v0, s[96:97]
	v_cndmask_b32_e64 v28, v92, v0, s[30:31]
	;; [unrolled: 1-line block ×6, first 2 shown]
	s_mov_b64 s[6:7], s[42:43]
	v_cndmask_b32_e64 v47, v0, v31, s[6:7]
	s_mov_b64 s[42:43], s[46:47]
	v_cndmask_b32_e64 v47, v47, v30, s[42:43]
	;; [unrolled: 2-line block ×8, first 2 shown]
	v_cndmask_b32_e64 v47, v47, v23, s[76:77]
	s_mov_b64 s[74:75], s[78:79]
	v_cndmask_b32_e64 v54, v54, v10, s[80:81]
	v_cndmask_b32_e64 v47, v47, v22, s[74:75]
	s_mov_b64 s[80:81], s[82:83]
	v_cndmask_b32_e64 v47, v47, v18, s[80:81]
	s_mov_b64 s[82:83], s[86:87]
	v_readlane_b32 s86, v127, 53
	v_cndmask_b32_e64 v47, v47, v21, s[82:83]
	v_readlane_b32 s87, v127, 54
	v_readlane_b32 s0, v127, 41
	;; [unrolled: 1-line block ×3, first 2 shown]
	v_cndmask_b32_e64 v47, v47, v20, s[86:87]
	v_cndmask_b32_e64 v47, v47, v17, s[98:99]
	;; [unrolled: 1-line block ×3, first 2 shown]
	ds_bpermute_b32 v47, v118, v47
	scratch_store_dword off, v13, off offset:12 ; 4-byte Folded Spill
	v_cndmask_b32_e64 v13, v81, v19, s[84:85]
	v_cndmask_b32_e64 v12, v82, v19, s[72:73]
	;; [unrolled: 1-line block ×3, first 2 shown]
	s_waitcnt lgkmcnt(0)
	v_cndmask_b32_e64 v16, v16, v47, s[0:1]
	v_cndmask_b32_e64 v17, v17, v47, s[98:99]
	;; [unrolled: 1-line block ×15, first 2 shown]
	v_cndmask_b32_e32 v47, v0, v47, vcc
	v_cndmask_b32_e64 v0, v47, v76, s[34:35]
	v_cndmask_b32_e64 v0, v0, v75, s[36:37]
	;; [unrolled: 1-line block ×11, first 2 shown]
	s_mov_b64 s[74:75], s[70:71]
	v_cndmask_b32_e64 v0, v0, v21, s[72:73]
	v_readlane_b32 s70, v127, 55
	s_mov_b64 s[66:67], s[62:63]
	s_mov_b64 s[62:63], s[58:59]
	;; [unrolled: 1-line block ×4, first 2 shown]
	v_cndmask_b32_e64 v0, v0, v20, s[84:85]
	v_readlane_b32 s71, v127, 56
	v_readlane_b32 s50, v127, 39
	;; [unrolled: 1-line block ×3, first 2 shown]
	v_cndmask_b32_e64 v0, v0, v17, s[70:71]
	v_cmp_eq_u32_e64 s[0:1], 0, v124
	v_cndmask_b32_e64 v0, v0, v16, s[50:51]
	ds_bpermute_b32 v77, v118, v0
	v_cndmask_b32_e64 v0, v65, v19, s[0:1]
	v_writelane_b32 v127, s0, 57
	v_cndmask_b32_e64 v10, v84, v19, s[64:65]
	v_cndmask_b32_e64 v9, v85, v19, s[60:61]
	s_waitcnt lgkmcnt(0)
	v_cndmask_b32_e64 v31, v16, v77, s[50:51]
	v_cndmask_b32_e64 v16, v36, v35, s[16:17]
	;; [unrolled: 1-line block ×7, first 2 shown]
	s_mov_b64 s[70:71], s[4:5]
	v_cndmask_b32_e64 v16, v16, v45, s[70:71]
	v_cndmask_b32_e64 v16, v16, v44, s[10:11]
	;; [unrolled: 1-line block ×6, first 2 shown]
	v_writelane_b32 v127, s1, 58
	v_cndmask_b32_e64 v16, v16, v39, s[22:23]
	v_cndmask_b32_e64 v16, v16, v38, s[24:25]
	v_readlane_b32 s50, v127, 37
	v_cndmask_b32_e64 v16, v16, v37, s[26:27]
	v_readlane_b32 s51, v127, 38
	v_readlane_b32 s4, v127, 41
	;; [unrolled: 1-line block ×3, first 2 shown]
	v_cndmask_b32_e64 v16, v16, v46, s[50:51]
	ds_bpermute_b32 v16, v118, v16
	v_cndmask_b32_e64 v8, v86, v19, s[56:57]
	v_cndmask_b32_e64 v7, v87, v19, s[52:53]
	;; [unrolled: 1-line block ×4, first 2 shown]
	s_waitcnt lgkmcnt(0)
	v_cndmask_b32_e64 v46, v46, v16, s[50:51]
	v_cndmask_b32_e64 v37, v37, v16, s[26:27]
	;; [unrolled: 1-line block ×16, first 2 shown]
	s_mov_b64 s[50:51], s[6:7]
	v_cndmask_b32_e64 v36, v16, v35, s[50:51]
	v_cndmask_b32_e64 v36, v36, v34, s[42:43]
	;; [unrolled: 1-line block ×15, first 2 shown]
	ds_bpermute_b32 v36, v118, v36
	v_cndmask_b32_e64 v4, v90, v19, s[40:41]
	v_cndmask_b32_e64 v3, v91, v19, s[38:39]
	;; [unrolled: 1-line block ×4, first 2 shown]
	s_waitcnt lgkmcnt(0)
	v_cndmask_b32_e64 v46, v46, v36, s[4:5]
	s_mov_b64 s[4:5], vcc
	v_cndmask_b32_e64 v20, v73, v77, s[40:41]
	v_cndmask_b32_e64 v19, v74, v77, s[38:39]
	;; [unrolled: 1-line block ×34, first 2 shown]
	v_readlane_b32 s6, v127, 55
	v_cndmask_b32_e64 v37, v37, v36, s[98:99]
	v_cndmask_b32_e64 v16, v16, v38, s[84:85]
	v_readlane_b32 s7, v127, 56
	v_readlane_b32 s2, v127, 39
	;; [unrolled: 1-line block ×3, first 2 shown]
	v_cndmask_b32_e64 v16, v16, v37, s[6:7]
	v_cndmask_b32_e64 v27, v18, v77, s[68:69]
	;; [unrolled: 1-line block ×4, first 2 shown]
	ds_bpermute_b32 v75, v118, v16
	v_cndmask_b32_e64 v16, v47, v77, s[0:1]
	v_readlane_b32 s0, v127, 37
	v_readlane_b32 s1, v127, 38
	v_cndmask_b32_e64 v24, v24, v77, s[56:57]
	s_waitcnt lgkmcnt(0)
	v_cndmask_b32_e64 v36, v32, v75, s[40:41]
	v_cndmask_b32_e64 v32, v63, v62, s[16:17]
	;; [unrolled: 1-line block ×9, first 2 shown]
	s_mov_b64 s[6:7], s[10:11]
	v_cndmask_b32_e64 v32, v32, v110, s[6:7]
	s_mov_b64 s[10:11], s[12:13]
	v_cndmask_b32_e64 v32, v32, v56, s[10:11]
	s_mov_b64 s[12:13], s[14:15]
	v_cndmask_b32_e64 v32, v32, v55, s[12:13]
	s_mov_b64 s[14:15], s[18:19]
	v_cndmask_b32_e64 v32, v32, v54, s[14:15]
	s_mov_b64 s[18:19], s[20:21]
	v_cndmask_b32_e64 v32, v32, v53, s[18:19]
	s_mov_b64 s[20:21], s[22:23]
	v_cndmask_b32_e64 v32, v32, v52, s[20:21]
	v_cndmask_b32_e64 v32, v32, v51, s[24:25]
	v_cndmask_b32_e64 v32, v32, v50, s[26:27]
	;; [unrolled: 1-line block ×3, first 2 shown]
	ds_bpermute_b32 v32, v118, v32
	v_cndmask_b32_e64 v37, v48, v75, s[44:45]
	v_readlane_b32 s2, v127, 41
	v_readlane_b32 s3, v127, 42
	v_cndmask_b32_e64 v17, v76, v77, s[34:35]
	s_waitcnt lgkmcnt(0)
	v_cndmask_b32_e64 v48, v49, v32, s[0:1]
	v_readlane_b32 s0, v127, 51
	v_readlane_b32 s1, v127, 52
	v_cndmask_b32_e64 v49, v50, v32, s[26:27]
	v_cndmask_b32_e64 v50, v51, v32, s[24:25]
	;; [unrolled: 1-line block ×30, first 2 shown]
	ds_bpermute_b32 v63, v118, v63
	v_cndmask_b32_e64 v35, v33, v75, s[38:39]
	v_cndmask_b32_e64 v33, v73, v75, s[34:35]
	;; [unrolled: 1-line block ×4, first 2 shown]
	s_waitcnt lgkmcnt(0)
	v_cndmask_b32_e64 v77, v62, v63, s[50:51]
	v_cndmask_b32_e64 v78, v32, v63, s[4:5]
	;; [unrolled: 1-line block ×31, first 2 shown]
	s_mov_b64 vcc, s[42:43]
	v_cndmask_b32_e64 v32, v32, v51, s[72:73]
	v_readlane_b32 s42, v127, 55
	s_mov_b64 s[20:21], s[18:19]
	s_mov_b64 s[18:19], s[14:15]
	;; [unrolled: 1-line block ×5, first 2 shown]
	v_cndmask_b32_e64 v49, v49, v63, s[98:99]
	v_cndmask_b32_e64 v32, v32, v50, s[84:85]
	v_readlane_b32 s43, v127, 56
	v_readlane_b32 s6, v127, 39
	v_cndmask_b32_e64 v48, v48, v63, s[2:3]
	v_cndmask_b32_e64 v32, v32, v49, s[42:43]
	v_readlane_b32 s7, v127, 40
	s_mov_b64 s[2:3], s[4:5]
	v_readlane_b32 s4, v127, 57
	v_cndmask_b32_e64 v32, v32, v48, s[6:7]
	ds_bpermute_b32 v81, v118, v32
	v_readlane_b32 s5, v127, 58
	v_cndmask_b32_e64 v34, v34, v75, s[36:37]
	s_waitcnt lgkmcnt(0)
	v_cndmask_b32_e64 v63, v48, v81, s[6:7]
	v_cndmask_b32_e64 v48, v79, v115, s[16:17]
	v_cndmask_b32_e64 v48, v48, v122, s[8:9]
	v_cndmask_b32_e64 v48, v48, v121, s[28:29]
	v_cndmask_b32_e64 v48, v48, v120, s[30:31]
	v_cndmask_b32_e64 v48, v48, v119, s[96:97]
	v_cndmask_b32_e64 v48, v48, v117, s[70:71]
	v_cndmask_b32_e64 v48, v48, v100, s[10:11]
	v_cndmask_b32_e64 v48, v48, v116, s[12:13]
	v_cndmask_b32_e64 v48, v48, v70, s[14:15]
	v_cndmask_b32_e64 v48, v48, v69, s[18:19]
	v_cndmask_b32_e64 v48, v48, v68, s[20:21]
	v_cndmask_b32_e64 v48, v48, v67, s[22:23]
	v_cndmask_b32_e64 v62, v49, v81, s[42:43]
	v_cndmask_b32_e64 v49, v77, v81, s[34:35]
	s_mov_b64 s[6:7], s[34:35]
	v_cndmask_b32_e64 v48, v48, v66, s[24:25]
	v_readlane_b32 s34, v127, 37
	v_cndmask_b32_e64 v48, v48, v80, s[26:27]
	v_readlane_b32 s35, v127, 38
	v_cndmask_b32_e64 v32, v74, v75, s[4:5]
	v_cndmask_b32_e64 v61, v50, v81, s[84:85]
	;; [unrolled: 1-line block ×3, first 2 shown]
	ds_bpermute_b32 v48, v118, v48
	v_cndmask_b32_e64 v60, v51, v81, s[72:73]
	v_cndmask_b32_e64 v59, v52, v81, s[68:69]
	;; [unrolled: 1-line block ×11, first 2 shown]
	s_waitcnt lgkmcnt(0)
	v_cndmask_b32_e64 v64, v95, v48, s[34:35]
	v_cndmask_b32_e64 v65, v80, v48, s[26:27]
	;; [unrolled: 1-line block ×16, first 2 shown]
	s_mov_b64 s[42:43], s[50:51]
	v_cndmask_b32_e64 v79, v48, v80, s[42:43]
	s_mov_b64 s[0:1], vcc
	v_cndmask_b32_e64 v79, v79, v77, s[0:1]
	v_cndmask_b32_e64 v79, v79, v76, s[46:47]
	s_mov_b64 s[50:51], s[54:55]
	v_cndmask_b32_e64 v79, v79, v75, s[50:51]
	s_mov_b64 s[54:55], s[58:59]
	v_cndmask_b32_e64 v79, v79, v74, s[54:55]
	s_mov_b64 s[58:59], s[62:63]
	v_cndmask_b32_e64 v79, v79, v73, s[58:59]
	s_mov_b64 s[62:63], s[66:67]
	v_cndmask_b32_e64 v79, v79, v72, s[62:63]
	s_mov_b64 s[66:67], s[74:75]
	v_cndmask_b32_e64 v79, v79, v71, s[66:67]
	s_mov_b64 s[70:71], s[76:77]
	v_cndmask_b32_e64 v79, v79, v70, s[70:71]
	s_mov_b64 s[74:75], s[78:79]
	v_cndmask_b32_e64 v79, v79, v69, s[74:75]
	v_cndmask_b32_e64 v79, v79, v68, s[80:81]
	;; [unrolled: 1-line block ×4, first 2 shown]
	v_readlane_b32 s76, v127, 41
	v_cndmask_b32_e64 v79, v79, v65, s[98:99]
	v_readlane_b32 s77, v127, 42
	s_mov_b64 s[78:79], s[80:81]
	scratch_load_dwordx2 v[122:123], off, off ; 8-byte Folded Reload
	v_cndmask_b32_e64 v79, v79, v64, s[76:77]
	ds_bpermute_b32 v79, v118, v79
	s_mov_b64 vcc, s[50:51]
	s_waitcnt lgkmcnt(0)
	v_cndmask_b32_e64 v82, v64, v79, s[76:77]
	v_cndmask_b32_e64 v89, v80, v79, s[42:43]
	;; [unrolled: 1-line block ×27, first 2 shown]
	s_mov_b64 s[76:77], s[84:85]
	v_readlane_b32 s80, v127, 55
	v_cndmask_b32_e64 v65, v65, v79, s[98:99]
	v_cndmask_b32_e64 v48, v48, v66, s[76:77]
	v_readlane_b32 s81, v127, 56
	v_readlane_b32 s84, v127, 39
	;; [unrolled: 1-line block ×3, first 2 shown]
	v_cndmask_b32_e64 v48, v48, v65, s[80:81]
	s_mov_b64 s[50:51], s[0:1]
	v_cndmask_b32_e64 v48, v48, v82, s[84:85]
	ds_bpermute_b32 v80, v118, v48
	v_cndmask_b32_e64 v48, v78, v81, s[4:5]
	v_cndmask_b32_e64 v81, v114, v113, s[16:17]
	;; [unrolled: 1-line block ×4, first 2 shown]
	s_waitcnt lgkmcnt(0)
	v_cndmask_b32_e64 v72, v71, v80, s[56:57]
	v_cndmask_b32_e64 v71, v83, v80, s[52:53]
	scratch_load_dword v83, off, off offset:12 ; 4-byte Folded Reload
	v_cndmask_b32_e64 v79, v82, v80, s[84:85]
	scratch_load_dword v82, off, off offset:8 ; 4-byte Folded Reload
	scratch_load_dword v115, off, off offset:44 ; 4-byte Folded Reload
	;; [unrolled: 1-line block ×4, first 2 shown]
	v_cndmask_b32_e64 v81, v81, v109, s[30:31]
	v_readlane_b32 s0, v127, 45
	v_cndmask_b32_e64 v81, v81, v108, s[96:97]
	v_readlane_b32 s1, v127, 46
	v_cndmask_b32_e64 v78, v65, v80, s[80:81]
	v_cndmask_b32_e64 v77, v66, v80, s[76:77]
	;; [unrolled: 1-line block ×21, first 2 shown]
	s_waitcnt vmcnt(4)
	v_cndmask_b32_e64 v81, v81, v83, s[26:27]
	s_waitcnt vmcnt(3)
	v_cndmask_b32_e64 v81, v81, v82, s[34:35]
	ds_bpermute_b32 v81, v118, v81
	s_waitcnt lgkmcnt(0)
	v_cndmask_b32_e64 v91, v107, v81, s[0:1]
	v_readlane_b32 s0, v127, 51
	v_readlane_b32 s1, v127, 52
	v_cndmask_b32_e64 v82, v82, v81, s[34:35]
	v_cndmask_b32_e64 v83, v83, v81, s[26:27]
	;; [unrolled: 1-line block ×18, first 2 shown]
	v_cndmask_b32_e32 v97, v97, v93, vcc
	v_cndmask_b32_e64 v97, v97, v92, s[54:55]
	v_cndmask_b32_e64 v97, v97, v91, s[58:59]
	;; [unrolled: 1-line block ×9, first 2 shown]
	v_readlane_b32 s0, v127, 41
	v_cndmask_b32_e64 v97, v97, v83, s[98:99]
	v_readlane_b32 s1, v127, 42
	s_mov_b64 s[8:9], s[6:7]
	v_readlane_b32 s14, v127, 10
	v_cndmask_b32_e64 v97, v97, v82, s[0:1]
	ds_bpermute_b32 v97, v118, v97
	v_readlane_b32 s24, v127, 12
	v_readlane_b32 s28, v127, 17
	s_mov_b32 s6, 0
	v_readlane_b32 s12, v127, 1
	s_waitcnt lgkmcnt(0)
	v_cndmask_b32_e64 v82, v82, v97, s[0:1]
	v_cndmask_b32_e64 v83, v83, v97, s[98:99]
	;; [unrolled: 1-line block ×11, first 2 shown]
	v_cndmask_b32_e32 v105, v93, v97, vcc
	v_cndmask_b32_e64 v106, v94, v97, s[46:47]
	v_cndmask_b32_e64 v107, v95, v97, s[50:51]
	;; [unrolled: 1-line block ×19, first 2 shown]
	ds_bpermute_b32 v108, v118, v81
	v_readlane_b32 s42, v127, 32
	v_readlane_b32 s46, v127, 28
	;; [unrolled: 1-line block ×4, first 2 shown]
	s_waitcnt lgkmcnt(0)
	v_cndmask_b32_e64 v94, v83, v108, s[80:81]
	v_cndmask_b32_e64 v83, v106, v108, s[38:39]
	v_readlane_b32 s39, v127, 36
	s_mul_i32 s0, s39, s89
	v_cndmask_b32_e64 v90, v87, v108, s[64:65]
	v_cndmask_b32_e64 v89, v88, v108, s[60:61]
	;; [unrolled: 1-line block ×4, first 2 shown]
	s_ashr_i32 s1, s0, 31
	v_readlane_b32 s52, v127, 2
	v_cndmask_b32_e64 v92, v85, v108, s[72:73]
	v_cndmask_b32_e64 v85, v103, v108, s[44:45]
	s_lshl_b64 s[0:1], s[0:1], 1
	v_readlane_b32 s56, v127, 6
	v_readlane_b32 s44, v127, 30
	;; [unrolled: 1-line block ×3, first 2 shown]
	s_add_u32 s2, s56, s0
	v_readlane_b32 s45, v127, 31
	s_addc_u32 s3, s57, s1
	s_ashr_i32 s45, s44, 31
	s_lshl_b64 s[0:1], s[44:45], 1
	s_add_u32 s0, s2, s0
	v_cndmask_b32_e64 v93, v84, v108, s[76:77]
	v_cndmask_b32_e64 v91, v86, v108, s[68:69]
	;; [unrolled: 1-line block ×4, first 2 shown]
	s_addc_u32 s1, s3, s1
	v_readlane_b32 s40, v127, 35
	v_readlane_b32 s48, v127, 26
	v_cndmask_b32_e64 v95, v82, v108, s[84:85]
	v_cndmask_b32_e64 v82, v107, v108, s[36:37]
	v_readlane_b32 s53, v127, 3
	v_readlane_b32 s54, v127, 4
	;; [unrolled: 1-line block ×5, first 2 shown]
	s_max_i32 s7, s40, 0
	v_cndmask_b32_e64 v81, v96, v108, s[8:9]
	v_cndmask_b32_e64 v80, v97, v108, s[4:5]
	v_lshl_add_u64 v[102:103], s[0:1], 0, v[122:123]
	s_mov_b64 s[0:1], 0
	s_mov_b32 s8, 0
	v_readlane_b32 s13, v127, 14
	v_readlane_b32 s26, v127, 15
	;; [unrolled: 1-line block ×15, first 2 shown]
                                        ; implicit-def: $sgpr2_sgpr3
	s_branch .LBB138_37
.LBB138_36:                             ;   in Loop: Header=BB138_37 Depth=2
	s_or_b64 exec, exec, s[4:5]
	s_and_b64 s[4:5], exec, s[2:3]
	s_or_b64 s[0:1], s[4:5], s[0:1]
	s_andn2_b64 exec, exec, s[0:1]
	s_cbranch_execz .LBB138_39
.LBB138_37:                             ;   Parent Loop BB138_7 Depth=1
                                        ; =>  This Inner Loop Header: Depth=2
	s_and_b32 s4, s8, 2
	s_and_b32 s5, s6, 24
	s_or_b32 s4, s5, s4
	s_waitcnt vmcnt(0)
	v_or_b32_e32 v96, s4, v100
	v_add_u32_e32 v97, s7, v96
	v_cmp_gt_u32_e32 vcc, 32, v97
	s_or_b64 s[2:3], s[2:3], exec
	s_and_saveexec_b64 s[4:5], vcc
	s_cbranch_execz .LBB138_36
; %bb.38:                               ;   in Loop: Header=BB138_37 Depth=2
	s_add_i32 s9, s8, 1
	s_set_gpr_idx_on s8, gpr_idx(SRC0)
	v_mov_b32_e32 v97, v0
	s_set_gpr_idx_off
	v_cvt_f16_f32_e32 v98, v97
	s_set_gpr_idx_on s9, gpr_idx(SRC0)
	v_mov_b32_e32 v97, v0
	s_set_gpr_idx_off
	v_cvt_f16_f32_sdwa v99, v97 dst_sel:WORD_1 dst_unused:UNUSED_PAD src0_sel:DWORD
	v_mul_lo_u32 v96, v96, s89
	v_ashrrev_i32_e32 v97, 31, v96
	v_lshl_add_u64 v[96:97], v[96:97], 1, v[102:103]
	v_or_b32_e32 v98, v99, v98
	;;#ASMSTART
	global_atomic_pk_add_f16 v[96:97], v98, off
	
	;;#ASMEND
	s_set_gpr_idx_on s8, gpr_idx(SRC0)
	v_mov_b32_e32 v98, v16
	s_set_gpr_idx_off
	v_cvt_f16_f32_e32 v105, v98
	s_set_gpr_idx_on s9, gpr_idx(SRC0)
	v_mov_b32_e32 v98, v16
	s_set_gpr_idx_off
	v_cvt_f16_f32_sdwa v106, v98 dst_sel:WORD_1 dst_unused:UNUSED_PAD src0_sel:DWORD
	v_lshl_add_u64 v[98:99], v[96:97], 0, 64
	s_mov_b64 s[10:11], 0x80
	s_add_i32 s6, s6, 4
	v_or_b32_e32 v105, v106, v105
	;;#ASMSTART
	global_atomic_pk_add_f16 v[98:99], v105, off
	
	;;#ASMEND
	s_set_gpr_idx_on s8, gpr_idx(SRC0)
	v_mov_b32_e32 v98, v32
	s_set_gpr_idx_off
	v_cvt_f16_f32_e32 v105, v98
	s_set_gpr_idx_on s9, gpr_idx(SRC0)
	v_mov_b32_e32 v98, v32
	s_set_gpr_idx_off
	v_cvt_f16_f32_sdwa v106, v98 dst_sel:WORD_1 dst_unused:UNUSED_PAD src0_sel:DWORD
	v_lshl_add_u64 v[98:99], v[96:97], 0, s[10:11]
	s_mov_b64 s[10:11], 0xc0
	v_or_b32_e32 v105, v106, v105
	;;#ASMSTART
	global_atomic_pk_add_f16 v[98:99], v105, off
	
	;;#ASMEND
	s_set_gpr_idx_on s8, gpr_idx(SRC0)
	v_mov_b32_e32 v98, v48
	s_set_gpr_idx_off
	v_cvt_f16_f32_e32 v105, v98
	s_set_gpr_idx_on s9, gpr_idx(SRC0)
	v_mov_b32_e32 v98, v48
	s_set_gpr_idx_off
	v_cvt_f16_f32_sdwa v106, v98 dst_sel:WORD_1 dst_unused:UNUSED_PAD src0_sel:DWORD
	v_lshl_add_u64 v[98:99], v[96:97], 0, s[10:11]
	s_mov_b64 s[10:11], 0x100
	v_or_b32_e32 v105, v106, v105
	;;#ASMSTART
	global_atomic_pk_add_f16 v[98:99], v105, off
	
	;;#ASMEND
	s_set_gpr_idx_on s8, gpr_idx(SRC0)
	v_mov_b32_e32 v98, v64
	s_set_gpr_idx_off
	v_cvt_f16_f32_e32 v105, v98
	s_set_gpr_idx_on s9, gpr_idx(SRC0)
	v_mov_b32_e32 v98, v64
	s_set_gpr_idx_off
	v_cvt_f16_f32_sdwa v106, v98 dst_sel:WORD_1 dst_unused:UNUSED_PAD src0_sel:DWORD
	v_lshl_add_u64 v[98:99], v[96:97], 0, s[10:11]
	s_mov_b64 s[10:11], 0x140
	v_lshl_add_u64 v[96:97], v[96:97], 0, s[10:11]
	v_or_b32_e32 v105, v106, v105
	;;#ASMSTART
	global_atomic_pk_add_f16 v[98:99], v105, off
	
	;;#ASMEND
	s_set_gpr_idx_on s8, gpr_idx(SRC0)
	v_mov_b32_e32 v98, v80
	s_set_gpr_idx_off
	v_cvt_f16_f32_e32 v98, v98
	s_set_gpr_idx_on s9, gpr_idx(SRC0)
	v_mov_b32_e32 v99, v80
	s_set_gpr_idx_off
	s_add_i32 s8, s8, 2
	v_cvt_f16_f32_sdwa v99, v99 dst_sel:WORD_1 dst_unused:UNUSED_PAD src0_sel:DWORD
	s_cmp_eq_u32 s8, 16
	s_cselect_b64 s[10:11], -1, 0
	s_andn2_b64 s[2:3], s[2:3], exec
	s_and_b64 s[10:11], s[10:11], exec
	s_or_b64 s[2:3], s[2:3], s[10:11]
	v_or_b32_e32 v98, v99, v98
	;;#ASMSTART
	global_atomic_pk_add_f16 v[96:97], v98, off
	
	;;#ASMEND
	s_branch .LBB138_36
.LBB138_39:                             ;   in Loop: Header=BB138_7 Depth=1
	s_or_b64 exec, exec, s[0:1]
	scratch_load_dword v13, off, off offset:36 ; 4-byte Folded Reload
	scratch_load_dword v120, off, off offset:40 ; 4-byte Folded Reload
	scratch_load_dwordx2 v[14:15], off, off offset:84 ; 8-byte Folded Reload
	scratch_load_dword v16, off, off offset:100 ; 4-byte Folded Reload
	scratch_load_dword v17, off, off offset:104 ; 4-byte Folded Reload
	v_readlane_b32 s11, v127, 0
.LBB138_40:                             ;   in Loop: Header=BB138_7 Depth=1
	s_or_b64 exec, exec, s[48:49]
.LBB138_41:                             ;   in Loop: Header=BB138_7 Depth=1
	s_andn2_saveexec_b64 s[0:1], s[46:47]
	s_cbranch_execz .LBB138_50
; %bb.42:                               ;   in Loop: Header=BB138_7 Depth=1
	s_mul_i32 s10, s92, 6
	v_cmp_gt_i32_e32 vcc, s10, v101
	s_and_saveexec_b64 s[2:3], vcc
	s_cbranch_execz .LBB138_49
; %bb.43:                               ;   in Loop: Header=BB138_7 Depth=1
	scratch_load_dwordx2 v[0:1], off, off offset:92 ; 8-byte Folded Reload
	s_mul_i32 s4, s44, s91
	s_ashr_i32 s5, s4, 31
	s_add_u32 s4, s54, s4
	s_addc_u32 s5, s55, s5
	s_ashr_i32 s6, s41, 31
	s_add_u32 s4, s4, s41
	s_addc_u32 s5, s5, s6
	s_waitcnt vmcnt(0)
	v_lshl_add_u64 v[0:1], s[4:5], 0, v[0:1]
	v_lshl_add_u64 v[8:9], v[0:1], 0, v[14:15]
	s_mov_b64 s[4:5], 0
	s_branch .LBB138_45
.LBB138_44:                             ;   in Loop: Header=BB138_45 Depth=2
	s_or_b64 exec, exec, s[6:7]
	v_lshl_or_b32 v12, v10, 11, v16
	;;#ASMSTART
	s_waitcnt vmcnt(1)
	;;#ASMEND
	ds_write2_b32 v12, v4, v5 offset1:32
	ds_write2_b32 v12, v6, v7 offset0:64 offset1:96
	v_add_u32_e32 v4, 0x400, v12
	v_add_u32_e32 v101, s94, v101
	;;#ASMSTART
	s_waitcnt vmcnt(0)
	;;#ASMEND
	ds_write2_b32 v4, v0, v1 offset1:32
	ds_write2_b32 v4, v2, v3 offset0:64 offset1:96
	v_add_u32_e32 v0, 1, v111
	v_add_u32_e32 v104, s94, v10
	v_cmp_le_i32_e32 vcc, s10, v101
	ds_write_b32 v11, v0 offset:8
	v_add_u32_e32 v0, 2, v111
	s_or_b64 s[4:5], vcc, s[4:5]
	v_cmp_lt_i32_e32 vcc, 11, v104
	s_nop 1
	v_cndmask_b32_e32 v111, v111, v0, vcc
	s_andn2_b64 exec, exec, s[4:5]
	s_cbranch_execz .LBB138_48
.LBB138_45:                             ;   Parent Loop BB138_7 Depth=1
                                        ; =>  This Loop Header: Depth=2
                                        ;       Child Loop BB138_47 Depth 3
	v_cmp_gt_i32_e32 vcc, 12, v104
	s_mov_b32 s6, 0x2aaaaaab
	s_nop 0
	v_cndmask_b32_e64 v0, -12, 0, vcc
	v_add_u32_e32 v10, v0, v104
	v_mul_hi_i32 v0, v101, s6
	v_lshrrev_b32_e32 v1, 31, v0
	v_add_u32_e32 v0, v0, v1
	v_mul_lo_u32 v1, v0, 6
	v_sub_u32_e32 v2, v101, v1
	v_lshlrev_b32_e32 v0, 6, v0
	v_ashrrev_i32_e32 v1, 31, v0
	v_mul_lo_u32 v2, s31, v2
	v_lshl_add_u64 v[0:1], v[8:9], 0, v[0:1]
	v_ashrrev_i32_e32 v3, 31, v2
	v_lshl_add_u64 v[0:1], v[0:1], 0, v[2:3]
	v_lshlrev_b32_e32 v11, 2, v10
	;;#ASMSTART
	global_load_dwordx4 v[4:7], v[0:1], off offset:0   sc0 sc1 nt  
	global_load_dwordx4 v[0:3], v[0:1], off offset:32  sc0 sc1 nt  
	
	;;#ASMEND
	ds_read_b32 v12, v11 offset:28680
	v_add_u32_e32 v11, 0x7000, v11
	s_waitcnt lgkmcnt(0)
	v_cmp_ne_u32_e32 vcc, v12, v111
	s_and_saveexec_b64 s[6:7], vcc
	s_cbranch_execz .LBB138_44
; %bb.46:                               ;   in Loop: Header=BB138_45 Depth=2
	s_mov_b64 s[8:9], 0
.LBB138_47:                             ;   Parent Loop BB138_7 Depth=1
                                        ;     Parent Loop BB138_45 Depth=2
                                        ; =>    This Inner Loop Header: Depth=3
	;;#ASMSTART
	s_sleep 0
	;;#ASMEND
	ds_read_b32 v12, v11 offset:8
	s_waitcnt lgkmcnt(0)
	v_cmp_eq_u32_e32 vcc, v12, v111
	s_or_b64 s[8:9], vcc, s[8:9]
	s_andn2_b64 exec, exec, s[8:9]
	s_cbranch_execnz .LBB138_47
	s_branch .LBB138_44
.LBB138_48:                             ;   in Loop: Header=BB138_7 Depth=1
	s_or_b64 exec, exec, s[4:5]
.LBB138_49:                             ;   in Loop: Header=BB138_7 Depth=1
	s_or_b64 exec, exec, s[2:3]
	v_subrev_u32_e32 v101, s10, v101
.LBB138_50:                             ;   in Loop: Header=BB138_7 Depth=1
	s_or_b64 exec, exec, s[0:1]
.LBB138_51:                             ;   in Loop: Header=BB138_7 Depth=1
	s_andn2_saveexec_b64 s[0:1], s[42:43]
	s_cbranch_execz .LBB138_6
; %bb.52:                               ;   in Loop: Header=BB138_7 Depth=1
	v_cmp_gt_i32_e32 vcc, s92, v101
	s_and_saveexec_b64 s[2:3], vcc
	s_cbranch_execz .LBB138_5
; %bb.53:                               ;   in Loop: Header=BB138_7 Depth=1
	s_mul_i32 s4, s39, s90
	s_ashr_i32 s5, s4, 31
	s_add_u32 s4, s52, s4
	s_addc_u32 s5, s53, s5
	s_ashr_i32 s6, s41, 31
	s_waitcnt vmcnt(3)
	v_mul_lo_u32 v0, s90, v120
	s_waitcnt vmcnt(0)
	v_cmp_le_i32_e32 vcc, s40, v17
	s_add_u32 s4, s4, s41
	s_addc_u32 s5, s5, s6
	v_cndmask_b32_e32 v0, 0, v0, vcc
	v_ashrrev_i32_e32 v1, 31, v0
	v_lshl_add_u64 v[0:1], s[4:5], 0, v[0:1]
	v_lshl_add_u64 v[8:9], v[0:1], 0, v[14:15]
	s_mov_b64 s[4:5], 0
	s_branch .LBB138_55
.LBB138_54:                             ;   in Loop: Header=BB138_55 Depth=2
	s_or_b64 exec, exec, s[6:7]
	v_lshl_add_u32 v12, v10, 11, v125
	;;#ASMSTART
	s_waitcnt vmcnt(1)
	;;#ASMEND
	ds_write2_b32 v12, v4, v5 offset1:32
	ds_write2_b32 v12, v6, v7 offset0:64 offset1:96
	v_add_u32_e32 v4, 0x400, v12
	v_add_u32_e32 v101, s93, v101
	;;#ASMSTART
	s_waitcnt vmcnt(0)
	;;#ASMEND
	ds_write2_b32 v4, v0, v1 offset1:32
	ds_write2_b32 v4, v2, v3 offset0:64 offset1:96
	v_add_u32_e32 v0, 1, v111
	v_add_u32_e32 v104, s93, v10
	v_cmp_le_i32_e32 vcc, s92, v101
	ds_write_b32 v11, v0
	v_add_u32_e32 v0, 2, v111
	s_or_b64 s[4:5], vcc, s[4:5]
	v_cmp_lt_i32_e32 vcc, 1, v104
	s_nop 1
	v_cndmask_b32_e32 v111, v111, v0, vcc
	s_andn2_b64 exec, exec, s[4:5]
	s_cbranch_execz .LBB138_4
.LBB138_55:                             ;   Parent Loop BB138_7 Depth=1
                                        ; =>  This Loop Header: Depth=2
                                        ;       Child Loop BB138_57 Depth 3
	v_cmp_gt_i32_e32 vcc, 2, v104
	s_nop 1
	v_cndmask_b32_e64 v0, -2, 0, vcc
	v_add_u32_e32 v10, v0, v104
	v_lshlrev_b32_e32 v0, 6, v101
	v_ashrrev_i32_e32 v1, 31, v0
	v_lshl_add_u64 v[0:1], v[8:9], 0, v[0:1]
	v_lshlrev_b32_e32 v11, 2, v10
	;;#ASMSTART
	global_load_dwordx4 v[4:7], v[0:1], off offset:0   
	global_load_dwordx4 v[0:3], v[0:1], off offset:32  
	
	;;#ASMEND
	ds_read_b32 v12, v11 offset:28672
	v_add_u32_e32 v11, 0x7000, v11
	s_waitcnt lgkmcnt(0)
	v_cmp_ne_u32_e32 vcc, v12, v111
	s_and_saveexec_b64 s[6:7], vcc
	s_cbranch_execz .LBB138_54
; %bb.56:                               ;   in Loop: Header=BB138_55 Depth=2
	s_mov_b64 s[8:9], 0
.LBB138_57:                             ;   Parent Loop BB138_7 Depth=1
                                        ;     Parent Loop BB138_55 Depth=2
                                        ; =>    This Inner Loop Header: Depth=3
	;;#ASMSTART
	s_sleep 0
	;;#ASMEND
	ds_read_b32 v12, v11
	s_waitcnt lgkmcnt(0)
	v_cmp_eq_u32_e32 vcc, v12, v111
	s_or_b64 s[8:9], vcc, s[8:9]
	s_andn2_b64 exec, exec, s[8:9]
	s_cbranch_execnz .LBB138_57
	s_branch .LBB138_54
.LBB138_58:
	s_endpgm
	.section	.rodata,"a",@progbits
	.p2align	6, 0x0
	.amdhsa_kernel _Z19_skinny_gemm_kernelILi1ELi6ELi2ELi32ELi4EEvPKhS1_P6__halfPKfiiiiiiii
		.amdhsa_group_segment_fixed_size 28728
		.amdhsa_private_segment_fixed_size 116
		.amdhsa_kernarg_size 64
		.amdhsa_user_sgpr_count 2
		.amdhsa_user_sgpr_dispatch_ptr 0
		.amdhsa_user_sgpr_queue_ptr 0
		.amdhsa_user_sgpr_kernarg_segment_ptr 1
		.amdhsa_user_sgpr_dispatch_id 0
		.amdhsa_user_sgpr_kernarg_preload_length 0
		.amdhsa_user_sgpr_kernarg_preload_offset 0
		.amdhsa_user_sgpr_private_segment_size 0
		.amdhsa_uses_dynamic_stack 0
		.amdhsa_enable_private_segment 1
		.amdhsa_system_sgpr_workgroup_id_x 1
		.amdhsa_system_sgpr_workgroup_id_y 0
		.amdhsa_system_sgpr_workgroup_id_z 0
		.amdhsa_system_sgpr_workgroup_info 0
		.amdhsa_system_vgpr_workitem_id 0
		.amdhsa_next_free_vgpr 128
		.amdhsa_next_free_sgpr 100
		.amdhsa_accum_offset 128
		.amdhsa_reserve_vcc 1
		.amdhsa_float_round_mode_32 0
		.amdhsa_float_round_mode_16_64 0
		.amdhsa_float_denorm_mode_32 3
		.amdhsa_float_denorm_mode_16_64 3
		.amdhsa_dx10_clamp 1
		.amdhsa_ieee_mode 1
		.amdhsa_fp16_overflow 0
		.amdhsa_tg_split 0
		.amdhsa_exception_fp_ieee_invalid_op 0
		.amdhsa_exception_fp_denorm_src 0
		.amdhsa_exception_fp_ieee_div_zero 0
		.amdhsa_exception_fp_ieee_overflow 0
		.amdhsa_exception_fp_ieee_underflow 0
		.amdhsa_exception_fp_ieee_inexact 0
		.amdhsa_exception_int_div_zero 0
	.end_amdhsa_kernel
	.section	.text._Z19_skinny_gemm_kernelILi1ELi6ELi2ELi32ELi4EEvPKhS1_P6__halfPKfiiiiiiii,"axG",@progbits,_Z19_skinny_gemm_kernelILi1ELi6ELi2ELi32ELi4EEvPKhS1_P6__halfPKfiiiiiiii,comdat
.Lfunc_end138:
	.size	_Z19_skinny_gemm_kernelILi1ELi6ELi2ELi32ELi4EEvPKhS1_P6__halfPKfiiiiiiii, .Lfunc_end138-_Z19_skinny_gemm_kernelILi1ELi6ELi2ELi32ELi4EEvPKhS1_P6__halfPKfiiiiiiii
                                        ; -- End function
	.set _Z19_skinny_gemm_kernelILi1ELi6ELi2ELi32ELi4EEvPKhS1_P6__halfPKfiiiiiiii.num_vgpr, 128
	.set _Z19_skinny_gemm_kernelILi1ELi6ELi2ELi32ELi4EEvPKhS1_P6__halfPKfiiiiiiii.num_agpr, 0
	.set _Z19_skinny_gemm_kernelILi1ELi6ELi2ELi32ELi4EEvPKhS1_P6__halfPKfiiiiiiii.numbered_sgpr, 100
	.set _Z19_skinny_gemm_kernelILi1ELi6ELi2ELi32ELi4EEvPKhS1_P6__halfPKfiiiiiiii.num_named_barrier, 0
	.set _Z19_skinny_gemm_kernelILi1ELi6ELi2ELi32ELi4EEvPKhS1_P6__halfPKfiiiiiiii.private_seg_size, 116
	.set _Z19_skinny_gemm_kernelILi1ELi6ELi2ELi32ELi4EEvPKhS1_P6__halfPKfiiiiiiii.uses_vcc, 1
	.set _Z19_skinny_gemm_kernelILi1ELi6ELi2ELi32ELi4EEvPKhS1_P6__halfPKfiiiiiiii.uses_flat_scratch, 0
	.set _Z19_skinny_gemm_kernelILi1ELi6ELi2ELi32ELi4EEvPKhS1_P6__halfPKfiiiiiiii.has_dyn_sized_stack, 0
	.set _Z19_skinny_gemm_kernelILi1ELi6ELi2ELi32ELi4EEvPKhS1_P6__halfPKfiiiiiiii.has_recursion, 0
	.set _Z19_skinny_gemm_kernelILi1ELi6ELi2ELi32ELi4EEvPKhS1_P6__halfPKfiiiiiiii.has_indirect_call, 0
	.section	.AMDGPU.csdata,"",@progbits
; Kernel info:
; codeLenInByte = 20508
; TotalNumSgprs: 106
; NumVgprs: 128
; NumAgprs: 0
; TotalNumVgprs: 128
; ScratchSize: 116
; MemoryBound: 0
; FloatMode: 240
; IeeeMode: 1
; LDSByteSize: 28728 bytes/workgroup (compile time only)
; SGPRBlocks: 13
; VGPRBlocks: 15
; NumSGPRsForWavesPerEU: 106
; NumVGPRsForWavesPerEU: 128
; AccumOffset: 128
; Occupancy: 4
; WaveLimiterHint : 0
; COMPUTE_PGM_RSRC2:SCRATCH_EN: 1
; COMPUTE_PGM_RSRC2:USER_SGPR: 2
; COMPUTE_PGM_RSRC2:TRAP_HANDLER: 0
; COMPUTE_PGM_RSRC2:TGID_X_EN: 1
; COMPUTE_PGM_RSRC2:TGID_Y_EN: 0
; COMPUTE_PGM_RSRC2:TGID_Z_EN: 0
; COMPUTE_PGM_RSRC2:TIDIG_COMP_CNT: 0
; COMPUTE_PGM_RSRC3_GFX90A:ACCUM_OFFSET: 31
; COMPUTE_PGM_RSRC3_GFX90A:TG_SPLIT: 0
	.section	.text._Z19_skinny_gemm_kernelILi1ELi6ELi2ELi32ELi8EEvPKhS1_P6__halfPKfiiiiiiii,"axG",@progbits,_Z19_skinny_gemm_kernelILi1ELi6ELi2ELi32ELi8EEvPKhS1_P6__halfPKfiiiiiiii,comdat
	.protected	_Z19_skinny_gemm_kernelILi1ELi6ELi2ELi32ELi8EEvPKhS1_P6__halfPKfiiiiiiii ; -- Begin function _Z19_skinny_gemm_kernelILi1ELi6ELi2ELi32ELi8EEvPKhS1_P6__halfPKfiiiiiiii
	.globl	_Z19_skinny_gemm_kernelILi1ELi6ELi2ELi32ELi8EEvPKhS1_P6__halfPKfiiiiiiii
	.p2align	8
	.type	_Z19_skinny_gemm_kernelILi1ELi6ELi2ELi32ELi8EEvPKhS1_P6__halfPKfiiiiiiii,@function
_Z19_skinny_gemm_kernelILi1ELi6ELi2ELi32ELi8EEvPKhS1_P6__halfPKfiiiiiiii: ; @_Z19_skinny_gemm_kernelILi1ELi6ELi2ELi32ELi8EEvPKhS1_P6__halfPKfiiiiiiii
; %bb.0:
	v_cmp_gt_u32_e32 vcc, 14, v0
	s_and_saveexec_b64 s[4:5], vcc
; %bb.1:
	v_lshlrev_b32_e32 v1, 2, v0
	v_mov_b32_e32 v2, 0
	ds_write_b32 v1, v2 offset:57344
; %bb.2:
	s_or_b64 exec, exec, s[4:5]
	s_load_dwordx8 s[88:95], s[0:1], 0x20
	s_waitcnt lgkmcnt(0)
	s_barrier
	s_add_i32 s3, s88, 31
	s_ashr_i32 s5, s3, 31
	s_add_i32 s4, s89, 0xbf
	s_lshr_b32 s5, s5, 27
	s_mul_hi_i32 s4, s4, 0x2aaaaaab
	s_add_i32 s3, s3, s5
	s_ashr_i32 s11, s3, 5
	s_lshr_b32 s3, s4, 31
	s_ashr_i32 s4, s4, 5
	s_add_i32 s12, s4, s3
	s_mul_i32 s3, s12, s11
	s_mul_i32 s3, s3, s92
	s_add_i32 s4, s3, 0x12f
	s_mul_hi_i32 s4, s4, 0x6bca1af3
	s_lshr_b32 s5, s4, 31
	s_ashr_i32 s4, s4, 7
	s_add_i32 s4, s4, s5
	s_add_i32 s5, s2, 1
	s_mul_i32 s5, s4, s5
	v_cvt_f64_i32_e32 v[2:3], s3
	v_cvt_f64_u32_e32 v[4:5], s5
	v_min_f64 v[2:3], v[2:3], v[4:5]
	v_cvt_i32_f64_e32 v21, v[2:3]
	s_mul_i32 s33, s4, s2
	v_cmp_ge_i32_e32 vcc, s33, v21
	s_cbranch_vccnz .LBB139_58
; %bb.3:
	s_load_dwordx8 s[52:59], s[0:1], 0x0
	v_lshrrev_b32_e32 v1, 6, v0
	s_add_i32 s0, s94, s93
	v_cmp_le_i32_e64 s[14:15], s0, v1
	v_mov_b32_e32 v2, s93
	v_cmp_le_i32_e64 s[24:25], s93, v1
	v_mov_b32_e32 v3, s94
	v_cndmask_b32_e64 v3, 0, v3, s[14:15]
	v_cndmask_b32_e64 v2, 0, v2, s[24:25]
	s_abs_i32 s1, s92
	v_add_u32_e32 v2, v2, v3
	v_cvt_f32_u32_e32 v3, s1
	v_sub_u32_e32 v104, v1, v2
	s_ashr_i32 s2, s90, 31
	s_lshr_b32 s2, s2, 25
	v_rcp_iflag_f32_e32 v2, v3
	s_sub_i32 s5, 0, s1
	s_add_i32 s2, s90, s2
	s_ashr_i32 s2, s2, 7
	v_mul_f32_e32 v2, 0x4f7ffffe, v2
	v_cvt_u32_f32_e32 v2, v2
	s_abs_i32 s4, s2
	s_xor_b32 s3, s2, s92
	s_ashr_i32 s3, s3, 31
	v_readfirstlane_b32 s6, v2
	s_mul_i32 s5, s5, s6
	s_mul_hi_u32 s5, s6, s5
	s_add_i32 s6, s6, s5
	s_mul_hi_u32 s5, s4, s6
	s_mul_i32 s6, s5, s1
	s_sub_i32 s4, s4, s6
	s_add_i32 s6, s5, 1
	s_sub_i32 s7, s4, s1
	s_cmp_ge_u32 s4, s1
	s_cselect_b32 s5, s6, s5
	s_cselect_b32 s4, s7, s4
	s_add_i32 s6, s5, 1
	s_cmp_ge_u32 s4, s1
	s_cselect_b32 s1, s6, s5
	s_add_i32 s0, s0, s95
	v_and_b32_e32 v99, 31, v0
	v_lshrrev_b32_e32 v2, 3, v0
	v_cmp_gt_i32_e64 s[28:29], s0, v1
	v_lshlrev_b32_e32 v1, 2, v99
	v_and_b32_e32 v3, 4, v2
	v_lshlrev_b32_e32 v2, 6, v3
	v_or_b32_e32 v4, 0xc000, v1
	v_and_b32_e32 v5, 1, v0
	v_or_b32_e32 v123, v4, v2
	v_or_b32_e32 v126, v1, v2
	v_lshlrev_b32_e32 v2, 1, v5
	v_sub_u32_e32 v2, v0, v2
	v_mul_lo_u32 v8, s91, v99
	v_add_u32_e32 v2, 1, v2
	v_ashrrev_i32_e32 v9, 31, v8
	s_abs_i32 s30, s11
                                        ; implicit-def: $vgpr127 : SGPR spill to VGPR lane
	v_and_b32_e32 v6, 63, v2
	v_bitop3_b32 v2, v0, 1, v0 bitop3:0xc
	scratch_store_dwordx2 off, v[8:9], off offset:80 ; 8-byte Folded Spill
	v_cvt_f32_u32_e32 v8, s30
	v_writelane_b32 v127, s11, 0
	scratch_store_dword off, v2, off offset:40 ; 4-byte Folded Spill
	v_bitop3_b32 v2, v0, 3, 1 bitop3:0x6c
	v_lshrrev_b32_e32 v7, 1, v0
	v_writelane_b32 v127, s12, 1
	scratch_store_dword off, v2, off offset:44 ; 4-byte Folded Spill
	v_bitop3_b32 v2, v0, 5, 1 bitop3:0x6c
	v_and_b32_e32 v22, 16, v7
	v_lshlrev_b32_e32 v7, 4, v0
	s_waitcnt lgkmcnt(0)
	v_writelane_b32 v127, s52, 2
	scratch_store_dword off, v2, off offset:48 ; 4-byte Folded Spill
	v_bitop3_b32 v2, v0, 7, 1 bitop3:0x6c
	v_and_b32_e32 v7, 0x200, v7
	v_writelane_b32 v127, s53, 3
	scratch_store_dword off, v2, off offset:52 ; 4-byte Folded Spill
	v_bitop3_b32 v2, v0, 9, 1 bitop3:0x6c
	v_or_b32_e32 v24, v1, v7
	v_rcp_iflag_f32_e32 v1, v8
	v_writelane_b32 v127, s54, 4
	scratch_store_dword off, v2, off offset:56 ; 4-byte Folded Spill
	v_bitop3_b32 v2, v0, 11, 1 bitop3:0x6c
	v_writelane_b32 v127, s55, 5
	scratch_store_dword off, v2, off offset:60 ; 4-byte Folded Spill
	v_bitop3_b32 v2, v0, 13, 1 bitop3:0x6c
	;; [unrolled: 3-line block ×3, first 2 shown]
	s_abs_i32 s34, s12
	v_writelane_b32 v127, s57, 7
	scratch_store_dword off, v2, off offset:68 ; 4-byte Folded Spill
	v_and_b32_e32 v2, 30, v0
	v_bitop3_b32 v25, v0, 31, v0 bitop3:0xc
	v_mul_f32_e32 v0, 0x4f7ffffe, v1
	v_cvt_f32_u32_e32 v1, s34
	v_writelane_b32 v127, s58, 8
	v_writelane_b32 v127, s59, 9
	v_cndmask_b32_e64 v119, 0, 1, s[14:15]
	v_writelane_b32 v127, s14, 10
	s_xor_b32 s1, s1, s3
	v_cvt_u32_f32_e32 v0, v0
	v_writelane_b32 v127, s15, 11
	v_rcp_iflag_f32_e32 v1, v1
	v_writelane_b32 v127, s24, 12
	s_sub_i32 s13, s1, s3
	s_add_i32 s26, s92, -1
	v_writelane_b32 v127, s25, 13
	s_mul_i32 s1, s13, s26
	v_writelane_b32 v127, s13, 14
	s_sub_i32 s27, s2, s1
	v_writelane_b32 v127, s26, 15
	v_readfirstlane_b32 s1, v0
	v_mul_f32_e32 v0, 0x4f7ffffe, v1
	v_writelane_b32 v127, s27, 16
	v_cvt_u32_f32_e32 v0, v0
	v_writelane_b32 v127, s28, 17
	s_sub_i32 s0, 0, s30
	s_lshl_b32 s31, s91, 5
	v_writelane_b32 v127, s29, 18
	s_mul_i32 s0, s0, s1
	v_writelane_b32 v127, s30, 19
	s_mul_hi_u32 s0, s1, s0
	v_writelane_b32 v127, s31, 20
	s_ashr_i32 s35, s11, 31
	s_add_i32 s36, s1, s0
	s_sub_i32 s0, 0, s34
	v_readfirstlane_b32 s1, v0
	v_writelane_b32 v127, s34, 21
	s_mul_i32 s0, s0, s1
	v_mbcnt_lo_u32_b32 v0, -1, 0
	v_writelane_b32 v127, s35, 22
	s_ashr_i32 s37, s12, 31
	s_mul_hi_u32 s0, s1, s0
	v_mbcnt_hi_u32_b32 v0, -1, v0
	v_writelane_b32 v127, s36, 23
	v_mov_b32_e32 v107, 0
	s_add_i32 s38, s1, s0
	v_and_or_b32 v0, v0, 64, v6
	v_writelane_b32 v127, s37, 24
	v_mov_b32_e32 v23, v107
	v_or_b32_e32 v120, v4, v7
	v_lshlrev_b32_e32 v106, 1, v2
	v_lshlrev_b32_e32 v0, 2, v0
	v_mov_b32_e32 v121, v104
	v_writelane_b32 v127, s38, 25
	v_or_b32_e32 v118, v5, v3
	scratch_store_dword off, v0, off offset:100 ; 4-byte Folded Spill
	scratch_store_dword off, v21, off offset:24 ; 4-byte Folded Spill
	;; [unrolled: 1-line block ×5, first 2 shown]
	scratch_store_dwordx2 off, v[22:23], off offset:72 ; 8-byte Folded Spill
	scratch_store_dword off, v24, off offset:88 ; 4-byte Folded Spill
	scratch_store_dword off, v25, off offset:92 ; 4-byte Folded Spill
	;; [unrolled: 1-line block ×3, first 2 shown]
	s_branch .LBB139_7
.LBB139_4:                              ;   in Loop: Header=BB139_7 Depth=1
	s_or_b64 exec, exec, s[4:5]
.LBB139_5:                              ;   in Loop: Header=BB139_7 Depth=1
	s_or_b64 exec, exec, s[2:3]
	v_subrev_u32_e32 v121, s92, v121
.LBB139_6:                              ;   in Loop: Header=BB139_7 Depth=1
	s_or_b64 exec, exec, s[0:1]
	s_add_i32 s33, s33, 1
	s_waitcnt vmcnt(4)
	v_cmp_ge_i32_e32 vcc, s33, v21
	s_cbranch_vccnz .LBB139_58
.LBB139_7:                              ; =>This Loop Header: Depth=1
                                        ;     Child Loop BB139_13 Depth 2
                                        ;       Child Loop BB139_15 Depth 3
                                        ;       Child Loop BB139_18 Depth 3
	;; [unrolled: 1-line block ×7, first 2 shown]
                                        ;     Child Loop BB139_37 Depth 2
                                        ;     Child Loop BB139_45 Depth 2
                                        ;       Child Loop BB139_47 Depth 3
                                        ;     Child Loop BB139_55 Depth 2
                                        ;       Child Loop BB139_57 Depth 3
	s_abs_i32 s1, s33
	s_mul_hi_u32 s2, s1, s36
	s_mul_i32 s3, s2, s30
	s_ashr_i32 s0, s33, 31
	s_sub_i32 s1, s1, s3
	s_xor_b32 s0, s0, s35
	s_add_i32 s3, s2, 1
	s_sub_i32 s4, s1, s30
	s_cmp_ge_u32 s1, s30
	s_cselect_b32 s2, s3, s2
	s_cselect_b32 s1, s4, s1
	s_add_i32 s3, s2, 1
	s_cmp_ge_u32 s1, s30
	s_cselect_b32 s1, s3, s2
	s_xor_b32 s1, s1, s0
	s_sub_i32 s0, s1, s0
	s_abs_i32 s2, s0
	s_mul_i32 s1, s0, s11
	s_mul_hi_u32 s3, s2, s38
	s_sub_i32 s1, s33, s1
	s_mul_i32 s4, s3, s34
	s_lshl_b32 s16, s1, 5
	s_ashr_i32 s1, s0, 31
	s_sub_i32 s2, s2, s4
	s_xor_b32 s1, s1, s37
	s_add_i32 s4, s3, 1
	s_sub_i32 s5, s2, s34
	s_cmp_ge_u32 s2, s34
	s_cselect_b32 s3, s4, s3
	s_cselect_b32 s2, s5, s2
	s_add_i32 s4, s3, 1
	s_cmp_ge_u32 s2, s34
	s_cselect_b32 s2, s4, s3
	s_xor_b32 s2, s2, s1
	s_sub_i32 s1, s2, s1
	s_mul_i32 s2, s1, s13
	s_lshl_b32 s41, s2, 7
	s_cmp_eq_u32 s1, s26
	s_cselect_b32 s92, s27, s13
	s_sub_i32 s2, s16, s88
	s_add_i32 s40, s2, 32
	s_and_saveexec_b64 s[2:3], s[24:25]
	s_xor_b64 s[42:43], exec, s[2:3]
	s_cbranch_execz .LBB139_51
; %bb.8:                                ;   in Loop: Header=BB139_7 Depth=1
	s_mul_i32 s1, s1, s12
	s_sub_i32 s0, s0, s1
	s_mulk_i32 s0, 0xc0
	s_sub_i32 s8, s0, s89
	s_addk_i32 s8, 0xc0
	s_max_i32 s1, s8, 0
	s_sub_i32 s44, s0, s1
	s_and_saveexec_b64 s[0:1], s[14:15]
	s_xor_b64 s[46:47], exec, s[0:1]
	s_cbranch_execz .LBB139_41
; %bb.9:                                ;   in Loop: Header=BB139_7 Depth=1
	s_and_saveexec_b64 s[48:49], s[28:29]
	s_cbranch_execz .LBB139_40
; %bb.10:                               ;   in Loop: Header=BB139_7 Depth=1
	global_load_dword v97, v107, s[58:59]
	v_mov_b32_e32 v95, 0
	v_cmp_gt_i32_e32 vcc, s92, v121
	v_mov_b32_e32 v94, v95
	v_mov_b32_e32 v93, v95
	;; [unrolled: 1-line block ×69, first 2 shown]
	s_waitcnt vmcnt(1)
	v_mov_b32_e32 v25, v95
	v_mov_b32_e32 v24, v95
	;; [unrolled: 1-line block ×26, first 2 shown]
	scratch_store_dwordx2 off, v[106:107], off ; 8-byte Folded Spill
	s_and_saveexec_b64 s[0:1], vcc
	s_cbranch_execz .LBB139_35
; %bb.11:                               ;   in Loop: Header=BB139_7 Depth=1
	v_mov_b32_e32 v0, 0
	s_mov_b64 s[2:3], 0
	v_mov_b32_e32 v1, v0
	v_mov_b32_e32 v2, v0
	;; [unrolled: 1-line block ×95, first 2 shown]
	s_waitcnt vmcnt(1)
	scratch_store_dword off, v97, off offset:8 ; 4-byte Folded Spill
	s_branch .LBB139_13
.LBB139_12:                             ;   in Loop: Header=BB139_13 Depth=2
	s_or_b64 exec, exec, s[4:5]
	v_add_u32_e32 v97, 0x5000, v96
	ds_read2_b32 v[100:101], v97 offset1:32
	v_add_u32_e32 v98, 0x5c00, v96
	v_add_u32_e32 v121, s95, v121
	s_waitcnt lgkmcnt(0)
	v_mfma_f32_32x32x16_fp8_fp8 v[0:15], v[116:117], v[100:101], v[0:15]
	ds_read2_b32 v[100:101], v97 offset0:128 offset1:160
	v_add_u32_e32 v97, 0x5400, v96
	s_waitcnt lgkmcnt(0)
	v_mfma_f32_32x32x16_fp8_fp8 v[0:15], v[114:115], v[100:101], v[0:15]
	ds_read2_b32 v[100:101], v97 offset1:32
	s_waitcnt lgkmcnt(0)
	v_mfma_f32_32x32x16_fp8_fp8 v[0:15], v[112:113], v[100:101], v[0:15]
	ds_read2_b32 v[100:101], v97 offset0:128 offset1:160
	v_add_u32_e32 v97, 0x5800, v96
	s_waitcnt lgkmcnt(0)
	v_mfma_f32_32x32x16_fp8_fp8 v[0:15], v[110:111], v[100:101], v[0:15]
	ds_read2_b32 v[100:101], v97 offset1:32
	s_waitcnt lgkmcnt(0)
	v_mfma_f32_32x32x16_fp8_fp8 v[0:15], v[108:109], v[100:101], v[0:15]
	ds_read2_b32 v[100:101], v97 offset0:128 offset1:160
	s_waitcnt lgkmcnt(0)
	v_mfma_f32_32x32x16_fp8_fp8 v[0:15], v[106:107], v[100:101], v[0:15]
	ds_read2_b32 v[96:97], v98 offset1:32
	ds_read2_b32 v[100:101], v98 offset0:128 offset1:160
	ds_write_b32 v124, v125 offset:57388
	s_waitcnt lgkmcnt(2)
	v_mfma_f32_32x32x16_fp8_fp8 v[0:15], v[104:105], v[96:97], v[0:15]
	v_add_u32_e32 v104, s95, v122
	v_add_u32_e32 v96, 2, v119
	v_cmp_lt_i32_e32 vcc, 1, v104
	s_nop 1
	v_cndmask_b32_e32 v119, v119, v96, vcc
	v_cmp_le_i32_e32 vcc, s92, v121
	s_waitcnt lgkmcnt(1)
	v_mfma_f32_32x32x16_fp8_fp8 v[0:15], v[102:103], v[100:101], v[0:15]
	s_or_b64 s[2:3], vcc, s[2:3]
	s_andn2_b64 exec, exec, s[2:3]
	s_cbranch_execz .LBB139_34
.LBB139_13:                             ;   Parent Loop BB139_7 Depth=1
                                        ; =>  This Loop Header: Depth=2
                                        ;       Child Loop BB139_15 Depth 3
                                        ;       Child Loop BB139_18 Depth 3
	;; [unrolled: 1-line block ×7, first 2 shown]
	v_cmp_gt_i32_e32 vcc, 2, v104
	s_nop 1
	v_cndmask_b32_e64 v96, -2, 0, vcc
	v_add_u32_e32 v122, v96, v104
	v_mul_lo_u32 v124, v122, 48
	ds_read_b32 v96, v124 offset:57344
	s_waitcnt lgkmcnt(0)
	v_cmp_ne_u32_e32 vcc, v96, v119
	s_and_saveexec_b64 s[4:5], vcc
	s_cbranch_execz .LBB139_16
; %bb.14:                               ;   in Loop: Header=BB139_13 Depth=2
	s_mov_b64 s[6:7], 0
.LBB139_15:                             ;   Parent Loop BB139_7 Depth=1
                                        ;     Parent Loop BB139_13 Depth=2
                                        ; =>    This Inner Loop Header: Depth=3
	;;#ASMSTART
	s_sleep 0
	;;#ASMEND
	ds_read_b32 v96, v124 offset:57344
	s_waitcnt lgkmcnt(0)
	v_cmp_eq_u32_e32 vcc, v96, v119
	s_or_b64 s[6:7], vcc, s[6:7]
	s_andn2_b64 exec, exec, s[6:7]
	s_cbranch_execnz .LBB139_15
.LBB139_16:                             ;   in Loop: Header=BB139_13 Depth=2
	s_or_b64 exec, exec, s[4:5]
	v_lshl_add_u32 v96, v122, 12, v123
	v_add_u32_e32 v97, 0x400, v96
	ds_read2_b32 v[116:117], v96 offset1:32
	ds_read2_b32 v[114:115], v96 offset0:128 offset1:160
	ds_read2_b32 v[112:113], v97 offset1:32
	ds_read2_b32 v[110:111], v97 offset0:128 offset1:160
	v_add_u32_e32 v97, 0x800, v96
	v_add_u32_e32 v96, 0xc00, v96
	ds_read2_b32 v[108:109], v97 offset1:32
	ds_read2_b32 v[106:107], v97 offset0:128 offset1:160
	ds_read2_b32 v[104:105], v96 offset1:32
	ds_read_b32 v97, v124 offset:57348
	ds_read2_b32 v[102:103], v96 offset0:128 offset1:160
	v_add_u32_e32 v125, 1, v119
	ds_write_b32 v124, v125 offset:57344
	s_waitcnt lgkmcnt(2)
	v_cmp_ne_u32_e32 vcc, v97, v119
	s_and_saveexec_b64 s[4:5], vcc
	s_cbranch_execz .LBB139_19
; %bb.17:                               ;   in Loop: Header=BB139_13 Depth=2
	s_mov_b64 s[6:7], 0
.LBB139_18:                             ;   Parent Loop BB139_7 Depth=1
                                        ;     Parent Loop BB139_13 Depth=2
                                        ; =>    This Inner Loop Header: Depth=3
	;;#ASMSTART
	s_sleep 0
	;;#ASMEND
	ds_read_b32 v96, v124 offset:57348
	s_waitcnt lgkmcnt(0)
	v_cmp_eq_u32_e32 vcc, v96, v119
	s_or_b64 s[6:7], vcc, s[6:7]
	s_andn2_b64 exec, exec, s[6:7]
	s_cbranch_execnz .LBB139_18
.LBB139_19:                             ;   in Loop: Header=BB139_13 Depth=2
	s_or_b64 exec, exec, s[4:5]
	s_movk_i32 s4, 0x6000
	v_mul_lo_u32 v96, v122, s4
	v_or_b32_e32 v96, v126, v96
	ds_read2_b32 v[100:101], v96 offset1:32
	v_add_u32_e32 v97, 0x400, v96
	ds_write_b32 v124, v125 offset:57348
	s_waitcnt lgkmcnt(1)
	v_mfma_f32_32x32x16_fp8_fp8 v[80:95], v[116:117], v[100:101], v[80:95]
	ds_read2_b32 v[100:101], v96 offset0:128 offset1:160
	s_waitcnt lgkmcnt(0)
	v_mfma_f32_32x32x16_fp8_fp8 v[80:95], v[114:115], v[100:101], v[80:95]
	ds_read2_b32 v[100:101], v97 offset1:32
	s_waitcnt lgkmcnt(0)
	v_mfma_f32_32x32x16_fp8_fp8 v[80:95], v[112:113], v[100:101], v[80:95]
	ds_read2_b32 v[100:101], v97 offset0:128 offset1:160
	v_add_u32_e32 v97, 0x800, v96
	s_waitcnt lgkmcnt(0)
	v_mfma_f32_32x32x16_fp8_fp8 v[80:95], v[110:111], v[100:101], v[80:95]
	ds_read2_b32 v[100:101], v97 offset1:32
	s_waitcnt lgkmcnt(0)
	v_mfma_f32_32x32x16_fp8_fp8 v[80:95], v[108:109], v[100:101], v[80:95]
	ds_read2_b32 v[100:101], v97 offset0:128 offset1:160
	v_add_u32_e32 v97, 0xc00, v96
	s_waitcnt lgkmcnt(0)
	v_mfma_f32_32x32x16_fp8_fp8 v[80:95], v[106:107], v[100:101], v[80:95]
	ds_read2_b32 v[100:101], v97 offset1:32
	s_waitcnt lgkmcnt(0)
	v_mfma_f32_32x32x16_fp8_fp8 v[80:95], v[104:105], v[100:101], v[80:95]
	ds_read2_b32 v[100:101], v97 offset0:128 offset1:160
	ds_read_b32 v97, v124 offset:57356
	s_waitcnt lgkmcnt(0)
	v_cmp_ne_u32_e32 vcc, v97, v119
	v_mfma_f32_32x32x16_fp8_fp8 v[80:95], v[102:103], v[100:101], v[80:95]
	s_and_saveexec_b64 s[4:5], vcc
	s_cbranch_execz .LBB139_22
; %bb.20:                               ;   in Loop: Header=BB139_13 Depth=2
	s_mov_b64 s[6:7], 0
.LBB139_21:                             ;   Parent Loop BB139_7 Depth=1
                                        ;     Parent Loop BB139_13 Depth=2
                                        ; =>    This Inner Loop Header: Depth=3
	;;#ASMSTART
	s_sleep 0
	;;#ASMEND
	ds_read_b32 v97, v124 offset:57356
	s_waitcnt lgkmcnt(0)
	v_cmp_eq_u32_e32 vcc, v97, v119
	s_or_b64 s[6:7], vcc, s[6:7]
	s_andn2_b64 exec, exec, s[6:7]
	s_cbranch_execnz .LBB139_21
.LBB139_22:                             ;   in Loop: Header=BB139_13 Depth=2
	s_or_b64 exec, exec, s[4:5]
	v_add_u32_e32 v97, 0x1000, v96
	ds_read2_b32 v[100:101], v97 offset1:32
	s_waitcnt lgkmcnt(0)
	v_mfma_f32_32x32x16_fp8_fp8 v[64:79], v[116:117], v[100:101], v[64:79]
	ds_read2_b32 v[100:101], v97 offset0:128 offset1:160
	v_add_u32_e32 v97, 0x1400, v96
	s_waitcnt lgkmcnt(0)
	v_mfma_f32_32x32x16_fp8_fp8 v[64:79], v[114:115], v[100:101], v[64:79]
	ds_read2_b32 v[100:101], v97 offset1:32
	s_waitcnt lgkmcnt(0)
	v_mfma_f32_32x32x16_fp8_fp8 v[64:79], v[112:113], v[100:101], v[64:79]
	ds_read2_b32 v[100:101], v97 offset0:128 offset1:160
	v_add_u32_e32 v97, 0x1800, v96
	s_waitcnt lgkmcnt(0)
	v_mfma_f32_32x32x16_fp8_fp8 v[64:79], v[110:111], v[100:101], v[64:79]
	ds_read2_b32 v[100:101], v97 offset1:32
	s_waitcnt lgkmcnt(0)
	v_mfma_f32_32x32x16_fp8_fp8 v[64:79], v[108:109], v[100:101], v[64:79]
	ds_read2_b32 v[100:101], v97 offset0:128 offset1:160
	v_add_u32_e32 v97, 0x1c00, v96
	s_waitcnt lgkmcnt(0)
	v_mfma_f32_32x32x16_fp8_fp8 v[64:79], v[106:107], v[100:101], v[64:79]
	ds_read2_b32 v[100:101], v97 offset1:32
	s_waitcnt lgkmcnt(0)
	v_mfma_f32_32x32x16_fp8_fp8 v[64:79], v[104:105], v[100:101], v[64:79]
	ds_read_b32 v98, v124 offset:57364
	ds_read2_b32 v[100:101], v97 offset0:128 offset1:160
	ds_write_b32 v124, v125 offset:57356
	s_waitcnt lgkmcnt(2)
	v_cmp_ne_u32_e32 vcc, v98, v119
	s_waitcnt lgkmcnt(1)
	v_mfma_f32_32x32x16_fp8_fp8 v[64:79], v[102:103], v[100:101], v[64:79]
	s_and_saveexec_b64 s[4:5], vcc
	s_cbranch_execz .LBB139_25
; %bb.23:                               ;   in Loop: Header=BB139_13 Depth=2
	s_mov_b64 s[6:7], 0
.LBB139_24:                             ;   Parent Loop BB139_7 Depth=1
                                        ;     Parent Loop BB139_13 Depth=2
                                        ; =>    This Inner Loop Header: Depth=3
	;;#ASMSTART
	s_sleep 0
	;;#ASMEND
	ds_read_b32 v97, v124 offset:57364
	s_waitcnt lgkmcnt(0)
	v_cmp_eq_u32_e32 vcc, v97, v119
	s_or_b64 s[6:7], vcc, s[6:7]
	s_andn2_b64 exec, exec, s[6:7]
	s_cbranch_execnz .LBB139_24
.LBB139_25:                             ;   in Loop: Header=BB139_13 Depth=2
	s_or_b64 exec, exec, s[4:5]
	v_add_u32_e32 v97, 0x2000, v96
	ds_read2_b32 v[100:101], v97 offset1:32
	s_waitcnt lgkmcnt(0)
	v_mfma_f32_32x32x16_fp8_fp8 v[48:63], v[116:117], v[100:101], v[48:63]
	ds_read2_b32 v[100:101], v97 offset0:128 offset1:160
	v_add_u32_e32 v97, 0x2400, v96
	s_waitcnt lgkmcnt(0)
	v_mfma_f32_32x32x16_fp8_fp8 v[48:63], v[114:115], v[100:101], v[48:63]
	ds_read2_b32 v[100:101], v97 offset1:32
	s_waitcnt lgkmcnt(0)
	v_mfma_f32_32x32x16_fp8_fp8 v[48:63], v[112:113], v[100:101], v[48:63]
	ds_read2_b32 v[100:101], v97 offset0:128 offset1:160
	v_add_u32_e32 v97, 0x2800, v96
	s_waitcnt lgkmcnt(0)
	v_mfma_f32_32x32x16_fp8_fp8 v[48:63], v[110:111], v[100:101], v[48:63]
	ds_read2_b32 v[100:101], v97 offset1:32
	s_waitcnt lgkmcnt(0)
	v_mfma_f32_32x32x16_fp8_fp8 v[48:63], v[108:109], v[100:101], v[48:63]
	ds_read2_b32 v[100:101], v97 offset0:128 offset1:160
	v_add_u32_e32 v97, 0x2c00, v96
	s_waitcnt lgkmcnt(0)
	v_mfma_f32_32x32x16_fp8_fp8 v[48:63], v[106:107], v[100:101], v[48:63]
	ds_read2_b32 v[100:101], v97 offset1:32
	s_waitcnt lgkmcnt(0)
	v_mfma_f32_32x32x16_fp8_fp8 v[48:63], v[104:105], v[100:101], v[48:63]
	ds_read_b32 v98, v124 offset:57372
	ds_read2_b32 v[100:101], v97 offset0:128 offset1:160
	ds_write_b32 v124, v125 offset:57364
	s_waitcnt lgkmcnt(2)
	v_cmp_ne_u32_e32 vcc, v98, v119
	s_waitcnt lgkmcnt(1)
	;; [unrolled: 50-line block ×4, first 2 shown]
	v_mfma_f32_32x32x16_fp8_fp8 v[16:31], v[102:103], v[100:101], v[16:31]
	s_and_saveexec_b64 s[4:5], vcc
	s_cbranch_execz .LBB139_12
; %bb.32:                               ;   in Loop: Header=BB139_13 Depth=2
	s_mov_b64 s[6:7], 0
.LBB139_33:                             ;   Parent Loop BB139_7 Depth=1
                                        ;     Parent Loop BB139_13 Depth=2
                                        ; =>    This Inner Loop Header: Depth=3
	;;#ASMSTART
	s_sleep 0
	;;#ASMEND
	ds_read_b32 v97, v124 offset:57388
	s_waitcnt lgkmcnt(0)
	v_cmp_eq_u32_e32 vcc, v97, v119
	s_or_b64 s[6:7], vcc, s[6:7]
	s_andn2_b64 exec, exec, s[6:7]
	s_cbranch_execnz .LBB139_33
	s_branch .LBB139_12
.LBB139_34:                             ;   in Loop: Header=BB139_7 Depth=1
	s_or_b64 exec, exec, s[2:3]
	scratch_load_dword v97, off, off offset:8 ; 4-byte Folded Reload
.LBB139_35:                             ;   in Loop: Header=BB139_7 Depth=1
	v_writelane_b32 v127, s48, 26
	s_nop 1
	v_writelane_b32 v127, s49, 27
	v_writelane_b32 v127, s46, 28
	s_nop 1
	v_writelane_b32 v127, s47, 29
	;; [unrolled: 3-line block ×4, first 2 shown]
	v_writelane_b32 v127, s41, 34
	v_writelane_b32 v127, s40, 35
	;; [unrolled: 1-line block ×3, first 2 shown]
	s_or_b64 exec, exec, s[0:1]
	scratch_load_dword v118, off, off offset:40 ; 4-byte Folded Reload
	scratch_load_dword v107, off, off offset:100 ; 4-byte Folded Reload
	v_cmp_le_i32_e32 vcc, s8, v99
	v_or_b32_e32 v102, 32, v99
	v_subrev_u32_e32 v121, s92, v121
	s_waitcnt vmcnt(2)
	v_cndmask_b32_e32 v96, 0, v97, vcc
	v_pk_mul_f32 v[108:109], v[96:97], v[94:95] op_sel_hi:[0,1]
	v_pk_mul_f32 v[92:93], v[96:97], v[92:93] op_sel_hi:[0,1]
	v_pk_mul_f32 v[90:91], v[96:97], v[90:91] op_sel_hi:[0,1]
	v_pk_mul_f32 v[88:89], v[96:97], v[88:89] op_sel_hi:[0,1]
	v_pk_mul_f32 v[122:123], v[96:97], v[86:87] op_sel_hi:[0,1]
	v_pk_mul_f32 v[84:85], v[96:97], v[84:85] op_sel_hi:[0,1]
	v_pk_mul_f32 v[82:83], v[96:97], v[82:83] op_sel_hi:[0,1]
	v_pk_mul_f32 v[80:81], v[96:97], v[80:81] op_sel_hi:[0,1]
	v_cmp_le_i32_e32 vcc, s8, v102
	v_or_b32_e32 v96, 64, v99
	s_nop 0
	v_cndmask_b32_e32 v86, 0, v97, vcc
	v_cmp_le_i32_e32 vcc, s8, v96
	v_or_b32_e32 v96, 0x60, v99
	v_pk_mul_f32 v[94:95], v[86:87], v[66:67] op_sel_hi:[0,1]
	v_cndmask_b32_e32 v66, 0, v97, vcc
	v_cmp_le_i32_e32 vcc, s8, v96
	v_or_b32_e32 v96, 0x80, v99
	v_pk_mul_f32 v[116:117], v[66:67], v[48:49] op_sel_hi:[0,1]
	;; [unrolled: 4-line block ×3, first 2 shown]
	v_pk_mul_f32 v[102:103], v[86:87], v[76:77] op_sel_hi:[0,1]
	v_pk_mul_f32 v[74:75], v[86:87], v[74:75] op_sel_hi:[0,1]
	v_pk_mul_f32 v[110:111], v[86:87], v[72:73] op_sel_hi:[0,1]
	v_pk_mul_f32 v[112:113], v[86:87], v[70:71] op_sel_hi:[0,1]
	v_pk_mul_f32 v[114:115], v[86:87], v[68:69] op_sel_hi:[0,1]
	v_pk_mul_f32 v[64:65], v[86:87], v[64:65] op_sel_hi:[0,1]
	v_pk_mul_f32 v[86:87], v[48:49], v[32:33] op_sel_hi:[0,1]
	v_cndmask_b32_e32 v32, 0, v97, vcc
	v_cmp_le_i32_e32 vcc, s8, v96
	v_pk_mul_f32 v[100:101], v[66:67], v[50:51] op_sel_hi:[0,1]
	v_pk_mul_f32 v[50:51], v[48:49], v[34:35] op_sel_hi:[0,1]
	;; [unrolled: 1-line block ×3, first 2 shown]
	v_cndmask_b32_e32 v16, 0, v97, vcc
	scratch_load_dword v99, off, off offset:48 ; 4-byte Folded Reload
	v_pk_mul_f32 v[14:15], v[16:17], v[14:15] op_sel_hi:[0,1]
	v_pk_mul_f32 v[12:13], v[16:17], v[12:13] op_sel_hi:[0,1]
	;; [unrolled: 1-line block ×27, first 2 shown]
	s_waitcnt vmcnt(2)
	v_cmp_eq_u32_e64 s[6:7], 1, v118
	s_nop 1
	v_cndmask_b32_e64 v16, v80, v81, s[6:7]
	v_cmp_eq_u32_e64 s[38:39], 2, v118
	v_cmp_eq_u32_e32 vcc, 3, v118
	v_cmp_eq_u32_e64 s[0:1], 4, v118
	v_cndmask_b32_e64 v16, v16, v82, s[38:39]
	v_cndmask_b32_e32 v16, v16, v83, vcc
	v_cndmask_b32_e64 v16, v16, v84, s[0:1]
	v_cmp_eq_u32_e64 s[2:3], 5, v118
	v_cmp_eq_u32_e64 s[34:35], 6, v118
	v_cmp_eq_u32_e64 s[26:27], 7, v118
	v_cndmask_b32_e64 v16, v16, v85, s[2:3]
	v_cndmask_b32_e64 v16, v16, v122, s[34:35]
	v_cndmask_b32_e64 v16, v16, v123, s[26:27]
	v_cmp_eq_u32_e64 s[24:25], 8, v118
	v_cmp_eq_u32_e64 s[22:23], 9, v118
	v_cmp_eq_u32_e64 s[20:21], 10, v118
	v_cndmask_b32_e64 v16, v16, v88, s[24:25]
	v_cndmask_b32_e64 v16, v16, v89, s[22:23]
	;; [unrolled: 6-line block ×4, first 2 shown]
	s_waitcnt vmcnt(1)
	ds_bpermute_b32 v16, v107, v16
	s_waitcnt lgkmcnt(0)
	v_cndmask_b32_e64 v76, v85, v16, s[2:3]
	scratch_load_dword v85, off, off offset:44 ; 4-byte Folded Reload
	v_cndmask_b32_e64 v17, v109, v16, s[8:9]
	v_cndmask_b32_e64 v48, v108, v16, s[10:11]
	;; [unrolled: 1-line block ×11, first 2 shown]
	v_cndmask_b32_e32 v83, v83, v16, vcc
	v_cndmask_b32_e64 v82, v82, v16, s[38:39]
	v_cndmask_b32_e64 v81, v81, v16, s[6:7]
	;; [unrolled: 1-line block ×3, first 2 shown]
	s_waitcnt vmcnt(1)
	v_cmp_eq_u32_e64 s[40:41], 1, v99
	s_waitcnt vmcnt(0)
	v_cmp_eq_u32_e64 s[4:5], 1, v85
	s_nop 1
	v_cndmask_b32_e64 v73, v16, v81, s[4:5]
	v_cmp_eq_u32_e64 s[28:29], 2, v85
	v_cmp_eq_u32_e64 s[30:31], 3, v85
	v_cmp_eq_u32_e64 s[36:37], 4, v85
	v_cndmask_b32_e64 v73, v73, v82, s[28:29]
	v_cndmask_b32_e64 v73, v73, v83, s[30:31]
	v_cndmask_b32_e64 v73, v73, v84, s[36:37]
	v_cmp_eq_u32_e64 s[44:45], 5, v85
	v_cmp_eq_u32_e64 s[48:49], 6, v85
	v_cmp_eq_u32_e64 s[52:53], 7, v85
	v_cndmask_b32_e64 v73, v73, v76, s[44:45]
	v_cndmask_b32_e64 v73, v73, v72, s[48:49]
	;; [unrolled: 6-line block ×5, first 2 shown]
	ds_bpermute_b32 v80, v107, v73
	s_waitcnt lgkmcnt(0)
	v_cndmask_b32_e64 v77, v70, v80, s[56:57]
	v_cndmask_b32_e64 v70, v72, v80, s[48:49]
	v_cndmask_b32_e64 v72, v116, v117, s[6:7]
	v_cndmask_b32_e64 v72, v72, v100, s[38:39]
	v_cndmask_b32_e32 v72, v72, v101, vcc
	v_cndmask_b32_e64 v72, v72, v52, s[0:1]
	v_cndmask_b32_e64 v72, v72, v53, s[2:3]
	v_cndmask_b32_e64 v72, v72, v54, s[34:35]
	v_cndmask_b32_e64 v72, v72, v55, s[26:27]
	v_cndmask_b32_e64 v72, v72, v56, s[24:25]
	v_cndmask_b32_e64 v72, v72, v57, s[22:23]
	v_cndmask_b32_e64 v72, v72, v58, s[20:21]
	v_cndmask_b32_e64 v72, v72, v59, s[18:19]
	v_cndmask_b32_e64 v72, v72, v60, s[14:15]
	v_cndmask_b32_e64 v72, v72, v61, s[12:13]
	v_cndmask_b32_e64 v72, v72, v62, s[10:11]
	v_cndmask_b32_e64 v72, v72, v63, s[8:9]
	ds_bpermute_b32 v72, v107, v72
	v_cndmask_b32_e64 v123, v48, v80, s[80:81]
	v_cndmask_b32_e64 v48, v83, v80, s[30:31]
	v_cndmask_b32_e64 v32, v17, v80, s[84:85]
	v_cndmask_b32_e64 v17, v64, v65, s[6:7]
	s_waitcnt lgkmcnt(0)
	v_cndmask_b32_e64 v96, v52, v72, s[0:1]
	v_cndmask_b32_e64 v52, v86, v87, s[6:7]
	;; [unrolled: 1-line block ×3, first 2 shown]
	v_cndmask_b32_e32 v52, v52, v51, vcc
	v_cndmask_b32_e64 v52, v52, v36, s[0:1]
	v_cndmask_b32_e64 v52, v52, v37, s[2:3]
	;; [unrolled: 1-line block ×12, first 2 shown]
	ds_bpermute_b32 v52, v107, v52
	v_cndmask_b32_e64 v17, v17, v94, s[38:39]
	v_cndmask_b32_e32 v17, v17, v95, vcc
	v_cndmask_b32_e64 v17, v17, v114, s[0:1]
	v_cndmask_b32_e64 v17, v17, v115, s[2:3]
	s_waitcnt lgkmcnt(0)
	v_cndmask_b32_e64 v83, v36, v52, s[0:1]
	v_cndmask_b32_e64 v36, v34, v35, s[6:7]
	;; [unrolled: 1-line block ×3, first 2 shown]
	v_cndmask_b32_e32 v36, v36, v19, vcc
	v_cndmask_b32_e64 v36, v36, v20, s[0:1]
	v_cndmask_b32_e64 v36, v36, v21, s[2:3]
	;; [unrolled: 1-line block ×12, first 2 shown]
	ds_bpermute_b32 v36, v107, v36
	v_cndmask_b32_e64 v17, v17, v112, s[34:35]
	v_cndmask_b32_e64 v17, v17, v113, s[26:27]
	;; [unrolled: 1-line block ×4, first 2 shown]
	s_waitcnt lgkmcnt(0)
	v_cndmask_b32_e64 v18, v18, v36, s[38:39]
	scratch_store_dword off, v18, off offset:20 ; 4-byte Folded Spill
	v_cndmask_b32_e64 v18, v0, v1, s[6:7]
	v_cndmask_b32_e64 v18, v18, v2, s[38:39]
	v_cndmask_b32_e32 v18, v18, v3, vcc
	v_cndmask_b32_e64 v18, v18, v4, s[0:1]
	v_cndmask_b32_e64 v18, v18, v5, s[2:3]
	;; [unrolled: 1-line block ×18, first 2 shown]
	ds_bpermute_b32 v71, v107, v17
	v_cndmask_b32_e64 v18, v18, v15, s[8:9]
	ds_bpermute_b32 v18, v107, v18
	v_cndmask_b32_e64 v17, v81, v80, s[4:5]
	v_cndmask_b32_e64 v16, v16, v80, s[16:17]
	v_cndmask_b32_e32 v19, v19, v36, vcc
	v_cndmask_b32_e64 v124, v49, v80, s[76:77]
	v_cndmask_b32_e64 v125, v66, v80, s[72:73]
	;; [unrolled: 1-line block ×5, first 2 shown]
	s_waitcnt lgkmcnt(1)
	v_cndmask_b32_e64 v106, v75, v71, s[18:19]
	v_cndmask_b32_e64 v33, v74, v71, s[20:21]
	v_cndmask_b32_e32 v74, v95, v71, vcc
	v_cndmask_b32_e64 v75, v94, v71, s[38:39]
	v_cndmask_b32_e64 v76, v65, v71, s[6:7]
	v_cndmask_b32_e64 v88, v63, v72, s[8:9]
	v_cndmask_b32_e64 v89, v62, v72, s[10:11]
	v_cndmask_b32_e64 v90, v61, v72, s[12:13]
	v_cndmask_b32_e64 v91, v60, v72, s[14:15]
	v_cndmask_b32_e64 v92, v59, v72, s[18:19]
	v_cndmask_b32_e64 v93, v58, v72, s[20:21]
	v_cndmask_b32_e64 v94, v57, v72, s[22:23]
	v_cndmask_b32_e64 v95, v56, v72, s[24:25]
	v_cndmask_b32_e64 v55, v55, v72, s[26:27]
	v_cndmask_b32_e64 v54, v54, v72, s[34:35]
	v_cndmask_b32_e64 v53, v53, v72, s[2:3]
	v_cndmask_b32_e32 v97, v101, v72, vcc
	v_cndmask_b32_e64 v98, v100, v72, s[38:39]
	v_cndmask_b32_e64 v100, v117, v72, s[6:7]
	;; [unrolled: 1-line block ×4, first 2 shown]
	scratch_store_dword off, v19, off offset:16 ; 4-byte Folded Spill
	v_cndmask_b32_e64 v81, v35, v36, s[6:7]
	v_cndmask_b32_e64 v19, v16, v17, s[40:41]
	v_cmp_eq_u32_e64 s[6:7], 2, v99
	v_cndmask_b32_e64 v79, v79, v71, s[8:9]
	v_cndmask_b32_e64 v47, v47, v52, s[8:9]
	;; [unrolled: 1-line block ×4, first 2 shown]
	s_waitcnt lgkmcnt(0)
	v_cndmask_b32_e64 v15, v15, v18, s[8:9]
	v_cmp_eq_u32_e64 s[8:9], 3, v99
	v_cndmask_b32_e64 v126, v67, v80, s[68:69]
	v_cndmask_b32_e64 v67, v69, v80, s[60:61]
	v_cndmask_b32_e64 v69, v84, v80, s[36:37]
	v_cndmask_b32_e64 v78, v78, v71, s[10:11]
	v_cndmask_b32_e64 v46, v46, v52, s[10:11]
	v_cndmask_b32_e64 v37, v37, v52, s[2:3]
	v_cndmask_b32_e64 v30, v30, v36, s[10:11]
	v_cndmask_b32_e64 v19, v19, v48, s[8:9]
	v_cndmask_b32_e64 v14, v14, v18, s[10:11]
	v_cmp_eq_u32_e64 s[10:11], 4, v99
	v_cndmask_b32_e64 v103, v103, v71, s[12:13]
	v_cndmask_b32_e64 v45, v45, v52, s[12:13]
	scratch_store_dword off, v37, off offset:8 ; 4-byte Folded Spill
	v_cndmask_b32_e64 v37, v29, v36, s[12:13]
	v_cndmask_b32_e64 v19, v19, v69, s[10:11]
	;; [unrolled: 1-line block ×3, first 2 shown]
	v_cmp_eq_u32_e64 s[12:13], 5, v99
	v_cndmask_b32_e64 v105, v102, v71, s[14:15]
	v_cndmask_b32_e64 v44, v44, v52, s[14:15]
	;; [unrolled: 1-line block ×5, first 2 shown]
	v_cmp_eq_u32_e64 s[14:15], 6, v99
	v_cndmask_b32_e64 v57, v43, v52, s[18:19]
	v_cndmask_b32_e64 v87, v27, v36, s[18:19]
	v_cndmask_b32_e64 v19, v19, v70, s[14:15]
	v_cndmask_b32_e64 v122, v11, v18, s[18:19]
	v_cmp_eq_u32_e64 s[18:19], 7, v99
	v_cndmask_b32_e64 v108, v111, v71, s[22:23]
	v_cndmask_b32_e64 v109, v110, v71, s[24:25]
	;; [unrolled: 1-line block ×12, first 2 shown]
	v_cmp_eq_u32_e64 s[20:21], 8, v99
	v_cndmask_b32_e64 v59, v41, v52, s[22:23]
	v_cndmask_b32_e64 v61, v25, v36, s[22:23]
	v_cndmask_b32_e64 v10, v11, v77, s[20:21]
	v_cndmask_b32_e64 v116, v9, v18, s[22:23]
	v_cmp_eq_u32_e64 s[22:23], 9, v99
	v_cndmask_b32_e64 v60, v40, v52, s[24:25]
	v_cndmask_b32_e64 v62, v24, v36, s[24:25]
	v_cndmask_b32_e64 v9, v10, v67, s[22:23]
	v_cndmask_b32_e64 v115, v8, v18, s[24:25]
	;; [unrolled: 5-line block ×4, first 2 shown]
	v_cmp_eq_u32_e64 s[34:35], 12, v99
	v_cndmask_b32_e64 v65, v21, v36, s[2:3]
	v_cndmask_b32_e64 v5, v5, v18, s[2:3]
	;; [unrolled: 1-line block ×3, first 2 shown]
	v_cmp_eq_u32_e64 s[2:3], 13, v99
	v_cndmask_b32_e64 v20, v20, v36, s[0:1]
	v_cndmask_b32_e64 v4, v4, v18, s[0:1]
	;; [unrolled: 1-line block ×3, first 2 shown]
	v_cmp_eq_u32_e64 s[0:1], 14, v99
	v_cndmask_b32_e32 v82, v51, v52, vcc
	v_cndmask_b32_e32 v3, v3, v18, vcc
	v_cndmask_b32_e64 v6, v6, v123, s[0:1]
	v_cmp_eq_u32_e32 vcc, 15, v99
	v_cndmask_b32_e64 v80, v50, v52, s[38:39]
	scratch_store_dword off, v20, off offset:12 ; 4-byte Folded Spill
	v_cndmask_b32_e32 v6, v6, v32, vcc
	ds_bpermute_b32 v7, v107, v6
	v_cndmask_b32_e64 v6, v2, v18, s[38:39]
	v_cmp_ne_u32_e64 s[38:39], 0, v118
	v_cndmask_b32_e64 v85, v34, v36, s[42:43]
	s_waitcnt lgkmcnt(0)
	v_cndmask_b32_e32 v8, v32, v7, vcc
	scratch_load_dword v32, off, off offset:52 ; 4-byte Folded Reload
	v_cndmask_b32_e64 v1, v1, v18, s[38:39]
	v_cmp_eq_u32_e64 s[38:39], 0, v99
	v_cndmask_b32_e64 v17, v17, v7, s[40:41]
	v_cndmask_b32_e64 v24, v70, v7, s[14:15]
	v_writelane_b32 v127, s38, 37
	v_cndmask_b32_e64 v28, v49, v7, s[6:7]
	v_cndmask_b32_e64 v70, v0, v18, s[42:43]
	;; [unrolled: 1-line block ×3, first 2 shown]
	v_writelane_b32 v127, s39, 38
	v_cndmask_b32_e64 v27, v48, v7, s[8:9]
	v_cndmask_b32_e64 v26, v69, v7, s[10:11]
	;; [unrolled: 1-line block ×11, first 2 shown]
	s_waitcnt vmcnt(0)
	v_cmp_eq_u32_e64 s[58:59], 1, v32
	s_nop 1
	v_cndmask_b32_e64 v0, v16, v17, s[58:59]
	v_cmp_eq_u32_e64 s[38:39], 2, v32
	v_cmp_eq_u32_e64 s[46:47], 3, v32
	v_cmp_eq_u32_e64 s[50:51], 4, v32
	v_cndmask_b32_e64 v0, v0, v28, s[38:39]
	v_cndmask_b32_e64 v0, v0, v27, s[46:47]
	v_cndmask_b32_e64 v0, v0, v26, s[50:51]
	v_cmp_eq_u32_e64 s[54:55], 5, v32
	v_cmp_eq_u32_e64 s[62:63], 6, v32
	v_cmp_eq_u32_e64 s[66:67], 7, v32
	v_cndmask_b32_e64 v0, v0, v25, s[54:55]
	v_cndmask_b32_e64 v0, v0, v24, s[62:63]
	;; [unrolled: 6-line block ×3, first 2 shown]
	v_cndmask_b32_e64 v0, v0, v20, s[78:79]
	v_cmp_eq_u32_e64 s[82:83], 11, v32
	v_cmp_eq_u32_e64 s[86:87], 12, v32
	s_mov_b64 s[96:97], s[38:39]
	v_cndmask_b32_e64 v0, v0, v19, s[82:83]
	v_cndmask_b32_e64 v0, v0, v11, s[86:87]
	v_cmp_eq_u32_e64 s[38:39], 13, v32
	v_cmp_eq_u32_e64 s[42:43], 14, v32
	;; [unrolled: 1-line block ×3, first 2 shown]
	v_cndmask_b32_e64 v0, v0, v10, s[38:39]
	v_cndmask_b32_e64 v0, v0, v9, s[42:43]
	;; [unrolled: 1-line block ×3, first 2 shown]
	ds_bpermute_b32 v18, v107, v0
	v_writelane_b32 v127, s96, 39
	s_waitcnt lgkmcnt(0)
	v_cndmask_b32_e64 v7, v9, v18, s[42:43]
	v_cndmask_b32_e64 v9, v11, v18, s[86:87]
	;; [unrolled: 1-line block ×18, first 2 shown]
	ds_bpermute_b32 v43, v107, v20
	v_writelane_b32 v127, s97, 40
	v_cndmask_b32_e64 v51, v28, v18, s[96:97]
	v_cmp_eq_u32_e64 s[96:97], 0, v32
	v_cndmask_b32_e64 v2, v8, v18, s[98:99]
	s_waitcnt lgkmcnt(0)
	v_cndmask_b32_e64 v32, v91, v43, s[72:73]
	scratch_load_dword v91, off, off offset:8 ; 4-byte Folded Reload
	v_cndmask_b32_e64 v124, v88, v43, s[84:85]
	scratch_load_dword v88, off, off offset:20 ; 4-byte Folded Reload
	v_cndmask_b32_e64 v125, v89, v43, s[80:81]
	scratch_load_dword v89, off, off offset:16 ; 4-byte Folded Reload
	v_cndmask_b32_e64 v126, v90, v43, s[76:77]
	scratch_load_dword v90, off, off offset:12 ; 4-byte Folded Reload
	v_cndmask_b32_e64 v8, v10, v18, s[38:39]
	v_cndmask_b32_e64 v10, v19, v18, s[82:83]
	;; [unrolled: 1-line block ×23, first 2 shown]
	ds_bpermute_b32 v19, v107, v19
	v_cndmask_b32_e64 v49, v26, v18, s[50:51]
	v_cndmask_b32_e64 v50, v27, v18, s[46:47]
	;; [unrolled: 1-line block ×4, first 2 shown]
	s_waitcnt lgkmcnt(0)
	v_cndmask_b32_e64 v26, v74, v19, s[30:31]
	v_cndmask_b32_e64 v27, v75, v19, s[28:29]
	;; [unrolled: 1-line block ×7, first 2 shown]
	v_writelane_b32 v127, s96, 41
	v_cndmask_b32_e64 v77, v79, v19, s[84:85]
	v_cndmask_b32_e64 v78, v78, v19, s[80:81]
	;; [unrolled: 1-line block ×24, first 2 shown]
	v_writelane_b32 v127, s97, 42
	s_waitcnt vmcnt(3)
	v_cndmask_b32_e64 v53, v53, v91, s[44:45]
	v_cndmask_b32_e64 v53, v53, v38, s[48:49]
	;; [unrolled: 1-line block ×11, first 2 shown]
	ds_bpermute_b32 v74, v107, v53
	v_cndmask_b32_e64 v53, v85, v81, s[4:5]
	s_waitcnt vmcnt(2)
	v_cndmask_b32_e64 v53, v53, v88, s[28:29]
	s_waitcnt vmcnt(1)
	v_cndmask_b32_e64 v53, v53, v89, s[30:31]
	s_waitcnt vmcnt(0)
	v_cndmask_b32_e64 v53, v53, v90, s[36:37]
	v_cndmask_b32_e64 v53, v53, v65, s[44:45]
	;; [unrolled: 1-line block ×12, first 2 shown]
	ds_bpermute_b32 v75, v107, v53
	v_cndmask_b32_e64 v53, v70, v1, s[4:5]
	v_cndmask_b32_e64 v53, v53, v6, s[28:29]
	;; [unrolled: 1-line block ×15, first 2 shown]
	ds_bpermute_b32 v76, v107, v53
	s_waitcnt lgkmcnt(2)
	v_cndmask_b32_e64 v96, v80, v74, s[28:29]
	s_waitcnt lgkmcnt(1)
	v_cndmask_b32_e64 v101, v88, v75, s[28:29]
	v_cndmask_b32_e64 v55, v37, v75, s[76:77]
	;; [unrolled: 1-line block ×3, first 2 shown]
	s_waitcnt lgkmcnt(0)
	v_cndmask_b32_e64 v106, v13, v76, s[76:77]
	scratch_load_dword v13, off, off offset:56 ; 4-byte Folded Reload
	v_cndmask_b32_e64 v109, v117, v76, s[64:65]
	v_cndmask_b32_e64 v117, v6, v76, s[28:29]
	;; [unrolled: 1-line block ×41, first 2 shown]
	v_readlane_b32 s36, v127, 37
	v_cndmask_b32_e64 v59, v59, v74, s[60:61]
	v_cndmask_b32_e64 v61, v61, v75, s[60:61]
	v_readlane_b32 s37, v127, 38
	s_waitcnt vmcnt(0)
	v_cmp_eq_u32_e64 s[28:29], 1, v13
	s_nop 1
	v_cndmask_b32_e64 v12, v73, v52, s[28:29]
	v_cmp_eq_u32_e64 s[44:45], 2, v13
	v_cmp_eq_u32_e64 s[48:49], 3, v13
	v_cmp_eq_u32_e64 s[52:53], 4, v13
	v_cndmask_b32_e64 v12, v12, v51, s[44:45]
	v_cndmask_b32_e64 v12, v12, v50, s[48:49]
	v_cndmask_b32_e64 v12, v12, v49, s[52:53]
	v_cmp_eq_u32_e64 s[56:57], 5, v13
	v_cmp_eq_u32_e64 s[64:65], 6, v13
	v_cmp_eq_u32_e64 s[68:69], 7, v13
	v_cndmask_b32_e64 v12, v12, v48, s[56:57]
	v_cndmask_b32_e64 v12, v12, v69, s[64:65]
	;; [unrolled: 6-line block ×5, first 2 shown]
	ds_bpermute_b32 v12, v107, v12
	s_waitcnt lgkmcnt(0)
	v_cndmask_b32_e64 v87, v0, v12, s[76:77]
	v_cndmask_b32_e64 v0, v123, v28, s[40:41]
	;; [unrolled: 1-line block ×15, first 2 shown]
	v_cndmask_b32_e32 v0, v0, v77, vcc
	v_cndmask_b32_e64 v81, v2, v12, s[4:5]
	ds_bpermute_b32 v0, v107, v0
	v_cndmask_b32_e64 v2, v43, v42, s[40:41]
	v_cndmask_b32_e64 v2, v2, v41, s[6:7]
	;; [unrolled: 1-line block ×10, first 2 shown]
	s_waitcnt lgkmcnt(0)
	v_cndmask_b32_e32 v68, v77, v0, vcc
	v_cndmask_b32_e64 v69, v78, v0, s[0:1]
	v_cndmask_b32_e64 v70, v79, v0, s[2:3]
	;; [unrolled: 1-line block ×33, first 2 shown]
	v_cndmask_b32_e32 v2, v2, v124, vcc
	v_cndmask_b32_e64 v0, v0, v46, s[24:25]
	ds_bpermute_b32 v2, v107, v2
	v_cndmask_b32_e64 v0, v0, v45, s[26:27]
	v_cndmask_b32_e64 v0, v0, v44, s[34:35]
	;; [unrolled: 1-line block ×4, first 2 shown]
	v_cndmask_b32_e32 v0, v0, v47, vcc
	s_waitcnt lgkmcnt(0)
	v_cndmask_b32_e64 v14, v32, v2, s[34:35]
	ds_bpermute_b32 v32, v107, v0
	v_cndmask_b32_e64 v0, v3, v102, s[40:41]
	v_cndmask_b32_e64 v0, v0, v101, s[6:7]
	;; [unrolled: 1-line block ×14, first 2 shown]
	v_cndmask_b32_e32 v0, v0, v53, vcc
	v_cndmask_b32_e64 v15, v33, v2, s[26:27]
	ds_bpermute_b32 v33, v107, v0
	v_cndmask_b32_e64 v0, v6, v122, s[40:41]
	v_cndmask_b32_e64 v0, v0, v117, s[6:7]
	;; [unrolled: 1-line block ×14, first 2 shown]
	v_cndmask_b32_e32 v0, v0, v103, vcc
	v_cndmask_b32_e64 v16, v34, v2, s[24:25]
	ds_bpermute_b32 v34, v107, v0
	v_cndmask_b32_e64 v82, v7, v12, s[96:97]
	v_cndmask_b32_e64 v83, v8, v12, s[30:31]
	;; [unrolled: 1-line block ×11, first 2 shown]
	s_waitcnt lgkmcnt(2)
	v_cndmask_b32_e64 v28, v31, v32, s[0:1]
	s_waitcnt lgkmcnt(1)
	v_cndmask_b32_e64 v41, v54, v33, s[0:1]
	;; [unrolled: 2-line block ×3, first 2 shown]
	s_mov_b64 s[0:1], s[36:37]
	v_cndmask_b32_e64 v17, v36, v2, s[22:23]
	v_cndmask_b32_e64 v18, v35, v2, s[20:21]
	;; [unrolled: 1-line block ×5, first 2 shown]
	v_cndmask_b32_e32 v27, v47, v32, vcc
	v_cndmask_b32_e32 v40, v53, v33, vcc
	;; [unrolled: 1-line block ×3, first 2 shown]
	v_cndmask_b32_e64 v29, v30, v32, s[2:3]
	v_cndmask_b32_e64 v42, v55, v33, s[2:3]
	;; [unrolled: 1-line block ×33, first 2 shown]
	scratch_load_dword v34, off, off offset:60 ; 4-byte Folded Reload
	v_cndmask_b32_e64 v1, v1, v32, s[0:1]
	v_cndmask_b32_e64 v3, v3, v33, s[0:1]
	;; [unrolled: 1-line block ×6, first 2 shown]
	v_cndmask_b32_e32 v11, v124, v2, vcc
	v_cndmask_b32_e64 v13, v126, v2, s[2:3]
	v_cndmask_b32_e64 v19, v19, v2, s[18:19]
	;; [unrolled: 1-line block ×9, first 2 shown]
	s_waitcnt vmcnt(0)
	v_cmp_eq_u32_e64 s[0:1], 1, v34
	s_nop 1
	v_cndmask_b32_e64 v32, v80, v93, s[0:1]
	v_cmp_eq_u32_e64 s[8:9], 2, v34
	v_cmp_eq_u32_e64 s[24:25], 3, v34
	v_cmp_eq_u32_e64 s[26:27], 4, v34
	v_cndmask_b32_e64 v32, v32, v92, s[8:9]
	v_cndmask_b32_e64 v32, v32, v95, s[24:25]
	s_mov_b64 s[34:35], s[0:1]
	v_cndmask_b32_e64 v32, v32, v94, s[26:27]
	v_cmp_eq_u32_e64 s[0:1], 5, v34
	s_mov_b64 s[36:37], s[0:1]
	v_writelane_b32 v127, s36, 43
	v_cndmask_b32_e64 v32, v32, v91, s[0:1]
	v_cmp_eq_u32_e64 s[0:1], 6, v34
	s_mov_b64 s[40:41], s[0:1]
	v_writelane_b32 v127, s37, 44
	;; [unrolled: 4-line block ×4, first 2 shown]
	v_cndmask_b32_e64 v32, v32, v88, s[0:1]
	v_cmp_eq_u32_e64 s[0:1], 9, v34
	s_mov_b64 s[12:13], s[0:1]
	v_cmp_eq_u32_e64 s[2:3], 14, v34
	v_cndmask_b32_e64 v32, v32, v87, s[0:1]
	v_cmp_eq_u32_e64 s[0:1], 10, v34
	s_mov_b64 s[14:15], s[0:1]
	v_cmp_eq_u32_e64 s[22:23], 15, v34
	v_cndmask_b32_e64 v32, v32, v86, s[0:1]
	v_cmp_eq_u32_e64 s[0:1], 11, v34
	s_mov_b64 s[18:19], s[0:1]
	s_nop 0
	v_cndmask_b32_e64 v32, v32, v85, s[0:1]
	v_cmp_eq_u32_e64 s[0:1], 12, v34
	s_mov_b64 s[20:21], s[0:1]
	s_nop 0
	v_cndmask_b32_e64 v32, v32, v84, s[0:1]
	v_cmp_eq_u32_e64 s[0:1], 13, v34
	s_nop 1
	v_writelane_b32 v127, s0, 47
	s_nop 1
	v_writelane_b32 v127, s1, 48
	v_cndmask_b32_e64 v32, v32, v83, s[0:1]
	v_writelane_b32 v127, s2, 49
	s_nop 1
	v_writelane_b32 v127, s3, 50
	v_cndmask_b32_e64 v32, v32, v82, s[2:3]
	v_writelane_b32 v127, s22, 37
	s_nop 1
	v_cndmask_b32_e64 v32, v32, v81, s[22:23]
	ds_bpermute_b32 v32, v107, v32
	v_writelane_b32 v127, s23, 38
	s_waitcnt lgkmcnt(0)
	v_cndmask_b32_e64 v82, v82, v32, s[2:3]
	v_readlane_b32 s2, v127, 39
	v_readlane_b32 s3, v127, 40
	v_cndmask_b32_e64 v83, v83, v32, s[0:1]
	v_cmp_eq_u32_e64 s[0:1], 0, v34
	v_cndmask_b32_e64 v33, v33, v67, s[2:3]
	v_cndmask_b32_e64 v33, v33, v66, s[46:47]
	;; [unrolled: 1-line block ×14, first 2 shown]
	v_writelane_b32 v127, s0, 51
	v_cndmask_b32_e64 v81, v81, v32, s[22:23]
	v_cndmask_b32_e64 v84, v84, v32, s[20:21]
	;; [unrolled: 1-line block ×11, first 2 shown]
	ds_bpermute_b32 v33, v107, v33
	v_cndmask_b32_e64 v92, v92, v32, s[8:9]
	v_cndmask_b32_e64 v93, v93, v32, s[34:35]
	v_writelane_b32 v127, s1, 52
	v_cndmask_b32_e64 v80, v80, v32, s[0:1]
	v_cndmask_b32_e64 v32, v26, v25, s[58:59]
	s_mov_b64 s[0:1], s[2:3]
	v_cndmask_b32_e64 v32, v32, v24, s[0:1]
	v_cndmask_b32_e64 v32, v32, v23, s[46:47]
	;; [unrolled: 1-line block ×5, first 2 shown]
	s_waitcnt lgkmcnt(0)
	v_cndmask_b32_e64 v34, v9, v33, s[58:59]
	v_cndmask_b32_e64 v9, v1, v0, s[58:59]
	;; [unrolled: 1-line block ×21, first 2 shown]
	ds_bpermute_b32 v71, v107, v32
	v_cndmask_b32_e64 v9, v9, v31, s[82:83]
	v_cndmask_b32_e64 v9, v9, v30, s[86:87]
	;; [unrolled: 1-line block ×5, first 2 shown]
	s_waitcnt lgkmcnt(0)
	v_cndmask_b32_e64 v32, v16, v71, s[78:79]
	ds_bpermute_b32 v16, v107, v9
	v_cndmask_b32_e64 v9, v3, v2, s[58:59]
	v_cndmask_b32_e64 v9, v9, v8, s[0:1]
	;; [unrolled: 1-line block ×13, first 2 shown]
	v_readlane_b32 s2, v127, 41
	v_cndmask_b32_e64 v9, v9, v41, s[42:43]
	v_readlane_b32 s3, v127, 42
	v_cndmask_b32_e64 v9, v9, v40, s[98:99]
	v_cndmask_b32_e64 v68, v68, v33, s[98:99]
	;; [unrolled: 1-line block ×16, first 2 shown]
	ds_bpermute_b32 v17, v107, v9
	v_cndmask_b32_e64 v9, v6, v5, s[58:59]
	v_cndmask_b32_e64 v9, v9, v4, s[0:1]
	;; [unrolled: 1-line block ×29, first 2 shown]
	ds_bpermute_b32 v71, v107, v9
	s_waitcnt lgkmcnt(2)
	v_cndmask_b32_e64 v9, v7, v16, s[0:1]
	s_waitcnt lgkmcnt(1)
	v_cndmask_b32_e64 v8, v8, v17, s[0:1]
	v_cndmask_b32_e64 v102, v40, v17, s[98:99]
	;; [unrolled: 1-line block ×3, first 2 shown]
	s_waitcnt lgkmcnt(0)
	v_cndmask_b32_e64 v97, v4, v71, s[0:1]
	s_mov_b64 s[0:1], s[2:3]
	v_cndmask_b32_e64 v112, v53, v71, s[98:99]
	v_cndmask_b32_e64 v53, v41, v17, s[42:43]
	;; [unrolled: 1-line block ×23, first 2 shown]
	scratch_load_dword v17, off, off offset:64 ; 4-byte Folded Reload
	v_cndmask_b32_e64 v2, v1, v16, s[0:1]
	v_cndmask_b32_e64 v98, v6, v71, s[0:1]
	;; [unrolled: 1-line block ×19, first 2 shown]
	s_mov_b64 s[22:23], s[34:35]
	v_cndmask_b32_e64 v29, v29, v16, s[38:39]
	s_waitcnt vmcnt(0)
	v_cmp_eq_u32_e64 s[0:1], 1, v17
	s_nop 1
	v_cndmask_b32_e64 v0, v80, v93, s[0:1]
	s_mov_b64 s[42:43], s[0:1]
	v_cmp_eq_u32_e64 s[0:1], 2, v17
	s_mov_b64 s[46:47], s[0:1]
	v_cmp_eq_u32_e64 s[98:99], 14, v17
	v_cndmask_b32_e64 v0, v0, v92, s[0:1]
	v_cmp_eq_u32_e64 s[0:1], 3, v17
	s_mov_b64 s[50:51], s[0:1]
	v_cmp_eq_u32_e64 s[34:35], 15, v17
	v_cndmask_b32_e64 v0, v0, v95, s[0:1]
	v_cmp_eq_u32_e64 s[0:1], 4, v17
	s_mov_b64 s[54:55], s[0:1]
	v_cmp_eq_u32_e32 vcc, 0, v17
	v_cndmask_b32_e64 v0, v0, v94, s[0:1]
	v_cmp_eq_u32_e64 s[0:1], 5, v17
	s_mov_b64 s[58:59], s[0:1]
	s_nop 0
	v_cndmask_b32_e64 v0, v0, v91, s[0:1]
	v_cmp_eq_u32_e64 s[0:1], 6, v17
	s_mov_b64 s[62:63], s[0:1]
	s_nop 0
	;; [unrolled: 4-line block ×8, first 2 shown]
	v_cndmask_b32_e64 v0, v0, v84, s[0:1]
	v_cmp_eq_u32_e64 s[0:1], 13, v17
	s_nop 1
	v_writelane_b32 v127, s0, 53
	s_nop 1
	v_cndmask_b32_e64 v0, v0, v83, s[0:1]
	v_writelane_b32 v127, s1, 54
	v_cndmask_b32_e64 v0, v0, v82, s[98:99]
	v_writelane_b32 v127, s34, 41
	s_nop 1
	v_cndmask_b32_e64 v0, v0, v81, s[34:35]
	ds_bpermute_b32 v16, v107, v0
	v_cndmask_b32_e64 v0, v10, v34, s[28:29]
	v_cndmask_b32_e64 v0, v0, v67, s[44:45]
	;; [unrolled: 1-line block ×15, first 2 shown]
	s_waitcnt lgkmcnt(0)
	v_cndmask_b32_e64 v6, v81, v16, s[34:35]
	v_cndmask_b32_e64 v123, v82, v16, s[98:99]
	;; [unrolled: 1-line block ×13, first 2 shown]
	ds_bpermute_b32 v35, v107, v0
	v_cndmask_b32_e64 v0, v92, v16, s[46:47]
	v_cndmask_b32_e64 v1, v93, v16, s[42:43]
	v_cndmask_b32_e32 v65, v80, v16, vcc
	v_cndmask_b32_e64 v16, v26, v25, s[28:29]
	v_cndmask_b32_e64 v16, v16, v24, s[44:45]
	;; [unrolled: 1-line block ×15, first 2 shown]
	ds_bpermute_b32 v36, v107, v16
	s_waitcnt lgkmcnt(1)
	v_cndmask_b32_e64 v93, v74, v35, s[76:77]
	v_cndmask_b32_e64 v74, v67, v35, s[44:45]
	;; [unrolled: 1-line block ×4, first 2 shown]
	s_waitcnt lgkmcnt(0)
	v_cndmask_b32_e64 v46, v11, v36, s[4:5]
	v_cndmask_b32_e64 v37, v12, v36, s[96:97]
	;; [unrolled: 1-line block ×32, first 2 shown]
	ds_bpermute_b32 v11, v107, v11
	ds_bpermute_b32 v12, v107, v12
	v_cndmask_b32_e64 v72, v10, v35, s[60:61]
	v_cndmask_b32_e64 v10, v2, v4, s[28:29]
	v_cndmask_b32_e64 v10, v10, v9, s[44:45]
	s_waitcnt lgkmcnt(1)
	v_cndmask_b32_e64 v67, v105, v11, s[16:17]
	s_waitcnt lgkmcnt(0)
	v_cndmask_b32_e64 v105, v116, v12, s[84:85]
	v_cndmask_b32_e64 v116, v118, v11, s[80:81]
	scratch_load_dword v118, off, off offset:68 ; 4-byte Folded Reload
	v_cndmask_b32_e64 v10, v10, v60, s[48:49]
	v_cndmask_b32_e64 v10, v10, v59, s[52:53]
	;; [unrolled: 1-line block ×13, first 2 shown]
	ds_bpermute_b32 v10, v107, v10
	v_writelane_b32 v127, s35, 42
	v_cndmask_b32_e64 v92, v75, v35, s[72:73]
	v_cndmask_b32_e64 v75, v63, v11, s[52:53]
	;; [unrolled: 1-line block ×3, first 2 shown]
	s_waitcnt lgkmcnt(0)
	v_cndmask_b32_e64 v63, v2, v10, s[60:61]
	v_cndmask_b32_e64 v69, v99, v35, s[16:17]
	;; [unrolled: 1-line block ×30, first 2 shown]
	scratch_store_dword off, v13, off offset:16 ; 4-byte Folded Spill
	v_cndmask_b32_e64 v13, v112, v12, s[4:5]
	v_cndmask_b32_e64 v112, v115, v12, s[16:17]
	;; [unrolled: 1-line block ×22, first 2 shown]
	scratch_store_dword off, v13, off offset:8 ; 4-byte Folded Spill
	v_cndmask_b32_e64 v13, v113, v12, s[96:97]
	v_cndmask_b32_e64 v113, v114, v12, s[30:31]
	;; [unrolled: 1-line block ×7, first 2 shown]
	s_waitcnt vmcnt(2)
	v_cmp_eq_u32_e64 s[34:35], 1, v118
	v_cmp_eq_u32_e64 s[36:37], 2, v118
	v_cmp_eq_u32_e64 s[38:39], 3, v118
	v_cndmask_b32_e64 v2, v65, v1, s[34:35]
	v_cndmask_b32_e64 v2, v2, v0, s[36:37]
	v_cndmask_b32_e64 v2, v2, v95, s[38:39]
	v_cmp_eq_u32_e64 s[40:41], 4, v118
	v_cmp_eq_u32_e64 s[44:45], 5, v118
	v_cmp_eq_u32_e64 s[48:49], 6, v118
	v_cndmask_b32_e64 v2, v2, v89, s[40:41]
	v_cndmask_b32_e64 v2, v2, v88, s[44:45]
	v_cndmask_b32_e64 v2, v2, v87, s[48:49]
	;; [unrolled: 6-line block ×4, first 2 shown]
	v_cmp_eq_u32_e64 s[84:85], 13, v118
	v_cmp_eq_u32_e64 s[2:3], 14, v118
	;; [unrolled: 1-line block ×3, first 2 shown]
	v_cndmask_b32_e64 v2, v2, v64, s[84:85]
	v_writelane_b32 v127, s2, 55
	v_cndmask_b32_e64 v52, v30, v10, s[16:17]
	s_mov_b64 s[16:17], s[22:23]
	v_writelane_b32 v127, s3, 56
	v_cndmask_b32_e64 v2, v2, v123, s[2:3]
	v_writelane_b32 v127, s4, 39
	v_cndmask_b32_e64 v62, v4, v10, s[28:29]
	v_cndmask_b32_e64 v78, v7, v11, s[28:29]
	;; [unrolled: 1-line block ×3, first 2 shown]
	ds_bpermute_b32 v18, v107, v2
	v_cndmask_b32_e64 v111, v5, v12, s[28:29]
	v_writelane_b32 v127, s5, 40
	s_mov_b64 s[28:29], s[24:25]
	v_cndmask_b32_e64 v50, v28, v10, s[96:97]
	s_waitcnt lgkmcnt(0)
	v_cndmask_b32_e64 v2, v0, v18, s[36:37]
	v_cndmask_b32_e64 v0, v72, v73, s[16:17]
	;; [unrolled: 1-line block ×5, first 2 shown]
	s_mov_b64 s[30:31], s[26:27]
	v_readlane_b32 s96, v127, 43
	v_cndmask_b32_e64 v15, v6, v18, s[4:5]
	v_cndmask_b32_e64 v0, v0, v80, s[30:31]
	v_readlane_b32 s97, v127, 44
	v_readlane_b32 s4, v127, 45
	v_readlane_b32 s5, v127, 46
	v_cndmask_b32_e64 v0, v0, v90, s[96:97]
	v_readlane_b32 s24, v127, 47
	v_cndmask_b32_e64 v0, v0, v99, s[4:5]
	v_cndmask_b32_e64 v0, v0, v91, s[6:7]
	;; [unrolled: 1-line block ×7, first 2 shown]
	v_readlane_b32 s25, v127, 48
	v_readlane_b32 s26, v127, 49
	;; [unrolled: 1-line block ×3, first 2 shown]
	v_cndmask_b32_e64 v0, v0, v70, s[24:25]
	v_readlane_b32 s0, v127, 37
	v_cndmask_b32_e64 v0, v0, v17, s[26:27]
	v_readlane_b32 s1, v127, 38
	;; [unrolled: 2-line block ×3, first 2 shown]
	v_cndmask_b32_e64 v0, v0, v71, s[0:1]
	ds_bpermute_b32 v0, v107, v0
	v_readlane_b32 s3, v127, 52
	s_mov_b64 s[22:23], s[20:21]
	v_cndmask_b32_e64 v55, v55, v10, s[76:77]
	s_mov_b64 s[76:77], s[74:75]
	s_waitcnt lgkmcnt(0)
	v_cndmask_b32_e64 v19, v71, v0, s[0:1]
	v_cndmask_b32_e64 v17, v17, v0, s[26:27]
	;; [unrolled: 1-line block ×5, first 2 shown]
	s_mov_b64 s[20:21], s[18:19]
	v_cndmask_b32_e64 v23, v94, v0, s[14:15]
	s_mov_b64 s[18:19], s[14:15]
	v_cndmask_b32_e64 v24, v93, v0, s[12:13]
	;; [unrolled: 2-line block ×5, first 2 shown]
	v_cndmask_b32_e64 v28, v90, v0, s[96:97]
	v_cndmask_b32_e64 v29, v80, v0, s[30:31]
	;; [unrolled: 1-line block ×6, first 2 shown]
	s_mov_b64 s[6:7], s[42:43]
	v_cndmask_b32_e64 v47, v0, v31, s[6:7]
	s_mov_b64 s[42:43], s[46:47]
	v_cndmask_b32_e64 v47, v47, v30, s[42:43]
	s_mov_b64 s[46:47], s[50:51]
	v_cndmask_b32_e64 v47, v47, v16, s[46:47]
	s_mov_b64 s[50:51], s[54:55]
	v_cndmask_b32_e64 v47, v47, v29, s[50:51]
	s_mov_b64 s[54:55], s[58:59]
	v_cndmask_b32_e64 v47, v47, v28, s[54:55]
	s_mov_b64 s[58:59], s[62:63]
	v_cndmask_b32_e64 v47, v47, v27, s[58:59]
	s_mov_b64 s[62:63], s[66:67]
	v_cndmask_b32_e64 v47, v47, v26, s[62:63]
	s_mov_b64 s[66:67], s[70:71]
	v_cndmask_b32_e64 v47, v47, v25, s[66:67]
	v_cndmask_b32_e64 v47, v47, v24, s[76:77]
	s_mov_b64 s[74:75], s[78:79]
	v_cndmask_b32_e64 v54, v54, v10, s[80:81]
	v_cndmask_b32_e64 v47, v47, v23, s[74:75]
	s_mov_b64 s[80:81], s[82:83]
	v_cndmask_b32_e64 v47, v47, v22, s[80:81]
	s_mov_b64 s[82:83], s[86:87]
	v_readlane_b32 s86, v127, 53
	v_cndmask_b32_e64 v47, v47, v21, s[82:83]
	v_readlane_b32 s87, v127, 54
	v_readlane_b32 s0, v127, 41
	;; [unrolled: 1-line block ×3, first 2 shown]
	v_cndmask_b32_e64 v47, v47, v20, s[86:87]
	v_cndmask_b32_e64 v47, v47, v17, s[98:99]
	;; [unrolled: 1-line block ×3, first 2 shown]
	ds_bpermute_b32 v47, v107, v47
	scratch_store_dword off, v13, off offset:12 ; 4-byte Folded Spill
	v_cndmask_b32_e64 v13, v64, v18, s[84:85]
	v_cndmask_b32_e64 v12, v81, v18, s[72:73]
	;; [unrolled: 1-line block ×3, first 2 shown]
	s_waitcnt lgkmcnt(0)
	v_cndmask_b32_e64 v19, v19, v47, s[0:1]
	v_cndmask_b32_e64 v17, v17, v47, s[98:99]
	;; [unrolled: 1-line block ×15, first 2 shown]
	v_cndmask_b32_e32 v47, v0, v47, vcc
	v_cndmask_b32_e64 v0, v47, v73, s[34:35]
	v_cndmask_b32_e64 v0, v0, v72, s[36:37]
	;; [unrolled: 1-line block ×11, first 2 shown]
	s_mov_b64 s[74:75], s[70:71]
	v_cndmask_b32_e64 v0, v0, v21, s[72:73]
	v_readlane_b32 s70, v127, 55
	s_mov_b64 s[66:67], s[62:63]
	s_mov_b64 s[62:63], s[58:59]
	;; [unrolled: 1-line block ×4, first 2 shown]
	v_cndmask_b32_e64 v0, v0, v20, s[84:85]
	v_readlane_b32 s71, v127, 56
	v_readlane_b32 s50, v127, 39
	;; [unrolled: 1-line block ×3, first 2 shown]
	v_cndmask_b32_e64 v0, v0, v17, s[70:71]
	v_cmp_eq_u32_e64 s[0:1], 0, v118
	v_cndmask_b32_e64 v0, v0, v19, s[50:51]
	ds_bpermute_b32 v74, v107, v0
	v_cndmask_b32_e64 v0, v65, v18, s[0:1]
	v_writelane_b32 v127, s0, 57
	v_cndmask_b32_e64 v10, v83, v18, s[64:65]
	v_cndmask_b32_e64 v9, v84, v18, s[60:61]
	s_waitcnt lgkmcnt(0)
	v_cndmask_b32_e64 v31, v19, v74, s[50:51]
	v_cndmask_b32_e64 v19, v16, v74, s[38:39]
	;; [unrolled: 1-line block ×8, first 2 shown]
	s_mov_b64 s[70:71], s[4:5]
	v_cndmask_b32_e64 v16, v16, v45, s[70:71]
	v_cndmask_b32_e64 v16, v16, v44, s[10:11]
	;; [unrolled: 1-line block ×6, first 2 shown]
	v_writelane_b32 v127, s1, 58
	v_cndmask_b32_e64 v16, v16, v39, s[22:23]
	v_cndmask_b32_e64 v16, v16, v38, s[24:25]
	v_readlane_b32 s50, v127, 37
	v_cndmask_b32_e64 v16, v16, v37, s[26:27]
	v_readlane_b32 s51, v127, 38
	v_readlane_b32 s4, v127, 41
	;; [unrolled: 1-line block ×3, first 2 shown]
	v_cndmask_b32_e64 v16, v16, v46, s[50:51]
	ds_bpermute_b32 v16, v107, v16
	v_cndmask_b32_e64 v29, v20, v74, s[84:85]
	v_cndmask_b32_e64 v28, v21, v74, s[72:73]
	;; [unrolled: 1-line block ×4, first 2 shown]
	s_waitcnt lgkmcnt(0)
	v_cndmask_b32_e64 v46, v46, v16, s[50:51]
	v_cndmask_b32_e64 v37, v37, v16, s[26:27]
	;; [unrolled: 1-line block ×16, first 2 shown]
	s_mov_b64 s[50:51], s[6:7]
	v_cndmask_b32_e64 v36, v16, v35, s[50:51]
	v_cndmask_b32_e64 v36, v36, v34, s[42:43]
	v_cndmask_b32_e64 v36, v36, v33, s[46:47]
	v_cndmask_b32_e64 v36, v36, v32, s[54:55]
	v_cndmask_b32_e64 v36, v36, v48, s[58:59]
	v_cndmask_b32_e64 v36, v36, v45, s[62:63]
	v_cndmask_b32_e64 v36, v36, v44, s[66:67]
	v_cndmask_b32_e64 v36, v36, v43, s[74:75]
	v_cndmask_b32_e64 v36, v36, v42, s[76:77]
	v_cndmask_b32_e64 v36, v36, v41, s[78:79]
	v_cndmask_b32_e64 v36, v36, v40, s[80:81]
	v_cndmask_b32_e64 v36, v36, v39, s[82:83]
	v_cndmask_b32_e64 v36, v36, v38, s[86:87]
	v_cndmask_b32_e64 v36, v36, v37, s[98:99]
	v_cndmask_b32_e64 v36, v36, v46, s[4:5]
	ds_bpermute_b32 v36, v107, v36
	v_cndmask_b32_e64 v27, v22, v74, s[68:69]
	v_cndmask_b32_e64 v22, v69, v74, s[48:49]
	;; [unrolled: 1-line block ×4, first 2 shown]
	s_waitcnt lgkmcnt(0)
	v_cndmask_b32_e64 v46, v46, v36, s[4:5]
	s_mov_b64 s[4:5], vcc
	v_cndmask_b32_e64 v70, v35, v36, s[50:51]
	v_cndmask_b32_e64 v71, v16, v36, s[4:5]
	;; [unrolled: 1-line block ×28, first 2 shown]
	v_readlane_b32 s6, v127, 55
	v_cndmask_b32_e64 v37, v37, v36, s[98:99]
	v_cndmask_b32_e64 v16, v16, v38, s[84:85]
	v_readlane_b32 s7, v127, 56
	v_readlane_b32 s2, v127, 39
	;; [unrolled: 1-line block ×3, first 2 shown]
	v_cndmask_b32_e64 v16, v16, v37, s[6:7]
	v_cndmask_b32_e64 v8, v85, v18, s[56:57]
	;; [unrolled: 1-line block ×10, first 2 shown]
	ds_bpermute_b32 v72, v107, v16
	v_cndmask_b32_e64 v16, v47, v74, s[0:1]
	v_readlane_b32 s0, v127, 37
	v_readlane_b32 s1, v127, 38
	v_cndmask_b32_e64 v17, v73, v74, s[34:35]
	s_waitcnt lgkmcnt(0)
	v_cndmask_b32_e64 v36, v32, v72, s[40:41]
	v_cndmask_b32_e64 v32, v63, v62, s[16:17]
	;; [unrolled: 1-line block ×9, first 2 shown]
	s_mov_b64 s[6:7], s[10:11]
	v_cndmask_b32_e64 v32, v32, v114, s[6:7]
	s_mov_b64 s[10:11], s[12:13]
	v_cndmask_b32_e64 v32, v32, v56, s[10:11]
	;; [unrolled: 2-line block ×6, first 2 shown]
	v_cndmask_b32_e64 v32, v32, v51, s[24:25]
	v_cndmask_b32_e64 v32, v32, v50, s[26:27]
	;; [unrolled: 1-line block ×3, first 2 shown]
	ds_bpermute_b32 v32, v107, v32
	v_cndmask_b32_e64 v37, v48, v72, s[44:45]
	v_readlane_b32 s2, v127, 41
	v_readlane_b32 s3, v127, 42
	v_cndmask_b32_e64 v35, v33, v72, s[38:39]
	s_waitcnt lgkmcnt(0)
	v_cndmask_b32_e64 v48, v49, v32, s[0:1]
	v_readlane_b32 s0, v127, 51
	v_readlane_b32 s1, v127, 52
	v_cndmask_b32_e64 v49, v50, v32, s[26:27]
	v_cndmask_b32_e64 v50, v51, v32, s[24:25]
	;; [unrolled: 1-line block ×30, first 2 shown]
	ds_bpermute_b32 v63, v107, v63
	v_cndmask_b32_e64 v33, v70, v72, s[34:35]
	v_cndmask_b32_e64 v45, v38, v72, s[84:85]
	;; [unrolled: 1-line block ×4, first 2 shown]
	s_waitcnt lgkmcnt(0)
	v_cndmask_b32_e64 v74, v62, v63, s[50:51]
	v_cndmask_b32_e64 v81, v32, v63, s[4:5]
	;; [unrolled: 1-line block ×30, first 2 shown]
	s_mov_b64 vcc, s[42:43]
	v_cndmask_b32_e64 v32, v32, v51, s[72:73]
	v_readlane_b32 s42, v127, 55
	s_mov_b64 s[20:21], s[18:19]
	s_mov_b64 s[18:19], s[14:15]
	;; [unrolled: 1-line block ×5, first 2 shown]
	v_cndmask_b32_e64 v49, v49, v63, s[98:99]
	v_cndmask_b32_e64 v32, v32, v50, s[84:85]
	v_readlane_b32 s43, v127, 56
	v_readlane_b32 s6, v127, 39
	v_cndmask_b32_e64 v48, v48, v63, s[2:3]
	v_cndmask_b32_e64 v32, v32, v49, s[42:43]
	v_readlane_b32 s7, v127, 40
	s_mov_b64 s[2:3], s[4:5]
	v_readlane_b32 s4, v127, 57
	v_cndmask_b32_e64 v32, v32, v48, s[6:7]
	ds_bpermute_b32 v82, v107, v32
	v_readlane_b32 s5, v127, 58
	v_cndmask_b32_e64 v34, v34, v72, s[36:37]
	s_waitcnt lgkmcnt(0)
	v_cndmask_b32_e64 v56, v55, v82, s[56:57]
	v_cndmask_b32_e64 v55, v64, v82, s[52:53]
	scratch_load_dword v64, off, off offset:16 ; 4-byte Folded Reload
	v_cndmask_b32_e64 v63, v48, v82, s[6:7]
	v_cndmask_b32_e64 v48, v79, v78, s[16:17]
	;; [unrolled: 1-line block ×14, first 2 shown]
	s_mov_b64 s[6:7], s[42:43]
	v_cndmask_b32_e64 v48, v48, v66, s[24:25]
	v_readlane_b32 s42, v127, 37
	v_cndmask_b32_e64 v48, v48, v102, s[26:27]
	v_readlane_b32 s43, v127, 38
	v_cndmask_b32_e64 v32, v71, v72, s[4:5]
	v_cndmask_b32_e64 v61, v50, v82, s[84:85]
	;; [unrolled: 1-line block ×12, first 2 shown]
	s_waitcnt vmcnt(0)
	v_cndmask_b32_e64 v48, v48, v64, s[42:43]
	ds_bpermute_b32 v48, v107, v48
	s_waitcnt lgkmcnt(0)
	v_cndmask_b32_e64 v64, v64, v48, s[42:43]
	v_cndmask_b32_e64 v65, v102, v48, s[26:27]
	;; [unrolled: 1-line block ×16, first 2 shown]
	s_mov_b64 s[42:43], s[50:51]
	v_cndmask_b32_e64 v79, v48, v78, s[42:43]
	s_mov_b64 s[0:1], vcc
	v_cndmask_b32_e64 v79, v79, v77, s[0:1]
	v_cndmask_b32_e64 v79, v79, v76, s[46:47]
	s_mov_b64 s[50:51], s[54:55]
	v_cndmask_b32_e64 v79, v79, v75, s[50:51]
	s_mov_b64 s[54:55], s[58:59]
	;; [unrolled: 2-line block ×7, first 2 shown]
	v_cndmask_b32_e64 v79, v79, v69, s[74:75]
	v_cndmask_b32_e64 v79, v79, v68, s[80:81]
	;; [unrolled: 1-line block ×4, first 2 shown]
	v_readlane_b32 s76, v127, 41
	v_cndmask_b32_e64 v79, v79, v65, s[98:99]
	v_readlane_b32 s77, v127, 42
	s_mov_b64 vcc, s[50:51]
	s_mov_b64 s[78:79], s[80:81]
	v_cndmask_b32_e64 v79, v79, v64, s[76:77]
	ds_bpermute_b32 v79, v107, v79
	s_waitcnt lgkmcnt(0)
	v_cndmask_b32_e64 v83, v64, v79, s[76:77]
	v_cndmask_b32_e64 v90, v78, v79, s[42:43]
	;; [unrolled: 1-line block ×27, first 2 shown]
	s_mov_b64 s[76:77], s[84:85]
	v_cndmask_b32_e64 v65, v65, v79, s[98:99]
	v_cndmask_b32_e64 v48, v48, v66, s[76:77]
	v_readlane_b32 s84, v127, 39
	v_cndmask_b32_e64 v48, v48, v65, s[6:7]
	v_readlane_b32 s85, v127, 40
	s_mov_b64 s[50:51], s[0:1]
	v_readlane_b32 s0, v127, 45
	v_cndmask_b32_e64 v48, v48, v83, s[84:85]
	ds_bpermute_b32 v80, v107, v48
	v_cndmask_b32_e64 v48, v81, v82, s[4:5]
	scratch_load_dword v82, off, off offset:8 ; 4-byte Folded Reload
	v_cndmask_b32_e64 v81, v98, v111, s[16:17]
	v_cndmask_b32_e64 v81, v81, v97, s[8:9]
	s_waitcnt lgkmcnt(0)
	v_cndmask_b32_e64 v79, v83, v80, s[84:85]
	scratch_load_dword v83, off, off offset:12 ; 4-byte Folded Reload
	v_cndmask_b32_e64 v81, v81, v96, s[28:29]
	v_cndmask_b32_e64 v81, v81, v101, s[30:31]
	;; [unrolled: 1-line block ×3, first 2 shown]
	v_readlane_b32 s1, v127, 46
	v_cndmask_b32_e64 v78, v65, v80, s[6:7]
	s_mov_b64 s[80:81], s[6:7]
	v_cndmask_b32_e64 v81, v81, v110, s[0:1]
	v_cndmask_b32_e64 v81, v81, v109, s[10:11]
	;; [unrolled: 1-line block ×8, first 2 shown]
	v_readlane_b32 s6, v127, 37
	v_readlane_b32 s7, v127, 38
	v_cndmask_b32_e64 v77, v66, v80, s[76:77]
	v_cndmask_b32_e64 v76, v67, v80, s[72:73]
	;; [unrolled: 1-line block ×14, first 2 shown]
	s_waitcnt vmcnt(0)
	v_cndmask_b32_e64 v81, v81, v83, s[26:27]
	v_cndmask_b32_e64 v81, v81, v82, s[6:7]
	ds_bpermute_b32 v81, v107, v81
	s_waitcnt lgkmcnt(0)
	v_cndmask_b32_e64 v91, v110, v81, s[0:1]
	v_readlane_b32 s0, v127, 51
	v_readlane_b32 s1, v127, 52
	v_cndmask_b32_e64 v82, v82, v81, s[6:7]
	v_cndmask_b32_e64 v83, v83, v81, s[26:27]
	;; [unrolled: 1-line block ×18, first 2 shown]
	v_cndmask_b32_e32 v97, v97, v93, vcc
	v_cndmask_b32_e64 v97, v97, v92, s[54:55]
	v_cndmask_b32_e64 v97, v97, v91, s[58:59]
	;; [unrolled: 1-line block ×9, first 2 shown]
	v_readlane_b32 s0, v127, 41
	v_cndmask_b32_e64 v97, v97, v83, s[98:99]
	v_readlane_b32 s1, v127, 42
	v_readlane_b32 s16, v127, 36
	;; [unrolled: 1-line block ×3, first 2 shown]
	v_cndmask_b32_e64 v97, v97, v82, s[0:1]
	ds_bpermute_b32 v97, v107, v97
	v_readlane_b32 s24, v127, 12
	v_readlane_b32 s28, v127, 17
	s_mov_b32 s6, 0
	s_mov_b32 s8, 0
	s_waitcnt lgkmcnt(0)
	v_cndmask_b32_e64 v82, v82, v97, s[0:1]
	v_cndmask_b32_e64 v83, v83, v97, s[98:99]
	;; [unrolled: 1-line block ×11, first 2 shown]
	v_cndmask_b32_e32 v103, v93, v97, vcc
	v_cndmask_b32_e64 v105, v94, v97, s[46:47]
	v_cndmask_b32_e64 v106, v95, v97, s[50:51]
	;; [unrolled: 1-line block ×19, first 2 shown]
	ds_bpermute_b32 v107, v107, v81
	s_mul_i32 s0, s16, s89
	s_ashr_i32 s1, s0, 31
	s_lshl_b64 s[0:1], s[0:1], 1
	v_readlane_b32 s42, v127, 32
	s_waitcnt lgkmcnt(0)
	v_cndmask_b32_e64 v95, v82, v107, s[84:85]
	v_cndmask_b32_e64 v94, v83, v107, s[80:81]
	;; [unrolled: 1-line block ×16, first 2 shown]
	scratch_load_dwordx2 v[106:107], off, off ; 8-byte Folded Reload
	scratch_load_dword v123, off, off offset:32 ; 4-byte Folded Reload
	scratch_load_dword v126, off, off offset:36 ; 4-byte Folded Reload
	;; [unrolled: 1-line block ×3, first 2 shown]
	v_readlane_b32 s52, v127, 2
	v_readlane_b32 s56, v127, 6
	;; [unrolled: 1-line block ×4, first 2 shown]
	s_add_u32 s2, s56, s0
	v_readlane_b32 s45, v127, 31
	s_addc_u32 s3, s57, s1
	s_ashr_i32 s45, s44, 31
	s_lshl_b64 s[0:1], s[44:45], 1
	s_add_u32 s0, s2, s0
	s_addc_u32 s1, s3, s1
	v_readlane_b32 s40, v127, 35
	v_readlane_b32 s46, v127, 28
	;; [unrolled: 1-line block ×8, first 2 shown]
	s_max_i32 s7, s40, 0
	v_readlane_b32 s12, v127, 1
	v_readlane_b32 s15, v127, 11
	;; [unrolled: 1-line block ×18, first 2 shown]
                                        ; implicit-def: $sgpr2_sgpr3
	s_waitcnt vmcnt(3)
	v_lshl_add_u64 v[102:103], s[0:1], 0, v[106:107]
	s_mov_b64 s[0:1], 0
	s_branch .LBB139_37
.LBB139_36:                             ;   in Loop: Header=BB139_37 Depth=2
	s_or_b64 exec, exec, s[4:5]
	s_and_b64 s[4:5], exec, s[2:3]
	s_or_b64 s[0:1], s[4:5], s[0:1]
	s_andn2_b64 exec, exec, s[0:1]
	s_cbranch_execz .LBB139_39
.LBB139_37:                             ;   Parent Loop BB139_7 Depth=1
                                        ; =>  This Inner Loop Header: Depth=2
	s_and_b32 s4, s8, 2
	s_and_b32 s5, s6, 24
	s_or_b32 s4, s5, s4
	s_waitcnt vmcnt(0)
	v_or_b32_e32 v96, s4, v118
	v_add_u32_e32 v97, s7, v96
	v_cmp_gt_u32_e32 vcc, 32, v97
	s_or_b64 s[2:3], s[2:3], exec
	s_and_saveexec_b64 s[4:5], vcc
	s_cbranch_execz .LBB139_36
; %bb.38:                               ;   in Loop: Header=BB139_37 Depth=2
	s_add_i32 s9, s8, 1
	s_set_gpr_idx_on s8, gpr_idx(SRC0)
	v_mov_b32_e32 v97, v0
	s_set_gpr_idx_off
	v_cvt_f16_f32_e32 v98, v97
	s_set_gpr_idx_on s9, gpr_idx(SRC0)
	v_mov_b32_e32 v97, v0
	s_set_gpr_idx_off
	v_cvt_f16_f32_sdwa v100, v97 dst_sel:WORD_1 dst_unused:UNUSED_PAD src0_sel:DWORD
	v_mul_lo_u32 v96, v96, s89
	v_ashrrev_i32_e32 v97, 31, v96
	v_lshl_add_u64 v[96:97], v[96:97], 1, v[102:103]
	v_or_b32_e32 v98, v100, v98
	;;#ASMSTART
	global_atomic_pk_add_f16 v[96:97], v98, off
	
	;;#ASMEND
	s_set_gpr_idx_on s8, gpr_idx(SRC0)
	v_mov_b32_e32 v98, v16
	s_set_gpr_idx_off
	v_cvt_f16_f32_e32 v98, v98
	s_set_gpr_idx_on s9, gpr_idx(SRC0)
	v_mov_b32_e32 v100, v16
	s_set_gpr_idx_off
	v_cvt_f16_f32_sdwa v105, v100 dst_sel:WORD_1 dst_unused:UNUSED_PAD src0_sel:DWORD
	v_lshl_add_u64 v[100:101], v[96:97], 0, 64
	s_mov_b64 s[10:11], 0x80
	s_add_i32 s6, s6, 4
	v_or_b32_e32 v98, v105, v98
	;;#ASMSTART
	global_atomic_pk_add_f16 v[100:101], v98, off
	
	;;#ASMEND
	s_set_gpr_idx_on s8, gpr_idx(SRC0)
	v_mov_b32_e32 v98, v32
	s_set_gpr_idx_off
	v_cvt_f16_f32_e32 v98, v98
	s_set_gpr_idx_on s9, gpr_idx(SRC0)
	v_mov_b32_e32 v100, v32
	s_set_gpr_idx_off
	v_cvt_f16_f32_sdwa v105, v100 dst_sel:WORD_1 dst_unused:UNUSED_PAD src0_sel:DWORD
	v_lshl_add_u64 v[100:101], v[96:97], 0, s[10:11]
	s_mov_b64 s[10:11], 0xc0
	v_or_b32_e32 v98, v105, v98
	;;#ASMSTART
	global_atomic_pk_add_f16 v[100:101], v98, off
	
	;;#ASMEND
	s_set_gpr_idx_on s8, gpr_idx(SRC0)
	v_mov_b32_e32 v98, v48
	s_set_gpr_idx_off
	v_cvt_f16_f32_e32 v98, v98
	s_set_gpr_idx_on s9, gpr_idx(SRC0)
	v_mov_b32_e32 v100, v48
	s_set_gpr_idx_off
	v_cvt_f16_f32_sdwa v105, v100 dst_sel:WORD_1 dst_unused:UNUSED_PAD src0_sel:DWORD
	v_lshl_add_u64 v[100:101], v[96:97], 0, s[10:11]
	s_mov_b64 s[10:11], 0x100
	;; [unrolled: 15-line block ×3, first 2 shown]
	v_lshl_add_u64 v[96:97], v[96:97], 0, s[10:11]
	v_or_b32_e32 v98, v105, v98
	;;#ASMSTART
	global_atomic_pk_add_f16 v[100:101], v98, off
	
	;;#ASMEND
	s_set_gpr_idx_on s8, gpr_idx(SRC0)
	v_mov_b32_e32 v98, v80
	s_set_gpr_idx_off
	v_cvt_f16_f32_e32 v98, v98
	s_set_gpr_idx_on s9, gpr_idx(SRC0)
	v_mov_b32_e32 v100, v80
	s_set_gpr_idx_off
	s_add_i32 s8, s8, 2
	v_cvt_f16_f32_sdwa v100, v100 dst_sel:WORD_1 dst_unused:UNUSED_PAD src0_sel:DWORD
	s_cmp_eq_u32 s8, 16
	s_cselect_b64 s[10:11], -1, 0
	s_andn2_b64 s[2:3], s[2:3], exec
	s_and_b64 s[10:11], s[10:11], exec
	s_or_b64 s[2:3], s[2:3], s[10:11]
	v_or_b32_e32 v98, v100, v98
	;;#ASMSTART
	global_atomic_pk_add_f16 v[96:97], v98, off
	
	;;#ASMEND
	s_branch .LBB139_36
.LBB139_39:                             ;   in Loop: Header=BB139_7 Depth=1
	s_or_b64 exec, exec, s[0:1]
	scratch_load_dword v21, off, off offset:24 ; 4-byte Folded Reload
	scratch_load_dword v99, off, off offset:28 ; 4-byte Folded Reload
	scratch_load_dwordx2 v[22:23], off, off offset:72 ; 8-byte Folded Reload
	scratch_load_dword v24, off, off offset:88 ; 4-byte Folded Reload
	scratch_load_dword v25, off, off offset:92 ; 4-byte Folded Reload
	v_readlane_b32 s11, v127, 0
.LBB139_40:                             ;   in Loop: Header=BB139_7 Depth=1
	s_or_b64 exec, exec, s[48:49]
.LBB139_41:                             ;   in Loop: Header=BB139_7 Depth=1
	s_andn2_saveexec_b64 s[0:1], s[46:47]
	s_cbranch_execz .LBB139_50
; %bb.42:                               ;   in Loop: Header=BB139_7 Depth=1
	s_mul_i32 s10, s92, 6
	v_cmp_gt_i32_e32 vcc, s10, v121
	s_and_saveexec_b64 s[2:3], vcc
	s_cbranch_execz .LBB139_49
; %bb.43:                               ;   in Loop: Header=BB139_7 Depth=1
	scratch_load_dwordx2 v[0:1], off, off offset:80 ; 8-byte Folded Reload
	s_mul_i32 s4, s44, s91
	s_ashr_i32 s5, s4, 31
	s_add_u32 s4, s54, s4
	s_addc_u32 s5, s55, s5
	s_ashr_i32 s6, s41, 31
	s_add_u32 s4, s4, s41
	s_addc_u32 s5, s5, s6
	s_waitcnt vmcnt(0)
	v_lshl_add_u64 v[0:1], s[4:5], 0, v[0:1]
	v_lshl_add_u64 v[16:17], v[0:1], 0, v[22:23]
	s_mov_b64 s[4:5], 0
	s_branch .LBB139_45
.LBB139_44:                             ;   in Loop: Header=BB139_45 Depth=2
	s_or_b64 exec, exec, s[6:7]
	v_lshl_or_b32 v20, v18, 12, v24
	;;#ASMSTART
	s_waitcnt vmcnt(3)
	;;#ASMEND
	ds_write2_b32 v20, v12, v13 offset1:32
	ds_write2_b32 v20, v14, v15 offset0:64 offset1:96
	v_add_u32_e32 v12, 0x400, v20
	;;#ASMSTART
	s_waitcnt vmcnt(2)
	;;#ASMEND
	ds_write2_b32 v12, v8, v9 offset1:32
	ds_write2_b32 v12, v10, v11 offset0:64 offset1:96
	v_add_u32_e32 v8, 0x800, v20
	;; [unrolled: 6-line block ×3, first 2 shown]
	v_add_u32_e32 v121, s94, v121
	;;#ASMSTART
	s_waitcnt vmcnt(0)
	;;#ASMEND
	ds_write2_b32 v4, v0, v1 offset1:32
	ds_write2_b32 v4, v2, v3 offset0:64 offset1:96
	v_add_u32_e32 v0, 1, v119
	v_add_u32_e32 v104, s94, v18
	v_cmp_le_i32_e32 vcc, s10, v121
	ds_write_b32 v19, v0 offset:8
	v_add_u32_e32 v0, 2, v119
	s_or_b64 s[4:5], vcc, s[4:5]
	v_cmp_lt_i32_e32 vcc, 11, v104
	s_nop 1
	v_cndmask_b32_e32 v119, v119, v0, vcc
	s_andn2_b64 exec, exec, s[4:5]
	s_cbranch_execz .LBB139_48
.LBB139_45:                             ;   Parent Loop BB139_7 Depth=1
                                        ; =>  This Loop Header: Depth=2
                                        ;       Child Loop BB139_47 Depth 3
	v_cmp_gt_i32_e32 vcc, 12, v104
	s_mov_b32 s6, 0x2aaaaaab
	s_nop 0
	v_cndmask_b32_e64 v0, -12, 0, vcc
	v_add_u32_e32 v18, v0, v104
	v_mul_hi_i32 v0, v121, s6
	v_lshrrev_b32_e32 v1, 31, v0
	v_add_u32_e32 v0, v0, v1
	v_mul_lo_u32 v1, v0, 6
	v_sub_u32_e32 v2, v121, v1
	v_lshlrev_b32_e32 v0, 7, v0
	v_ashrrev_i32_e32 v1, 31, v0
	v_mul_lo_u32 v2, s31, v2
	v_lshl_add_u64 v[0:1], v[16:17], 0, v[0:1]
	v_ashrrev_i32_e32 v3, 31, v2
	v_lshl_add_u64 v[0:1], v[0:1], 0, v[2:3]
	v_lshlrev_b32_e32 v19, 2, v18
	;;#ASMSTART
	global_load_dwordx4 v[12:15], v[0:1], off offset:0   sc0 sc1 nt  
	global_load_dwordx4 v[8:11], v[0:1], off offset:32  sc0 sc1 nt  
	global_load_dwordx4 v[4:7], v[0:1], off offset:64  sc0 sc1 nt  
	;; [unrolled: 1-line block ×3, first 2 shown]
	
	;;#ASMEND
	ds_read_b32 v20, v19 offset:57352
	v_add_u32_e32 v19, 0xe000, v19
	s_waitcnt lgkmcnt(0)
	v_cmp_ne_u32_e32 vcc, v20, v119
	s_and_saveexec_b64 s[6:7], vcc
	s_cbranch_execz .LBB139_44
; %bb.46:                               ;   in Loop: Header=BB139_45 Depth=2
	s_mov_b64 s[8:9], 0
.LBB139_47:                             ;   Parent Loop BB139_7 Depth=1
                                        ;     Parent Loop BB139_45 Depth=2
                                        ; =>    This Inner Loop Header: Depth=3
	;;#ASMSTART
	s_sleep 0
	;;#ASMEND
	ds_read_b32 v20, v19 offset:8
	s_waitcnt lgkmcnt(0)
	v_cmp_eq_u32_e32 vcc, v20, v119
	s_or_b64 s[8:9], vcc, s[8:9]
	s_andn2_b64 exec, exec, s[8:9]
	s_cbranch_execnz .LBB139_47
	s_branch .LBB139_44
.LBB139_48:                             ;   in Loop: Header=BB139_7 Depth=1
	s_or_b64 exec, exec, s[4:5]
.LBB139_49:                             ;   in Loop: Header=BB139_7 Depth=1
	s_or_b64 exec, exec, s[2:3]
	v_subrev_u32_e32 v121, s10, v121
.LBB139_50:                             ;   in Loop: Header=BB139_7 Depth=1
	s_or_b64 exec, exec, s[0:1]
.LBB139_51:                             ;   in Loop: Header=BB139_7 Depth=1
	s_andn2_saveexec_b64 s[0:1], s[42:43]
	s_cbranch_execz .LBB139_6
; %bb.52:                               ;   in Loop: Header=BB139_7 Depth=1
	v_cmp_gt_i32_e32 vcc, s92, v121
	s_and_saveexec_b64 s[2:3], vcc
	s_cbranch_execz .LBB139_5
; %bb.53:                               ;   in Loop: Header=BB139_7 Depth=1
	s_mul_i32 s4, s16, s90
	s_ashr_i32 s5, s4, 31
	s_add_u32 s4, s52, s4
	s_addc_u32 s5, s53, s5
	s_ashr_i32 s6, s41, 31
	s_waitcnt vmcnt(3)
	v_mul_lo_u32 v0, s90, v99
	s_waitcnt vmcnt(0)
	v_cmp_le_i32_e32 vcc, s40, v25
	s_add_u32 s4, s4, s41
	s_addc_u32 s5, s5, s6
	v_cndmask_b32_e32 v0, 0, v0, vcc
	v_ashrrev_i32_e32 v1, 31, v0
	v_lshl_add_u64 v[0:1], s[4:5], 0, v[0:1]
	v_lshl_add_u64 v[16:17], v[0:1], 0, v[22:23]
	s_mov_b64 s[4:5], 0
	s_branch .LBB139_55
.LBB139_54:                             ;   in Loop: Header=BB139_55 Depth=2
	s_or_b64 exec, exec, s[6:7]
	v_lshl_add_u32 v20, v18, 12, v120
	;;#ASMSTART
	s_waitcnt vmcnt(3)
	;;#ASMEND
	ds_write2_b32 v20, v12, v13 offset1:32
	ds_write2_b32 v20, v14, v15 offset0:64 offset1:96
	v_add_u32_e32 v12, 0x400, v20
	;;#ASMSTART
	s_waitcnt vmcnt(2)
	;;#ASMEND
	ds_write2_b32 v12, v8, v9 offset1:32
	ds_write2_b32 v12, v10, v11 offset0:64 offset1:96
	v_add_u32_e32 v8, 0x800, v20
	;;#ASMSTART
	s_waitcnt vmcnt(1)
	;;#ASMEND
	ds_write2_b32 v8, v4, v5 offset1:32
	ds_write2_b32 v8, v6, v7 offset0:64 offset1:96
	v_add_u32_e32 v4, 0xc00, v20
	v_add_u32_e32 v121, s93, v121
	;;#ASMSTART
	s_waitcnt vmcnt(0)
	;;#ASMEND
	ds_write2_b32 v4, v0, v1 offset1:32
	ds_write2_b32 v4, v2, v3 offset0:64 offset1:96
	v_add_u32_e32 v0, 1, v119
	v_add_u32_e32 v104, s93, v18
	v_cmp_le_i32_e32 vcc, s92, v121
	ds_write_b32 v19, v0
	v_add_u32_e32 v0, 2, v119
	s_or_b64 s[4:5], vcc, s[4:5]
	v_cmp_lt_i32_e32 vcc, 1, v104
	s_nop 1
	v_cndmask_b32_e32 v119, v119, v0, vcc
	s_andn2_b64 exec, exec, s[4:5]
	s_cbranch_execz .LBB139_4
.LBB139_55:                             ;   Parent Loop BB139_7 Depth=1
                                        ; =>  This Loop Header: Depth=2
                                        ;       Child Loop BB139_57 Depth 3
	v_cmp_gt_i32_e32 vcc, 2, v104
	s_nop 1
	v_cndmask_b32_e64 v0, -2, 0, vcc
	v_add_u32_e32 v18, v0, v104
	v_lshlrev_b32_e32 v0, 7, v121
	v_ashrrev_i32_e32 v1, 31, v0
	v_lshl_add_u64 v[0:1], v[16:17], 0, v[0:1]
	v_lshlrev_b32_e32 v19, 2, v18
	;;#ASMSTART
	global_load_dwordx4 v[12:15], v[0:1], off offset:0   
	global_load_dwordx4 v[8:11], v[0:1], off offset:32  
	;; [unrolled: 1-line block ×4, first 2 shown]
	
	;;#ASMEND
	ds_read_b32 v20, v19 offset:57344
	v_add_u32_e32 v19, 0xe000, v19
	s_waitcnt lgkmcnt(0)
	v_cmp_ne_u32_e32 vcc, v20, v119
	s_and_saveexec_b64 s[6:7], vcc
	s_cbranch_execz .LBB139_54
; %bb.56:                               ;   in Loop: Header=BB139_55 Depth=2
	s_mov_b64 s[8:9], 0
.LBB139_57:                             ;   Parent Loop BB139_7 Depth=1
                                        ;     Parent Loop BB139_55 Depth=2
                                        ; =>    This Inner Loop Header: Depth=3
	;;#ASMSTART
	s_sleep 0
	;;#ASMEND
	ds_read_b32 v20, v19
	s_waitcnt lgkmcnt(0)
	v_cmp_eq_u32_e32 vcc, v20, v119
	s_or_b64 s[8:9], vcc, s[8:9]
	s_andn2_b64 exec, exec, s[8:9]
	s_cbranch_execnz .LBB139_57
	s_branch .LBB139_54
.LBB139_58:
	s_endpgm
	.section	.rodata,"a",@progbits
	.p2align	6, 0x0
	.amdhsa_kernel _Z19_skinny_gemm_kernelILi1ELi6ELi2ELi32ELi8EEvPKhS1_P6__halfPKfiiiiiiii
		.amdhsa_group_segment_fixed_size 57400
		.amdhsa_private_segment_fixed_size 108
		.amdhsa_kernarg_size 64
		.amdhsa_user_sgpr_count 2
		.amdhsa_user_sgpr_dispatch_ptr 0
		.amdhsa_user_sgpr_queue_ptr 0
		.amdhsa_user_sgpr_kernarg_segment_ptr 1
		.amdhsa_user_sgpr_dispatch_id 0
		.amdhsa_user_sgpr_kernarg_preload_length 0
		.amdhsa_user_sgpr_kernarg_preload_offset 0
		.amdhsa_user_sgpr_private_segment_size 0
		.amdhsa_uses_dynamic_stack 0
		.amdhsa_enable_private_segment 1
		.amdhsa_system_sgpr_workgroup_id_x 1
		.amdhsa_system_sgpr_workgroup_id_y 0
		.amdhsa_system_sgpr_workgroup_id_z 0
		.amdhsa_system_sgpr_workgroup_info 0
		.amdhsa_system_vgpr_workitem_id 0
		.amdhsa_next_free_vgpr 128
		.amdhsa_next_free_sgpr 100
		.amdhsa_accum_offset 128
		.amdhsa_reserve_vcc 1
		.amdhsa_float_round_mode_32 0
		.amdhsa_float_round_mode_16_64 0
		.amdhsa_float_denorm_mode_32 3
		.amdhsa_float_denorm_mode_16_64 3
		.amdhsa_dx10_clamp 1
		.amdhsa_ieee_mode 1
		.amdhsa_fp16_overflow 0
		.amdhsa_tg_split 0
		.amdhsa_exception_fp_ieee_invalid_op 0
		.amdhsa_exception_fp_denorm_src 0
		.amdhsa_exception_fp_ieee_div_zero 0
		.amdhsa_exception_fp_ieee_overflow 0
		.amdhsa_exception_fp_ieee_underflow 0
		.amdhsa_exception_fp_ieee_inexact 0
		.amdhsa_exception_int_div_zero 0
	.end_amdhsa_kernel
	.section	.text._Z19_skinny_gemm_kernelILi1ELi6ELi2ELi32ELi8EEvPKhS1_P6__halfPKfiiiiiiii,"axG",@progbits,_Z19_skinny_gemm_kernelILi1ELi6ELi2ELi32ELi8EEvPKhS1_P6__halfPKfiiiiiiii,comdat
.Lfunc_end139:
	.size	_Z19_skinny_gemm_kernelILi1ELi6ELi2ELi32ELi8EEvPKhS1_P6__halfPKfiiiiiiii, .Lfunc_end139-_Z19_skinny_gemm_kernelILi1ELi6ELi2ELi32ELi8EEvPKhS1_P6__halfPKfiiiiiiii
                                        ; -- End function
	.set _Z19_skinny_gemm_kernelILi1ELi6ELi2ELi32ELi8EEvPKhS1_P6__halfPKfiiiiiiii.num_vgpr, 128
	.set _Z19_skinny_gemm_kernelILi1ELi6ELi2ELi32ELi8EEvPKhS1_P6__halfPKfiiiiiiii.num_agpr, 0
	.set _Z19_skinny_gemm_kernelILi1ELi6ELi2ELi32ELi8EEvPKhS1_P6__halfPKfiiiiiiii.numbered_sgpr, 100
	.set _Z19_skinny_gemm_kernelILi1ELi6ELi2ELi32ELi8EEvPKhS1_P6__halfPKfiiiiiiii.num_named_barrier, 0
	.set _Z19_skinny_gemm_kernelILi1ELi6ELi2ELi32ELi8EEvPKhS1_P6__halfPKfiiiiiiii.private_seg_size, 108
	.set _Z19_skinny_gemm_kernelILi1ELi6ELi2ELi32ELi8EEvPKhS1_P6__halfPKfiiiiiiii.uses_vcc, 1
	.set _Z19_skinny_gemm_kernelILi1ELi6ELi2ELi32ELi8EEvPKhS1_P6__halfPKfiiiiiiii.uses_flat_scratch, 0
	.set _Z19_skinny_gemm_kernelILi1ELi6ELi2ELi32ELi8EEvPKhS1_P6__halfPKfiiiiiiii.has_dyn_sized_stack, 0
	.set _Z19_skinny_gemm_kernelILi1ELi6ELi2ELi32ELi8EEvPKhS1_P6__halfPKfiiiiiiii.has_recursion, 0
	.set _Z19_skinny_gemm_kernelILi1ELi6ELi2ELi32ELi8EEvPKhS1_P6__halfPKfiiiiiiii.has_indirect_call, 0
	.section	.AMDGPU.csdata,"",@progbits
; Kernel info:
; codeLenInByte = 21456
; TotalNumSgprs: 106
; NumVgprs: 128
; NumAgprs: 0
; TotalNumVgprs: 128
; ScratchSize: 108
; MemoryBound: 0
; FloatMode: 240
; IeeeMode: 1
; LDSByteSize: 57400 bytes/workgroup (compile time only)
; SGPRBlocks: 13
; VGPRBlocks: 15
; NumSGPRsForWavesPerEU: 106
; NumVGPRsForWavesPerEU: 128
; AccumOffset: 128
; Occupancy: 4
; WaveLimiterHint : 0
; COMPUTE_PGM_RSRC2:SCRATCH_EN: 1
; COMPUTE_PGM_RSRC2:USER_SGPR: 2
; COMPUTE_PGM_RSRC2:TRAP_HANDLER: 0
; COMPUTE_PGM_RSRC2:TGID_X_EN: 1
; COMPUTE_PGM_RSRC2:TGID_Y_EN: 0
; COMPUTE_PGM_RSRC2:TGID_Z_EN: 0
; COMPUTE_PGM_RSRC2:TIDIG_COMP_CNT: 0
; COMPUTE_PGM_RSRC3_GFX90A:ACCUM_OFFSET: 31
; COMPUTE_PGM_RSRC3_GFX90A:TG_SPLIT: 0
	.section	.text._Z19_skinny_gemm_kernelILi1ELi6ELi3ELi16ELi4EEvPKhS1_P6__halfPKfiiiiiiii,"axG",@progbits,_Z19_skinny_gemm_kernelILi1ELi6ELi3ELi16ELi4EEvPKhS1_P6__halfPKfiiiiiiii,comdat
	.protected	_Z19_skinny_gemm_kernelILi1ELi6ELi3ELi16ELi4EEvPKhS1_P6__halfPKfiiiiiiii ; -- Begin function _Z19_skinny_gemm_kernelILi1ELi6ELi3ELi16ELi4EEvPKhS1_P6__halfPKfiiiiiiii
	.globl	_Z19_skinny_gemm_kernelILi1ELi6ELi3ELi16ELi4EEvPKhS1_P6__halfPKfiiiiiiii
	.p2align	8
	.type	_Z19_skinny_gemm_kernelILi1ELi6ELi3ELi16ELi4EEvPKhS1_P6__halfPKfiiiiiiii,@function
_Z19_skinny_gemm_kernelILi1ELi6ELi3ELi16ELi4EEvPKhS1_P6__halfPKfiiiiiiii: ; @_Z19_skinny_gemm_kernelILi1ELi6ELi3ELi16ELi4EEvPKhS1_P6__halfPKfiiiiiiii
; %bb.0:
	v_cmp_gt_u32_e32 vcc, 21, v0
	v_lshlrev_b32_e32 v1, 2, v0
	s_and_saveexec_b64 s[4:5], vcc
; %bb.1:
	v_mov_b32_e32 v2, 0
	ds_write_b32 v1, v2 offset:43008
; %bb.2:
	s_or_b64 exec, exec, s[4:5]
	s_load_dwordx8 s[20:27], s[0:1], 0x20
	s_mov_b32 s56, 0x2aaaaaab
	s_waitcnt lgkmcnt(0)
	s_barrier
	s_add_i32 s3, s20, 15
	s_ashr_i32 s5, s3, 31
	s_lshr_b32 s5, s5, 28
	s_add_i32 s4, s21, 0x5f
	s_add_i32 s3, s3, s5
	s_ashr_i32 s33, s3, 4
	s_mul_hi_i32 s3, s4, 0x2aaaaaab
	s_lshr_b32 s4, s3, 31
	s_ashr_i32 s54, s3, 4
	s_add_i32 s54, s54, s4
	s_mul_i32 s3, s54, s33
	s_mul_i32 s3, s3, s24
	s_add_i32 s4, s3, 0x12f
	s_mul_hi_i32 s4, s4, 0x6bca1af3
	s_lshr_b32 s5, s4, 31
	s_ashr_i32 s4, s4, 7
	s_add_i32 s4, s4, s5
	s_add_i32 s5, s2, 1
	s_mul_i32 s5, s4, s5
	v_cvt_f64_i32_e32 v[2:3], s3
	v_cvt_f64_u32_e32 v[4:5], s5
	v_min_f64 v[2:3], v[2:3], v[4:5]
	v_cvt_i32_f64_e32 v25, v[2:3]
	s_mul_i32 s55, s4, s2
	v_cmp_ge_i32_e32 vcc, s55, v25
	s_cbranch_vccnz .LBB140_57
; %bb.3:
	v_lshrrev_b32_e32 v2, 6, v0
	s_add_i32 s4, s26, s25
	s_load_dwordx8 s[36:43], s[0:1], 0x0
	v_cmp_le_i32_e64 s[0:1], s4, v2
	v_mov_b32_e32 v3, s25
	v_cmp_le_i32_e64 s[2:3], s25, v2
	v_mov_b32_e32 v4, s26
	v_cndmask_b32_e64 v4, 0, v4, s[0:1]
	v_cndmask_b32_e64 v3, 0, v3, s[2:3]
	s_abs_i32 s5, s24
	v_add_u32_e32 v3, v3, v4
	v_cvt_f32_u32_e32 v4, s5
	v_sub_u32_e32 v32, v2, v3
	s_ashr_i32 s6, s22, 31
	s_lshr_b32 s6, s6, 25
	v_rcp_iflag_f32_e32 v3, v4
	s_sub_i32 s9, 0, s5
	s_add_i32 s6, s22, s6
	s_ashr_i32 s6, s6, 7
	v_mul_f32_e32 v3, 0x4f7ffffe, v3
	v_cvt_u32_f32_e32 v3, v3
	s_abs_i32 s8, s6
	s_xor_b32 s7, s6, s24
	s_ashr_i32 s7, s7, 31
	v_readfirstlane_b32 s10, v3
	s_mul_i32 s9, s9, s10
	s_mul_hi_u32 s9, s10, s9
	s_add_i32 s10, s10, s9
	s_mul_hi_u32 s9, s8, s10
	s_mul_i32 s10, s9, s5
	s_sub_i32 s8, s8, s10
	s_add_i32 s10, s9, 1
	s_sub_i32 s11, s8, s5
	s_cmp_ge_u32 s8, s5
	s_cselect_b32 s9, s10, s9
	s_cselect_b32 s8, s11, s8
	s_add_i32 s10, s9, 1
	s_cmp_ge_u32 s8, s5
	s_cselect_b32 s5, s10, s9
	s_xor_b32 s5, s5, s7
	s_sub_i32 s57, s5, s7
	s_add_i32 s24, s24, -1
	s_mul_i32 s5, s57, s24
	s_add_i32 s4, s4, s27
	s_sub_i32 s58, s6, s5
	v_cmp_gt_i32_e64 s[4:5], s4, v2
	v_lshlrev_b32_e32 v2, 1, v0
	v_lshlrev_b32_e32 v3, 4, v0
	v_and_b32_e32 v1, 60, v1
	v_and_b32_e32 v2, 64, v2
	;; [unrolled: 1-line block ×3, first 2 shown]
	s_abs_i32 s59, s33
	v_or3_b32 v47, v1, v2, v4
	v_and_b32_e32 v1, 1, v0
	v_cvt_f32_u32_e32 v6, s59
	v_lshlrev_b32_e32 v2, 1, v1
	v_lshrrev_b32_e32 v4, 2, v0
	v_and_b32_e32 v24, 14, v0
	v_sub_u32_e32 v2, v0, v2
	v_and_or_b32 v48, v4, 12, v1
	v_bitop3_b32 v49, v0, 1, v0 bitop3:0xc
	v_bitop3_b32 v50, v0, 3, 1 bitop3:0x6c
	v_and_b32_e32 v28, 48, v3
	v_bfe_u32 v1, v0, 2, 4
	v_and_b32_e32 v3, 60, v0
	v_lshlrev_b32_e32 v5, 8, v0
	v_lshlrev_b32_e32 v0, 6, v0
	v_and_b32_e32 v5, 0x200, v5
	v_and_b32_e32 v0, 64, v0
	v_or3_b32 v56, v3, v5, v0
	v_rcp_iflag_f32_e32 v0, v6
	s_abs_i32 s61, s54
	v_mul_lo_u32 v30, s23, v1
	v_mul_lo_u32 v58, s22, v1
	v_cvt_f32_u32_e32 v1, s61
	v_mul_f32_e32 v0, 0x4f7ffffe, v0
	v_cvt_u32_f32_e32 v0, v0
	v_mad_u64_u32 v[26:27], s[6:7], s21, v48, v[24:25]
	v_rcp_iflag_f32_e32 v1, v1
	v_readfirstlane_b32 s7, v0
	s_sub_i32 s6, 0, s59
	s_mul_i32 s6, s6, s7
	v_mul_f32_e32 v0, 0x4f7ffffe, v1
	v_cvt_u32_f32_e32 v0, v0
	s_mul_hi_u32 s6, s7, s6
	v_add_u32_e32 v2, 1, v2
	s_add_i32 s63, s7, s6
	s_sub_i32 s6, 0, s61
	v_readfirstlane_b32 s7, v0
	v_mbcnt_lo_u32_b32 v0, -1, 0
	v_and_b32_e32 v2, 63, v2
	s_mul_i32 s6, s6, s7
	v_mbcnt_hi_u32_b32 v0, -1, v0
	s_mul_hi_u32 s6, s7, s6
	v_and_or_b32 v0, v0, 64, v2
	v_cndmask_b32_e64 v46, 0, 1, s[0:1]
	v_or_b32_e32 v51, 16, v24
	v_or_b32_e32 v52, 32, v24
	;; [unrolled: 1-line block ×5, first 2 shown]
	v_ashrrev_i32_e32 v27, 31, v26
	s_ashr_i32 s29, s21, 31
	s_mov_b32 s28, s21
	v_ashrrev_i32_e32 v31, 31, v30
	v_mov_b32_e32 v29, 0
	s_lshl_b32 s60, s23, 4
	v_bitop3_b32 v57, v4, 15, v4 bitop3:0xc
	v_or_b32_e32 v59, 0x9000, v56
	s_ashr_i32 s62, s33, 31
	s_ashr_i32 s64, s54, 31
	s_add_i32 s65, s7, s6
	s_movk_i32 s66, 0x3000
	s_mov_b64 s[30:31], 0x60
	s_mov_b64 s[34:35], 0x80
	;; [unrolled: 1-line block ×3, first 2 shown]
	v_lshlrev_b32_e32 v60, 2, v0
	v_not_b32_e32 v61, 17
	v_mov_b32_e32 v62, v32
	s_branch .LBB140_7
.LBB140_4:                              ;   in Loop: Header=BB140_7 Depth=1
	s_or_b64 exec, exec, s[10:11]
.LBB140_5:                              ;   in Loop: Header=BB140_7 Depth=1
	s_or_b64 exec, exec, s[8:9]
	v_subrev_u32_e32 v62, s67, v62
.LBB140_6:                              ;   in Loop: Header=BB140_7 Depth=1
	s_or_b64 exec, exec, s[6:7]
	s_add_i32 s55, s55, 1
	v_cmp_ge_i32_e32 vcc, s55, v25
	s_cbranch_vccnz .LBB140_57
.LBB140_7:                              ; =>This Loop Header: Depth=1
                                        ;     Child Loop BB140_13 Depth 2
                                        ;       Child Loop BB140_15 Depth 3
                                        ;       Child Loop BB140_18 Depth 3
	;; [unrolled: 1-line block ×7, first 2 shown]
                                        ;     Child Loop BB140_44 Depth 2
                                        ;       Child Loop BB140_46 Depth 3
                                        ;     Child Loop BB140_54 Depth 2
                                        ;       Child Loop BB140_56 Depth 3
	s_abs_i32 s7, s55
	s_mul_hi_u32 s8, s7, s63
	s_mul_i32 s9, s8, s59
	s_ashr_i32 s6, s55, 31
	s_sub_i32 s7, s7, s9
	s_xor_b32 s6, s6, s62
	s_add_i32 s9, s8, 1
	s_sub_i32 s10, s7, s59
	s_cmp_ge_u32 s7, s59
	s_cselect_b32 s8, s9, s8
	s_cselect_b32 s7, s10, s7
	s_add_i32 s9, s8, 1
	s_cmp_ge_u32 s7, s59
	s_cselect_b32 s7, s9, s8
	s_xor_b32 s7, s7, s6
	s_sub_i32 s6, s7, s6
	s_abs_i32 s8, s6
	s_mul_i32 s7, s6, s33
	s_mul_hi_u32 s9, s8, s65
	s_sub_i32 s7, s55, s7
	s_mul_i32 s10, s9, s61
	s_lshl_b32 s68, s7, 4
	s_ashr_i32 s7, s6, 31
	s_sub_i32 s8, s8, s10
	s_xor_b32 s7, s7, s64
	s_add_i32 s10, s9, 1
	s_sub_i32 s11, s8, s61
	s_cmp_ge_u32 s8, s61
	s_cselect_b32 s9, s10, s9
	s_cselect_b32 s8, s11, s8
	s_add_i32 s10, s9, 1
	s_cmp_ge_u32 s8, s61
	s_cselect_b32 s8, s10, s9
	s_xor_b32 s8, s8, s7
	s_sub_i32 s7, s8, s7
	s_mul_i32 s8, s7, s57
	s_lshl_b32 s69, s8, 7
	s_cmp_eq_u32 s7, s24
	s_cselect_b32 s67, s58, s57
	s_sub_i32 s70, s68, s20
	s_add_i32 s70, s70, 16
	s_and_saveexec_b64 s[8:9], s[2:3]
	s_xor_b64 s[46:47], exec, s[8:9]
	s_cbranch_execz .LBB140_50
; %bb.8:                                ;   in Loop: Header=BB140_7 Depth=1
	s_mul_i32 s7, s7, s54
	s_sub_i32 s6, s6, s7
	s_mulk_i32 s6, 0x60
	s_sub_i32 s49, s6, s21
	s_addk_i32 s49, 0x60
	s_max_i32 s7, s49, 0
	s_sub_i32 s48, s6, s7
	s_and_saveexec_b64 s[6:7], s[0:1]
	s_xor_b64 s[50:51], exec, s[6:7]
	s_cbranch_execz .LBB140_40
; %bb.9:                                ;   in Loop: Header=BB140_7 Depth=1
	s_and_saveexec_b64 s[52:53], s[4:5]
	s_cbranch_execz .LBB140_39
; %bb.10:                               ;   in Loop: Header=BB140_7 Depth=1
	s_waitcnt lgkmcnt(0)
	global_load_dword v63, v29, s[42:43]
	v_mov_b32_e32 v23, 0
	v_cmp_gt_i32_e32 vcc, s67, v62
	v_mov_b32_e32 v22, v23
	v_mov_b32_e32 v21, v23
	;; [unrolled: 1-line block ×23, first 2 shown]
	s_and_saveexec_b64 s[6:7], vcc
	s_cbranch_execz .LBB140_35
; %bb.11:                               ;   in Loop: Header=BB140_7 Depth=1
	v_mov_b32_e32 v0, 0
	s_mov_b64 s[8:9], 0
	v_mov_b32_e32 v1, v0
	v_mov_b32_e32 v2, v0
	;; [unrolled: 1-line block ×23, first 2 shown]
	s_branch .LBB140_13
.LBB140_12:                             ;   in Loop: Header=BB140_13 Depth=2
	s_or_b64 exec, exec, s[10:11]
	v_add_u32_e32 v41, 0x2800, v40
	ds_read2_b32 v[42:43], v41 offset1:32
	v_add_u32_e32 v62, s27, v62
	v_cmp_le_i32_e32 vcc, s67, v62
	s_or_b64 s[8:9], vcc, s[8:9]
	s_waitcnt lgkmcnt(0)
	v_mfma_f32_16x16x32_fp8_fp8 v[0:3], v[34:35], v[42:43], v[0:3]
	ds_read2_b32 v[34:35], v41 offset0:128 offset1:160
	v_add_u32_e32 v42, 0x2c00, v40
	ds_read2_b32 v[40:41], v42 offset1:32
	s_waitcnt lgkmcnt(1)
	v_mfma_f32_16x16x32_fp8_fp8 v[0:3], v[32:33], v[34:35], v[0:3]
	ds_read2_b32 v[34:35], v42 offset0:128 offset1:160
	v_add_u32_e32 v32, s27, v65
	v_add_u32_e32 v33, 2, v46
	s_waitcnt lgkmcnt(1)
	v_mfma_f32_16x16x32_fp8_fp8 v[0:3], v[38:39], v[40:41], v[0:3]
	v_cmp_lt_i32_e32 vcc, 2, v32
	;;#ASMSTART
	s_waitcnt lgkmcnt(0)
	;;#ASMEND
	ds_write_b32 v64, v66 offset:43040
	s_waitcnt lgkmcnt(1)
	v_mfma_f32_16x16x32_fp8_fp8 v[0:3], v[36:37], v[34:35], v[0:3]
	v_cndmask_b32_e32 v46, v46, v33, vcc
	s_andn2_b64 exec, exec, s[8:9]
	s_cbranch_execz .LBB140_34
.LBB140_13:                             ;   Parent Loop BB140_7 Depth=1
                                        ; =>  This Loop Header: Depth=2
                                        ;       Child Loop BB140_15 Depth 3
                                        ;       Child Loop BB140_18 Depth 3
	;; [unrolled: 1-line block ×7, first 2 shown]
	v_cmp_gt_i32_e32 vcc, 3, v32
	s_nop 1
	v_cndmask_b32_e64 v33, -3, 0, vcc
	v_add_u32_e32 v65, v33, v32
	v_mul_lo_u32 v64, v65, 24
	ds_read_b32 v32, v64 offset:43020
	s_waitcnt lgkmcnt(0)
	v_cmp_ne_u32_e32 vcc, v32, v46
	s_and_saveexec_b64 s[10:11], vcc
	s_cbranch_execz .LBB140_16
; %bb.14:                               ;   in Loop: Header=BB140_13 Depth=2
	s_mov_b64 s[12:13], 0
.LBB140_15:                             ;   Parent Loop BB140_7 Depth=1
                                        ;     Parent Loop BB140_13 Depth=2
                                        ; =>    This Inner Loop Header: Depth=3
	;;#ASMSTART
	s_sleep 0
	;;#ASMEND
	ds_read_b32 v32, v64 offset:43020
	s_waitcnt lgkmcnt(0)
	v_cmp_eq_u32_e32 vcc, v32, v46
	s_or_b64 s[12:13], vcc, s[12:13]
	s_andn2_b64 exec, exec, s[12:13]
	s_cbranch_execnz .LBB140_15
.LBB140_16:                             ;   in Loop: Header=BB140_13 Depth=2
	s_or_b64 exec, exec, s[10:11]
	v_mul_lo_u32 v67, v65, s66
	v_or_b32_e32 v32, v47, v67
	ds_read2_b32 v[36:37], v32 offset1:32
	ds_read2_b32 v[40:41], v32 offset0:128 offset1:160
	v_add_u32_e32 v32, 0x400, v32
	v_add_u32_e32 v66, 1, v46
	ds_read2_b32 v[44:45], v32 offset1:32
	ds_read2_b32 v[42:43], v32 offset0:128 offset1:160
	;;#ASMSTART
	s_waitcnt lgkmcnt(0)
	;;#ASMEND
	ds_write_b32 v64, v66 offset:43020
	v_lshlrev_b32_e32 v32, 2, v65
	ds_read_b32 v33, v32 offset:43008
	v_add_u32_e32 v68, 0xa800, v32
	s_waitcnt lgkmcnt(0)
	v_cmp_ne_u32_e32 vcc, v33, v46
	s_and_saveexec_b64 s[10:11], vcc
	s_cbranch_execz .LBB140_19
; %bb.17:                               ;   in Loop: Header=BB140_13 Depth=2
	s_mov_b64 s[12:13], 0
.LBB140_18:                             ;   Parent Loop BB140_7 Depth=1
                                        ;     Parent Loop BB140_13 Depth=2
                                        ; =>    This Inner Loop Header: Depth=3
	;;#ASMSTART
	s_sleep 0
	;;#ASMEND
	ds_read_b32 v32, v68
	s_waitcnt lgkmcnt(0)
	v_cmp_eq_u32_e32 vcc, v32, v46
	s_or_b64 s[12:13], vcc, s[12:13]
	s_andn2_b64 exec, exec, s[12:13]
	s_cbranch_execnz .LBB140_18
.LBB140_19:                             ;   in Loop: Header=BB140_13 Depth=2
	s_or_b64 exec, exec, s[10:11]
	v_or_b32_e32 v32, 0x9000, v47
	v_lshl_add_u32 v38, v65, 11, v32
	ds_read2_b32 v[34:35], v38 offset1:32
	ds_read2_b32 v[32:33], v38 offset0:128 offset1:160
	v_add_u32_e32 v69, 0x400, v38
	ds_read2_b32 v[38:39], v69 offset1:32
	ds_write_b32 v68, v66
	s_waitcnt lgkmcnt(3)
	v_mfma_f32_16x16x32_fp8_fp8 v[20:23], v[34:35], v[36:37], v[20:23]
	ds_read2_b32 v[36:37], v69 offset0:128 offset1:160
	s_waitcnt lgkmcnt(3)
	v_mfma_f32_16x16x32_fp8_fp8 v[20:23], v[32:33], v[40:41], v[20:23]
	ds_read_b32 v40, v64 offset:43024
	s_waitcnt lgkmcnt(0)
	v_cmp_ne_u32_e32 vcc, v40, v46
	v_mfma_f32_16x16x32_fp8_fp8 v[20:23], v[38:39], v[44:45], v[20:23]
	v_mfma_f32_16x16x32_fp8_fp8 v[20:23], v[36:37], v[42:43], v[20:23]
	s_and_saveexec_b64 s[10:11], vcc
	s_cbranch_execz .LBB140_22
; %bb.20:                               ;   in Loop: Header=BB140_13 Depth=2
	s_mov_b64 s[12:13], 0
.LBB140_21:                             ;   Parent Loop BB140_7 Depth=1
                                        ;     Parent Loop BB140_13 Depth=2
                                        ; =>    This Inner Loop Header: Depth=3
	;;#ASMSTART
	s_sleep 0
	;;#ASMEND
	ds_read_b32 v40, v64 offset:43024
	s_waitcnt lgkmcnt(0)
	v_cmp_eq_u32_e32 vcc, v40, v46
	s_or_b64 s[12:13], vcc, s[12:13]
	s_andn2_b64 exec, exec, s[12:13]
	s_cbranch_execnz .LBB140_21
.LBB140_22:                             ;   in Loop: Header=BB140_13 Depth=2
	s_or_b64 exec, exec, s[10:11]
	v_add_u32_e32 v40, v47, v67
	v_add_u32_e32 v41, 0x800, v40
	ds_read2_b32 v[42:43], v41 offset1:32
	s_waitcnt lgkmcnt(0)
	v_mfma_f32_16x16x32_fp8_fp8 v[16:19], v[34:35], v[42:43], v[16:19]
	ds_read2_b32 v[42:43], v41 offset0:128 offset1:160
	v_add_u32_e32 v41, 0xc00, v40
	s_waitcnt lgkmcnt(0)
	v_mfma_f32_16x16x32_fp8_fp8 v[16:19], v[32:33], v[42:43], v[16:19]
	ds_read2_b32 v[42:43], v41 offset1:32
	ds_read2_b32 v[44:45], v41 offset0:128 offset1:160
	;;#ASMSTART
	s_waitcnt lgkmcnt(0)
	;;#ASMEND
	ds_read_b32 v41, v64 offset:43028
	s_waitcnt lgkmcnt(2)
	v_mfma_f32_16x16x32_fp8_fp8 v[16:19], v[38:39], v[42:43], v[16:19]
	ds_write_b32 v64, v66 offset:43024
	s_waitcnt lgkmcnt(1)
	v_cmp_ne_u32_e32 vcc, v41, v46
	v_mfma_f32_16x16x32_fp8_fp8 v[16:19], v[36:37], v[44:45], v[16:19]
	s_and_saveexec_b64 s[10:11], vcc
	s_cbranch_execz .LBB140_25
; %bb.23:                               ;   in Loop: Header=BB140_13 Depth=2
	s_mov_b64 s[12:13], 0
.LBB140_24:                             ;   Parent Loop BB140_7 Depth=1
                                        ;     Parent Loop BB140_13 Depth=2
                                        ; =>    This Inner Loop Header: Depth=3
	;;#ASMSTART
	s_sleep 0
	;;#ASMEND
	ds_read_b32 v41, v64 offset:43028
	s_waitcnt lgkmcnt(0)
	v_cmp_eq_u32_e32 vcc, v41, v46
	s_or_b64 s[12:13], vcc, s[12:13]
	s_andn2_b64 exec, exec, s[12:13]
	s_cbranch_execnz .LBB140_24
.LBB140_25:                             ;   in Loop: Header=BB140_13 Depth=2
	s_or_b64 exec, exec, s[10:11]
	v_add_u32_e32 v41, 0x1000, v40
	ds_read2_b32 v[42:43], v41 offset1:32
	s_waitcnt lgkmcnt(0)
	v_mfma_f32_16x16x32_fp8_fp8 v[12:15], v[34:35], v[42:43], v[12:15]
	ds_read2_b32 v[42:43], v41 offset0:128 offset1:160
	v_add_u32_e32 v41, 0x1400, v40
	s_waitcnt lgkmcnt(0)
	v_mfma_f32_16x16x32_fp8_fp8 v[12:15], v[32:33], v[42:43], v[12:15]
	ds_read2_b32 v[42:43], v41 offset1:32
	ds_read2_b32 v[44:45], v41 offset0:128 offset1:160
	;;#ASMSTART
	s_waitcnt lgkmcnt(0)
	;;#ASMEND
	ds_read_b32 v41, v64 offset:43032
	s_waitcnt lgkmcnt(2)
	v_mfma_f32_16x16x32_fp8_fp8 v[12:15], v[38:39], v[42:43], v[12:15]
	ds_write_b32 v64, v66 offset:43028
	s_waitcnt lgkmcnt(1)
	v_cmp_ne_u32_e32 vcc, v41, v46
	v_mfma_f32_16x16x32_fp8_fp8 v[12:15], v[36:37], v[44:45], v[12:15]
	s_and_saveexec_b64 s[10:11], vcc
	s_cbranch_execz .LBB140_28
; %bb.26:                               ;   in Loop: Header=BB140_13 Depth=2
	s_mov_b64 s[12:13], 0
.LBB140_27:                             ;   Parent Loop BB140_7 Depth=1
                                        ;     Parent Loop BB140_13 Depth=2
                                        ; =>    This Inner Loop Header: Depth=3
	;;#ASMSTART
	s_sleep 0
	;;#ASMEND
	ds_read_b32 v41, v64 offset:43032
	s_waitcnt lgkmcnt(0)
	v_cmp_eq_u32_e32 vcc, v41, v46
	s_or_b64 s[12:13], vcc, s[12:13]
	s_andn2_b64 exec, exec, s[12:13]
	s_cbranch_execnz .LBB140_27
.LBB140_28:                             ;   in Loop: Header=BB140_13 Depth=2
	s_or_b64 exec, exec, s[10:11]
	;; [unrolled: 38-line block ×3, first 2 shown]
	v_add_u32_e32 v41, 0x2000, v40
	ds_read2_b32 v[42:43], v41 offset1:32
	s_waitcnt lgkmcnt(0)
	v_mfma_f32_16x16x32_fp8_fp8 v[4:7], v[34:35], v[42:43], v[4:7]
	ds_read2_b32 v[42:43], v41 offset0:128 offset1:160
	v_add_u32_e32 v41, 0x2400, v40
	s_waitcnt lgkmcnt(0)
	v_mfma_f32_16x16x32_fp8_fp8 v[4:7], v[32:33], v[42:43], v[4:7]
	ds_read2_b32 v[42:43], v41 offset1:32
	ds_read2_b32 v[44:45], v41 offset0:128 offset1:160
	;;#ASMSTART
	s_waitcnt lgkmcnt(0)
	;;#ASMEND
	ds_read_b32 v41, v64 offset:43040
	s_waitcnt lgkmcnt(2)
	v_mfma_f32_16x16x32_fp8_fp8 v[4:7], v[38:39], v[42:43], v[4:7]
	ds_write_b32 v64, v66 offset:43036
	s_waitcnt lgkmcnt(1)
	v_cmp_ne_u32_e32 vcc, v41, v46
	v_mfma_f32_16x16x32_fp8_fp8 v[4:7], v[36:37], v[44:45], v[4:7]
	s_and_saveexec_b64 s[10:11], vcc
	s_cbranch_execz .LBB140_12
; %bb.32:                               ;   in Loop: Header=BB140_13 Depth=2
	s_mov_b64 s[12:13], 0
.LBB140_33:                             ;   Parent Loop BB140_7 Depth=1
                                        ;     Parent Loop BB140_13 Depth=2
                                        ; =>    This Inner Loop Header: Depth=3
	;;#ASMSTART
	s_sleep 0
	;;#ASMEND
	ds_read_b32 v41, v64 offset:43040
	s_waitcnt lgkmcnt(0)
	v_cmp_eq_u32_e32 vcc, v41, v46
	s_or_b64 s[12:13], vcc, s[12:13]
	s_andn2_b64 exec, exec, s[12:13]
	s_cbranch_execnz .LBB140_33
	s_branch .LBB140_12
.LBB140_34:                             ;   in Loop: Header=BB140_7 Depth=1
	s_or_b64 exec, exec, s[8:9]
.LBB140_35:                             ;   in Loop: Header=BB140_7 Depth=1
	s_or_b64 exec, exec, s[6:7]
	v_cmp_le_i32_e32 vcc, s49, v24
	v_cmp_eq_u32_e64 s[12:13], 1, v49
	v_cmp_eq_u32_e64 s[6:7], 3, v49
	s_waitcnt vmcnt(0)
	v_cndmask_b32_e32 v34, 0, v63, vcc
	v_pk_mul_f32 v[22:23], v[34:35], v[22:23] op_sel_hi:[0,1]
	v_pk_mul_f32 v[34:35], v[34:35], v[20:21] op_sel_hi:[0,1]
	v_cndmask_b32_e64 v20, v34, v35, s[12:13]
	v_cmp_eq_u32_e32 vcc, 2, v49
	v_cmp_eq_u32_e64 s[8:9], 0, v49
	v_cmp_le_i32_e64 s[14:15], s49, v51
	v_cndmask_b32_e32 v20, v20, v22, vcc
	v_cndmask_b32_e64 v20, v20, v23, s[6:7]
	ds_bpermute_b32 v33, v60, v20
	v_cmp_eq_u32_e64 s[10:11], 1, v50
	v_cmp_le_i32_e64 s[18:19], s49, v52
	v_cmp_eq_u32_e64 s[16:17], 3, v50
	s_waitcnt lgkmcnt(0)
	v_cndmask_b32_e64 v20, v23, v33, s[6:7]
	v_cndmask_b32_e64 v23, v34, v33, s[8:9]
	;; [unrolled: 1-line block ×3, first 2 shown]
	v_cndmask_b32_e32 v21, v22, v33, vcc
	v_cndmask_b32_e64 v22, v35, v33, s[12:13]
	v_pk_mul_f32 v[18:19], v[34:35], v[18:19] op_sel_hi:[0,1]
	v_pk_mul_f32 v[34:35], v[34:35], v[16:17] op_sel_hi:[0,1]
	v_cndmask_b32_e64 v16, v34, v35, s[12:13]
	v_cndmask_b32_e32 v16, v16, v18, vcc
	v_cndmask_b32_e64 v16, v16, v19, s[6:7]
	ds_bpermute_b32 v36, v60, v16
	v_cndmask_b32_e64 v33, v23, v22, s[10:11]
	v_cmp_eq_u32_e64 s[14:15], 2, v50
	s_waitcnt lgkmcnt(0)
	v_cndmask_b32_e64 v17, v19, v36, s[6:7]
	v_cndmask_b32_e64 v16, v33, v21, s[14:15]
	;; [unrolled: 1-line block ×5, first 2 shown]
	v_pk_mul_f32 v[14:15], v[34:35], v[14:15] op_sel_hi:[0,1]
	v_pk_mul_f32 v[34:35], v[34:35], v[12:13] op_sel_hi:[0,1]
	v_cndmask_b32_e64 v12, v34, v35, s[12:13]
	v_cndmask_b32_e32 v12, v12, v14, vcc
	v_cndmask_b32_e64 v12, v12, v15, s[6:7]
	v_cndmask_b32_e32 v18, v18, v36, vcc
	ds_bpermute_b32 v36, v60, v12
	v_cmp_le_i32_e64 s[18:19], s49, v53
	v_cndmask_b32_e64 v12, v33, v19, s[10:11]
	v_cndmask_b32_e64 v12, v12, v18, s[14:15]
	;; [unrolled: 1-line block ×3, first 2 shown]
	s_waitcnt lgkmcnt(0)
	v_cndmask_b32_e64 v13, v15, v36, s[6:7]
	v_cndmask_b32_e32 v14, v14, v36, vcc
	v_cndmask_b32_e64 v15, v35, v36, s[12:13]
	v_cndmask_b32_e64 v34, v34, v36, s[8:9]
	;; [unrolled: 1-line block ×3, first 2 shown]
	v_pk_mul_f32 v[38:39], v[36:37], v[8:9] op_sel_hi:[0,1]
	v_pk_mul_f32 v[10:11], v[36:37], v[10:11] op_sel_hi:[0,1]
	v_cndmask_b32_e64 v8, v38, v39, s[12:13]
	v_cndmask_b32_e32 v8, v8, v10, vcc
	v_cndmask_b32_e64 v8, v8, v11, s[6:7]
	ds_bpermute_b32 v35, v60, v8
	v_cmp_le_i32_e64 s[18:19], s49, v54
	v_cndmask_b32_e64 v8, v34, v15, s[10:11]
	v_cndmask_b32_e64 v8, v8, v14, s[14:15]
	;; [unrolled: 1-line block ×3, first 2 shown]
	s_waitcnt lgkmcnt(0)
	v_cndmask_b32_e64 v37, v38, v35, s[8:9]
	v_cndmask_b32_e64 v38, 0, v63, s[18:19]
	v_pk_mul_f32 v[40:41], v[38:39], v[4:5] op_sel_hi:[0,1]
	v_pk_mul_f32 v[6:7], v[38:39], v[6:7] op_sel_hi:[0,1]
	v_cndmask_b32_e64 v4, v40, v41, s[12:13]
	v_cndmask_b32_e32 v4, v4, v6, vcc
	v_cndmask_b32_e64 v4, v4, v7, s[6:7]
	v_cndmask_b32_e64 v9, v11, v35, s[6:7]
	ds_bpermute_b32 v11, v60, v4
	v_cmp_le_i32_e64 s[18:19], s49, v55
	v_cndmask_b32_e64 v36, v39, v35, s[12:13]
	v_cndmask_b32_e32 v10, v10, v35, vcc
	v_cndmask_b32_e64 v4, v37, v36, s[10:11]
	s_waitcnt lgkmcnt(0)
	v_cndmask_b32_e64 v39, v40, v11, s[8:9]
	v_cndmask_b32_e64 v40, 0, v63, s[18:19]
	;; [unrolled: 1-line block ×3, first 2 shown]
	v_pk_mul_f32 v[42:43], v[40:41], v[2:3] op_sel_hi:[0,1]
	v_pk_mul_f32 v[40:41], v[40:41], v[0:1] op_sel_hi:[0,1]
	v_cndmask_b32_e64 v0, v40, v41, s[12:13]
	v_cndmask_b32_e32 v0, v0, v42, vcc
	v_cndmask_b32_e64 v0, v0, v43, s[6:7]
	ds_bpermute_b32 v1, v60, v0
	v_cndmask_b32_e32 v6, v6, v11, vcc
	v_cndmask_b32_e64 v0, v39, v38, s[10:11]
	v_cndmask_b32_e64 v5, v7, v11, s[6:7]
	;; [unrolled: 1-line block ×4, first 2 shown]
	s_waitcnt lgkmcnt(0)
	v_cndmask_b32_e32 v7, v42, v1, vcc
	v_cmp_ne_u32_e32 vcc, 0, v49
	ds_bpermute_b32 v2, v60, v0
	v_cndmask_b32_e64 v3, v43, v1, s[6:7]
	v_cndmask_b32_e32 v0, v41, v1, vcc
	v_cndmask_b32_e64 v1, v40, v1, s[8:9]
	v_cndmask_b32_e64 v11, v1, v0, s[10:11]
	;; [unrolled: 1-line block ×7, first 2 shown]
	ds_bpermute_b32 v16, v60, v16
	ds_bpermute_b32 v12, v60, v12
	ds_bpermute_b32 v8, v60, v8
	ds_bpermute_b32 v4, v60, v4
	ds_bpermute_b32 v11, v60, v11
	s_max_i32 s6, s70, 0
	v_add_u32_e32 v35, s6, v48
	v_cmp_gt_u32_e32 vcc, 16, v35
	s_and_saveexec_b64 s[12:13], vcc
	s_cbranch_execz .LBB140_38
; %bb.36:                               ;   in Loop: Header=BB140_7 Depth=1
	v_cmp_eq_u32_e64 s[8:9], 1, v50
	v_cmp_eq_u32_e64 s[10:11], 0, v50
	v_cmp_eq_u32_e32 vcc, 3, v50
	s_waitcnt lgkmcnt(4)
	v_cndmask_b32_e64 v22, v22, v16, s[8:9]
	s_waitcnt lgkmcnt(3)
	v_cndmask_b32_e64 v19, v19, v12, s[8:9]
	s_waitcnt lgkmcnt(2)
	v_cndmask_b32_e64 v15, v15, v8, s[8:9]
	s_waitcnt lgkmcnt(1)
	v_cndmask_b32_e64 v36, v36, v4, s[8:9]
	v_cndmask_b32_e64 v38, v38, v2, s[8:9]
	s_waitcnt lgkmcnt(0)
	v_cndmask_b32_e64 v40, v0, v11, s[8:9]
	s_mul_i32 s8, s68, s21
	s_ashr_i32 s9, s8, 31
	s_lshl_b64 s[8:9], s[8:9], 1
	v_cndmask_b32_e64 v23, v23, v16, s[10:11]
	v_cndmask_b32_e64 v33, v33, v12, s[10:11]
	;; [unrolled: 1-line block ×6, first 2 shown]
	s_add_u32 s10, s40, s8
	s_addc_u32 s11, s41, s9
	s_ashr_i32 s49, s48, 31
	v_cvt_f16_f32_e32 v23, v23
	v_cvt_f16_f32_sdwa v22, v22 dst_sel:WORD_1 dst_unused:UNUSED_PAD src0_sel:DWORD
	v_cvt_f16_f32_e32 v33, v33
	v_cvt_f16_f32_sdwa v19, v19 dst_sel:WORD_1 dst_unused:UNUSED_PAD src0_sel:DWORD
	s_lshl_b64 s[8:9], s[48:49], 1
	s_add_u32 s8, s10, s8
	s_addc_u32 s9, s11, s9
	v_lshl_add_u64 v[0:1], v[26:27], 1, s[8:9]
	v_or_b32_e32 v22, v22, v23
	v_or_b32_e32 v19, v19, v33
	;;#ASMSTART
	global_atomic_pk_add_f16 v[0:1], v22, off
	
	;;#ASMEND
	v_lshl_add_u64 v[22:23], v[0:1], 0, 32
	;;#ASMSTART
	global_atomic_pk_add_f16 v[22:23], v19, off
	
	;;#ASMEND
	v_cvt_f16_f32_e32 v19, v34
	v_cvt_f16_f32_sdwa v15, v15 dst_sel:WORD_1 dst_unused:UNUSED_PAD src0_sel:DWORD
	v_cvt_f16_f32_e32 v33, v37
	v_cvt_f16_f32_sdwa v34, v36 dst_sel:WORD_1 dst_unused:UNUSED_PAD src0_sel:DWORD
	v_lshl_add_u64 v[22:23], v[0:1], 0, 64
	v_or_b32_e32 v15, v15, v19
	;;#ASMSTART
	global_atomic_pk_add_f16 v[22:23], v15, off
	
	;;#ASMEND
	v_or_b32_e32 v15, v34, v33
	v_lshl_add_u64 v[22:23], v[0:1], 0, s[30:31]
	;;#ASMSTART
	global_atomic_pk_add_f16 v[22:23], v15, off
	
	;;#ASMEND
	v_cvt_f16_f32_e32 v15, v39
	v_cvt_f16_f32_sdwa v19, v38 dst_sel:WORD_1 dst_unused:UNUSED_PAD src0_sel:DWORD
	v_cvt_f16_f32_e32 v33, v41
	v_cvt_f16_f32_sdwa v34, v40 dst_sel:WORD_1 dst_unused:UNUSED_PAD src0_sel:DWORD
	v_cmp_eq_u32_e64 s[6:7], 2, v50
	v_lshl_add_u64 v[22:23], v[0:1], 0, s[34:35]
	v_or_b32_e32 v15, v19, v15
	v_cmp_gt_u32_e64 s[8:9], 14, v35
	;;#ASMSTART
	global_atomic_pk_add_f16 v[22:23], v15, off
	
	;;#ASMEND
	v_lshl_add_u64 v[22:23], v[0:1], 0, s[44:45]
	v_or_b32_e32 v15, v34, v33
	;;#ASMSTART
	global_atomic_pk_add_f16 v[22:23], v15, off
	
	;;#ASMEND
	s_and_b64 exec, exec, s[8:9]
	s_cbranch_execz .LBB140_38
; %bb.37:                               ;   in Loop: Header=BB140_7 Depth=1
	v_cndmask_b32_e32 v15, v20, v16, vcc
	v_cndmask_b32_e64 v16, v21, v16, s[6:7]
	v_cndmask_b32_e32 v17, v17, v12, vcc
	v_cndmask_b32_e64 v12, v18, v12, s[6:7]
	;; [unrolled: 2-line block ×5, first 2 shown]
	v_cvt_f16_f32_e32 v2, v16
	v_cvt_f16_f32_sdwa v3, v15 dst_sel:WORD_1 dst_unused:UNUSED_PAD src0_sel:DWORD
	v_cvt_f16_f32_e32 v11, v12
	v_cvt_f16_f32_sdwa v12, v17 dst_sel:WORD_1 dst_unused:UNUSED_PAD src0_sel:DWORD
	v_cndmask_b32_e32 v13, v13, v8, vcc
	v_cndmask_b32_e64 v8, v14, v8, s[6:7]
	v_lshl_add_u64 v[0:1], s[28:29], 2, v[0:1]
	v_or_b32_e32 v2, v3, v2
	v_or_b32_e32 v11, v12, v11
	v_cvt_f16_f32_e32 v4, v4
	v_cvt_f16_f32_sdwa v9, v9 dst_sel:WORD_1 dst_unused:UNUSED_PAD src0_sel:DWORD
	;;#ASMSTART
	global_atomic_pk_add_f16 v[0:1], v2, off
	
	;;#ASMEND
	v_lshl_add_u64 v[2:3], v[0:1], 0, 32
	;;#ASMSTART
	global_atomic_pk_add_f16 v[2:3], v11, off
	
	;;#ASMEND
	v_cvt_f16_f32_e32 v8, v8
	v_cvt_f16_f32_sdwa v11, v13 dst_sel:WORD_1 dst_unused:UNUSED_PAD src0_sel:DWORD
	v_lshl_add_u64 v[2:3], v[0:1], 0, 64
	v_or_b32_e32 v4, v9, v4
	v_cvt_f16_f32_sdwa v5, v5 dst_sel:WORD_1 dst_unused:UNUSED_PAD src0_sel:DWORD
	v_or_b32_e32 v8, v11, v8
	;;#ASMSTART
	global_atomic_pk_add_f16 v[2:3], v8, off
	
	;;#ASMEND
	v_lshl_add_u64 v[2:3], v[0:1], 0, s[30:31]
	;;#ASMSTART
	global_atomic_pk_add_f16 v[2:3], v4, off
	
	;;#ASMEND
	v_cvt_f16_f32_e32 v4, v6
	v_cvt_f16_f32_e32 v6, v7
	v_cvt_f16_f32_sdwa v7, v10 dst_sel:WORD_1 dst_unused:UNUSED_PAD src0_sel:DWORD
	v_lshl_add_u64 v[2:3], v[0:1], 0, s[34:35]
	v_or_b32_e32 v4, v5, v4
	;;#ASMSTART
	global_atomic_pk_add_f16 v[2:3], v4, off
	
	;;#ASMEND
	v_lshl_add_u64 v[0:1], v[0:1], 0, s[44:45]
	v_or_b32_e32 v2, v7, v6
	;;#ASMSTART
	global_atomic_pk_add_f16 v[0:1], v2, off
	
	;;#ASMEND
.LBB140_38:                             ;   in Loop: Header=BB140_7 Depth=1
	s_or_b64 exec, exec, s[12:13]
	v_subrev_u32_e32 v62, s67, v62
.LBB140_39:                             ;   in Loop: Header=BB140_7 Depth=1
	s_or_b64 exec, exec, s[52:53]
.LBB140_40:                             ;   in Loop: Header=BB140_7 Depth=1
	s_andn2_saveexec_b64 s[6:7], s[50:51]
	s_cbranch_execz .LBB140_49
; %bb.41:                               ;   in Loop: Header=BB140_7 Depth=1
	s_mul_i32 s16, s67, 6
	v_cmp_gt_i32_e32 vcc, s16, v62
	s_and_saveexec_b64 s[8:9], vcc
	s_cbranch_execz .LBB140_48
; %bb.42:                               ;   in Loop: Header=BB140_7 Depth=1
	s_mul_i32 s10, s48, s23
	s_ashr_i32 s11, s10, 31
	s_waitcnt lgkmcnt(0)
	s_add_u32 s10, s38, s10
	s_addc_u32 s11, s39, s11
	s_ashr_i32 s12, s69, 31
	s_add_u32 s10, s10, s69
	s_addc_u32 s11, s11, s12
	v_lshl_add_u64 v[0:1], s[10:11], 0, v[30:31]
	v_lshl_add_u64 v[8:9], v[0:1], 0, v[28:29]
	s_mov_b64 s[10:11], 0
	s_branch .LBB140_44
.LBB140_43:                             ;   in Loop: Header=BB140_44 Depth=2
	s_or_b64 exec, exec, s[12:13]
	v_lshl_or_b32 v12, v10, 11, v56
	;;#ASMSTART
	s_waitcnt vmcnt(1)
	;;#ASMEND
	ds_write2_b32 v12, v4, v5 offset1:32
	ds_write2_b32 v12, v6, v7 offset0:64 offset1:96
	v_add_u32_e32 v4, 0x400, v12
	v_add_u32_e32 v62, s26, v62
	;;#ASMSTART
	s_waitcnt vmcnt(0)
	;;#ASMEND
	ds_write2_b32 v4, v0, v1 offset1:32
	ds_write2_b32 v4, v2, v3 offset0:64 offset1:96
	v_add_u32_e32 v0, 1, v46
	v_add_u32_e32 v32, s26, v10
	v_cmp_le_i32_e32 vcc, s16, v62
	ds_write_b32 v11, v0 offset:12
	v_add_u32_e32 v0, 2, v46
	s_or_b64 s[10:11], vcc, s[10:11]
	v_cmp_lt_i32_e32 vcc, 17, v32
	s_nop 1
	v_cndmask_b32_e32 v46, v46, v0, vcc
	s_andn2_b64 exec, exec, s[10:11]
	s_cbranch_execz .LBB140_47
.LBB140_44:                             ;   Parent Loop BB140_7 Depth=1
                                        ; =>  This Loop Header: Depth=2
                                        ;       Child Loop BB140_46 Depth 3
	v_cmp_gt_i32_e32 vcc, 18, v32
	s_nop 1
	v_cndmask_b32_e64 v0, v61, 0, vcc
	v_add_u32_e32 v10, v0, v32
	v_mul_hi_i32 v0, v62, s56
	v_lshrrev_b32_e32 v1, 31, v0
	v_add_u32_e32 v0, v0, v1
	v_mul_lo_u32 v1, v0, 6
	v_sub_u32_e32 v2, v62, v1
	v_lshlrev_b32_e32 v0, 7, v0
	v_ashrrev_i32_e32 v1, 31, v0
	v_mul_lo_u32 v2, s60, v2
	v_lshl_add_u64 v[0:1], v[8:9], 0, v[0:1]
	v_ashrrev_i32_e32 v3, 31, v2
	v_lshl_add_u64 v[0:1], v[0:1], 0, v[2:3]
	v_lshlrev_b32_e32 v11, 2, v10
	;;#ASMSTART
	global_load_dwordx4 v[4:7], v[0:1], off offset:0   sc0 sc1 nt  
	global_load_dwordx4 v[0:3], v[0:1], off offset:64  sc0 sc1 nt  
	
	;;#ASMEND
	ds_read_b32 v12, v11 offset:43020
	v_add_u32_e32 v11, 0xa800, v11
	s_waitcnt lgkmcnt(0)
	v_cmp_ne_u32_e32 vcc, v12, v46
	s_and_saveexec_b64 s[12:13], vcc
	s_cbranch_execz .LBB140_43
; %bb.45:                               ;   in Loop: Header=BB140_44 Depth=2
	s_mov_b64 s[14:15], 0
.LBB140_46:                             ;   Parent Loop BB140_7 Depth=1
                                        ;     Parent Loop BB140_44 Depth=2
                                        ; =>    This Inner Loop Header: Depth=3
	;;#ASMSTART
	s_sleep 0
	;;#ASMEND
	ds_read_b32 v12, v11 offset:12
	s_waitcnt lgkmcnt(0)
	v_cmp_eq_u32_e32 vcc, v12, v46
	s_or_b64 s[14:15], vcc, s[14:15]
	s_andn2_b64 exec, exec, s[14:15]
	s_cbranch_execnz .LBB140_46
	s_branch .LBB140_43
.LBB140_47:                             ;   in Loop: Header=BB140_7 Depth=1
	s_or_b64 exec, exec, s[10:11]
.LBB140_48:                             ;   in Loop: Header=BB140_7 Depth=1
	s_or_b64 exec, exec, s[8:9]
	v_subrev_u32_e32 v62, s16, v62
.LBB140_49:                             ;   in Loop: Header=BB140_7 Depth=1
	s_or_b64 exec, exec, s[6:7]
.LBB140_50:                             ;   in Loop: Header=BB140_7 Depth=1
	s_andn2_saveexec_b64 s[6:7], s[46:47]
	s_cbranch_execz .LBB140_6
; %bb.51:                               ;   in Loop: Header=BB140_7 Depth=1
	v_cmp_gt_i32_e32 vcc, s67, v62
	s_and_saveexec_b64 s[8:9], vcc
	s_cbranch_execz .LBB140_5
; %bb.52:                               ;   in Loop: Header=BB140_7 Depth=1
	s_mul_i32 s68, s68, s22
	s_ashr_i32 s10, s68, 31
	s_waitcnt lgkmcnt(0)
	s_add_u32 s11, s36, s68
	s_addc_u32 s12, s37, s10
	s_ashr_i32 s13, s69, 31
	v_cmp_le_i32_e32 vcc, s70, v57
	s_add_u32 s10, s11, s69
	s_addc_u32 s11, s12, s13
	v_cndmask_b32_e32 v0, 0, v58, vcc
	v_ashrrev_i32_e32 v1, 31, v0
	v_lshl_add_u64 v[0:1], s[10:11], 0, v[0:1]
	v_lshl_add_u64 v[8:9], v[0:1], 0, v[28:29]
	s_mov_b64 s[10:11], 0
	s_branch .LBB140_54
.LBB140_53:                             ;   in Loop: Header=BB140_54 Depth=2
	s_or_b64 exec, exec, s[12:13]
	v_lshl_add_u32 v12, v10, 11, v59
	;;#ASMSTART
	s_waitcnt vmcnt(1)
	;;#ASMEND
	ds_write2_b32 v12, v4, v5 offset1:32
	ds_write2_b32 v12, v6, v7 offset0:64 offset1:96
	v_add_u32_e32 v4, 0x400, v12
	v_add_u32_e32 v62, s25, v62
	;;#ASMSTART
	s_waitcnt vmcnt(0)
	;;#ASMEND
	ds_write2_b32 v4, v0, v1 offset1:32
	ds_write2_b32 v4, v2, v3 offset0:64 offset1:96
	v_add_u32_e32 v0, 1, v46
	v_add_u32_e32 v32, s25, v10
	v_cmp_le_i32_e32 vcc, s67, v62
	ds_write_b32 v11, v0
	v_add_u32_e32 v0, 2, v46
	s_or_b64 s[10:11], vcc, s[10:11]
	v_cmp_lt_i32_e32 vcc, 2, v32
	s_nop 1
	v_cndmask_b32_e32 v46, v46, v0, vcc
	s_andn2_b64 exec, exec, s[10:11]
	s_cbranch_execz .LBB140_4
.LBB140_54:                             ;   Parent Loop BB140_7 Depth=1
                                        ; =>  This Loop Header: Depth=2
                                        ;       Child Loop BB140_56 Depth 3
	v_cmp_gt_i32_e32 vcc, 3, v32
	s_nop 1
	v_cndmask_b32_e64 v0, -3, 0, vcc
	v_add_u32_e32 v10, v0, v32
	v_lshlrev_b32_e32 v0, 7, v62
	v_ashrrev_i32_e32 v1, 31, v0
	v_lshl_add_u64 v[0:1], v[8:9], 0, v[0:1]
	v_lshlrev_b32_e32 v11, 2, v10
	;;#ASMSTART
	global_load_dwordx4 v[4:7], v[0:1], off offset:0   
	global_load_dwordx4 v[0:3], v[0:1], off offset:64  
	
	;;#ASMEND
	ds_read_b32 v12, v11 offset:43008
	v_add_u32_e32 v11, 0xa800, v11
	s_waitcnt lgkmcnt(0)
	v_cmp_ne_u32_e32 vcc, v12, v46
	s_and_saveexec_b64 s[12:13], vcc
	s_cbranch_execz .LBB140_53
; %bb.55:                               ;   in Loop: Header=BB140_54 Depth=2
	s_mov_b64 s[14:15], 0
.LBB140_56:                             ;   Parent Loop BB140_7 Depth=1
                                        ;     Parent Loop BB140_54 Depth=2
                                        ; =>    This Inner Loop Header: Depth=3
	;;#ASMSTART
	s_sleep 0
	;;#ASMEND
	ds_read_b32 v12, v11
	s_waitcnt lgkmcnt(0)
	v_cmp_eq_u32_e32 vcc, v12, v46
	s_or_b64 s[14:15], vcc, s[14:15]
	s_andn2_b64 exec, exec, s[14:15]
	s_cbranch_execnz .LBB140_56
	s_branch .LBB140_53
.LBB140_57:
	s_endpgm
	.section	.rodata,"a",@progbits
	.p2align	6, 0x0
	.amdhsa_kernel _Z19_skinny_gemm_kernelILi1ELi6ELi3ELi16ELi4EEvPKhS1_P6__halfPKfiiiiiiii
		.amdhsa_group_segment_fixed_size 43092
		.amdhsa_private_segment_fixed_size 0
		.amdhsa_kernarg_size 64
		.amdhsa_user_sgpr_count 2
		.amdhsa_user_sgpr_dispatch_ptr 0
		.amdhsa_user_sgpr_queue_ptr 0
		.amdhsa_user_sgpr_kernarg_segment_ptr 1
		.amdhsa_user_sgpr_dispatch_id 0
		.amdhsa_user_sgpr_kernarg_preload_length 0
		.amdhsa_user_sgpr_kernarg_preload_offset 0
		.amdhsa_user_sgpr_private_segment_size 0
		.amdhsa_uses_dynamic_stack 0
		.amdhsa_enable_private_segment 0
		.amdhsa_system_sgpr_workgroup_id_x 1
		.amdhsa_system_sgpr_workgroup_id_y 0
		.amdhsa_system_sgpr_workgroup_id_z 0
		.amdhsa_system_sgpr_workgroup_info 0
		.amdhsa_system_vgpr_workitem_id 0
		.amdhsa_next_free_vgpr 70
		.amdhsa_next_free_sgpr 71
		.amdhsa_accum_offset 72
		.amdhsa_reserve_vcc 1
		.amdhsa_float_round_mode_32 0
		.amdhsa_float_round_mode_16_64 0
		.amdhsa_float_denorm_mode_32 3
		.amdhsa_float_denorm_mode_16_64 3
		.amdhsa_dx10_clamp 1
		.amdhsa_ieee_mode 1
		.amdhsa_fp16_overflow 0
		.amdhsa_tg_split 0
		.amdhsa_exception_fp_ieee_invalid_op 0
		.amdhsa_exception_fp_denorm_src 0
		.amdhsa_exception_fp_ieee_div_zero 0
		.amdhsa_exception_fp_ieee_overflow 0
		.amdhsa_exception_fp_ieee_underflow 0
		.amdhsa_exception_fp_ieee_inexact 0
		.amdhsa_exception_int_div_zero 0
	.end_amdhsa_kernel
	.section	.text._Z19_skinny_gemm_kernelILi1ELi6ELi3ELi16ELi4EEvPKhS1_P6__halfPKfiiiiiiii,"axG",@progbits,_Z19_skinny_gemm_kernelILi1ELi6ELi3ELi16ELi4EEvPKhS1_P6__halfPKfiiiiiiii,comdat
.Lfunc_end140:
	.size	_Z19_skinny_gemm_kernelILi1ELi6ELi3ELi16ELi4EEvPKhS1_P6__halfPKfiiiiiiii, .Lfunc_end140-_Z19_skinny_gemm_kernelILi1ELi6ELi3ELi16ELi4EEvPKhS1_P6__halfPKfiiiiiiii
                                        ; -- End function
	.set _Z19_skinny_gemm_kernelILi1ELi6ELi3ELi16ELi4EEvPKhS1_P6__halfPKfiiiiiiii.num_vgpr, 70
	.set _Z19_skinny_gemm_kernelILi1ELi6ELi3ELi16ELi4EEvPKhS1_P6__halfPKfiiiiiiii.num_agpr, 0
	.set _Z19_skinny_gemm_kernelILi1ELi6ELi3ELi16ELi4EEvPKhS1_P6__halfPKfiiiiiiii.numbered_sgpr, 71
	.set _Z19_skinny_gemm_kernelILi1ELi6ELi3ELi16ELi4EEvPKhS1_P6__halfPKfiiiiiiii.num_named_barrier, 0
	.set _Z19_skinny_gemm_kernelILi1ELi6ELi3ELi16ELi4EEvPKhS1_P6__halfPKfiiiiiiii.private_seg_size, 0
	.set _Z19_skinny_gemm_kernelILi1ELi6ELi3ELi16ELi4EEvPKhS1_P6__halfPKfiiiiiiii.uses_vcc, 1
	.set _Z19_skinny_gemm_kernelILi1ELi6ELi3ELi16ELi4EEvPKhS1_P6__halfPKfiiiiiiii.uses_flat_scratch, 0
	.set _Z19_skinny_gemm_kernelILi1ELi6ELi3ELi16ELi4EEvPKhS1_P6__halfPKfiiiiiiii.has_dyn_sized_stack, 0
	.set _Z19_skinny_gemm_kernelILi1ELi6ELi3ELi16ELi4EEvPKhS1_P6__halfPKfiiiiiiii.has_recursion, 0
	.set _Z19_skinny_gemm_kernelILi1ELi6ELi3ELi16ELi4EEvPKhS1_P6__halfPKfiiiiiiii.has_indirect_call, 0
	.section	.AMDGPU.csdata,"",@progbits
; Kernel info:
; codeLenInByte = 5036
; TotalNumSgprs: 77
; NumVgprs: 70
; NumAgprs: 0
; TotalNumVgprs: 70
; ScratchSize: 0
; MemoryBound: 0
; FloatMode: 240
; IeeeMode: 1
; LDSByteSize: 43092 bytes/workgroup (compile time only)
; SGPRBlocks: 9
; VGPRBlocks: 8
; NumSGPRsForWavesPerEU: 77
; NumVGPRsForWavesPerEU: 70
; AccumOffset: 72
; Occupancy: 7
; WaveLimiterHint : 0
; COMPUTE_PGM_RSRC2:SCRATCH_EN: 0
; COMPUTE_PGM_RSRC2:USER_SGPR: 2
; COMPUTE_PGM_RSRC2:TRAP_HANDLER: 0
; COMPUTE_PGM_RSRC2:TGID_X_EN: 1
; COMPUTE_PGM_RSRC2:TGID_Y_EN: 0
; COMPUTE_PGM_RSRC2:TGID_Z_EN: 0
; COMPUTE_PGM_RSRC2:TIDIG_COMP_CNT: 0
; COMPUTE_PGM_RSRC3_GFX90A:ACCUM_OFFSET: 17
; COMPUTE_PGM_RSRC3_GFX90A:TG_SPLIT: 0
	.section	.text._Z19_skinny_gemm_kernelILi1ELi6ELi3ELi32ELi4EEvPKhS1_P6__halfPKfiiiiiiii,"axG",@progbits,_Z19_skinny_gemm_kernelILi1ELi6ELi3ELi32ELi4EEvPKhS1_P6__halfPKfiiiiiiii,comdat
	.protected	_Z19_skinny_gemm_kernelILi1ELi6ELi3ELi32ELi4EEvPKhS1_P6__halfPKfiiiiiiii ; -- Begin function _Z19_skinny_gemm_kernelILi1ELi6ELi3ELi32ELi4EEvPKhS1_P6__halfPKfiiiiiiii
	.globl	_Z19_skinny_gemm_kernelILi1ELi6ELi3ELi32ELi4EEvPKhS1_P6__halfPKfiiiiiiii
	.p2align	8
	.type	_Z19_skinny_gemm_kernelILi1ELi6ELi3ELi32ELi4EEvPKhS1_P6__halfPKfiiiiiiii,@function
_Z19_skinny_gemm_kernelILi1ELi6ELi3ELi32ELi4EEvPKhS1_P6__halfPKfiiiiiiii: ; @_Z19_skinny_gemm_kernelILi1ELi6ELi3ELi32ELi4EEvPKhS1_P6__halfPKfiiiiiiii
; %bb.0:
	v_cmp_gt_u32_e32 vcc, 21, v0
	s_and_saveexec_b64 s[4:5], vcc
; %bb.1:
	v_lshlrev_b32_e32 v1, 2, v0
	v_mov_b32_e32 v2, 0
	ds_write_b32 v1, v2 offset:43008
; %bb.2:
	s_or_b64 exec, exec, s[4:5]
	s_load_dwordx8 s[88:95], s[0:1], 0x20
	s_waitcnt lgkmcnt(0)
	s_barrier
	s_add_i32 s3, s88, 31
	s_ashr_i32 s5, s3, 31
	s_add_i32 s4, s89, 0xbf
	s_lshr_b32 s5, s5, 27
	s_mul_hi_i32 s4, s4, 0x2aaaaaab
	s_add_i32 s3, s3, s5
	s_ashr_i32 s11, s3, 5
	s_lshr_b32 s3, s4, 31
	s_ashr_i32 s4, s4, 5
	s_add_i32 s12, s4, s3
	s_mul_i32 s3, s12, s11
	s_mul_i32 s3, s3, s92
	s_add_i32 s4, s3, 0x12f
	s_mul_hi_i32 s4, s4, 0x6bca1af3
	s_lshr_b32 s5, s4, 31
	s_ashr_i32 s4, s4, 7
	s_add_i32 s4, s4, s5
	s_add_i32 s5, s2, 1
	s_mul_i32 s5, s4, s5
	v_cvt_f64_i32_e32 v[2:3], s3
	v_cvt_f64_u32_e32 v[4:5], s5
	v_min_f64 v[2:3], v[2:3], v[4:5]
	v_cvt_i32_f64_e32 v13, v[2:3]
	s_mul_i32 s33, s4, s2
	v_cmp_ge_i32_e32 vcc, s33, v13
	s_cbranch_vccnz .LBB141_58
; %bb.3:
	s_load_dwordx8 s[52:59], s[0:1], 0x0
	v_lshrrev_b32_e32 v1, 6, v0
	s_add_i32 s0, s94, s93
	v_cmp_le_i32_e64 s[14:15], s0, v1
	v_mov_b32_e32 v2, s93
	v_cmp_le_i32_e64 s[24:25], s93, v1
	v_mov_b32_e32 v3, s94
	v_cndmask_b32_e64 v3, 0, v3, s[14:15]
	v_cndmask_b32_e64 v2, 0, v2, s[24:25]
	s_abs_i32 s1, s92
	v_add_u32_e32 v2, v2, v3
	v_cvt_f32_u32_e32 v3, s1
	v_sub_u32_e32 v104, v1, v2
	s_ashr_i32 s2, s90, 31
	s_lshr_b32 s2, s2, 26
	v_rcp_iflag_f32_e32 v2, v3
	s_sub_i32 s5, 0, s1
	s_add_i32 s2, s90, s2
	s_ashr_i32 s2, s2, 6
	v_mul_f32_e32 v2, 0x4f7ffffe, v2
	v_cvt_u32_f32_e32 v2, v2
	s_abs_i32 s4, s2
	s_xor_b32 s3, s2, s92
	s_ashr_i32 s3, s3, 31
	v_readfirstlane_b32 s6, v2
	s_mul_i32 s5, s5, s6
	s_mul_hi_u32 s5, s6, s5
	s_add_i32 s6, s6, s5
	s_mul_hi_u32 s5, s4, s6
	s_mul_i32 s6, s5, s1
	s_sub_i32 s4, s4, s6
	s_add_i32 s6, s5, 1
	s_sub_i32 s7, s4, s1
	s_cmp_ge_u32 s4, s1
	s_cselect_b32 s5, s6, s5
	s_cselect_b32 s4, s7, s4
	s_add_i32 s6, s5, 1
	s_cmp_ge_u32 s4, s1
	s_cselect_b32 s1, s6, s5
	s_add_i32 s0, s0, s95
	v_and_b32_e32 v120, 31, v0
	v_lshrrev_b32_e32 v2, 3, v0
	v_cmp_gt_i32_e64 s[28:29], s0, v1
	v_lshlrev_b32_e32 v1, 2, v120
	v_and_b32_e32 v3, 4, v2
	v_lshlrev_b32_e32 v2, 6, v3
	v_or_b32_e32 v4, 0x9000, v1
	v_and_b32_e32 v5, 1, v0
	v_or_b32_e32 v115, v4, v2
	v_or_b32_e32 v116, v1, v2
	v_lshlrev_b32_e32 v2, 1, v5
	v_sub_u32_e32 v2, v0, v2
	v_mul_lo_u32 v8, s91, v120
	v_add_u32_e32 v2, 1, v2
	v_ashrrev_i32_e32 v9, 31, v8
	s_abs_i32 s30, s11
                                        ; implicit-def: $vgpr127 : SGPR spill to VGPR lane
	v_and_b32_e32 v6, 63, v2
	v_bitop3_b32 v2, v0, 1, v0 bitop3:0xc
	scratch_store_dwordx2 off, v[8:9], off offset:92 ; 8-byte Folded Spill
	v_cvt_f32_u32_e32 v8, s30
	v_writelane_b32 v127, s11, 0
	scratch_store_dword off, v2, off offset:52 ; 4-byte Folded Spill
	v_bitop3_b32 v2, v0, 3, 1 bitop3:0x6c
	v_lshrrev_b32_e32 v7, 1, v0
	v_writelane_b32 v127, s12, 1
	scratch_store_dword off, v2, off offset:56 ; 4-byte Folded Spill
	v_bitop3_b32 v2, v0, 5, 1 bitop3:0x6c
	v_and_b32_e32 v14, 16, v7
	v_lshlrev_b32_e32 v7, 4, v0
	s_waitcnt lgkmcnt(0)
	v_writelane_b32 v127, s52, 2
	scratch_store_dword off, v2, off offset:60 ; 4-byte Folded Spill
	v_bitop3_b32 v2, v0, 7, 1 bitop3:0x6c
	v_and_b32_e32 v7, 0x200, v7
	v_writelane_b32 v127, s53, 3
	scratch_store_dword off, v2, off offset:64 ; 4-byte Folded Spill
	v_bitop3_b32 v2, v0, 9, 1 bitop3:0x6c
	v_or_b32_e32 v16, v1, v7
	v_rcp_iflag_f32_e32 v1, v8
	v_writelane_b32 v127, s54, 4
	scratch_store_dword off, v2, off offset:68 ; 4-byte Folded Spill
	v_bitop3_b32 v2, v0, 11, 1 bitop3:0x6c
	v_writelane_b32 v127, s55, 5
	scratch_store_dword off, v2, off offset:72 ; 4-byte Folded Spill
	v_bitop3_b32 v2, v0, 13, 1 bitop3:0x6c
	;; [unrolled: 3-line block ×3, first 2 shown]
	s_abs_i32 s34, s12
	v_writelane_b32 v127, s57, 7
	scratch_store_dword off, v2, off offset:80 ; 4-byte Folded Spill
	v_and_b32_e32 v2, 30, v0
	v_bitop3_b32 v17, v0, 31, v0 bitop3:0xc
	v_mul_f32_e32 v0, 0x4f7ffffe, v1
	v_cvt_f32_u32_e32 v1, s34
	v_writelane_b32 v127, s58, 8
	v_writelane_b32 v127, s59, 9
	v_cndmask_b32_e64 v111, 0, 1, s[14:15]
	v_writelane_b32 v127, s14, 10
	s_xor_b32 s1, s1, s3
	v_cvt_u32_f32_e32 v0, v0
	v_writelane_b32 v127, s15, 11
	v_rcp_iflag_f32_e32 v1, v1
	v_writelane_b32 v127, s24, 12
	s_sub_i32 s13, s1, s3
	s_add_i32 s26, s92, -1
	v_writelane_b32 v127, s25, 13
	s_mul_i32 s1, s13, s26
	v_writelane_b32 v127, s13, 14
	s_sub_i32 s27, s2, s1
	v_writelane_b32 v127, s26, 15
	v_readfirstlane_b32 s1, v0
	v_mul_f32_e32 v0, 0x4f7ffffe, v1
	v_writelane_b32 v127, s27, 16
	v_cvt_u32_f32_e32 v0, v0
	v_writelane_b32 v127, s28, 17
	s_sub_i32 s0, 0, s30
	s_lshl_b32 s31, s91, 5
	v_writelane_b32 v127, s29, 18
	s_mul_i32 s0, s0, s1
	v_writelane_b32 v127, s30, 19
	s_mul_hi_u32 s0, s1, s0
	v_writelane_b32 v127, s31, 20
	s_ashr_i32 s35, s11, 31
	s_add_i32 s36, s1, s0
	s_sub_i32 s0, 0, s34
	v_readfirstlane_b32 s1, v0
	v_writelane_b32 v127, s34, 21
	s_mul_i32 s0, s0, s1
	v_mbcnt_lo_u32_b32 v0, -1, 0
	v_writelane_b32 v127, s35, 22
	s_ashr_i32 s37, s12, 31
	s_mul_hi_u32 s0, s1, s0
	v_mbcnt_hi_u32_b32 v0, -1, v0
	v_writelane_b32 v127, s36, 23
	v_mov_b32_e32 v123, 0
	s_add_i32 s38, s1, s0
	v_and_or_b32 v0, v0, 64, v6
	v_writelane_b32 v127, s37, 24
	v_mov_b32_e32 v15, v123
	v_or_b32_e32 v125, v4, v7
	v_lshlrev_b32_e32 v122, 1, v2
	v_lshlrev_b32_e32 v118, 2, v0
	v_mov_b32_e32 v101, v104
	v_writelane_b32 v127, s38, 25
	v_or_b32_e32 v100, v5, v3
	scratch_store_dword off, v13, off offset:36 ; 4-byte Folded Spill
	scratch_store_dword off, v120, off offset:40 ; 4-byte Folded Spill
	scratch_store_dword off, v115, off offset:44 ; 4-byte Folded Spill
	scratch_store_dword off, v116, off offset:48 ; 4-byte Folded Spill
	scratch_store_dwordx2 off, v[14:15], off offset:84 ; 8-byte Folded Spill
	scratch_store_dword off, v16, off offset:100 ; 4-byte Folded Spill
	scratch_store_dword off, v17, off offset:104 ; 4-byte Folded Spill
	scratch_store_dword off, v100, off offset:108 ; 4-byte Folded Spill
	s_branch .LBB141_7
.LBB141_4:                              ;   in Loop: Header=BB141_7 Depth=1
	s_or_b64 exec, exec, s[4:5]
.LBB141_5:                              ;   in Loop: Header=BB141_7 Depth=1
	s_or_b64 exec, exec, s[2:3]
	v_subrev_u32_e32 v101, s92, v101
.LBB141_6:                              ;   in Loop: Header=BB141_7 Depth=1
	s_or_b64 exec, exec, s[0:1]
	s_add_i32 s33, s33, 1
	s_waitcnt vmcnt(4)
	v_cmp_ge_i32_e32 vcc, s33, v13
	s_cbranch_vccnz .LBB141_58
.LBB141_7:                              ; =>This Loop Header: Depth=1
                                        ;     Child Loop BB141_13 Depth 2
                                        ;       Child Loop BB141_15 Depth 3
                                        ;       Child Loop BB141_18 Depth 3
	;; [unrolled: 1-line block ×7, first 2 shown]
                                        ;     Child Loop BB141_37 Depth 2
                                        ;     Child Loop BB141_45 Depth 2
                                        ;       Child Loop BB141_47 Depth 3
                                        ;     Child Loop BB141_55 Depth 2
                                        ;       Child Loop BB141_57 Depth 3
	s_abs_i32 s1, s33
	s_mul_hi_u32 s2, s1, s36
	s_mul_i32 s3, s2, s30
	s_ashr_i32 s0, s33, 31
	s_sub_i32 s1, s1, s3
	s_xor_b32 s0, s0, s35
	s_add_i32 s3, s2, 1
	s_sub_i32 s4, s1, s30
	s_cmp_ge_u32 s1, s30
	s_cselect_b32 s2, s3, s2
	s_cselect_b32 s1, s4, s1
	s_add_i32 s3, s2, 1
	s_cmp_ge_u32 s1, s30
	s_cselect_b32 s1, s3, s2
	s_xor_b32 s1, s1, s0
	s_sub_i32 s0, s1, s0
	s_abs_i32 s2, s0
	s_mul_i32 s1, s0, s11
	s_mul_hi_u32 s3, s2, s38
	s_sub_i32 s1, s33, s1
	s_mul_i32 s4, s3, s34
	s_lshl_b32 s39, s1, 5
	s_ashr_i32 s1, s0, 31
	s_sub_i32 s2, s2, s4
	s_xor_b32 s1, s1, s37
	s_add_i32 s4, s3, 1
	s_sub_i32 s5, s2, s34
	s_cmp_ge_u32 s2, s34
	s_cselect_b32 s3, s4, s3
	s_cselect_b32 s2, s5, s2
	s_add_i32 s4, s3, 1
	s_cmp_ge_u32 s2, s34
	s_cselect_b32 s2, s4, s3
	s_xor_b32 s2, s2, s1
	s_sub_i32 s1, s2, s1
	s_mul_i32 s2, s1, s13
	s_lshl_b32 s41, s2, 6
	s_cmp_eq_u32 s1, s26
	s_cselect_b32 s92, s27, s13
	s_sub_i32 s2, s39, s88
	s_add_i32 s40, s2, 32
	s_and_saveexec_b64 s[2:3], s[24:25]
	s_xor_b64 s[42:43], exec, s[2:3]
	s_cbranch_execz .LBB141_51
; %bb.8:                                ;   in Loop: Header=BB141_7 Depth=1
	s_mul_i32 s1, s1, s12
	s_sub_i32 s0, s0, s1
	s_mulk_i32 s0, 0xc0
	s_sub_i32 s8, s0, s89
	s_addk_i32 s8, 0xc0
	s_max_i32 s1, s8, 0
	s_sub_i32 s44, s0, s1
	s_and_saveexec_b64 s[0:1], s[14:15]
	s_xor_b64 s[46:47], exec, s[0:1]
	s_cbranch_execz .LBB141_41
; %bb.9:                                ;   in Loop: Header=BB141_7 Depth=1
	s_and_saveexec_b64 s[48:49], s[28:29]
	s_cbranch_execz .LBB141_40
; %bb.10:                               ;   in Loop: Header=BB141_7 Depth=1
	global_load_dword v124, v123, s[58:59]
	v_mov_b32_e32 v95, 0
	v_cmp_gt_i32_e32 vcc, s92, v101
	v_mov_b32_e32 v94, v95
	v_mov_b32_e32 v93, v95
	;; [unrolled: 1-line block ×77, first 2 shown]
	s_waitcnt vmcnt(1)
	v_mov_b32_e32 v17, v95
	v_mov_b32_e32 v16, v95
	;; [unrolled: 1-line block ×18, first 2 shown]
	s_and_saveexec_b64 s[0:1], vcc
	s_cbranch_execz .LBB141_35
; %bb.11:                               ;   in Loop: Header=BB141_7 Depth=1
	v_mov_b32_e32 v0, 0
	s_mov_b64 s[2:3], 0
	v_mov_b32_e32 v1, v0
	v_mov_b32_e32 v2, v0
	;; [unrolled: 1-line block ×95, first 2 shown]
	s_branch .LBB141_13
.LBB141_12:                             ;   in Loop: Header=BB141_13 Depth=2
	s_or_b64 exec, exec, s[4:5]
	v_add_u32_e32 v110, 0x2800, v99
	ds_read2_b32 v[112:113], v110 offset1:32
	v_add_u32_e32 v99, 0x2c00, v99
	v_add_u32_e32 v101, s95, v101
	s_waitcnt lgkmcnt(0)
	v_mfma_f32_32x32x16_fp8_fp8 v[0:15], v[108:109], v[112:113], v[0:15]
	ds_read2_b32 v[108:109], v110 offset0:128 offset1:160
	s_waitcnt lgkmcnt(0)
	v_mfma_f32_32x32x16_fp8_fp8 v[0:15], v[106:107], v[108:109], v[0:15]
	ds_read2_b32 v[106:107], v99 offset1:32
	ds_read2_b32 v[108:109], v99 offset0:128 offset1:160
	ds_write_b32 v97, v98 offset:43052
	s_waitcnt lgkmcnt(2)
	v_mfma_f32_32x32x16_fp8_fp8 v[0:15], v[104:105], v[106:107], v[0:15]
	v_add_u32_e32 v104, s95, v96
	v_add_u32_e32 v96, 2, v111
	v_cmp_lt_i32_e32 vcc, 2, v104
	s_nop 1
	v_cndmask_b32_e32 v111, v111, v96, vcc
	v_cmp_le_i32_e32 vcc, s92, v101
	s_waitcnt lgkmcnt(1)
	v_mfma_f32_32x32x16_fp8_fp8 v[0:15], v[102:103], v[108:109], v[0:15]
	s_or_b64 s[2:3], vcc, s[2:3]
	s_andn2_b64 exec, exec, s[2:3]
	s_cbranch_execz .LBB141_34
.LBB141_13:                             ;   Parent Loop BB141_7 Depth=1
                                        ; =>  This Loop Header: Depth=2
                                        ;       Child Loop BB141_15 Depth 3
                                        ;       Child Loop BB141_18 Depth 3
	;; [unrolled: 1-line block ×7, first 2 shown]
	v_cmp_gt_i32_e32 vcc, 3, v104
	s_nop 1
	v_cndmask_b32_e64 v96, -3, 0, vcc
	v_add_u32_e32 v96, v96, v104
	v_mul_lo_u32 v97, v96, 48
	ds_read_b32 v98, v97 offset:43008
	s_waitcnt lgkmcnt(0)
	v_cmp_ne_u32_e32 vcc, v98, v111
	s_and_saveexec_b64 s[4:5], vcc
	s_cbranch_execz .LBB141_16
; %bb.14:                               ;   in Loop: Header=BB141_13 Depth=2
	s_mov_b64 s[6:7], 0
.LBB141_15:                             ;   Parent Loop BB141_7 Depth=1
                                        ;     Parent Loop BB141_13 Depth=2
                                        ; =>    This Inner Loop Header: Depth=3
	;;#ASMSTART
	s_sleep 0
	;;#ASMEND
	ds_read_b32 v98, v97 offset:43008
	s_waitcnt lgkmcnt(0)
	v_cmp_eq_u32_e32 vcc, v98, v111
	s_or_b64 s[6:7], vcc, s[6:7]
	s_andn2_b64 exec, exec, s[6:7]
	s_cbranch_execnz .LBB141_15
.LBB141_16:                             ;   in Loop: Header=BB141_13 Depth=2
	s_or_b64 exec, exec, s[4:5]
	v_lshl_add_u32 v98, v96, 11, v115
	ds_read2_b32 v[108:109], v98 offset1:32
	ds_read2_b32 v[106:107], v98 offset0:128 offset1:160
	v_add_u32_e32 v98, 0x400, v98
	ds_read2_b32 v[104:105], v98 offset1:32
	ds_read_b32 v99, v97 offset:43012
	ds_read2_b32 v[102:103], v98 offset0:128 offset1:160
	v_add_u32_e32 v98, 1, v111
	ds_write_b32 v97, v98 offset:43008
	s_waitcnt lgkmcnt(2)
	v_cmp_ne_u32_e32 vcc, v99, v111
	s_and_saveexec_b64 s[4:5], vcc
	s_cbranch_execz .LBB141_19
; %bb.17:                               ;   in Loop: Header=BB141_13 Depth=2
	s_mov_b64 s[6:7], 0
.LBB141_18:                             ;   Parent Loop BB141_7 Depth=1
                                        ;     Parent Loop BB141_13 Depth=2
                                        ; =>    This Inner Loop Header: Depth=3
	;;#ASMSTART
	s_sleep 0
	;;#ASMEND
	ds_read_b32 v99, v97 offset:43012
	s_waitcnt lgkmcnt(0)
	v_cmp_eq_u32_e32 vcc, v99, v111
	s_or_b64 s[6:7], vcc, s[6:7]
	s_andn2_b64 exec, exec, s[6:7]
	s_cbranch_execnz .LBB141_18
.LBB141_19:                             ;   in Loop: Header=BB141_13 Depth=2
	s_or_b64 exec, exec, s[4:5]
	s_movk_i32 s4, 0x3000
	v_mul_lo_u32 v99, v96, s4
	v_or_b32_e32 v110, v116, v99
	ds_read2_b32 v[112:113], v110 offset1:32
	ds_write_b32 v97, v98 offset:43012
	s_waitcnt lgkmcnt(1)
	v_mfma_f32_32x32x16_fp8_fp8 v[80:95], v[108:109], v[112:113], v[80:95]
	ds_read2_b32 v[112:113], v110 offset0:128 offset1:160
	v_add_u32_e32 v110, 0x400, v110
	s_waitcnt lgkmcnt(0)
	v_mfma_f32_32x32x16_fp8_fp8 v[80:95], v[106:107], v[112:113], v[80:95]
	ds_read2_b32 v[112:113], v110 offset1:32
	s_waitcnt lgkmcnt(0)
	v_mfma_f32_32x32x16_fp8_fp8 v[80:95], v[104:105], v[112:113], v[80:95]
	ds_read2_b32 v[112:113], v110 offset0:128 offset1:160
	ds_read_b32 v110, v97 offset:43020
	s_waitcnt lgkmcnt(0)
	v_cmp_ne_u32_e32 vcc, v110, v111
	v_mfma_f32_32x32x16_fp8_fp8 v[80:95], v[102:103], v[112:113], v[80:95]
	s_and_saveexec_b64 s[4:5], vcc
	s_cbranch_execz .LBB141_22
; %bb.20:                               ;   in Loop: Header=BB141_13 Depth=2
	s_mov_b64 s[6:7], 0
.LBB141_21:                             ;   Parent Loop BB141_7 Depth=1
                                        ;     Parent Loop BB141_13 Depth=2
                                        ; =>    This Inner Loop Header: Depth=3
	;;#ASMSTART
	s_sleep 0
	;;#ASMEND
	ds_read_b32 v110, v97 offset:43020
	s_waitcnt lgkmcnt(0)
	v_cmp_eq_u32_e32 vcc, v110, v111
	s_or_b64 s[6:7], vcc, s[6:7]
	s_andn2_b64 exec, exec, s[6:7]
	s_cbranch_execnz .LBB141_21
.LBB141_22:                             ;   in Loop: Header=BB141_13 Depth=2
	s_or_b64 exec, exec, s[4:5]
	v_add_u32_e32 v99, v116, v99
	v_add_u32_e32 v110, 0x800, v99
	ds_read2_b32 v[112:113], v110 offset1:32
	ds_write_b32 v97, v98 offset:43020
	s_waitcnt lgkmcnt(1)
	v_mfma_f32_32x32x16_fp8_fp8 v[64:79], v[108:109], v[112:113], v[64:79]
	ds_read2_b32 v[112:113], v110 offset0:128 offset1:160
	v_add_u32_e32 v110, 0xc00, v99
	s_waitcnt lgkmcnt(0)
	v_mfma_f32_32x32x16_fp8_fp8 v[64:79], v[106:107], v[112:113], v[64:79]
	ds_read2_b32 v[112:113], v110 offset1:32
	s_waitcnt lgkmcnt(0)
	v_mfma_f32_32x32x16_fp8_fp8 v[64:79], v[104:105], v[112:113], v[64:79]
	ds_read2_b32 v[112:113], v110 offset0:128 offset1:160
	ds_read_b32 v110, v97 offset:43028
	s_waitcnt lgkmcnt(0)
	v_cmp_ne_u32_e32 vcc, v110, v111
	v_mfma_f32_32x32x16_fp8_fp8 v[64:79], v[102:103], v[112:113], v[64:79]
	s_and_saveexec_b64 s[4:5], vcc
	s_cbranch_execz .LBB141_25
; %bb.23:                               ;   in Loop: Header=BB141_13 Depth=2
	s_mov_b64 s[6:7], 0
.LBB141_24:                             ;   Parent Loop BB141_7 Depth=1
                                        ;     Parent Loop BB141_13 Depth=2
                                        ; =>    This Inner Loop Header: Depth=3
	;;#ASMSTART
	s_sleep 0
	;;#ASMEND
	ds_read_b32 v110, v97 offset:43028
	s_waitcnt lgkmcnt(0)
	v_cmp_eq_u32_e32 vcc, v110, v111
	s_or_b64 s[6:7], vcc, s[6:7]
	s_andn2_b64 exec, exec, s[6:7]
	s_cbranch_execnz .LBB141_24
.LBB141_25:                             ;   in Loop: Header=BB141_13 Depth=2
	s_or_b64 exec, exec, s[4:5]
	v_add_u32_e32 v110, 0x1000, v99
	ds_read2_b32 v[112:113], v110 offset1:32
	s_waitcnt lgkmcnt(0)
	v_mfma_f32_32x32x16_fp8_fp8 v[48:63], v[108:109], v[112:113], v[48:63]
	ds_read2_b32 v[112:113], v110 offset0:128 offset1:160
	v_add_u32_e32 v110, 0x1400, v99
	s_waitcnt lgkmcnt(0)
	v_mfma_f32_32x32x16_fp8_fp8 v[48:63], v[106:107], v[112:113], v[48:63]
	ds_read2_b32 v[112:113], v110 offset1:32
	s_waitcnt lgkmcnt(0)
	v_mfma_f32_32x32x16_fp8_fp8 v[48:63], v[104:105], v[112:113], v[48:63]
	ds_read_b32 v114, v97 offset:43036
	ds_read2_b32 v[112:113], v110 offset0:128 offset1:160
	ds_write_b32 v97, v98 offset:43028
	s_waitcnt lgkmcnt(2)
	v_cmp_ne_u32_e32 vcc, v114, v111
	s_waitcnt lgkmcnt(1)
	v_mfma_f32_32x32x16_fp8_fp8 v[48:63], v[102:103], v[112:113], v[48:63]
	s_and_saveexec_b64 s[4:5], vcc
	s_cbranch_execz .LBB141_28
; %bb.26:                               ;   in Loop: Header=BB141_13 Depth=2
	s_mov_b64 s[6:7], 0
.LBB141_27:                             ;   Parent Loop BB141_7 Depth=1
                                        ;     Parent Loop BB141_13 Depth=2
                                        ; =>    This Inner Loop Header: Depth=3
	;;#ASMSTART
	s_sleep 0
	;;#ASMEND
	ds_read_b32 v110, v97 offset:43036
	s_waitcnt lgkmcnt(0)
	v_cmp_eq_u32_e32 vcc, v110, v111
	s_or_b64 s[6:7], vcc, s[6:7]
	s_andn2_b64 exec, exec, s[6:7]
	s_cbranch_execnz .LBB141_27
.LBB141_28:                             ;   in Loop: Header=BB141_13 Depth=2
	s_or_b64 exec, exec, s[4:5]
	v_add_u32_e32 v110, 0x1800, v99
	ds_read2_b32 v[112:113], v110 offset1:32
	s_waitcnt lgkmcnt(0)
	v_mfma_f32_32x32x16_fp8_fp8 v[32:47], v[108:109], v[112:113], v[32:47]
	ds_read2_b32 v[112:113], v110 offset0:128 offset1:160
	v_add_u32_e32 v110, 0x1c00, v99
	s_waitcnt lgkmcnt(0)
	v_mfma_f32_32x32x16_fp8_fp8 v[32:47], v[106:107], v[112:113], v[32:47]
	ds_read2_b32 v[112:113], v110 offset1:32
	s_waitcnt lgkmcnt(0)
	v_mfma_f32_32x32x16_fp8_fp8 v[32:47], v[104:105], v[112:113], v[32:47]
	ds_read_b32 v114, v97 offset:43044
	ds_read2_b32 v[112:113], v110 offset0:128 offset1:160
	ds_write_b32 v97, v98 offset:43036
	s_waitcnt lgkmcnt(2)
	v_cmp_ne_u32_e32 vcc, v114, v111
	s_waitcnt lgkmcnt(1)
	v_mfma_f32_32x32x16_fp8_fp8 v[32:47], v[102:103], v[112:113], v[32:47]
	s_and_saveexec_b64 s[4:5], vcc
	s_cbranch_execz .LBB141_31
; %bb.29:                               ;   in Loop: Header=BB141_13 Depth=2
	s_mov_b64 s[6:7], 0
.LBB141_30:                             ;   Parent Loop BB141_7 Depth=1
                                        ;     Parent Loop BB141_13 Depth=2
                                        ; =>    This Inner Loop Header: Depth=3
	;;#ASMSTART
	s_sleep 0
	;;#ASMEND
	ds_read_b32 v110, v97 offset:43044
	s_waitcnt lgkmcnt(0)
	v_cmp_eq_u32_e32 vcc, v110, v111
	s_or_b64 s[6:7], vcc, s[6:7]
	s_andn2_b64 exec, exec, s[6:7]
	s_cbranch_execnz .LBB141_30
.LBB141_31:                             ;   in Loop: Header=BB141_13 Depth=2
	s_or_b64 exec, exec, s[4:5]
	v_add_u32_e32 v110, 0x2000, v99
	ds_read2_b32 v[112:113], v110 offset1:32
	s_waitcnt lgkmcnt(0)
	v_mfma_f32_32x32x16_fp8_fp8 v[16:31], v[108:109], v[112:113], v[16:31]
	ds_read2_b32 v[112:113], v110 offset0:128 offset1:160
	v_add_u32_e32 v110, 0x2400, v99
	s_waitcnt lgkmcnt(0)
	v_mfma_f32_32x32x16_fp8_fp8 v[16:31], v[106:107], v[112:113], v[16:31]
	ds_read2_b32 v[112:113], v110 offset1:32
	s_waitcnt lgkmcnt(0)
	v_mfma_f32_32x32x16_fp8_fp8 v[16:31], v[104:105], v[112:113], v[16:31]
	ds_read_b32 v114, v97 offset:43052
	ds_read2_b32 v[112:113], v110 offset0:128 offset1:160
	ds_write_b32 v97, v98 offset:43044
	s_waitcnt lgkmcnt(2)
	v_cmp_ne_u32_e32 vcc, v114, v111
	s_waitcnt lgkmcnt(1)
	v_mfma_f32_32x32x16_fp8_fp8 v[16:31], v[102:103], v[112:113], v[16:31]
	s_and_saveexec_b64 s[4:5], vcc
	s_cbranch_execz .LBB141_12
; %bb.32:                               ;   in Loop: Header=BB141_13 Depth=2
	s_mov_b64 s[6:7], 0
.LBB141_33:                             ;   Parent Loop BB141_7 Depth=1
                                        ;     Parent Loop BB141_13 Depth=2
                                        ; =>    This Inner Loop Header: Depth=3
	;;#ASMSTART
	s_sleep 0
	;;#ASMEND
	ds_read_b32 v110, v97 offset:43052
	s_waitcnt lgkmcnt(0)
	v_cmp_eq_u32_e32 vcc, v110, v111
	s_or_b64 s[6:7], vcc, s[6:7]
	s_andn2_b64 exec, exec, s[6:7]
	s_cbranch_execnz .LBB141_33
	s_branch .LBB141_12
.LBB141_34:                             ;   in Loop: Header=BB141_7 Depth=1
	s_or_b64 exec, exec, s[2:3]
.LBB141_35:                             ;   in Loop: Header=BB141_7 Depth=1
	v_writelane_b32 v127, s48, 26
	s_nop 1
	v_writelane_b32 v127, s49, 27
	v_writelane_b32 v127, s46, 28
	s_nop 1
	v_writelane_b32 v127, s47, 29
	;; [unrolled: 3-line block ×4, first 2 shown]
	v_writelane_b32 v127, s41, 34
	v_writelane_b32 v127, s40, 35
	;; [unrolled: 1-line block ×3, first 2 shown]
	s_or_b64 exec, exec, s[0:1]
	scratch_load_dword v100, off, off offset:52 ; 4-byte Folded Reload
	scratch_load_dword v117, off, off offset:60 ; 4-byte Folded Reload
	v_cmp_le_i32_e32 vcc, s8, v120
	v_or_b32_e32 v102, 32, v120
	scratch_store_dwordx2 off, v[122:123], off ; 8-byte Folded Spill
	s_waitcnt vmcnt(3)
	v_cndmask_b32_e32 v96, 0, v124, vcc
	v_cmp_le_i32_e32 vcc, s8, v102
	v_pk_mul_f32 v[106:107], v[96:97], v[94:95] op_sel_hi:[0,1]
	v_pk_mul_f32 v[108:109], v[96:97], v[92:93] op_sel_hi:[0,1]
	;; [unrolled: 1-line block ×8, first 2 shown]
	v_cndmask_b32_e32 v96, 0, v124, vcc
	v_pk_mul_f32 v[78:79], v[96:97], v[78:79] op_sel_hi:[0,1]
	v_pk_mul_f32 v[76:77], v[96:97], v[76:77] op_sel_hi:[0,1]
	;; [unrolled: 1-line block ×8, first 2 shown]
	v_or_b32_e32 v96, 64, v120
	v_cmp_le_i32_e32 vcc, s8, v96
	v_or_b32_e32 v96, 0x60, v120
	v_subrev_u32_e32 v101, s92, v101
	v_cndmask_b32_e32 v66, 0, v124, vcc
	v_cmp_le_i32_e32 vcc, s8, v96
	v_or_b32_e32 v96, 0x80, v120
	v_pk_mul_f32 v[64:65], v[66:67], v[48:49] op_sel_hi:[0,1]
	v_cndmask_b32_e32 v48, 0, v124, vcc
	v_cmp_le_i32_e32 vcc, s8, v96
	v_or_b32_e32 v96, 0xa0, v120
	v_pk_mul_f32 v[46:47], v[48:49], v[46:47] op_sel_hi:[0,1]
	v_pk_mul_f32 v[44:45], v[48:49], v[44:45] op_sel_hi:[0,1]
	;; [unrolled: 1-line block ×8, first 2 shown]
	v_cndmask_b32_e32 v48, 0, v124, vcc
	v_cmp_le_i32_e32 vcc, s8, v96
	v_pk_mul_f32 v[30:31], v[48:49], v[30:31] op_sel_hi:[0,1]
	v_pk_mul_f32 v[28:29], v[48:49], v[28:29] op_sel_hi:[0,1]
	;; [unrolled: 1-line block ×8, first 2 shown]
	v_cndmask_b32_e32 v48, 0, v124, vcc
	v_pk_mul_f32 v[14:15], v[48:49], v[14:15] op_sel_hi:[0,1]
	v_pk_mul_f32 v[12:13], v[48:49], v[12:13] op_sel_hi:[0,1]
	;; [unrolled: 1-line block ×15, first 2 shown]
	s_waitcnt vmcnt(2)
	v_cmp_eq_u32_e64 s[6:7], 1, v100
	s_nop 1
	v_cndmask_b32_e64 v48, v80, v81, s[6:7]
	v_cmp_eq_u32_e64 s[38:39], 2, v100
	v_cmp_eq_u32_e32 vcc, 3, v100
	v_cmp_eq_u32_e64 s[0:1], 4, v100
	v_cndmask_b32_e64 v48, v48, v82, s[38:39]
	v_cndmask_b32_e32 v48, v48, v83, vcc
	v_cndmask_b32_e64 v48, v48, v84, s[0:1]
	v_cmp_eq_u32_e64 s[2:3], 5, v100
	v_cmp_eq_u32_e64 s[34:35], 6, v100
	v_cmp_eq_u32_e64 s[26:27], 7, v100
	v_cndmask_b32_e64 v48, v48, v85, s[2:3]
	v_cndmask_b32_e64 v48, v48, v86, s[34:35]
	v_cndmask_b32_e64 v48, v48, v87, s[26:27]
	v_cmp_eq_u32_e64 s[24:25], 8, v100
	v_cmp_eq_u32_e64 s[22:23], 9, v100
	v_cmp_eq_u32_e64 s[20:21], 10, v100
	v_cndmask_b32_e64 v48, v48, v88, s[24:25]
	v_cndmask_b32_e64 v48, v48, v89, s[22:23]
	;; [unrolled: 6-line block ×4, first 2 shown]
	ds_bpermute_b32 v48, v118, v48
	s_waitcnt vmcnt(1)
	v_cmp_eq_u32_e64 s[40:41], 1, v117
	s_waitcnt lgkmcnt(0)
	v_cndmask_b32_e64 v75, v86, v48, s[34:35]
	scratch_load_dword v86, off, off offset:56 ; 4-byte Folded Reload
	v_cndmask_b32_e64 v49, v107, v48, s[8:9]
	v_cndmask_b32_e64 v66, v106, v48, s[10:11]
	;; [unrolled: 1-line block ×11, first 2 shown]
	v_cndmask_b32_e32 v83, v83, v48, vcc
	v_cndmask_b32_e64 v82, v82, v48, s[38:39]
	v_cndmask_b32_e64 v81, v81, v48, s[6:7]
	;; [unrolled: 1-line block ×3, first 2 shown]
	s_waitcnt vmcnt(0)
	v_cmp_eq_u32_e64 s[4:5], 1, v86
	s_nop 1
	v_cndmask_b32_e64 v74, v48, v81, s[4:5]
	v_cmp_eq_u32_e64 s[28:29], 2, v86
	v_cmp_eq_u32_e64 s[30:31], 3, v86
	v_cmp_eq_u32_e64 s[36:37], 4, v86
	v_cndmask_b32_e64 v74, v74, v82, s[28:29]
	v_cndmask_b32_e64 v74, v74, v83, s[30:31]
	v_cndmask_b32_e64 v74, v74, v84, s[36:37]
	v_cmp_eq_u32_e64 s[44:45], 5, v86
	v_cmp_eq_u32_e64 s[48:49], 6, v86
	v_cmp_eq_u32_e64 s[52:53], 7, v86
	v_cndmask_b32_e64 v74, v74, v85, s[44:45]
	v_cndmask_b32_e64 v74, v74, v75, s[48:49]
	;; [unrolled: 6-line block ×5, first 2 shown]
	ds_bpermute_b32 v80, v118, v74
	s_waitcnt lgkmcnt(0)
	v_cndmask_b32_e64 v121, v49, v80, s[84:85]
	v_cndmask_b32_e64 v74, v72, v80, s[56:57]
	;; [unrolled: 1-line block ×8, first 2 shown]
	v_cndmask_b32_e32 v49, v49, v99, vcc
	v_cndmask_b32_e32 v75, v75, v51, vcc
	v_cndmask_b32_e64 v49, v49, v94, s[0:1]
	v_cndmask_b32_e64 v75, v75, v52, s[0:1]
	;; [unrolled: 1-line block ×34, first 2 shown]
	ds_bpermute_b32 v82, v118, v49
	v_cndmask_b32_e64 v49, v81, v80, s[4:5]
	v_cndmask_b32_e64 v48, v48, v80, s[16:17]
	ds_bpermute_b32 v80, v118, v75
	s_waitcnt lgkmcnt(1)
	v_cndmask_b32_e64 v106, v77, v82, s[12:13]
	v_cndmask_b32_e32 v75, v99, v82, vcc
	v_cndmask_b32_e64 v77, v93, v82, s[6:7]
	s_waitcnt lgkmcnt(0)
	v_cndmask_b32_e64 v96, v52, v80, s[0:1]
	v_cndmask_b32_e64 v52, v32, v33, s[6:7]
	;; [unrolled: 1-line block ×3, first 2 shown]
	v_cndmask_b32_e32 v52, v52, v35, vcc
	v_cndmask_b32_e64 v52, v52, v36, s[0:1]
	v_cndmask_b32_e64 v52, v52, v37, s[2:3]
	;; [unrolled: 1-line block ×12, first 2 shown]
	ds_bpermute_b32 v52, v118, v52
	v_cndmask_b32_e64 v99, v65, v80, s[6:7]
	v_cndmask_b32_e64 v79, v79, v82, s[8:9]
	;; [unrolled: 1-line block ×4, first 2 shown]
	s_waitcnt lgkmcnt(0)
	v_cndmask_b32_e64 v83, v33, v52, s[6:7]
	scratch_load_dword v33, off, off offset:64 ; 4-byte Folded Reload
	v_cndmask_b32_e64 v36, v36, v52, s[0:1]
	scratch_store_dword off, v36, off offset:12 ; 4-byte Folded Spill
	v_cndmask_b32_e64 v36, v16, v17, s[6:7]
	v_cndmask_b32_e64 v36, v36, v18, s[38:39]
	v_cndmask_b32_e32 v36, v36, v19, vcc
	v_cndmask_b32_e64 v36, v36, v20, s[0:1]
	v_cndmask_b32_e64 v36, v36, v21, s[2:3]
	;; [unrolled: 1-line block ×12, first 2 shown]
	ds_bpermute_b32 v36, v118, v36
	v_cndmask_b32_e64 v47, v47, v52, s[8:9]
	v_cndmask_b32_e64 v37, v37, v52, s[2:3]
	;; [unrolled: 1-line block ×4, first 2 shown]
	s_waitcnt lgkmcnt(0)
	v_cndmask_b32_e64 v17, v17, v36, s[6:7]
	scratch_store_dword off, v17, off offset:32 ; 4-byte Folded Spill
	v_cndmask_b32_e64 v17, v0, v1, s[6:7]
	v_cndmask_b32_e64 v17, v17, v2, s[38:39]
	v_cndmask_b32_e32 v17, v17, v3, vcc
	v_cndmask_b32_e64 v17, v17, v4, s[0:1]
	v_cndmask_b32_e64 v17, v17, v5, s[2:3]
	;; [unrolled: 1-line block ×12, first 2 shown]
	ds_bpermute_b32 v17, v118, v17
	v_cndmask_b32_e64 v85, v16, v36, s[42:43]
	v_cndmask_b32_e64 v16, v48, v49, s[40:41]
	v_cmp_eq_u32_e64 s[6:7], 2, v117
	v_cndmask_b32_e64 v31, v31, v36, s[8:9]
	s_waitcnt lgkmcnt(0)
	v_cndmask_b32_e64 v15, v15, v17, s[8:9]
	v_cndmask_b32_e64 v16, v16, v69, s[6:7]
	v_cmp_eq_u32_e64 s[8:9], 3, v117
	scratch_store_dword off, v37, off offset:8 ; 4-byte Folded Spill
	v_cndmask_b32_e64 v37, v30, v36, s[10:11]
	v_cndmask_b32_e64 v16, v16, v68, s[8:9]
	;; [unrolled: 1-line block ×3, first 2 shown]
	v_cmp_eq_u32_e64 s[10:11], 4, v117
	v_cndmask_b32_e64 v90, v61, v80, s[12:13]
	v_cndmask_b32_e64 v45, v45, v52, s[12:13]
	;; [unrolled: 1-line block ×6, first 2 shown]
	v_cmp_eq_u32_e64 s[12:13], 5, v117
	v_cndmask_b32_e64 v107, v76, v82, s[14:15]
	v_cndmask_b32_e64 v110, v113, v82, s[22:23]
	v_cndmask_b32_e64 v113, v115, v82, s[26:27]
	v_cndmask_b32_e64 v115, v95, v82, s[2:3]
	v_cndmask_b32_e64 v91, v60, v80, s[14:15]
	v_cndmask_b32_e64 v95, v56, v80, s[24:25]
	v_cndmask_b32_e64 v44, v44, v52, s[14:15]
	v_cndmask_b32_e64 v56, v28, v36, s[14:15]
	v_cndmask_b32_e64 v16, v16, v70, s[12:13]
	v_cndmask_b32_e64 v12, v12, v17, s[14:15]
	v_cmp_eq_u32_e64 s[14:15], 6, v117
	v_cndmask_b32_e64 v108, v103, v82, s[18:19]
	v_cndmask_b32_e64 v116, v94, v82, s[0:1]
	;; [unrolled: 1-line block ×9, first 2 shown]
	v_cmp_eq_u32_e64 s[18:19], 7, v117
	v_cndmask_b32_e64 v109, v102, v82, s[20:21]
	v_cndmask_b32_e64 v93, v58, v80, s[20:21]
	;; [unrolled: 1-line block ×6, first 2 shown]
	v_cmp_eq_u32_e64 s[20:21], 8, v117
	v_cndmask_b32_e64 v59, v41, v52, s[22:23]
	v_cndmask_b32_e64 v61, v25, v36, s[22:23]
	v_cndmask_b32_e64 v10, v16, v74, s[20:21]
	v_cndmask_b32_e64 v119, v9, v17, s[22:23]
	v_cmp_eq_u32_e64 s[22:23], 9, v117
	v_cndmask_b32_e64 v112, v112, v82, s[24:25]
	v_cndmask_b32_e64 v60, v40, v52, s[24:25]
	v_cndmask_b32_e64 v62, v24, v36, s[24:25]
	v_cndmask_b32_e64 v9, v10, v67, s[22:23]
	v_cndmask_b32_e64 v29, v8, v17, s[24:25]
	v_cmp_eq_u32_e64 s[24:25], 10, v117
	v_cndmask_b32_e64 v55, v55, v80, s[26:27]
	;; [unrolled: 6-line block ×3, first 2 shown]
	v_cndmask_b32_e64 v54, v54, v80, s[34:35]
	v_cndmask_b32_e64 v102, v64, v80, s[42:43]
	;; [unrolled: 1-line block ×5, first 2 shown]
	v_cmp_eq_u32_e64 s[34:35], 12, v117
	v_cndmask_b32_e64 v53, v53, v80, s[2:3]
	v_cndmask_b32_e64 v81, v21, v36, s[2:3]
	;; [unrolled: 1-line block ×4, first 2 shown]
	v_cmp_eq_u32_e64 s[2:3], 13, v117
	v_cndmask_b32_e64 v20, v20, v36, s[0:1]
	v_cndmask_b32_e64 v4, v4, v17, s[0:1]
	;; [unrolled: 1-line block ×3, first 2 shown]
	v_cmp_eq_u32_e64 s[0:1], 14, v117
	v_cndmask_b32_e32 v97, v51, v80, vcc
	v_cndmask_b32_e32 v35, v35, v52, vcc
	;; [unrolled: 1-line block ×3, first 2 shown]
	v_cndmask_b32_e64 v6, v6, v122, s[0:1]
	v_cndmask_b32_e32 v3, v3, v17, vcc
	v_cmp_eq_u32_e32 vcc, 15, v117
	v_cndmask_b32_e64 v76, v98, v82, s[38:39]
	v_cndmask_b32_e64 v98, v50, v80, s[38:39]
	v_cndmask_b32_e32 v6, v6, v121, vcc
	ds_bpermute_b32 v7, v118, v6
	v_cndmask_b32_e64 v84, v34, v52, s[38:39]
	v_cndmask_b32_e64 v18, v18, v36, s[38:39]
	;; [unrolled: 1-line block ×3, first 2 shown]
	v_cmp_ne_u32_e64 s[38:39], 0, v100
	v_cndmask_b32_e64 v82, v32, v52, s[42:43]
	s_waitcnt lgkmcnt(0)
	v_cndmask_b32_e64 v28, v49, v7, s[40:41]
	v_cndmask_b32_e64 v1, v1, v17, s[38:39]
	v_cmp_eq_u32_e64 s[38:39], 0, v117
	s_waitcnt vmcnt(3)
	v_cmp_eq_u32_e64 s[58:59], 1, v33
	v_cndmask_b32_e64 v27, v69, v7, s[6:7]
	v_writelane_b32 v127, s38, 37
	v_cndmask_b32_e64 v80, v0, v17, s[42:43]
	v_cndmask_b32_e64 v26, v68, v7, s[8:9]
	;; [unrolled: 1-line block ×3, first 2 shown]
	v_writelane_b32 v127, s39, 38
	v_cndmask_b32_e64 v0, v32, v28, s[58:59]
	v_cmp_eq_u32_e64 s[38:39], 2, v33
	v_cmp_eq_u32_e64 s[46:47], 3, v33
	v_cndmask_b32_e64 v25, v71, v7, s[10:11]
	v_cndmask_b32_e64 v0, v0, v27, s[38:39]
	;; [unrolled: 1-line block ×3, first 2 shown]
	v_cmp_eq_u32_e64 s[50:51], 4, v33
	v_cndmask_b32_e64 v24, v70, v7, s[12:13]
	v_cmp_eq_u32_e64 s[54:55], 5, v33
	v_cndmask_b32_e64 v0, v0, v25, s[50:51]
	v_cndmask_b32_e64 v23, v73, v7, s[14:15]
	;; [unrolled: 1-line block ×3, first 2 shown]
	v_cmp_eq_u32_e64 s[62:63], 6, v33
	v_cndmask_b32_e64 v22, v72, v7, s[18:19]
	v_cmp_eq_u32_e64 s[66:67], 7, v33
	v_cndmask_b32_e64 v0, v0, v23, s[62:63]
	v_cndmask_b32_e64 v21, v74, v7, s[20:21]
	;; [unrolled: 1-line block ×3, first 2 shown]
	v_cmp_eq_u32_e64 s[70:71], 8, v33
	scratch_store_dword off, v20, off offset:16 ; 4-byte Folded Spill
	v_cndmask_b32_e64 v20, v67, v7, s[22:23]
	v_cndmask_b32_e64 v0, v0, v21, s[70:71]
	v_cmp_eq_u32_e64 s[74:75], 9, v33
	scratch_store_dword off, v19, off offset:24 ; 4-byte Folded Spill
	v_cndmask_b32_e64 v19, v66, v7, s[24:25]
	v_cndmask_b32_e64 v0, v0, v20, s[74:75]
	;; [unrolled: 4-line block ×3, first 2 shown]
	v_cmp_eq_u32_e64 s[82:83], 11, v33
	v_cndmask_b32_e64 v16, v124, v7, s[34:35]
	v_cmp_eq_u32_e64 s[86:87], 12, v33
	v_cndmask_b32_e64 v0, v0, v18, s[82:83]
	v_cndmask_b32_e64 v10, v123, v7, s[2:3]
	s_mov_b64 s[96:97], s[38:39]
	v_cndmask_b32_e64 v0, v0, v16, s[86:87]
	v_cmp_eq_u32_e64 s[38:39], 13, v33
	v_cndmask_b32_e64 v9, v122, v7, s[0:1]
	v_cmp_eq_u32_e64 s[42:43], 14, v33
	v_cndmask_b32_e64 v0, v0, v10, s[38:39]
	v_cndmask_b32_e32 v8, v121, v7, vcc
	v_cndmask_b32_e64 v0, v0, v9, s[42:43]
	v_cmp_eq_u32_e64 s[98:99], 15, v33
	v_writelane_b32 v127, s96, 39
	scratch_store_dword off, v35, off offset:20 ; 4-byte Folded Spill
	v_cndmask_b32_e64 v0, v0, v8, s[98:99]
	ds_bpermute_b32 v17, v118, v0
	v_writelane_b32 v127, s97, 40
	s_waitcnt lgkmcnt(0)
	v_cndmask_b32_e64 v51, v27, v17, s[96:97]
	v_cmp_eq_u32_e64 s[96:97], 0, v33
	v_cndmask_b32_e64 v2, v8, v17, s[98:99]
	v_cndmask_b32_e64 v7, v9, v17, s[42:43]
	;; [unrolled: 1-line block ×14, first 2 shown]
	v_writelane_b32 v127, s96, 41
	v_cndmask_b32_e64 v16, v78, v77, s[4:5]
	v_cndmask_b32_e64 v16, v16, v76, s[28:29]
	;; [unrolled: 1-line block ×31, first 2 shown]
	ds_bpermute_b32 v41, v118, v17
	ds_bpermute_b32 v19, v118, v16
	v_writelane_b32 v127, s97, 42
	s_waitcnt lgkmcnt(1)
	v_cndmask_b32_e64 v124, v89, v41, s[80:81]
	scratch_load_dword v89, off, off offset:20 ; 4-byte Folded Reload
	s_waitcnt lgkmcnt(0)
	v_cndmask_b32_e64 v121, v78, v19, s[16:17]
	scratch_load_dword v78, off, off offset:12 ; 4-byte Folded Reload
	v_cndmask_b32_e64 v122, v88, v41, s[84:85]
	v_cndmask_b32_e64 v32, v90, v41, s[76:77]
	;; [unrolled: 1-line block ×5, first 2 shown]
	scratch_load_dword v88, off, off offset:32 ; 4-byte Folded Reload
	scratch_load_dword v90, off, off offset:28 ; 4-byte Folded Reload
	;; [unrolled: 1-line block ×5, first 2 shown]
	v_cndmask_b32_e64 v21, v53, v41, s[44:45]
	v_cndmask_b32_e64 v53, v82, v83, s[4:5]
	v_cndmask_b32_e64 v53, v53, v84, s[28:29]
	v_cndmask_b32_e64 v26, v75, v19, s[30:31]
	v_cndmask_b32_e64 v27, v76, v19, s[28:29]
	v_cndmask_b32_e64 v28, v77, v19, s[4:5]
	v_cndmask_b32_e64 v18, v108, v19, s[68:69]
	v_cndmask_b32_e64 v79, v79, v19, s[84:85]
	v_cndmask_b32_e64 v66, v105, v19, s[80:81]
	v_cndmask_b32_e64 v67, v106, v19, s[76:77]
	v_cndmask_b32_e64 v71, v107, v19, s[72:73]
	v_cndmask_b32_e64 v73, v109, v19, s[64:65]
	v_cndmask_b32_e64 v23, v110, v19, s[60:61]
	v_cndmask_b32_e64 v24, v112, v19, s[56:57]
	v_cndmask_b32_e64 v42, v113, v19, s[52:53]
	v_cndmask_b32_e64 v25, v114, v19, s[48:49]
	v_cndmask_b32_e64 v43, v115, v19, s[44:45]
	v_cndmask_b32_e64 v16, v116, v19, s[36:37]
	v_cndmask_b32_e64 v17, v94, v41, s[60:61]
	v_cndmask_b32_e64 v35, v95, v41, s[56:57]
	v_cndmask_b32_e64 v19, v55, v41, s[52:53]
	v_cndmask_b32_e64 v20, v54, v41, s[48:49]
	v_cndmask_b32_e64 v22, v96, v41, s[36:37]
	v_cndmask_b32_e64 v40, v97, v41, s[30:31]
	v_cndmask_b32_e64 v123, v98, v41, s[28:29]
	v_cndmask_b32_e64 v126, v99, v41, s[4:5]
	v_cndmask_b32_e64 v41, v102, v41, s[16:17]
	s_waitcnt vmcnt(6)
	v_cndmask_b32_e64 v53, v53, v89, s[30:31]
	s_waitcnt vmcnt(5)
	v_cndmask_b32_e64 v53, v53, v78, s[36:37]
	;; [unrolled: 2-line block ×3, first 2 shown]
	v_cndmask_b32_e64 v53, v53, v65, s[48:49]
	v_cndmask_b32_e64 v53, v53, v39, s[52:53]
	;; [unrolled: 1-line block ×10, first 2 shown]
	ds_bpermute_b32 v75, v118, v53
	v_cndmask_b32_e64 v53, v85, v88, s[4:5]
	v_cndmask_b32_e64 v53, v53, v90, s[28:29]
	;; [unrolled: 1-line block ×15, first 2 shown]
	ds_bpermute_b32 v76, v118, v53
	v_cndmask_b32_e64 v53, v80, v1, s[4:5]
	v_cndmask_b32_e64 v53, v53, v6, s[28:29]
	;; [unrolled: 1-line block ×15, first 2 shown]
	ds_bpermute_b32 v77, v118, v53
	s_waitcnt lgkmcnt(2)
	v_cndmask_b32_e64 v96, v84, v75, s[28:29]
	s_waitcnt lgkmcnt(1)
	v_cndmask_b32_e64 v102, v90, v76, s[28:29]
	v_cndmask_b32_e64 v54, v37, v76, s[80:81]
	;; [unrolled: 1-line block ×3, first 2 shown]
	s_waitcnt lgkmcnt(0)
	v_cndmask_b32_e64 v108, v12, v77, s[72:73]
	scratch_load_dword v12, off, off offset:68 ; 4-byte Folded Reload
	v_cndmask_b32_e64 v112, v119, v77, s[60:61]
	v_cndmask_b32_e64 v119, v6, v77, s[28:29]
	;; [unrolled: 1-line block ×41, first 2 shown]
	v_readlane_b32 s36, v127, 37
	v_cndmask_b32_e64 v59, v59, v75, s[60:61]
	v_cndmask_b32_e64 v61, v61, v76, s[60:61]
	v_readlane_b32 s37, v127, 38
	s_waitcnt vmcnt(0)
	v_cmp_eq_u32_e64 s[28:29], 1, v12
	s_nop 1
	v_cndmask_b32_e64 v11, v74, v52, s[28:29]
	v_cmp_eq_u32_e64 s[44:45], 2, v12
	v_cmp_eq_u32_e64 s[48:49], 3, v12
	v_cmp_eq_u32_e64 s[52:53], 4, v12
	v_cndmask_b32_e64 v11, v11, v51, s[44:45]
	v_cndmask_b32_e64 v11, v11, v50, s[48:49]
	v_cndmask_b32_e64 v11, v11, v49, s[52:53]
	v_cmp_eq_u32_e64 s[56:57], 5, v12
	v_cmp_eq_u32_e64 s[64:65], 6, v12
	v_cmp_eq_u32_e64 s[68:69], 7, v12
	v_cndmask_b32_e64 v11, v11, v48, s[56:57]
	v_cndmask_b32_e64 v11, v11, v70, s[64:65]
	;; [unrolled: 6-line block ×5, first 2 shown]
	ds_bpermute_b32 v11, v118, v11
	s_waitcnt lgkmcnt(0)
	v_cndmask_b32_e64 v86, v0, v11, s[80:81]
	v_cndmask_b32_e64 v0, v121, v28, s[40:41]
	;; [unrolled: 1-line block ×15, first 2 shown]
	v_cndmask_b32_e32 v0, v0, v79, vcc
	v_cndmask_b32_e64 v81, v2, v11, s[4:5]
	ds_bpermute_b32 v0, v118, v0
	v_cndmask_b32_e64 v2, v41, v126, s[40:41]
	v_cndmask_b32_e64 v2, v2, v123, s[6:7]
	;; [unrolled: 1-line block ×12, first 2 shown]
	s_waitcnt lgkmcnt(0)
	v_cndmask_b32_e32 v68, v79, v0, vcc
	v_cndmask_b32_e64 v69, v66, v0, s[0:1]
	v_cndmask_b32_e64 v70, v67, v0, s[2:3]
	v_cndmask_b32_e64 v71, v71, v0, s[34:35]
	v_cndmask_b32_e64 v72, v18, v0, s[26:27]
	v_cndmask_b32_e64 v73, v73, v0, s[24:25]
	v_cndmask_b32_e64 v74, v23, v0, s[22:23]
	v_cndmask_b32_e64 v75, v24, v0, s[20:21]
	v_cndmask_b32_e64 v76, v42, v0, s[18:19]
	v_cndmask_b32_e64 v77, v25, v0, s[14:15]
	v_cndmask_b32_e64 v78, v43, v0, s[12:13]
	v_cndmask_b32_e64 v79, v16, v0, s[10:11]
	v_cndmask_b32_e64 v2, v2, v20, s[14:15]
	v_cndmask_b32_e64 v66, v26, v0, s[8:9]
	v_cndmask_b32_e64 v67, v27, v0, s[6:7]
	v_cndmask_b32_e64 v9, v28, v0, s[40:41]
	v_cndmask_b32_e64 v10, v121, v0, s[36:37]
	v_cndmask_b32_e64 v0, v1, v97, s[40:41]
	v_cndmask_b32_e64 v2, v2, v19, s[18:19]
	v_cndmask_b32_e64 v0, v0, v96, s[6:7]
	v_cndmask_b32_e64 v2, v2, v35, s[20:21]
	v_cndmask_b32_e64 v0, v0, v4, s[8:9]
	v_cndmask_b32_e64 v2, v2, v17, s[22:23]
	v_cndmask_b32_e64 v0, v0, v5, s[10:11]
	v_cndmask_b32_e64 v2, v2, v36, s[24:25]
	v_cndmask_b32_e64 v0, v0, v37, s[12:13]
	v_cndmask_b32_e64 v2, v2, v34, s[26:27]
	v_cndmask_b32_e64 v0, v0, v38, s[14:15]
	v_cndmask_b32_e64 v2, v2, v33, s[34:35]
	v_cndmask_b32_e64 v0, v0, v39, s[18:19]
	v_cndmask_b32_e64 v2, v2, v32, s[2:3]
	v_cndmask_b32_e64 v0, v0, v60, s[20:21]
	v_cndmask_b32_e64 v2, v2, v124, s[0:1]
	v_cndmask_b32_e64 v0, v0, v59, s[22:23]
	v_cndmask_b32_e32 v2, v2, v122, vcc
	v_cndmask_b32_e64 v0, v0, v46, s[24:25]
	ds_bpermute_b32 v2, v118, v2
	v_cndmask_b32_e64 v0, v0, v45, s[26:27]
	v_cndmask_b32_e64 v0, v0, v44, s[34:35]
	;; [unrolled: 1-line block ×4, first 2 shown]
	v_cndmask_b32_e32 v0, v0, v47, vcc
	s_waitcnt lgkmcnt(0)
	v_cndmask_b32_e64 v13, v32, v2, s[2:3]
	ds_bpermute_b32 v32, v118, v0
	v_cndmask_b32_e64 v0, v3, v103, s[40:41]
	v_cndmask_b32_e64 v0, v0, v102, s[6:7]
	;; [unrolled: 1-line block ×4, first 2 shown]
	s_waitcnt lgkmcnt(0)
	v_cndmask_b32_e64 v29, v14, v32, s[2:3]
	scratch_load_dword v14, off, off offset:72 ; 4-byte Folded Reload
	v_cndmask_b32_e64 v0, v0, v65, s[12:13]
	v_cndmask_b32_e64 v0, v0, v64, s[14:15]
	;; [unrolled: 1-line block ×10, first 2 shown]
	v_cndmask_b32_e32 v0, v0, v53, vcc
	v_cndmask_b32_e64 v82, v7, v11, s[96:97]
	v_cndmask_b32_e64 v83, v8, v11, s[30:31]
	v_cndmask_b32_e64 v91, v48, v11, s[56:57]
	v_cndmask_b32_e64 v94, v49, v11, s[52:53]
	v_cndmask_b32_e64 v95, v50, v11, s[48:49]
	v_cndmask_b32_e64 v92, v51, v11, s[44:45]
	v_cndmask_b32_e64 v93, v52, v11, s[28:29]
	v_cndmask_b32_e32 v11, v122, v2, vcc
	v_cndmask_b32_e64 v122, v33, v2, s[34:35]
	ds_bpermute_b32 v33, v118, v0
	v_cndmask_b32_e64 v0, v6, v120, s[40:41]
	v_cndmask_b32_e64 v0, v0, v119, s[6:7]
	;; [unrolled: 1-line block ×14, first 2 shown]
	v_cndmask_b32_e32 v0, v0, v105, vcc
	v_cndmask_b32_e64 v15, v34, v2, s[26:27]
	ds_bpermute_b32 v34, v118, v0
	v_cndmask_b32_e64 v12, v124, v2, s[0:1]
	v_cndmask_b32_e64 v26, v41, v2, s[36:37]
	;; [unrolled: 1-line block ×3, first 2 shown]
	s_waitcnt lgkmcnt(1)
	v_cndmask_b32_e64 v41, v54, v33, s[0:1]
	s_waitcnt lgkmcnt(0)
	v_cndmask_b32_e64 v54, v106, v34, s[0:1]
	s_mov_b64 s[0:1], s[36:37]
	v_cndmask_b32_e64 v1, v1, v32, s[0:1]
	v_cndmask_b32_e64 v3, v3, v33, s[0:1]
	;; [unrolled: 1-line block ×5, first 2 shown]
	v_cndmask_b32_e32 v27, v47, v32, vcc
	v_cndmask_b32_e64 v42, v55, v33, s[2:3]
	v_cndmask_b32_e64 v55, v107, v34, s[2:3]
	;; [unrolled: 1-line block ×29, first 2 shown]
	s_waitcnt vmcnt(0)
	v_cmp_eq_u32_e64 s[0:1], 1, v14
	v_cmp_eq_u32_e64 s[8:9], 2, v14
	;; [unrolled: 1-line block ×3, first 2 shown]
	v_cndmask_b32_e64 v32, v80, v93, s[0:1]
	v_cndmask_b32_e64 v32, v32, v92, s[8:9]
	;; [unrolled: 1-line block ×3, first 2 shown]
	v_cmp_eq_u32_e64 s[26:27], 4, v14
	s_mov_b64 s[34:35], s[0:1]
	v_cmp_eq_u32_e64 s[0:1], 5, v14
	v_cndmask_b32_e64 v32, v32, v94, s[26:27]
	s_mov_b64 s[36:37], s[0:1]
	v_cndmask_b32_e64 v32, v32, v91, s[0:1]
	v_cmp_eq_u32_e64 s[0:1], 6, v14
	v_cndmask_b32_e64 v24, v123, v2, s[6:7]
	v_cndmask_b32_e64 v25, v126, v2, s[40:41]
	;; [unrolled: 1-line block ×5, first 2 shown]
	s_mov_b64 s[40:41], s[0:1]
	v_cmp_eq_u32_e64 s[0:1], 7, v14
	v_cndmask_b32_e64 v8, v102, v33, s[6:7]
	v_cndmask_b32_e64 v4, v119, v34, s[6:7]
	;; [unrolled: 1-line block ×3, first 2 shown]
	s_mov_b64 s[6:7], s[0:1]
	v_cmp_eq_u32_e64 s[0:1], 8, v14
	v_cndmask_b32_e64 v49, v64, v33, s[14:15]
	v_cndmask_b32_e64 v51, v98, v33, s[10:11]
	;; [unrolled: 1-line block ×4, first 2 shown]
	s_mov_b64 s[10:11], s[0:1]
	v_cmp_eq_u32_e64 s[0:1], 9, v14
	v_cndmask_b32_e64 v48, v63, v33, s[18:19]
	v_cndmask_b32_e64 v63, v116, v34, s[12:13]
	v_writelane_b32 v127, s36, 43
	v_cndmask_b32_e64 v32, v32, v87, s[0:1]
	s_mov_b64 s[12:13], s[0:1]
	v_cmp_eq_u32_e64 s[0:1], 10, v14
	v_cndmask_b32_e64 v47, v62, v33, s[20:21]
	v_cndmask_b32_e64 v62, v115, v34, s[14:15]
	v_writelane_b32 v127, s37, 44
	v_cndmask_b32_e64 v32, v32, v86, s[0:1]
	;; [unrolled: 6-line block ×3, first 2 shown]
	s_mov_b64 s[18:19], s[0:1]
	v_cmp_eq_u32_e64 s[0:1], 12, v14
	v_cndmask_b32_e64 v60, v113, v34, s[20:21]
	v_writelane_b32 v127, s41, 46
	v_cndmask_b32_e64 v32, v32, v84, s[0:1]
	s_mov_b64 s[20:21], s[0:1]
	v_cmp_eq_u32_e64 s[0:1], 13, v14
	v_cmp_eq_u32_e64 s[2:3], 14, v14
	v_cndmask_b32_e64 v59, v112, v34, s[22:23]
	v_writelane_b32 v127, s0, 47
	v_cmp_eq_u32_e64 s[22:23], 15, v14
	v_cndmask_b32_e32 v40, v53, v33, vcc
	v_writelane_b32 v127, s1, 48
	v_cndmask_b32_e64 v32, v32, v83, s[0:1]
	v_writelane_b32 v127, s2, 49
	v_cndmask_b32_e64 v33, v10, v9, s[58:59]
	v_cndmask_b32_e32 v53, v105, v34, vcc
	v_writelane_b32 v127, s3, 50
	v_cndmask_b32_e64 v32, v32, v82, s[2:3]
	v_writelane_b32 v127, s22, 37
	s_nop 1
	v_cndmask_b32_e64 v32, v32, v81, s[22:23]
	ds_bpermute_b32 v32, v118, v32
	v_writelane_b32 v127, s23, 38
	s_waitcnt lgkmcnt(0)
	v_cndmask_b32_e64 v82, v82, v32, s[2:3]
	v_readlane_b32 s2, v127, 39
	v_readlane_b32 s3, v127, 40
	v_cndmask_b32_e64 v83, v83, v32, s[0:1]
	v_cmp_eq_u32_e64 s[0:1], 0, v14
	v_cndmask_b32_e64 v33, v33, v67, s[2:3]
	v_cndmask_b32_e64 v33, v33, v66, s[46:47]
	v_cndmask_b32_e64 v33, v33, v79, s[50:51]
	v_cndmask_b32_e64 v33, v33, v78, s[54:55]
	v_cndmask_b32_e64 v33, v33, v77, s[62:63]
	v_cndmask_b32_e64 v33, v33, v76, s[66:67]
	v_cndmask_b32_e64 v33, v33, v75, s[70:71]
	v_cndmask_b32_e64 v33, v33, v74, s[74:75]
	v_cndmask_b32_e64 v33, v33, v73, s[78:79]
	v_cndmask_b32_e64 v33, v33, v72, s[82:83]
	v_cndmask_b32_e64 v33, v33, v71, s[86:87]
	v_cndmask_b32_e64 v33, v33, v70, s[38:39]
	v_cndmask_b32_e64 v33, v33, v69, s[42:43]
	v_cndmask_b32_e64 v33, v33, v68, s[98:99]
	v_writelane_b32 v127, s0, 51
	v_cndmask_b32_e64 v81, v81, v32, s[22:23]
	v_cndmask_b32_e64 v84, v84, v32, s[20:21]
	;; [unrolled: 1-line block ×11, first 2 shown]
	ds_bpermute_b32 v33, v118, v33
	v_cndmask_b32_e64 v92, v92, v32, s[8:9]
	v_cndmask_b32_e64 v93, v93, v32, s[34:35]
	v_writelane_b32 v127, s1, 52
	v_cndmask_b32_e64 v80, v80, v32, s[0:1]
	v_cndmask_b32_e64 v32, v26, v25, s[58:59]
	s_mov_b64 s[0:1], s[2:3]
	v_cndmask_b32_e64 v32, v32, v24, s[0:1]
	v_cndmask_b32_e64 v32, v32, v23, s[46:47]
	;; [unrolled: 1-line block ×5, first 2 shown]
	s_waitcnt lgkmcnt(0)
	v_cndmask_b32_e64 v35, v9, v33, s[58:59]
	v_cndmask_b32_e64 v9, v1, v0, s[58:59]
	;; [unrolled: 1-line block ×21, first 2 shown]
	ds_bpermute_b32 v73, v118, v32
	v_cndmask_b32_e64 v9, v9, v31, s[82:83]
	v_cndmask_b32_e64 v9, v9, v30, s[86:87]
	;; [unrolled: 1-line block ×5, first 2 shown]
	s_waitcnt lgkmcnt(0)
	v_cndmask_b32_e64 v32, v16, v73, s[78:79]
	ds_bpermute_b32 v16, v118, v9
	v_cndmask_b32_e64 v9, v3, v2, s[58:59]
	v_cndmask_b32_e64 v9, v9, v8, s[0:1]
	v_cndmask_b32_e64 v9, v9, v52, s[46:47]
	v_cndmask_b32_e64 v9, v9, v51, s[50:51]
	v_cndmask_b32_e64 v9, v9, v50, s[54:55]
	v_cndmask_b32_e64 v9, v9, v49, s[62:63]
	v_cndmask_b32_e64 v9, v9, v48, s[66:67]
	v_cndmask_b32_e64 v9, v9, v47, s[70:71]
	v_cndmask_b32_e64 v9, v9, v46, s[74:75]
	v_cndmask_b32_e64 v9, v9, v45, s[78:79]
	v_cndmask_b32_e64 v9, v9, v44, s[82:83]
	v_cndmask_b32_e64 v9, v9, v43, s[86:87]
	v_cndmask_b32_e64 v9, v9, v42, s[38:39]
	v_readlane_b32 s2, v127, 41
	v_cndmask_b32_e64 v9, v9, v41, s[42:43]
	v_readlane_b32 s3, v127, 42
	v_cndmask_b32_e64 v9, v9, v40, s[98:99]
	v_cndmask_b32_e64 v68, v68, v33, s[98:99]
	;; [unrolled: 1-line block ×16, first 2 shown]
	ds_bpermute_b32 v17, v118, v9
	v_cndmask_b32_e64 v9, v6, v5, s[58:59]
	v_cndmask_b32_e64 v9, v9, v4, s[0:1]
	v_cndmask_b32_e64 v9, v9, v65, s[46:47]
	v_cndmask_b32_e64 v9, v9, v64, s[50:51]
	v_cndmask_b32_e64 v9, v9, v63, s[54:55]
	v_cndmask_b32_e64 v9, v9, v62, s[62:63]
	v_cndmask_b32_e64 v9, v9, v61, s[66:67]
	v_cndmask_b32_e64 v9, v9, v60, s[70:71]
	v_cndmask_b32_e64 v9, v9, v59, s[74:75]
	v_cndmask_b32_e64 v9, v9, v58, s[78:79]
	v_cndmask_b32_e64 v9, v9, v57, s[82:83]
	v_cndmask_b32_e64 v9, v9, v56, s[86:87]
	v_cndmask_b32_e64 v9, v9, v55, s[38:39]
	v_cndmask_b32_e64 v9, v9, v54, s[42:43]
	v_cndmask_b32_e64 v9, v9, v53, s[98:99]
	v_cndmask_b32_e64 v34, v18, v73, s[70:71]
	ds_bpermute_b32 v18, v118, v9
	v_cndmask_b32_e64 v24, v24, v73, s[0:1]
	s_waitcnt lgkmcnt(2)
	v_cndmask_b32_e64 v9, v7, v16, s[0:1]
	s_waitcnt lgkmcnt(1)
	v_cndmask_b32_e64 v8, v8, v17, s[0:1]
	v_cndmask_b32_e64 v102, v40, v17, s[98:99]
	s_waitcnt lgkmcnt(0)
	v_cndmask_b32_e64 v115, v4, v18, s[0:1]
	s_mov_b64 s[0:1], s[2:3]
	v_cndmask_b32_e64 v97, v53, v18, s[98:99]
	v_cndmask_b32_e64 v53, v41, v17, s[42:43]
	;; [unrolled: 1-line block ×24, first 2 shown]
	scratch_load_dword v17, off, off offset:76 ; 4-byte Folded Reload
	v_cndmask_b32_e64 v25, v25, v73, s[58:59]
	v_cndmask_b32_e64 v26, v26, v73, s[2:3]
	;; [unrolled: 1-line block ×44, first 2 shown]
	ds_bpermute_b32 v49, v118, v37
	v_cndmask_b32_e64 v30, v30, v16, s[86:87]
	v_cndmask_b32_e64 v27, v27, v16, s[98:99]
	s_mov_b64 s[22:23], s[34:35]
	v_cndmask_b32_e64 v29, v29, v16, s[38:39]
	s_waitcnt lgkmcnt(0)
	v_cndmask_b32_e64 v46, v11, v49, s[4:5]
	v_cndmask_b32_e64 v37, v12, v49, s[96:97]
	;; [unrolled: 1-line block ×30, first 2 shown]
	s_waitcnt vmcnt(0)
	v_cmp_eq_u32_e64 s[0:1], 1, v17
	s_mov_b64 s[42:43], s[0:1]
	v_cmp_eq_u32_e64 s[98:99], 14, v17
	v_cndmask_b32_e64 v0, v80, v93, s[0:1]
	v_cmp_eq_u32_e64 s[0:1], 2, v17
	s_mov_b64 s[46:47], s[0:1]
	v_cmp_eq_u32_e64 s[34:35], 15, v17
	v_cndmask_b32_e64 v0, v0, v92, s[0:1]
	v_cmp_eq_u32_e64 s[0:1], 3, v17
	s_mov_b64 s[50:51], s[0:1]
	v_cndmask_b32_e64 v11, v11, v102, s[4:5]
	v_cndmask_b32_e64 v0, v0, v95, s[0:1]
	v_cmp_eq_u32_e64 s[0:1], 4, v17
	s_mov_b64 s[54:55], s[0:1]
	v_cndmask_b32_e64 v12, v12, v97, s[4:5]
	v_cndmask_b32_e64 v0, v0, v94, s[0:1]
	v_cmp_eq_u32_e64 s[0:1], 5, v17
	s_mov_b64 s[58:59], s[0:1]
	ds_bpermute_b32 v11, v118, v11
	v_cndmask_b32_e64 v0, v0, v91, s[0:1]
	v_cmp_eq_u32_e64 s[0:1], 6, v17
	s_mov_b64 s[62:63], s[0:1]
	ds_bpermute_b32 v12, v118, v12
	v_cndmask_b32_e64 v0, v0, v90, s[0:1]
	v_cmp_eq_u32_e64 s[0:1], 7, v17
	s_mov_b64 s[66:67], s[0:1]
	v_cmp_eq_u32_e32 vcc, 0, v17
	v_cndmask_b32_e64 v0, v0, v89, s[0:1]
	v_cmp_eq_u32_e64 s[0:1], 8, v17
	s_mov_b64 s[70:71], s[0:1]
	v_cndmask_b32_e64 v38, v13, v49, s[30:31]
	v_cndmask_b32_e64 v0, v0, v88, s[0:1]
	v_cmp_eq_u32_e64 s[0:1], 9, v17
	s_mov_b64 s[74:75], s[0:1]
	s_waitcnt lgkmcnt(0)
	v_cndmask_b32_e64 v13, v97, v12, s[4:5]
	v_cndmask_b32_e64 v0, v0, v87, s[0:1]
	v_cmp_eq_u32_e64 s[0:1], 10, v17
	s_mov_b64 s[78:79], s[0:1]
	v_cndmask_b32_e64 v43, v34, v49, s[72:73]
	v_cndmask_b32_e64 v0, v0, v86, s[0:1]
	v_cmp_eq_u32_e64 s[0:1], 11, v17
	s_mov_b64 s[82:83], s[0:1]
	;; [unrolled: 4-line block ×3, first 2 shown]
	scratch_store_dword off, v13, off offset:8 ; 4-byte Folded Spill
	v_cndmask_b32_e64 v0, v0, v84, s[0:1]
	v_cmp_eq_u32_e64 s[0:1], 13, v17
	v_cndmask_b32_e64 v13, v98, v12, s[96:97]
	v_cndmask_b32_e64 v98, v112, v12, s[16:17]
	v_writelane_b32 v127, s0, 53
	v_cndmask_b32_e64 v112, v115, v12, s[44:45]
	v_cndmask_b32_e64 v42, v33, v49, s[76:77]
	;; [unrolled: 1-line block ×3, first 2 shown]
	v_writelane_b32 v127, s1, 54
	v_cndmask_b32_e64 v0, v0, v82, s[98:99]
	v_writelane_b32 v127, s34, 41
	v_cndmask_b32_e64 v33, v23, v49, s[48:49]
	v_cndmask_b32_e64 v41, v32, v49, s[80:81]
	;; [unrolled: 1-line block ×3, first 2 shown]
	ds_bpermute_b32 v16, v118, v0
	v_cndmask_b32_e64 v0, v10, v35, s[28:29]
	v_cndmask_b32_e64 v0, v0, v67, s[44:45]
	;; [unrolled: 1-line block ×15, first 2 shown]
	ds_bpermute_b32 v36, v118, v0
	s_waitcnt lgkmcnt(1)
	v_cndmask_b32_e64 v64, v82, v16, s[98:99]
	v_cndmask_b32_e64 v82, v84, v16, s[86:87]
	;; [unrolled: 1-line block ×4, first 2 shown]
	s_waitcnt lgkmcnt(0)
	v_cndmask_b32_e64 v18, v72, v36, s[84:85]
	v_cndmask_b32_e64 v72, v123, v36, s[80:81]
	;; [unrolled: 1-line block ×7, first 2 shown]
	scratch_load_dword v124, off, off offset:80 ; 4-byte Folded Reload
	v_cndmask_b32_e64 v88, v90, v16, s[62:63]
	v_cndmask_b32_e64 v90, v94, v16, s[54:55]
	;; [unrolled: 1-line block ×19, first 2 shown]
	ds_bpermute_b32 v10, v118, v10
	v_writelane_b32 v127, s35, 42
	v_cndmask_b32_e64 v6, v81, v16, s[34:35]
	v_cndmask_b32_e64 v1, v93, v16, s[42:43]
	v_cndmask_b32_e32 v65, v80, v16, vcc
	v_cndmask_b32_e64 v0, v92, v16, s[46:47]
	v_cndmask_b32_e64 v74, v70, v36, s[30:31]
	;; [unrolled: 1-line block ×5, first 2 shown]
	s_waitcnt lgkmcnt(0)
	v_cndmask_b32_e64 v63, v2, v10, s[60:61]
	v_cndmask_b32_e64 v81, v83, v16, s[0:1]
	;; [unrolled: 1-line block ×50, first 2 shown]
	s_waitcnt vmcnt(0)
	v_cmp_eq_u32_e64 s[34:35], 1, v124
	v_cmp_eq_u32_e64 s[36:37], 2, v124
	v_cmp_eq_u32_e64 s[38:39], 3, v124
	v_cndmask_b32_e64 v2, v65, v1, s[34:35]
	v_cndmask_b32_e64 v2, v2, v0, s[36:37]
	v_cndmask_b32_e64 v2, v2, v91, s[38:39]
	v_cmp_eq_u32_e64 s[40:41], 4, v124
	v_cmp_eq_u32_e64 s[44:45], 5, v124
	v_cmp_eq_u32_e64 s[48:49], 6, v124
	v_cndmask_b32_e64 v2, v2, v90, s[40:41]
	v_cndmask_b32_e64 v2, v2, v89, s[44:45]
	v_cndmask_b32_e64 v2, v2, v88, s[48:49]
	;; [unrolled: 6-line block ×4, first 2 shown]
	v_cmp_eq_u32_e64 s[84:85], 13, v124
	v_cmp_eq_u32_e64 s[2:3], 14, v124
	v_cndmask_b32_e64 v49, v27, v10, s[4:5]
	v_cndmask_b32_e64 v2, v2, v81, s[84:85]
	v_writelane_b32 v127, s2, 55
	v_cndmask_b32_e64 v95, v102, v11, s[4:5]
	v_cmp_eq_u32_e64 s[4:5], 15, v124
	v_writelane_b32 v127, s3, 56
	v_cndmask_b32_e64 v2, v2, v64, s[2:3]
	v_writelane_b32 v127, s4, 39
	v_cndmask_b32_e64 v52, v30, v10, s[16:17]
	s_mov_b64 s[16:17], s[22:23]
	v_cndmask_b32_e64 v2, v2, v6, s[4:5]
	ds_bpermute_b32 v19, v118, v2
	v_cndmask_b32_e64 v102, v113, v12, s[80:81]
	v_cndmask_b32_e64 v62, v4, v10, s[28:29]
	;; [unrolled: 1-line block ×4, first 2 shown]
	s_waitcnt lgkmcnt(0)
	v_cndmask_b32_e64 v2, v0, v19, s[36:37]
	v_cndmask_b32_e64 v0, v75, v76, s[16:17]
	v_writelane_b32 v127, s5, 40
	v_cndmask_b32_e64 v0, v0, v77, s[8:9]
	s_mov_b64 s[28:29], s[24:25]
	v_cndmask_b32_e64 v50, v28, v10, s[96:97]
	v_cndmask_b32_e64 v51, v29, v10, s[30:31]
	;; [unrolled: 1-line block ×3, first 2 shown]
	s_mov_b64 s[30:31], s[26:27]
	v_readlane_b32 s96, v127, 43
	v_cndmask_b32_e64 v15, v6, v19, s[4:5]
	v_cndmask_b32_e64 v0, v0, v92, s[30:31]
	v_readlane_b32 s97, v127, 44
	v_readlane_b32 s4, v127, 45
	;; [unrolled: 1-line block ×3, first 2 shown]
	v_cndmask_b32_e64 v0, v0, v93, s[96:97]
	v_readlane_b32 s24, v127, 47
	v_cndmask_b32_e64 v0, v0, v123, s[4:5]
	v_cndmask_b32_e64 v0, v0, v126, s[6:7]
	v_cndmask_b32_e64 v0, v0, v94, s[10:11]
	v_cndmask_b32_e64 v0, v0, v71, s[12:13]
	v_cndmask_b32_e64 v0, v0, v72, s[14:15]
	v_cndmask_b32_e64 v0, v0, v18, s[18:19]
	v_cndmask_b32_e64 v0, v0, v73, s[20:21]
	v_readlane_b32 s25, v127, 48
	v_readlane_b32 s26, v127, 49
	;; [unrolled: 1-line block ×3, first 2 shown]
	v_cndmask_b32_e64 v0, v0, v74, s[24:25]
	v_readlane_b32 s0, v127, 37
	v_cndmask_b32_e64 v0, v0, v17, s[26:27]
	v_readlane_b32 s1, v127, 38
	;; [unrolled: 2-line block ×3, first 2 shown]
	v_cndmask_b32_e64 v0, v0, v16, s[0:1]
	ds_bpermute_b32 v0, v118, v0
	v_readlane_b32 s3, v127, 52
	s_mov_b64 s[22:23], s[20:21]
	v_cndmask_b32_e64 v55, v55, v10, s[76:77]
	s_mov_b64 s[76:77], s[74:75]
	s_waitcnt lgkmcnt(0)
	v_cndmask_b32_e64 v16, v16, v0, s[0:1]
	v_cndmask_b32_e64 v17, v17, v0, s[26:27]
	;; [unrolled: 1-line block ×5, first 2 shown]
	s_mov_b64 s[20:21], s[18:19]
	v_cndmask_b32_e64 v22, v72, v0, s[14:15]
	s_mov_b64 s[18:19], s[14:15]
	v_cndmask_b32_e64 v23, v71, v0, s[12:13]
	;; [unrolled: 2-line block ×5, first 2 shown]
	v_cndmask_b32_e64 v27, v93, v0, s[96:97]
	v_cndmask_b32_e64 v28, v92, v0, s[30:31]
	;; [unrolled: 1-line block ×6, first 2 shown]
	s_mov_b64 s[6:7], s[42:43]
	v_cndmask_b32_e64 v47, v0, v31, s[6:7]
	s_mov_b64 s[42:43], s[46:47]
	v_cndmask_b32_e64 v47, v47, v30, s[42:43]
	;; [unrolled: 2-line block ×8, first 2 shown]
	v_cndmask_b32_e64 v47, v47, v23, s[76:77]
	s_mov_b64 s[74:75], s[78:79]
	v_cndmask_b32_e64 v54, v54, v10, s[80:81]
	v_cndmask_b32_e64 v47, v47, v22, s[74:75]
	s_mov_b64 s[80:81], s[82:83]
	v_cndmask_b32_e64 v47, v47, v18, s[80:81]
	s_mov_b64 s[82:83], s[86:87]
	v_readlane_b32 s86, v127, 53
	v_cndmask_b32_e64 v47, v47, v21, s[82:83]
	v_readlane_b32 s87, v127, 54
	v_readlane_b32 s0, v127, 41
	;; [unrolled: 1-line block ×3, first 2 shown]
	v_cndmask_b32_e64 v47, v47, v20, s[86:87]
	v_cndmask_b32_e64 v47, v47, v17, s[98:99]
	;; [unrolled: 1-line block ×3, first 2 shown]
	ds_bpermute_b32 v47, v118, v47
	scratch_store_dword off, v13, off offset:12 ; 4-byte Folded Spill
	v_cndmask_b32_e64 v13, v81, v19, s[84:85]
	v_cndmask_b32_e64 v12, v82, v19, s[72:73]
	;; [unrolled: 1-line block ×3, first 2 shown]
	s_waitcnt lgkmcnt(0)
	v_cndmask_b32_e64 v16, v16, v47, s[0:1]
	v_cndmask_b32_e64 v17, v17, v47, s[98:99]
	;; [unrolled: 1-line block ×15, first 2 shown]
	v_cndmask_b32_e32 v47, v0, v47, vcc
	v_cndmask_b32_e64 v0, v47, v76, s[34:35]
	v_cndmask_b32_e64 v0, v0, v75, s[36:37]
	;; [unrolled: 1-line block ×11, first 2 shown]
	s_mov_b64 s[74:75], s[70:71]
	v_cndmask_b32_e64 v0, v0, v21, s[72:73]
	v_readlane_b32 s70, v127, 55
	s_mov_b64 s[66:67], s[62:63]
	s_mov_b64 s[62:63], s[58:59]
	;; [unrolled: 1-line block ×4, first 2 shown]
	v_cndmask_b32_e64 v0, v0, v20, s[84:85]
	v_readlane_b32 s71, v127, 56
	v_readlane_b32 s50, v127, 39
	;; [unrolled: 1-line block ×3, first 2 shown]
	v_cndmask_b32_e64 v0, v0, v17, s[70:71]
	v_cmp_eq_u32_e64 s[0:1], 0, v124
	v_cndmask_b32_e64 v0, v0, v16, s[50:51]
	ds_bpermute_b32 v77, v118, v0
	v_cndmask_b32_e64 v0, v65, v19, s[0:1]
	v_writelane_b32 v127, s0, 57
	v_cndmask_b32_e64 v10, v84, v19, s[64:65]
	v_cndmask_b32_e64 v9, v85, v19, s[60:61]
	s_waitcnt lgkmcnt(0)
	v_cndmask_b32_e64 v31, v16, v77, s[50:51]
	v_cndmask_b32_e64 v16, v36, v35, s[16:17]
	;; [unrolled: 1-line block ×7, first 2 shown]
	s_mov_b64 s[70:71], s[4:5]
	v_cndmask_b32_e64 v16, v16, v45, s[70:71]
	v_cndmask_b32_e64 v16, v16, v44, s[10:11]
	;; [unrolled: 1-line block ×6, first 2 shown]
	v_writelane_b32 v127, s1, 58
	v_cndmask_b32_e64 v16, v16, v39, s[22:23]
	v_cndmask_b32_e64 v16, v16, v38, s[24:25]
	v_readlane_b32 s50, v127, 37
	v_cndmask_b32_e64 v16, v16, v37, s[26:27]
	v_readlane_b32 s51, v127, 38
	v_readlane_b32 s4, v127, 41
	;; [unrolled: 1-line block ×3, first 2 shown]
	v_cndmask_b32_e64 v16, v16, v46, s[50:51]
	ds_bpermute_b32 v16, v118, v16
	v_cndmask_b32_e64 v8, v86, v19, s[56:57]
	v_cndmask_b32_e64 v7, v87, v19, s[52:53]
	;; [unrolled: 1-line block ×4, first 2 shown]
	s_waitcnt lgkmcnt(0)
	v_cndmask_b32_e64 v46, v46, v16, s[50:51]
	v_cndmask_b32_e64 v37, v37, v16, s[26:27]
	;; [unrolled: 1-line block ×16, first 2 shown]
	s_mov_b64 s[50:51], s[6:7]
	v_cndmask_b32_e64 v36, v16, v35, s[50:51]
	v_cndmask_b32_e64 v36, v36, v34, s[42:43]
	;; [unrolled: 1-line block ×15, first 2 shown]
	ds_bpermute_b32 v36, v118, v36
	v_cndmask_b32_e64 v4, v90, v19, s[40:41]
	v_cndmask_b32_e64 v3, v91, v19, s[38:39]
	;; [unrolled: 1-line block ×4, first 2 shown]
	s_waitcnt lgkmcnt(0)
	v_cndmask_b32_e64 v46, v46, v36, s[4:5]
	s_mov_b64 s[4:5], vcc
	v_cndmask_b32_e64 v20, v73, v77, s[40:41]
	v_cndmask_b32_e64 v19, v74, v77, s[38:39]
	;; [unrolled: 1-line block ×34, first 2 shown]
	v_readlane_b32 s6, v127, 55
	v_cndmask_b32_e64 v37, v37, v36, s[98:99]
	v_cndmask_b32_e64 v16, v16, v38, s[84:85]
	v_readlane_b32 s7, v127, 56
	v_readlane_b32 s2, v127, 39
	;; [unrolled: 1-line block ×3, first 2 shown]
	v_cndmask_b32_e64 v16, v16, v37, s[6:7]
	v_cndmask_b32_e64 v27, v18, v77, s[68:69]
	;; [unrolled: 1-line block ×4, first 2 shown]
	ds_bpermute_b32 v75, v118, v16
	v_cndmask_b32_e64 v16, v47, v77, s[0:1]
	v_readlane_b32 s0, v127, 37
	v_readlane_b32 s1, v127, 38
	v_cndmask_b32_e64 v24, v24, v77, s[56:57]
	s_waitcnt lgkmcnt(0)
	v_cndmask_b32_e64 v36, v32, v75, s[40:41]
	v_cndmask_b32_e64 v32, v63, v62, s[16:17]
	;; [unrolled: 1-line block ×9, first 2 shown]
	s_mov_b64 s[6:7], s[10:11]
	v_cndmask_b32_e64 v32, v32, v110, s[6:7]
	s_mov_b64 s[10:11], s[12:13]
	v_cndmask_b32_e64 v32, v32, v56, s[10:11]
	;; [unrolled: 2-line block ×6, first 2 shown]
	v_cndmask_b32_e64 v32, v32, v51, s[24:25]
	v_cndmask_b32_e64 v32, v32, v50, s[26:27]
	;; [unrolled: 1-line block ×3, first 2 shown]
	ds_bpermute_b32 v32, v118, v32
	v_cndmask_b32_e64 v37, v48, v75, s[44:45]
	v_readlane_b32 s2, v127, 41
	v_readlane_b32 s3, v127, 42
	v_cndmask_b32_e64 v17, v76, v77, s[34:35]
	s_waitcnt lgkmcnt(0)
	v_cndmask_b32_e64 v48, v49, v32, s[0:1]
	v_readlane_b32 s0, v127, 51
	v_readlane_b32 s1, v127, 52
	v_cndmask_b32_e64 v49, v50, v32, s[26:27]
	v_cndmask_b32_e64 v50, v51, v32, s[24:25]
	;; [unrolled: 1-line block ×30, first 2 shown]
	ds_bpermute_b32 v63, v118, v63
	v_cndmask_b32_e64 v35, v33, v75, s[38:39]
	v_cndmask_b32_e64 v33, v73, v75, s[34:35]
	;; [unrolled: 1-line block ×4, first 2 shown]
	s_waitcnt lgkmcnt(0)
	v_cndmask_b32_e64 v77, v62, v63, s[50:51]
	v_cndmask_b32_e64 v78, v32, v63, s[4:5]
	;; [unrolled: 1-line block ×31, first 2 shown]
	s_mov_b64 vcc, s[42:43]
	v_cndmask_b32_e64 v32, v32, v51, s[72:73]
	v_readlane_b32 s42, v127, 55
	s_mov_b64 s[20:21], s[18:19]
	s_mov_b64 s[18:19], s[14:15]
	;; [unrolled: 1-line block ×5, first 2 shown]
	v_cndmask_b32_e64 v49, v49, v63, s[98:99]
	v_cndmask_b32_e64 v32, v32, v50, s[84:85]
	v_readlane_b32 s43, v127, 56
	v_readlane_b32 s6, v127, 39
	v_cndmask_b32_e64 v48, v48, v63, s[2:3]
	v_cndmask_b32_e64 v32, v32, v49, s[42:43]
	v_readlane_b32 s7, v127, 40
	s_mov_b64 s[2:3], s[4:5]
	v_readlane_b32 s4, v127, 57
	v_cndmask_b32_e64 v32, v32, v48, s[6:7]
	ds_bpermute_b32 v81, v118, v32
	v_readlane_b32 s5, v127, 58
	v_cndmask_b32_e64 v34, v34, v75, s[36:37]
	s_waitcnt lgkmcnt(0)
	v_cndmask_b32_e64 v63, v48, v81, s[6:7]
	v_cndmask_b32_e64 v48, v79, v115, s[16:17]
	;; [unrolled: 1-line block ×15, first 2 shown]
	s_mov_b64 s[6:7], s[34:35]
	v_cndmask_b32_e64 v48, v48, v66, s[24:25]
	v_readlane_b32 s34, v127, 37
	v_cndmask_b32_e64 v48, v48, v80, s[26:27]
	v_readlane_b32 s35, v127, 38
	v_cndmask_b32_e64 v32, v74, v75, s[4:5]
	v_cndmask_b32_e64 v61, v50, v81, s[84:85]
	;; [unrolled: 1-line block ×3, first 2 shown]
	ds_bpermute_b32 v48, v118, v48
	v_cndmask_b32_e64 v60, v51, v81, s[72:73]
	v_cndmask_b32_e64 v59, v52, v81, s[68:69]
	;; [unrolled: 1-line block ×11, first 2 shown]
	s_waitcnt lgkmcnt(0)
	v_cndmask_b32_e64 v64, v95, v48, s[34:35]
	v_cndmask_b32_e64 v65, v80, v48, s[26:27]
	;; [unrolled: 1-line block ×16, first 2 shown]
	s_mov_b64 s[42:43], s[50:51]
	v_cndmask_b32_e64 v79, v48, v80, s[42:43]
	s_mov_b64 s[0:1], vcc
	v_cndmask_b32_e64 v79, v79, v77, s[0:1]
	v_cndmask_b32_e64 v79, v79, v76, s[46:47]
	s_mov_b64 s[50:51], s[54:55]
	v_cndmask_b32_e64 v79, v79, v75, s[50:51]
	s_mov_b64 s[54:55], s[58:59]
	;; [unrolled: 2-line block ×7, first 2 shown]
	v_cndmask_b32_e64 v79, v79, v69, s[74:75]
	v_cndmask_b32_e64 v79, v79, v68, s[80:81]
	;; [unrolled: 1-line block ×4, first 2 shown]
	v_readlane_b32 s76, v127, 41
	v_cndmask_b32_e64 v79, v79, v65, s[98:99]
	v_readlane_b32 s77, v127, 42
	s_mov_b64 s[78:79], s[80:81]
	scratch_load_dwordx2 v[122:123], off, off ; 8-byte Folded Reload
	v_cndmask_b32_e64 v79, v79, v64, s[76:77]
	ds_bpermute_b32 v79, v118, v79
	s_mov_b64 vcc, s[50:51]
	s_waitcnt lgkmcnt(0)
	v_cndmask_b32_e64 v82, v64, v79, s[76:77]
	v_cndmask_b32_e64 v89, v80, v79, s[42:43]
	;; [unrolled: 1-line block ×27, first 2 shown]
	s_mov_b64 s[76:77], s[84:85]
	v_readlane_b32 s80, v127, 55
	v_cndmask_b32_e64 v65, v65, v79, s[98:99]
	v_cndmask_b32_e64 v48, v48, v66, s[76:77]
	v_readlane_b32 s81, v127, 56
	v_readlane_b32 s84, v127, 39
	;; [unrolled: 1-line block ×3, first 2 shown]
	v_cndmask_b32_e64 v48, v48, v65, s[80:81]
	s_mov_b64 s[50:51], s[0:1]
	v_cndmask_b32_e64 v48, v48, v82, s[84:85]
	ds_bpermute_b32 v80, v118, v48
	v_cndmask_b32_e64 v48, v78, v81, s[4:5]
	v_cndmask_b32_e64 v81, v114, v113, s[16:17]
	;; [unrolled: 1-line block ×4, first 2 shown]
	s_waitcnt lgkmcnt(0)
	v_cndmask_b32_e64 v72, v71, v80, s[56:57]
	v_cndmask_b32_e64 v71, v83, v80, s[52:53]
	scratch_load_dword v83, off, off offset:12 ; 4-byte Folded Reload
	v_cndmask_b32_e64 v79, v82, v80, s[84:85]
	scratch_load_dword v82, off, off offset:8 ; 4-byte Folded Reload
	scratch_load_dword v115, off, off offset:44 ; 4-byte Folded Reload
	scratch_load_dword v116, off, off offset:48 ; 4-byte Folded Reload
	scratch_load_dword v100, off, off offset:108 ; 4-byte Folded Reload
	v_cndmask_b32_e64 v81, v81, v109, s[30:31]
	v_readlane_b32 s0, v127, 45
	v_cndmask_b32_e64 v81, v81, v108, s[96:97]
	v_readlane_b32 s1, v127, 46
	v_cndmask_b32_e64 v78, v65, v80, s[80:81]
	v_cndmask_b32_e64 v77, v66, v80, s[76:77]
	;; [unrolled: 1-line block ×21, first 2 shown]
	s_waitcnt vmcnt(4)
	v_cndmask_b32_e64 v81, v81, v83, s[26:27]
	s_waitcnt vmcnt(3)
	v_cndmask_b32_e64 v81, v81, v82, s[34:35]
	ds_bpermute_b32 v81, v118, v81
	s_waitcnt lgkmcnt(0)
	v_cndmask_b32_e64 v91, v107, v81, s[0:1]
	v_readlane_b32 s0, v127, 51
	v_readlane_b32 s1, v127, 52
	v_cndmask_b32_e64 v82, v82, v81, s[34:35]
	v_cndmask_b32_e64 v83, v83, v81, s[26:27]
	;; [unrolled: 1-line block ×18, first 2 shown]
	v_cndmask_b32_e32 v97, v97, v93, vcc
	v_cndmask_b32_e64 v97, v97, v92, s[54:55]
	v_cndmask_b32_e64 v97, v97, v91, s[58:59]
	;; [unrolled: 1-line block ×9, first 2 shown]
	v_readlane_b32 s0, v127, 41
	v_cndmask_b32_e64 v97, v97, v83, s[98:99]
	v_readlane_b32 s1, v127, 42
	s_mov_b64 s[8:9], s[6:7]
	v_readlane_b32 s14, v127, 10
	v_cndmask_b32_e64 v97, v97, v82, s[0:1]
	ds_bpermute_b32 v97, v118, v97
	v_readlane_b32 s24, v127, 12
	v_readlane_b32 s28, v127, 17
	s_mov_b32 s6, 0
	v_readlane_b32 s12, v127, 1
	s_waitcnt lgkmcnt(0)
	v_cndmask_b32_e64 v82, v82, v97, s[0:1]
	v_cndmask_b32_e64 v83, v83, v97, s[98:99]
	;; [unrolled: 1-line block ×11, first 2 shown]
	v_cndmask_b32_e32 v105, v93, v97, vcc
	v_cndmask_b32_e64 v106, v94, v97, s[46:47]
	v_cndmask_b32_e64 v107, v95, v97, s[50:51]
	;; [unrolled: 1-line block ×19, first 2 shown]
	ds_bpermute_b32 v108, v118, v81
	v_readlane_b32 s42, v127, 32
	v_readlane_b32 s46, v127, 28
	;; [unrolled: 1-line block ×4, first 2 shown]
	s_waitcnt lgkmcnt(0)
	v_cndmask_b32_e64 v94, v83, v108, s[80:81]
	v_cndmask_b32_e64 v83, v106, v108, s[38:39]
	v_readlane_b32 s39, v127, 36
	s_mul_i32 s0, s39, s89
	v_cndmask_b32_e64 v90, v87, v108, s[64:65]
	v_cndmask_b32_e64 v89, v88, v108, s[60:61]
	;; [unrolled: 1-line block ×4, first 2 shown]
	s_ashr_i32 s1, s0, 31
	v_readlane_b32 s52, v127, 2
	v_cndmask_b32_e64 v92, v85, v108, s[72:73]
	v_cndmask_b32_e64 v85, v103, v108, s[44:45]
	s_lshl_b64 s[0:1], s[0:1], 1
	v_readlane_b32 s56, v127, 6
	v_readlane_b32 s44, v127, 30
	;; [unrolled: 1-line block ×3, first 2 shown]
	s_add_u32 s2, s56, s0
	v_readlane_b32 s45, v127, 31
	s_addc_u32 s3, s57, s1
	s_ashr_i32 s45, s44, 31
	s_lshl_b64 s[0:1], s[44:45], 1
	s_add_u32 s0, s2, s0
	v_cndmask_b32_e64 v93, v84, v108, s[76:77]
	v_cndmask_b32_e64 v91, v86, v108, s[68:69]
	;; [unrolled: 1-line block ×4, first 2 shown]
	s_addc_u32 s1, s3, s1
	v_readlane_b32 s40, v127, 35
	v_readlane_b32 s48, v127, 26
	v_cndmask_b32_e64 v95, v82, v108, s[84:85]
	v_cndmask_b32_e64 v82, v107, v108, s[36:37]
	v_readlane_b32 s53, v127, 3
	v_readlane_b32 s54, v127, 4
	;; [unrolled: 1-line block ×5, first 2 shown]
	s_max_i32 s7, s40, 0
	v_cndmask_b32_e64 v81, v96, v108, s[8:9]
	v_cndmask_b32_e64 v80, v97, v108, s[4:5]
	v_lshl_add_u64 v[102:103], s[0:1], 0, v[122:123]
	s_mov_b64 s[0:1], 0
	s_mov_b32 s8, 0
	v_readlane_b32 s13, v127, 14
	v_readlane_b32 s26, v127, 15
	;; [unrolled: 1-line block ×15, first 2 shown]
                                        ; implicit-def: $sgpr2_sgpr3
	s_branch .LBB141_37
.LBB141_36:                             ;   in Loop: Header=BB141_37 Depth=2
	s_or_b64 exec, exec, s[4:5]
	s_and_b64 s[4:5], exec, s[2:3]
	s_or_b64 s[0:1], s[4:5], s[0:1]
	s_andn2_b64 exec, exec, s[0:1]
	s_cbranch_execz .LBB141_39
.LBB141_37:                             ;   Parent Loop BB141_7 Depth=1
                                        ; =>  This Inner Loop Header: Depth=2
	s_and_b32 s4, s8, 2
	s_and_b32 s5, s6, 24
	s_or_b32 s4, s5, s4
	s_waitcnt vmcnt(0)
	v_or_b32_e32 v96, s4, v100
	v_add_u32_e32 v97, s7, v96
	v_cmp_gt_u32_e32 vcc, 32, v97
	s_or_b64 s[2:3], s[2:3], exec
	s_and_saveexec_b64 s[4:5], vcc
	s_cbranch_execz .LBB141_36
; %bb.38:                               ;   in Loop: Header=BB141_37 Depth=2
	s_add_i32 s9, s8, 1
	s_set_gpr_idx_on s8, gpr_idx(SRC0)
	v_mov_b32_e32 v97, v0
	s_set_gpr_idx_off
	v_cvt_f16_f32_e32 v98, v97
	s_set_gpr_idx_on s9, gpr_idx(SRC0)
	v_mov_b32_e32 v97, v0
	s_set_gpr_idx_off
	v_cvt_f16_f32_sdwa v99, v97 dst_sel:WORD_1 dst_unused:UNUSED_PAD src0_sel:DWORD
	v_mul_lo_u32 v96, v96, s89
	v_ashrrev_i32_e32 v97, 31, v96
	v_lshl_add_u64 v[96:97], v[96:97], 1, v[102:103]
	v_or_b32_e32 v98, v99, v98
	;;#ASMSTART
	global_atomic_pk_add_f16 v[96:97], v98, off
	
	;;#ASMEND
	s_set_gpr_idx_on s8, gpr_idx(SRC0)
	v_mov_b32_e32 v98, v16
	s_set_gpr_idx_off
	v_cvt_f16_f32_e32 v105, v98
	s_set_gpr_idx_on s9, gpr_idx(SRC0)
	v_mov_b32_e32 v98, v16
	s_set_gpr_idx_off
	v_cvt_f16_f32_sdwa v106, v98 dst_sel:WORD_1 dst_unused:UNUSED_PAD src0_sel:DWORD
	v_lshl_add_u64 v[98:99], v[96:97], 0, 64
	s_mov_b64 s[10:11], 0x80
	s_add_i32 s6, s6, 4
	v_or_b32_e32 v105, v106, v105
	;;#ASMSTART
	global_atomic_pk_add_f16 v[98:99], v105, off
	
	;;#ASMEND
	s_set_gpr_idx_on s8, gpr_idx(SRC0)
	v_mov_b32_e32 v98, v32
	s_set_gpr_idx_off
	v_cvt_f16_f32_e32 v105, v98
	s_set_gpr_idx_on s9, gpr_idx(SRC0)
	v_mov_b32_e32 v98, v32
	s_set_gpr_idx_off
	v_cvt_f16_f32_sdwa v106, v98 dst_sel:WORD_1 dst_unused:UNUSED_PAD src0_sel:DWORD
	v_lshl_add_u64 v[98:99], v[96:97], 0, s[10:11]
	s_mov_b64 s[10:11], 0xc0
	v_or_b32_e32 v105, v106, v105
	;;#ASMSTART
	global_atomic_pk_add_f16 v[98:99], v105, off
	
	;;#ASMEND
	s_set_gpr_idx_on s8, gpr_idx(SRC0)
	v_mov_b32_e32 v98, v48
	s_set_gpr_idx_off
	v_cvt_f16_f32_e32 v105, v98
	s_set_gpr_idx_on s9, gpr_idx(SRC0)
	v_mov_b32_e32 v98, v48
	s_set_gpr_idx_off
	v_cvt_f16_f32_sdwa v106, v98 dst_sel:WORD_1 dst_unused:UNUSED_PAD src0_sel:DWORD
	v_lshl_add_u64 v[98:99], v[96:97], 0, s[10:11]
	s_mov_b64 s[10:11], 0x100
	;; [unrolled: 15-line block ×3, first 2 shown]
	v_lshl_add_u64 v[96:97], v[96:97], 0, s[10:11]
	v_or_b32_e32 v105, v106, v105
	;;#ASMSTART
	global_atomic_pk_add_f16 v[98:99], v105, off
	
	;;#ASMEND
	s_set_gpr_idx_on s8, gpr_idx(SRC0)
	v_mov_b32_e32 v98, v80
	s_set_gpr_idx_off
	v_cvt_f16_f32_e32 v98, v98
	s_set_gpr_idx_on s9, gpr_idx(SRC0)
	v_mov_b32_e32 v99, v80
	s_set_gpr_idx_off
	s_add_i32 s8, s8, 2
	v_cvt_f16_f32_sdwa v99, v99 dst_sel:WORD_1 dst_unused:UNUSED_PAD src0_sel:DWORD
	s_cmp_eq_u32 s8, 16
	s_cselect_b64 s[10:11], -1, 0
	s_andn2_b64 s[2:3], s[2:3], exec
	s_and_b64 s[10:11], s[10:11], exec
	s_or_b64 s[2:3], s[2:3], s[10:11]
	v_or_b32_e32 v98, v99, v98
	;;#ASMSTART
	global_atomic_pk_add_f16 v[96:97], v98, off
	
	;;#ASMEND
	s_branch .LBB141_36
.LBB141_39:                             ;   in Loop: Header=BB141_7 Depth=1
	s_or_b64 exec, exec, s[0:1]
	scratch_load_dword v13, off, off offset:36 ; 4-byte Folded Reload
	scratch_load_dword v120, off, off offset:40 ; 4-byte Folded Reload
	scratch_load_dwordx2 v[14:15], off, off offset:84 ; 8-byte Folded Reload
	scratch_load_dword v16, off, off offset:100 ; 4-byte Folded Reload
	scratch_load_dword v17, off, off offset:104 ; 4-byte Folded Reload
	v_readlane_b32 s11, v127, 0
.LBB141_40:                             ;   in Loop: Header=BB141_7 Depth=1
	s_or_b64 exec, exec, s[48:49]
.LBB141_41:                             ;   in Loop: Header=BB141_7 Depth=1
	s_andn2_saveexec_b64 s[0:1], s[46:47]
	s_cbranch_execz .LBB141_50
; %bb.42:                               ;   in Loop: Header=BB141_7 Depth=1
	s_mul_i32 s10, s92, 6
	v_cmp_gt_i32_e32 vcc, s10, v101
	s_and_saveexec_b64 s[2:3], vcc
	s_cbranch_execz .LBB141_49
; %bb.43:                               ;   in Loop: Header=BB141_7 Depth=1
	scratch_load_dwordx2 v[0:1], off, off offset:92 ; 8-byte Folded Reload
	s_mul_i32 s4, s44, s91
	s_ashr_i32 s5, s4, 31
	s_add_u32 s4, s54, s4
	s_addc_u32 s5, s55, s5
	s_ashr_i32 s6, s41, 31
	s_add_u32 s4, s4, s41
	s_addc_u32 s5, s5, s6
	s_waitcnt vmcnt(0)
	v_lshl_add_u64 v[0:1], s[4:5], 0, v[0:1]
	v_lshl_add_u64 v[8:9], v[0:1], 0, v[14:15]
	s_mov_b64 s[4:5], 0
	s_branch .LBB141_45
.LBB141_44:                             ;   in Loop: Header=BB141_45 Depth=2
	s_or_b64 exec, exec, s[6:7]
	v_lshl_or_b32 v12, v10, 11, v16
	;;#ASMSTART
	s_waitcnt vmcnt(1)
	;;#ASMEND
	ds_write2_b32 v12, v4, v5 offset1:32
	ds_write2_b32 v12, v6, v7 offset0:64 offset1:96
	v_add_u32_e32 v4, 0x400, v12
	v_add_u32_e32 v101, s94, v101
	;;#ASMSTART
	s_waitcnt vmcnt(0)
	;;#ASMEND
	ds_write2_b32 v4, v0, v1 offset1:32
	ds_write2_b32 v4, v2, v3 offset0:64 offset1:96
	v_add_u32_e32 v0, 1, v111
	v_add_u32_e32 v104, s94, v10
	v_cmp_le_i32_e32 vcc, s10, v101
	ds_write_b32 v11, v0 offset:12
	v_add_u32_e32 v0, 2, v111
	s_or_b64 s[4:5], vcc, s[4:5]
	v_cmp_lt_i32_e32 vcc, 17, v104
	s_nop 1
	v_cndmask_b32_e32 v111, v111, v0, vcc
	s_andn2_b64 exec, exec, s[4:5]
	s_cbranch_execz .LBB141_48
.LBB141_45:                             ;   Parent Loop BB141_7 Depth=1
                                        ; =>  This Loop Header: Depth=2
                                        ;       Child Loop BB141_47 Depth 3
	v_not_b32_e32 v0, 17
	v_cmp_gt_i32_e32 vcc, 18, v104
	s_mov_b32 s6, 0x2aaaaaab
	s_nop 0
	v_cndmask_b32_e64 v0, v0, 0, vcc
	v_add_u32_e32 v10, v0, v104
	v_mul_hi_i32 v0, v101, s6
	v_lshrrev_b32_e32 v1, 31, v0
	v_add_u32_e32 v0, v0, v1
	v_mul_lo_u32 v1, v0, 6
	v_sub_u32_e32 v2, v101, v1
	v_lshlrev_b32_e32 v0, 6, v0
	v_ashrrev_i32_e32 v1, 31, v0
	v_mul_lo_u32 v2, s31, v2
	v_lshl_add_u64 v[0:1], v[8:9], 0, v[0:1]
	v_ashrrev_i32_e32 v3, 31, v2
	v_lshl_add_u64 v[0:1], v[0:1], 0, v[2:3]
	v_lshlrev_b32_e32 v11, 2, v10
	;;#ASMSTART
	global_load_dwordx4 v[4:7], v[0:1], off offset:0   sc0 sc1 nt  
	global_load_dwordx4 v[0:3], v[0:1], off offset:32  sc0 sc1 nt  
	
	;;#ASMEND
	ds_read_b32 v12, v11 offset:43020
	v_add_u32_e32 v11, 0xa800, v11
	s_waitcnt lgkmcnt(0)
	v_cmp_ne_u32_e32 vcc, v12, v111
	s_and_saveexec_b64 s[6:7], vcc
	s_cbranch_execz .LBB141_44
; %bb.46:                               ;   in Loop: Header=BB141_45 Depth=2
	s_mov_b64 s[8:9], 0
.LBB141_47:                             ;   Parent Loop BB141_7 Depth=1
                                        ;     Parent Loop BB141_45 Depth=2
                                        ; =>    This Inner Loop Header: Depth=3
	;;#ASMSTART
	s_sleep 0
	;;#ASMEND
	ds_read_b32 v12, v11 offset:12
	s_waitcnt lgkmcnt(0)
	v_cmp_eq_u32_e32 vcc, v12, v111
	s_or_b64 s[8:9], vcc, s[8:9]
	s_andn2_b64 exec, exec, s[8:9]
	s_cbranch_execnz .LBB141_47
	s_branch .LBB141_44
.LBB141_48:                             ;   in Loop: Header=BB141_7 Depth=1
	s_or_b64 exec, exec, s[4:5]
.LBB141_49:                             ;   in Loop: Header=BB141_7 Depth=1
	s_or_b64 exec, exec, s[2:3]
	v_subrev_u32_e32 v101, s10, v101
.LBB141_50:                             ;   in Loop: Header=BB141_7 Depth=1
	s_or_b64 exec, exec, s[0:1]
.LBB141_51:                             ;   in Loop: Header=BB141_7 Depth=1
	s_andn2_saveexec_b64 s[0:1], s[42:43]
	s_cbranch_execz .LBB141_6
; %bb.52:                               ;   in Loop: Header=BB141_7 Depth=1
	v_cmp_gt_i32_e32 vcc, s92, v101
	s_and_saveexec_b64 s[2:3], vcc
	s_cbranch_execz .LBB141_5
; %bb.53:                               ;   in Loop: Header=BB141_7 Depth=1
	s_mul_i32 s4, s39, s90
	s_ashr_i32 s5, s4, 31
	s_add_u32 s4, s52, s4
	s_addc_u32 s5, s53, s5
	s_ashr_i32 s6, s41, 31
	s_waitcnt vmcnt(3)
	v_mul_lo_u32 v0, s90, v120
	s_waitcnt vmcnt(0)
	v_cmp_le_i32_e32 vcc, s40, v17
	s_add_u32 s4, s4, s41
	s_addc_u32 s5, s5, s6
	v_cndmask_b32_e32 v0, 0, v0, vcc
	v_ashrrev_i32_e32 v1, 31, v0
	v_lshl_add_u64 v[0:1], s[4:5], 0, v[0:1]
	v_lshl_add_u64 v[8:9], v[0:1], 0, v[14:15]
	s_mov_b64 s[4:5], 0
	s_branch .LBB141_55
.LBB141_54:                             ;   in Loop: Header=BB141_55 Depth=2
	s_or_b64 exec, exec, s[6:7]
	v_lshl_add_u32 v12, v10, 11, v125
	;;#ASMSTART
	s_waitcnt vmcnt(1)
	;;#ASMEND
	ds_write2_b32 v12, v4, v5 offset1:32
	ds_write2_b32 v12, v6, v7 offset0:64 offset1:96
	v_add_u32_e32 v4, 0x400, v12
	v_add_u32_e32 v101, s93, v101
	;;#ASMSTART
	s_waitcnt vmcnt(0)
	;;#ASMEND
	ds_write2_b32 v4, v0, v1 offset1:32
	ds_write2_b32 v4, v2, v3 offset0:64 offset1:96
	v_add_u32_e32 v0, 1, v111
	v_add_u32_e32 v104, s93, v10
	v_cmp_le_i32_e32 vcc, s92, v101
	ds_write_b32 v11, v0
	v_add_u32_e32 v0, 2, v111
	s_or_b64 s[4:5], vcc, s[4:5]
	v_cmp_lt_i32_e32 vcc, 2, v104
	s_nop 1
	v_cndmask_b32_e32 v111, v111, v0, vcc
	s_andn2_b64 exec, exec, s[4:5]
	s_cbranch_execz .LBB141_4
.LBB141_55:                             ;   Parent Loop BB141_7 Depth=1
                                        ; =>  This Loop Header: Depth=2
                                        ;       Child Loop BB141_57 Depth 3
	v_cmp_gt_i32_e32 vcc, 3, v104
	s_nop 1
	v_cndmask_b32_e64 v0, -3, 0, vcc
	v_add_u32_e32 v10, v0, v104
	v_lshlrev_b32_e32 v0, 6, v101
	v_ashrrev_i32_e32 v1, 31, v0
	v_lshl_add_u64 v[0:1], v[8:9], 0, v[0:1]
	v_lshlrev_b32_e32 v11, 2, v10
	;;#ASMSTART
	global_load_dwordx4 v[4:7], v[0:1], off offset:0   
	global_load_dwordx4 v[0:3], v[0:1], off offset:32  
	
	;;#ASMEND
	ds_read_b32 v12, v11 offset:43008
	v_add_u32_e32 v11, 0xa800, v11
	s_waitcnt lgkmcnt(0)
	v_cmp_ne_u32_e32 vcc, v12, v111
	s_and_saveexec_b64 s[6:7], vcc
	s_cbranch_execz .LBB141_54
; %bb.56:                               ;   in Loop: Header=BB141_55 Depth=2
	s_mov_b64 s[8:9], 0
.LBB141_57:                             ;   Parent Loop BB141_7 Depth=1
                                        ;     Parent Loop BB141_55 Depth=2
                                        ; =>    This Inner Loop Header: Depth=3
	;;#ASMSTART
	s_sleep 0
	;;#ASMEND
	ds_read_b32 v12, v11
	s_waitcnt lgkmcnt(0)
	v_cmp_eq_u32_e32 vcc, v12, v111
	s_or_b64 s[8:9], vcc, s[8:9]
	s_andn2_b64 exec, exec, s[8:9]
	s_cbranch_execnz .LBB141_57
	s_branch .LBB141_54
.LBB141_58:
	s_endpgm
	.section	.rodata,"a",@progbits
	.p2align	6, 0x0
	.amdhsa_kernel _Z19_skinny_gemm_kernelILi1ELi6ELi3ELi32ELi4EEvPKhS1_P6__halfPKfiiiiiiii
		.amdhsa_group_segment_fixed_size 43092
		.amdhsa_private_segment_fixed_size 116
		.amdhsa_kernarg_size 64
		.amdhsa_user_sgpr_count 2
		.amdhsa_user_sgpr_dispatch_ptr 0
		.amdhsa_user_sgpr_queue_ptr 0
		.amdhsa_user_sgpr_kernarg_segment_ptr 1
		.amdhsa_user_sgpr_dispatch_id 0
		.amdhsa_user_sgpr_kernarg_preload_length 0
		.amdhsa_user_sgpr_kernarg_preload_offset 0
		.amdhsa_user_sgpr_private_segment_size 0
		.amdhsa_uses_dynamic_stack 0
		.amdhsa_enable_private_segment 1
		.amdhsa_system_sgpr_workgroup_id_x 1
		.amdhsa_system_sgpr_workgroup_id_y 0
		.amdhsa_system_sgpr_workgroup_id_z 0
		.amdhsa_system_sgpr_workgroup_info 0
		.amdhsa_system_vgpr_workitem_id 0
		.amdhsa_next_free_vgpr 128
		.amdhsa_next_free_sgpr 100
		.amdhsa_accum_offset 128
		.amdhsa_reserve_vcc 1
		.amdhsa_float_round_mode_32 0
		.amdhsa_float_round_mode_16_64 0
		.amdhsa_float_denorm_mode_32 3
		.amdhsa_float_denorm_mode_16_64 3
		.amdhsa_dx10_clamp 1
		.amdhsa_ieee_mode 1
		.amdhsa_fp16_overflow 0
		.amdhsa_tg_split 0
		.amdhsa_exception_fp_ieee_invalid_op 0
		.amdhsa_exception_fp_denorm_src 0
		.amdhsa_exception_fp_ieee_div_zero 0
		.amdhsa_exception_fp_ieee_overflow 0
		.amdhsa_exception_fp_ieee_underflow 0
		.amdhsa_exception_fp_ieee_inexact 0
		.amdhsa_exception_int_div_zero 0
	.end_amdhsa_kernel
	.section	.text._Z19_skinny_gemm_kernelILi1ELi6ELi3ELi32ELi4EEvPKhS1_P6__halfPKfiiiiiiii,"axG",@progbits,_Z19_skinny_gemm_kernelILi1ELi6ELi3ELi32ELi4EEvPKhS1_P6__halfPKfiiiiiiii,comdat
.Lfunc_end141:
	.size	_Z19_skinny_gemm_kernelILi1ELi6ELi3ELi32ELi4EEvPKhS1_P6__halfPKfiiiiiiii, .Lfunc_end141-_Z19_skinny_gemm_kernelILi1ELi6ELi3ELi32ELi4EEvPKhS1_P6__halfPKfiiiiiiii
                                        ; -- End function
	.set _Z19_skinny_gemm_kernelILi1ELi6ELi3ELi32ELi4EEvPKhS1_P6__halfPKfiiiiiiii.num_vgpr, 128
	.set _Z19_skinny_gemm_kernelILi1ELi6ELi3ELi32ELi4EEvPKhS1_P6__halfPKfiiiiiiii.num_agpr, 0
	.set _Z19_skinny_gemm_kernelILi1ELi6ELi3ELi32ELi4EEvPKhS1_P6__halfPKfiiiiiiii.numbered_sgpr, 100
	.set _Z19_skinny_gemm_kernelILi1ELi6ELi3ELi32ELi4EEvPKhS1_P6__halfPKfiiiiiiii.num_named_barrier, 0
	.set _Z19_skinny_gemm_kernelILi1ELi6ELi3ELi32ELi4EEvPKhS1_P6__halfPKfiiiiiiii.private_seg_size, 116
	.set _Z19_skinny_gemm_kernelILi1ELi6ELi3ELi32ELi4EEvPKhS1_P6__halfPKfiiiiiiii.uses_vcc, 1
	.set _Z19_skinny_gemm_kernelILi1ELi6ELi3ELi32ELi4EEvPKhS1_P6__halfPKfiiiiiiii.uses_flat_scratch, 0
	.set _Z19_skinny_gemm_kernelILi1ELi6ELi3ELi32ELi4EEvPKhS1_P6__halfPKfiiiiiiii.has_dyn_sized_stack, 0
	.set _Z19_skinny_gemm_kernelILi1ELi6ELi3ELi32ELi4EEvPKhS1_P6__halfPKfiiiiiiii.has_recursion, 0
	.set _Z19_skinny_gemm_kernelILi1ELi6ELi3ELi32ELi4EEvPKhS1_P6__halfPKfiiiiiiii.has_indirect_call, 0
	.section	.AMDGPU.csdata,"",@progbits
; Kernel info:
; codeLenInByte = 20512
; TotalNumSgprs: 106
; NumVgprs: 128
; NumAgprs: 0
; TotalNumVgprs: 128
; ScratchSize: 116
; MemoryBound: 0
; FloatMode: 240
; IeeeMode: 1
; LDSByteSize: 43092 bytes/workgroup (compile time only)
; SGPRBlocks: 13
; VGPRBlocks: 15
; NumSGPRsForWavesPerEU: 106
; NumVGPRsForWavesPerEU: 128
; AccumOffset: 128
; Occupancy: 4
; WaveLimiterHint : 0
; COMPUTE_PGM_RSRC2:SCRATCH_EN: 1
; COMPUTE_PGM_RSRC2:USER_SGPR: 2
; COMPUTE_PGM_RSRC2:TRAP_HANDLER: 0
; COMPUTE_PGM_RSRC2:TGID_X_EN: 1
; COMPUTE_PGM_RSRC2:TGID_Y_EN: 0
; COMPUTE_PGM_RSRC2:TGID_Z_EN: 0
; COMPUTE_PGM_RSRC2:TIDIG_COMP_CNT: 0
; COMPUTE_PGM_RSRC3_GFX90A:ACCUM_OFFSET: 31
; COMPUTE_PGM_RSRC3_GFX90A:TG_SPLIT: 0
	.section	.text._Z19_skinny_gemm_kernelILi1ELi6ELi4ELi16ELi4EEvPKhS1_P6__halfPKfiiiiiiii,"axG",@progbits,_Z19_skinny_gemm_kernelILi1ELi6ELi4ELi16ELi4EEvPKhS1_P6__halfPKfiiiiiiii,comdat
	.protected	_Z19_skinny_gemm_kernelILi1ELi6ELi4ELi16ELi4EEvPKhS1_P6__halfPKfiiiiiiii ; -- Begin function _Z19_skinny_gemm_kernelILi1ELi6ELi4ELi16ELi4EEvPKhS1_P6__halfPKfiiiiiiii
	.globl	_Z19_skinny_gemm_kernelILi1ELi6ELi4ELi16ELi4EEvPKhS1_P6__halfPKfiiiiiiii
	.p2align	8
	.type	_Z19_skinny_gemm_kernelILi1ELi6ELi4ELi16ELi4EEvPKhS1_P6__halfPKfiiiiiiii,@function
_Z19_skinny_gemm_kernelILi1ELi6ELi4ELi16ELi4EEvPKhS1_P6__halfPKfiiiiiiii: ; @_Z19_skinny_gemm_kernelILi1ELi6ELi4ELi16ELi4EEvPKhS1_P6__halfPKfiiiiiiii
; %bb.0:
	v_cmp_gt_u32_e32 vcc, 28, v0
	v_lshlrev_b32_e32 v1, 2, v0
	s_and_saveexec_b64 s[4:5], vcc
; %bb.1:
	v_mov_b32_e32 v2, 0
	ds_write_b32 v1, v2 offset:57344
; %bb.2:
	s_or_b64 exec, exec, s[4:5]
	s_load_dwordx8 s[20:27], s[0:1], 0x20
	s_mov_b32 s56, 0x2aaaaaab
	s_waitcnt lgkmcnt(0)
	s_barrier
	s_add_i32 s3, s20, 15
	s_ashr_i32 s5, s3, 31
	s_lshr_b32 s5, s5, 28
	s_add_i32 s4, s21, 0x5f
	s_add_i32 s3, s3, s5
	s_ashr_i32 s33, s3, 4
	s_mul_hi_i32 s3, s4, 0x2aaaaaab
	s_lshr_b32 s4, s3, 31
	s_ashr_i32 s54, s3, 4
	s_add_i32 s54, s54, s4
	s_mul_i32 s3, s54, s33
	s_mul_i32 s3, s3, s24
	s_add_i32 s4, s3, 0x12f
	s_mul_hi_i32 s4, s4, 0x6bca1af3
	s_lshr_b32 s5, s4, 31
	s_ashr_i32 s4, s4, 7
	s_add_i32 s4, s4, s5
	s_add_i32 s5, s2, 1
	s_mul_i32 s5, s4, s5
	v_cvt_f64_i32_e32 v[2:3], s3
	v_cvt_f64_u32_e32 v[4:5], s5
	v_min_f64 v[2:3], v[2:3], v[4:5]
	v_cvt_i32_f64_e32 v25, v[2:3]
	s_mul_i32 s55, s4, s2
	v_cmp_ge_i32_e32 vcc, s55, v25
	s_cbranch_vccnz .LBB142_57
; %bb.3:
	v_lshrrev_b32_e32 v2, 6, v0
	s_add_i32 s4, s26, s25
	s_load_dwordx8 s[36:43], s[0:1], 0x0
	v_cmp_le_i32_e64 s[0:1], s4, v2
	v_mov_b32_e32 v3, s25
	v_cmp_le_i32_e64 s[2:3], s25, v2
	v_mov_b32_e32 v4, s26
	v_cndmask_b32_e64 v4, 0, v4, s[0:1]
	v_cndmask_b32_e64 v3, 0, v3, s[2:3]
	s_abs_i32 s5, s24
	v_add_u32_e32 v3, v3, v4
	v_cvt_f32_u32_e32 v4, s5
	v_sub_u32_e32 v32, v2, v3
	s_ashr_i32 s6, s22, 31
	s_lshr_b32 s6, s6, 25
	v_rcp_iflag_f32_e32 v3, v4
	s_sub_i32 s9, 0, s5
	s_add_i32 s6, s22, s6
	s_ashr_i32 s6, s6, 7
	v_mul_f32_e32 v3, 0x4f7ffffe, v3
	v_cvt_u32_f32_e32 v3, v3
	s_abs_i32 s8, s6
	s_xor_b32 s7, s6, s24
	s_ashr_i32 s7, s7, 31
	v_readfirstlane_b32 s10, v3
	s_mul_i32 s9, s9, s10
	s_mul_hi_u32 s9, s10, s9
	s_add_i32 s10, s10, s9
	s_mul_hi_u32 s9, s8, s10
	s_mul_i32 s10, s9, s5
	s_sub_i32 s8, s8, s10
	s_add_i32 s10, s9, 1
	s_sub_i32 s11, s8, s5
	s_cmp_ge_u32 s8, s5
	s_cselect_b32 s9, s10, s9
	s_cselect_b32 s8, s11, s8
	s_add_i32 s10, s9, 1
	s_cmp_ge_u32 s8, s5
	s_cselect_b32 s5, s10, s9
	s_xor_b32 s5, s5, s7
	s_sub_i32 s57, s5, s7
	s_add_i32 s24, s24, -1
	s_mul_i32 s5, s57, s24
	s_add_i32 s4, s4, s27
	s_sub_i32 s58, s6, s5
	v_cmp_gt_i32_e64 s[4:5], s4, v2
	v_lshlrev_b32_e32 v2, 1, v0
	v_lshlrev_b32_e32 v3, 4, v0
	v_and_b32_e32 v1, 60, v1
	v_and_b32_e32 v2, 64, v2
	;; [unrolled: 1-line block ×3, first 2 shown]
	s_abs_i32 s59, s33
	v_or3_b32 v47, v1, v2, v4
	v_and_b32_e32 v1, 1, v0
	v_cvt_f32_u32_e32 v6, s59
	v_lshlrev_b32_e32 v2, 1, v1
	v_lshrrev_b32_e32 v4, 2, v0
	v_and_b32_e32 v24, 14, v0
	v_sub_u32_e32 v2, v0, v2
	v_and_or_b32 v48, v4, 12, v1
	v_bitop3_b32 v49, v0, 1, v0 bitop3:0xc
	v_bitop3_b32 v50, v0, 3, 1 bitop3:0x6c
	v_and_b32_e32 v28, 48, v3
	v_bfe_u32 v1, v0, 2, 4
	v_and_b32_e32 v3, 60, v0
	v_lshlrev_b32_e32 v5, 8, v0
	v_lshlrev_b32_e32 v0, 6, v0
	v_and_b32_e32 v5, 0x200, v5
	v_and_b32_e32 v0, 64, v0
	v_or3_b32 v56, v3, v5, v0
	v_rcp_iflag_f32_e32 v0, v6
	s_abs_i32 s61, s54
	v_mul_lo_u32 v30, s23, v1
	v_mul_lo_u32 v58, s22, v1
	v_cvt_f32_u32_e32 v1, s61
	v_mul_f32_e32 v0, 0x4f7ffffe, v0
	v_cvt_u32_f32_e32 v0, v0
	v_mad_u64_u32 v[26:27], s[6:7], s21, v48, v[24:25]
	v_rcp_iflag_f32_e32 v1, v1
	v_readfirstlane_b32 s7, v0
	s_sub_i32 s6, 0, s59
	s_mul_i32 s6, s6, s7
	v_mul_f32_e32 v0, 0x4f7ffffe, v1
	v_cvt_u32_f32_e32 v0, v0
	s_mul_hi_u32 s6, s7, s6
	v_add_u32_e32 v2, 1, v2
	s_add_i32 s63, s7, s6
	s_sub_i32 s6, 0, s61
	v_readfirstlane_b32 s7, v0
	v_mbcnt_lo_u32_b32 v0, -1, 0
	v_and_b32_e32 v2, 63, v2
	s_mul_i32 s6, s6, s7
	v_mbcnt_hi_u32_b32 v0, -1, v0
	s_mul_hi_u32 s6, s7, s6
	v_and_or_b32 v0, v0, 64, v2
	v_cndmask_b32_e64 v46, 0, 1, s[0:1]
	v_or_b32_e32 v51, 16, v24
	v_or_b32_e32 v52, 32, v24
	;; [unrolled: 1-line block ×5, first 2 shown]
	v_ashrrev_i32_e32 v27, 31, v26
	s_ashr_i32 s29, s21, 31
	s_mov_b32 s28, s21
	v_ashrrev_i32_e32 v31, 31, v30
	v_mov_b32_e32 v29, 0
	s_lshl_b32 s60, s23, 4
	v_bitop3_b32 v57, v4, 15, v4 bitop3:0xc
	v_or_b32_e32 v59, 0xc000, v56
	s_ashr_i32 s62, s33, 31
	s_ashr_i32 s64, s54, 31
	s_add_i32 s65, s7, s6
	s_movk_i32 s66, 0x3000
	s_mov_b64 s[30:31], 0x60
	s_mov_b64 s[34:35], 0x80
	;; [unrolled: 1-line block ×3, first 2 shown]
	v_lshlrev_b32_e32 v60, 2, v0
	v_not_b32_e32 v61, 23
	v_mov_b32_e32 v62, v32
	s_branch .LBB142_7
.LBB142_4:                              ;   in Loop: Header=BB142_7 Depth=1
	s_or_b64 exec, exec, s[10:11]
.LBB142_5:                              ;   in Loop: Header=BB142_7 Depth=1
	s_or_b64 exec, exec, s[8:9]
	v_subrev_u32_e32 v62, s67, v62
.LBB142_6:                              ;   in Loop: Header=BB142_7 Depth=1
	s_or_b64 exec, exec, s[6:7]
	s_add_i32 s55, s55, 1
	v_cmp_ge_i32_e32 vcc, s55, v25
	s_cbranch_vccnz .LBB142_57
.LBB142_7:                              ; =>This Loop Header: Depth=1
                                        ;     Child Loop BB142_13 Depth 2
                                        ;       Child Loop BB142_15 Depth 3
                                        ;       Child Loop BB142_18 Depth 3
	;; [unrolled: 1-line block ×7, first 2 shown]
                                        ;     Child Loop BB142_44 Depth 2
                                        ;       Child Loop BB142_46 Depth 3
                                        ;     Child Loop BB142_54 Depth 2
                                        ;       Child Loop BB142_56 Depth 3
	s_abs_i32 s7, s55
	s_mul_hi_u32 s8, s7, s63
	s_mul_i32 s9, s8, s59
	s_ashr_i32 s6, s55, 31
	s_sub_i32 s7, s7, s9
	s_xor_b32 s6, s6, s62
	s_add_i32 s9, s8, 1
	s_sub_i32 s10, s7, s59
	s_cmp_ge_u32 s7, s59
	s_cselect_b32 s8, s9, s8
	s_cselect_b32 s7, s10, s7
	s_add_i32 s9, s8, 1
	s_cmp_ge_u32 s7, s59
	s_cselect_b32 s7, s9, s8
	s_xor_b32 s7, s7, s6
	s_sub_i32 s6, s7, s6
	s_abs_i32 s8, s6
	s_mul_i32 s7, s6, s33
	s_mul_hi_u32 s9, s8, s65
	s_sub_i32 s7, s55, s7
	s_mul_i32 s10, s9, s61
	s_lshl_b32 s68, s7, 4
	s_ashr_i32 s7, s6, 31
	s_sub_i32 s8, s8, s10
	s_xor_b32 s7, s7, s64
	s_add_i32 s10, s9, 1
	s_sub_i32 s11, s8, s61
	s_cmp_ge_u32 s8, s61
	s_cselect_b32 s9, s10, s9
	s_cselect_b32 s8, s11, s8
	s_add_i32 s10, s9, 1
	s_cmp_ge_u32 s8, s61
	s_cselect_b32 s8, s10, s9
	s_xor_b32 s8, s8, s7
	s_sub_i32 s7, s8, s7
	s_mul_i32 s8, s7, s57
	s_lshl_b32 s69, s8, 7
	s_cmp_eq_u32 s7, s24
	s_cselect_b32 s67, s58, s57
	s_sub_i32 s70, s68, s20
	s_add_i32 s70, s70, 16
	s_and_saveexec_b64 s[8:9], s[2:3]
	s_xor_b64 s[46:47], exec, s[8:9]
	s_cbranch_execz .LBB142_50
; %bb.8:                                ;   in Loop: Header=BB142_7 Depth=1
	s_mul_i32 s7, s7, s54
	s_sub_i32 s6, s6, s7
	s_mulk_i32 s6, 0x60
	s_sub_i32 s49, s6, s21
	s_addk_i32 s49, 0x60
	s_max_i32 s7, s49, 0
	s_sub_i32 s48, s6, s7
	s_and_saveexec_b64 s[6:7], s[0:1]
	s_xor_b64 s[50:51], exec, s[6:7]
	s_cbranch_execz .LBB142_40
; %bb.9:                                ;   in Loop: Header=BB142_7 Depth=1
	s_and_saveexec_b64 s[52:53], s[4:5]
	s_cbranch_execz .LBB142_39
; %bb.10:                               ;   in Loop: Header=BB142_7 Depth=1
	s_waitcnt lgkmcnt(0)
	global_load_dword v63, v29, s[42:43]
	v_mov_b32_e32 v23, 0
	v_cmp_gt_i32_e32 vcc, s67, v62
	v_mov_b32_e32 v22, v23
	v_mov_b32_e32 v21, v23
	;; [unrolled: 1-line block ×23, first 2 shown]
	s_and_saveexec_b64 s[6:7], vcc
	s_cbranch_execz .LBB142_35
; %bb.11:                               ;   in Loop: Header=BB142_7 Depth=1
	v_mov_b32_e32 v0, 0
	s_mov_b64 s[8:9], 0
	v_mov_b32_e32 v1, v0
	v_mov_b32_e32 v2, v0
	;; [unrolled: 1-line block ×23, first 2 shown]
	s_branch .LBB142_13
.LBB142_12:                             ;   in Loop: Header=BB142_13 Depth=2
	s_or_b64 exec, exec, s[10:11]
	v_add_u32_e32 v41, 0x2800, v40
	ds_read2_b32 v[42:43], v41 offset1:32
	v_add_u32_e32 v62, s27, v62
	v_cmp_le_i32_e32 vcc, s67, v62
	s_or_b64 s[8:9], vcc, s[8:9]
	s_waitcnt lgkmcnt(0)
	v_mfma_f32_16x16x32_fp8_fp8 v[0:3], v[34:35], v[42:43], v[0:3]
	ds_read2_b32 v[34:35], v41 offset0:128 offset1:160
	v_add_u32_e32 v42, 0x2c00, v40
	ds_read2_b32 v[40:41], v42 offset1:32
	s_waitcnt lgkmcnt(1)
	v_mfma_f32_16x16x32_fp8_fp8 v[0:3], v[32:33], v[34:35], v[0:3]
	ds_read2_b32 v[34:35], v42 offset0:128 offset1:160
	v_add_u32_e32 v32, s27, v65
	v_add_u32_e32 v33, 2, v46
	s_waitcnt lgkmcnt(1)
	v_mfma_f32_16x16x32_fp8_fp8 v[0:3], v[38:39], v[40:41], v[0:3]
	v_cmp_lt_i32_e32 vcc, 3, v32
	;;#ASMSTART
	s_waitcnt lgkmcnt(0)
	;;#ASMEND
	ds_write_b32 v64, v66 offset:57380
	s_waitcnt lgkmcnt(1)
	v_mfma_f32_16x16x32_fp8_fp8 v[0:3], v[36:37], v[34:35], v[0:3]
	v_cndmask_b32_e32 v46, v46, v33, vcc
	s_andn2_b64 exec, exec, s[8:9]
	s_cbranch_execz .LBB142_34
.LBB142_13:                             ;   Parent Loop BB142_7 Depth=1
                                        ; =>  This Loop Header: Depth=2
                                        ;       Child Loop BB142_15 Depth 3
                                        ;       Child Loop BB142_18 Depth 3
	;; [unrolled: 1-line block ×7, first 2 shown]
	v_cmp_gt_i32_e32 vcc, 4, v32
	s_nop 1
	v_cndmask_b32_e64 v33, -4, 0, vcc
	v_add_u32_e32 v65, v33, v32
	v_mul_lo_u32 v64, v65, 24
	ds_read_b32 v32, v64 offset:57360
	s_waitcnt lgkmcnt(0)
	v_cmp_ne_u32_e32 vcc, v32, v46
	s_and_saveexec_b64 s[10:11], vcc
	s_cbranch_execz .LBB142_16
; %bb.14:                               ;   in Loop: Header=BB142_13 Depth=2
	s_mov_b64 s[12:13], 0
.LBB142_15:                             ;   Parent Loop BB142_7 Depth=1
                                        ;     Parent Loop BB142_13 Depth=2
                                        ; =>    This Inner Loop Header: Depth=3
	;;#ASMSTART
	s_sleep 0
	;;#ASMEND
	ds_read_b32 v32, v64 offset:57360
	s_waitcnt lgkmcnt(0)
	v_cmp_eq_u32_e32 vcc, v32, v46
	s_or_b64 s[12:13], vcc, s[12:13]
	s_andn2_b64 exec, exec, s[12:13]
	s_cbranch_execnz .LBB142_15
.LBB142_16:                             ;   in Loop: Header=BB142_13 Depth=2
	s_or_b64 exec, exec, s[10:11]
	v_mul_lo_u32 v67, v65, s66
	v_or_b32_e32 v32, v47, v67
	ds_read2_b32 v[36:37], v32 offset1:32
	ds_read2_b32 v[40:41], v32 offset0:128 offset1:160
	v_add_u32_e32 v32, 0x400, v32
	v_add_u32_e32 v66, 1, v46
	ds_read2_b32 v[44:45], v32 offset1:32
	ds_read2_b32 v[42:43], v32 offset0:128 offset1:160
	;;#ASMSTART
	s_waitcnt lgkmcnt(0)
	;;#ASMEND
	ds_write_b32 v64, v66 offset:57360
	v_lshlrev_b32_e32 v32, 2, v65
	ds_read_b32 v33, v32 offset:57344
	v_add_u32_e32 v68, 0xe000, v32
	s_waitcnt lgkmcnt(0)
	v_cmp_ne_u32_e32 vcc, v33, v46
	s_and_saveexec_b64 s[10:11], vcc
	s_cbranch_execz .LBB142_19
; %bb.17:                               ;   in Loop: Header=BB142_13 Depth=2
	s_mov_b64 s[12:13], 0
.LBB142_18:                             ;   Parent Loop BB142_7 Depth=1
                                        ;     Parent Loop BB142_13 Depth=2
                                        ; =>    This Inner Loop Header: Depth=3
	;;#ASMSTART
	s_sleep 0
	;;#ASMEND
	ds_read_b32 v32, v68
	s_waitcnt lgkmcnt(0)
	v_cmp_eq_u32_e32 vcc, v32, v46
	s_or_b64 s[12:13], vcc, s[12:13]
	s_andn2_b64 exec, exec, s[12:13]
	s_cbranch_execnz .LBB142_18
.LBB142_19:                             ;   in Loop: Header=BB142_13 Depth=2
	s_or_b64 exec, exec, s[10:11]
	v_or_b32_e32 v32, 0xc000, v47
	v_lshl_add_u32 v38, v65, 11, v32
	ds_read2_b32 v[34:35], v38 offset1:32
	ds_read2_b32 v[32:33], v38 offset0:128 offset1:160
	v_add_u32_e32 v69, 0x400, v38
	ds_read2_b32 v[38:39], v69 offset1:32
	ds_write_b32 v68, v66
	s_waitcnt lgkmcnt(3)
	v_mfma_f32_16x16x32_fp8_fp8 v[20:23], v[34:35], v[36:37], v[20:23]
	ds_read2_b32 v[36:37], v69 offset0:128 offset1:160
	s_waitcnt lgkmcnt(3)
	v_mfma_f32_16x16x32_fp8_fp8 v[20:23], v[32:33], v[40:41], v[20:23]
	ds_read_b32 v40, v64 offset:57364
	s_waitcnt lgkmcnt(0)
	v_cmp_ne_u32_e32 vcc, v40, v46
	v_mfma_f32_16x16x32_fp8_fp8 v[20:23], v[38:39], v[44:45], v[20:23]
	v_mfma_f32_16x16x32_fp8_fp8 v[20:23], v[36:37], v[42:43], v[20:23]
	s_and_saveexec_b64 s[10:11], vcc
	s_cbranch_execz .LBB142_22
; %bb.20:                               ;   in Loop: Header=BB142_13 Depth=2
	s_mov_b64 s[12:13], 0
.LBB142_21:                             ;   Parent Loop BB142_7 Depth=1
                                        ;     Parent Loop BB142_13 Depth=2
                                        ; =>    This Inner Loop Header: Depth=3
	;;#ASMSTART
	s_sleep 0
	;;#ASMEND
	ds_read_b32 v40, v64 offset:57364
	s_waitcnt lgkmcnt(0)
	v_cmp_eq_u32_e32 vcc, v40, v46
	s_or_b64 s[12:13], vcc, s[12:13]
	s_andn2_b64 exec, exec, s[12:13]
	s_cbranch_execnz .LBB142_21
.LBB142_22:                             ;   in Loop: Header=BB142_13 Depth=2
	s_or_b64 exec, exec, s[10:11]
	v_add_u32_e32 v40, v47, v67
	v_add_u32_e32 v41, 0x800, v40
	ds_read2_b32 v[42:43], v41 offset1:32
	s_waitcnt lgkmcnt(0)
	v_mfma_f32_16x16x32_fp8_fp8 v[16:19], v[34:35], v[42:43], v[16:19]
	ds_read2_b32 v[42:43], v41 offset0:128 offset1:160
	v_add_u32_e32 v41, 0xc00, v40
	s_waitcnt lgkmcnt(0)
	v_mfma_f32_16x16x32_fp8_fp8 v[16:19], v[32:33], v[42:43], v[16:19]
	ds_read2_b32 v[42:43], v41 offset1:32
	ds_read2_b32 v[44:45], v41 offset0:128 offset1:160
	;;#ASMSTART
	s_waitcnt lgkmcnt(0)
	;;#ASMEND
	ds_read_b32 v41, v64 offset:57368
	s_waitcnt lgkmcnt(2)
	v_mfma_f32_16x16x32_fp8_fp8 v[16:19], v[38:39], v[42:43], v[16:19]
	ds_write_b32 v64, v66 offset:57364
	s_waitcnt lgkmcnt(1)
	v_cmp_ne_u32_e32 vcc, v41, v46
	v_mfma_f32_16x16x32_fp8_fp8 v[16:19], v[36:37], v[44:45], v[16:19]
	s_and_saveexec_b64 s[10:11], vcc
	s_cbranch_execz .LBB142_25
; %bb.23:                               ;   in Loop: Header=BB142_13 Depth=2
	s_mov_b64 s[12:13], 0
.LBB142_24:                             ;   Parent Loop BB142_7 Depth=1
                                        ;     Parent Loop BB142_13 Depth=2
                                        ; =>    This Inner Loop Header: Depth=3
	;;#ASMSTART
	s_sleep 0
	;;#ASMEND
	ds_read_b32 v41, v64 offset:57368
	s_waitcnt lgkmcnt(0)
	v_cmp_eq_u32_e32 vcc, v41, v46
	s_or_b64 s[12:13], vcc, s[12:13]
	s_andn2_b64 exec, exec, s[12:13]
	s_cbranch_execnz .LBB142_24
.LBB142_25:                             ;   in Loop: Header=BB142_13 Depth=2
	s_or_b64 exec, exec, s[10:11]
	v_add_u32_e32 v41, 0x1000, v40
	ds_read2_b32 v[42:43], v41 offset1:32
	s_waitcnt lgkmcnt(0)
	v_mfma_f32_16x16x32_fp8_fp8 v[12:15], v[34:35], v[42:43], v[12:15]
	ds_read2_b32 v[42:43], v41 offset0:128 offset1:160
	v_add_u32_e32 v41, 0x1400, v40
	s_waitcnt lgkmcnt(0)
	v_mfma_f32_16x16x32_fp8_fp8 v[12:15], v[32:33], v[42:43], v[12:15]
	ds_read2_b32 v[42:43], v41 offset1:32
	ds_read2_b32 v[44:45], v41 offset0:128 offset1:160
	;;#ASMSTART
	s_waitcnt lgkmcnt(0)
	;;#ASMEND
	ds_read_b32 v41, v64 offset:57372
	s_waitcnt lgkmcnt(2)
	v_mfma_f32_16x16x32_fp8_fp8 v[12:15], v[38:39], v[42:43], v[12:15]
	ds_write_b32 v64, v66 offset:57368
	s_waitcnt lgkmcnt(1)
	v_cmp_ne_u32_e32 vcc, v41, v46
	v_mfma_f32_16x16x32_fp8_fp8 v[12:15], v[36:37], v[44:45], v[12:15]
	s_and_saveexec_b64 s[10:11], vcc
	s_cbranch_execz .LBB142_28
; %bb.26:                               ;   in Loop: Header=BB142_13 Depth=2
	s_mov_b64 s[12:13], 0
.LBB142_27:                             ;   Parent Loop BB142_7 Depth=1
                                        ;     Parent Loop BB142_13 Depth=2
                                        ; =>    This Inner Loop Header: Depth=3
	;;#ASMSTART
	s_sleep 0
	;;#ASMEND
	ds_read_b32 v41, v64 offset:57372
	s_waitcnt lgkmcnt(0)
	v_cmp_eq_u32_e32 vcc, v41, v46
	s_or_b64 s[12:13], vcc, s[12:13]
	s_andn2_b64 exec, exec, s[12:13]
	s_cbranch_execnz .LBB142_27
.LBB142_28:                             ;   in Loop: Header=BB142_13 Depth=2
	s_or_b64 exec, exec, s[10:11]
	v_add_u32_e32 v41, 0x1800, v40
	ds_read2_b32 v[42:43], v41 offset1:32
	s_waitcnt lgkmcnt(0)
	v_mfma_f32_16x16x32_fp8_fp8 v[8:11], v[34:35], v[42:43], v[8:11]
	ds_read2_b32 v[42:43], v41 offset0:128 offset1:160
	v_add_u32_e32 v41, 0x1c00, v40
	s_waitcnt lgkmcnt(0)
	v_mfma_f32_16x16x32_fp8_fp8 v[8:11], v[32:33], v[42:43], v[8:11]
	ds_read2_b32 v[42:43], v41 offset1:32
	ds_read2_b32 v[44:45], v41 offset0:128 offset1:160
	;;#ASMSTART
	s_waitcnt lgkmcnt(0)
	;;#ASMEND
	ds_read_b32 v41, v64 offset:57376
	s_waitcnt lgkmcnt(2)
	v_mfma_f32_16x16x32_fp8_fp8 v[8:11], v[38:39], v[42:43], v[8:11]
	ds_write_b32 v64, v66 offset:57372
	s_waitcnt lgkmcnt(1)
	v_cmp_ne_u32_e32 vcc, v41, v46
	v_mfma_f32_16x16x32_fp8_fp8 v[8:11], v[36:37], v[44:45], v[8:11]
	s_and_saveexec_b64 s[10:11], vcc
	s_cbranch_execz .LBB142_31
; %bb.29:                               ;   in Loop: Header=BB142_13 Depth=2
	s_mov_b64 s[12:13], 0
.LBB142_30:                             ;   Parent Loop BB142_7 Depth=1
                                        ;     Parent Loop BB142_13 Depth=2
                                        ; =>    This Inner Loop Header: Depth=3
	;;#ASMSTART
	s_sleep 0
	;;#ASMEND
	ds_read_b32 v41, v64 offset:57376
	s_waitcnt lgkmcnt(0)
	v_cmp_eq_u32_e32 vcc, v41, v46
	s_or_b64 s[12:13], vcc, s[12:13]
	s_andn2_b64 exec, exec, s[12:13]
	s_cbranch_execnz .LBB142_30
.LBB142_31:                             ;   in Loop: Header=BB142_13 Depth=2
	s_or_b64 exec, exec, s[10:11]
	v_add_u32_e32 v41, 0x2000, v40
	ds_read2_b32 v[42:43], v41 offset1:32
	s_waitcnt lgkmcnt(0)
	v_mfma_f32_16x16x32_fp8_fp8 v[4:7], v[34:35], v[42:43], v[4:7]
	ds_read2_b32 v[42:43], v41 offset0:128 offset1:160
	v_add_u32_e32 v41, 0x2400, v40
	s_waitcnt lgkmcnt(0)
	v_mfma_f32_16x16x32_fp8_fp8 v[4:7], v[32:33], v[42:43], v[4:7]
	ds_read2_b32 v[42:43], v41 offset1:32
	ds_read2_b32 v[44:45], v41 offset0:128 offset1:160
	;;#ASMSTART
	s_waitcnt lgkmcnt(0)
	;;#ASMEND
	ds_read_b32 v41, v64 offset:57380
	s_waitcnt lgkmcnt(2)
	v_mfma_f32_16x16x32_fp8_fp8 v[4:7], v[38:39], v[42:43], v[4:7]
	ds_write_b32 v64, v66 offset:57376
	s_waitcnt lgkmcnt(1)
	v_cmp_ne_u32_e32 vcc, v41, v46
	v_mfma_f32_16x16x32_fp8_fp8 v[4:7], v[36:37], v[44:45], v[4:7]
	s_and_saveexec_b64 s[10:11], vcc
	s_cbranch_execz .LBB142_12
; %bb.32:                               ;   in Loop: Header=BB142_13 Depth=2
	s_mov_b64 s[12:13], 0
.LBB142_33:                             ;   Parent Loop BB142_7 Depth=1
                                        ;     Parent Loop BB142_13 Depth=2
                                        ; =>    This Inner Loop Header: Depth=3
	;;#ASMSTART
	s_sleep 0
	;;#ASMEND
	ds_read_b32 v41, v64 offset:57380
	s_waitcnt lgkmcnt(0)
	v_cmp_eq_u32_e32 vcc, v41, v46
	s_or_b64 s[12:13], vcc, s[12:13]
	s_andn2_b64 exec, exec, s[12:13]
	s_cbranch_execnz .LBB142_33
	s_branch .LBB142_12
.LBB142_34:                             ;   in Loop: Header=BB142_7 Depth=1
	s_or_b64 exec, exec, s[8:9]
.LBB142_35:                             ;   in Loop: Header=BB142_7 Depth=1
	s_or_b64 exec, exec, s[6:7]
	v_cmp_le_i32_e32 vcc, s49, v24
	v_cmp_eq_u32_e64 s[12:13], 1, v49
	v_cmp_eq_u32_e64 s[6:7], 3, v49
	s_waitcnt vmcnt(0)
	v_cndmask_b32_e32 v34, 0, v63, vcc
	v_pk_mul_f32 v[22:23], v[34:35], v[22:23] op_sel_hi:[0,1]
	v_pk_mul_f32 v[34:35], v[34:35], v[20:21] op_sel_hi:[0,1]
	v_cndmask_b32_e64 v20, v34, v35, s[12:13]
	v_cmp_eq_u32_e32 vcc, 2, v49
	v_cmp_eq_u32_e64 s[8:9], 0, v49
	v_cmp_le_i32_e64 s[14:15], s49, v51
	v_cndmask_b32_e32 v20, v20, v22, vcc
	v_cndmask_b32_e64 v20, v20, v23, s[6:7]
	ds_bpermute_b32 v33, v60, v20
	v_cmp_eq_u32_e64 s[10:11], 1, v50
	v_cmp_le_i32_e64 s[18:19], s49, v52
	v_cmp_eq_u32_e64 s[16:17], 3, v50
	s_waitcnt lgkmcnt(0)
	v_cndmask_b32_e64 v20, v23, v33, s[6:7]
	v_cndmask_b32_e64 v23, v34, v33, s[8:9]
	;; [unrolled: 1-line block ×3, first 2 shown]
	v_cndmask_b32_e32 v21, v22, v33, vcc
	v_cndmask_b32_e64 v22, v35, v33, s[12:13]
	v_pk_mul_f32 v[18:19], v[34:35], v[18:19] op_sel_hi:[0,1]
	v_pk_mul_f32 v[34:35], v[34:35], v[16:17] op_sel_hi:[0,1]
	v_cndmask_b32_e64 v16, v34, v35, s[12:13]
	v_cndmask_b32_e32 v16, v16, v18, vcc
	v_cndmask_b32_e64 v16, v16, v19, s[6:7]
	ds_bpermute_b32 v36, v60, v16
	v_cndmask_b32_e64 v33, v23, v22, s[10:11]
	v_cmp_eq_u32_e64 s[14:15], 2, v50
	s_waitcnt lgkmcnt(0)
	v_cndmask_b32_e64 v17, v19, v36, s[6:7]
	v_cndmask_b32_e64 v16, v33, v21, s[14:15]
	;; [unrolled: 1-line block ×5, first 2 shown]
	v_pk_mul_f32 v[14:15], v[34:35], v[14:15] op_sel_hi:[0,1]
	v_pk_mul_f32 v[34:35], v[34:35], v[12:13] op_sel_hi:[0,1]
	v_cndmask_b32_e64 v12, v34, v35, s[12:13]
	v_cndmask_b32_e32 v12, v12, v14, vcc
	v_cndmask_b32_e64 v12, v12, v15, s[6:7]
	v_cndmask_b32_e32 v18, v18, v36, vcc
	ds_bpermute_b32 v36, v60, v12
	v_cmp_le_i32_e64 s[18:19], s49, v53
	v_cndmask_b32_e64 v12, v33, v19, s[10:11]
	v_cndmask_b32_e64 v12, v12, v18, s[14:15]
	;; [unrolled: 1-line block ×3, first 2 shown]
	s_waitcnt lgkmcnt(0)
	v_cndmask_b32_e64 v13, v15, v36, s[6:7]
	v_cndmask_b32_e32 v14, v14, v36, vcc
	v_cndmask_b32_e64 v15, v35, v36, s[12:13]
	v_cndmask_b32_e64 v34, v34, v36, s[8:9]
	;; [unrolled: 1-line block ×3, first 2 shown]
	v_pk_mul_f32 v[38:39], v[36:37], v[8:9] op_sel_hi:[0,1]
	v_pk_mul_f32 v[10:11], v[36:37], v[10:11] op_sel_hi:[0,1]
	v_cndmask_b32_e64 v8, v38, v39, s[12:13]
	v_cndmask_b32_e32 v8, v8, v10, vcc
	v_cndmask_b32_e64 v8, v8, v11, s[6:7]
	ds_bpermute_b32 v35, v60, v8
	v_cmp_le_i32_e64 s[18:19], s49, v54
	v_cndmask_b32_e64 v8, v34, v15, s[10:11]
	v_cndmask_b32_e64 v8, v8, v14, s[14:15]
	;; [unrolled: 1-line block ×3, first 2 shown]
	s_waitcnt lgkmcnt(0)
	v_cndmask_b32_e64 v37, v38, v35, s[8:9]
	v_cndmask_b32_e64 v38, 0, v63, s[18:19]
	v_pk_mul_f32 v[40:41], v[38:39], v[4:5] op_sel_hi:[0,1]
	v_pk_mul_f32 v[6:7], v[38:39], v[6:7] op_sel_hi:[0,1]
	v_cndmask_b32_e64 v4, v40, v41, s[12:13]
	v_cndmask_b32_e32 v4, v4, v6, vcc
	v_cndmask_b32_e64 v4, v4, v7, s[6:7]
	v_cndmask_b32_e64 v9, v11, v35, s[6:7]
	ds_bpermute_b32 v11, v60, v4
	v_cmp_le_i32_e64 s[18:19], s49, v55
	v_cndmask_b32_e64 v36, v39, v35, s[12:13]
	v_cndmask_b32_e32 v10, v10, v35, vcc
	v_cndmask_b32_e64 v4, v37, v36, s[10:11]
	s_waitcnt lgkmcnt(0)
	v_cndmask_b32_e64 v39, v40, v11, s[8:9]
	v_cndmask_b32_e64 v40, 0, v63, s[18:19]
	;; [unrolled: 1-line block ×3, first 2 shown]
	v_pk_mul_f32 v[42:43], v[40:41], v[2:3] op_sel_hi:[0,1]
	v_pk_mul_f32 v[40:41], v[40:41], v[0:1] op_sel_hi:[0,1]
	v_cndmask_b32_e64 v0, v40, v41, s[12:13]
	v_cndmask_b32_e32 v0, v0, v42, vcc
	v_cndmask_b32_e64 v0, v0, v43, s[6:7]
	ds_bpermute_b32 v1, v60, v0
	v_cndmask_b32_e32 v6, v6, v11, vcc
	v_cndmask_b32_e64 v0, v39, v38, s[10:11]
	v_cndmask_b32_e64 v5, v7, v11, s[6:7]
	;; [unrolled: 1-line block ×4, first 2 shown]
	s_waitcnt lgkmcnt(0)
	v_cndmask_b32_e32 v7, v42, v1, vcc
	v_cmp_ne_u32_e32 vcc, 0, v49
	ds_bpermute_b32 v2, v60, v0
	v_cndmask_b32_e64 v3, v43, v1, s[6:7]
	v_cndmask_b32_e32 v0, v41, v1, vcc
	v_cndmask_b32_e64 v1, v40, v1, s[8:9]
	v_cndmask_b32_e64 v11, v1, v0, s[10:11]
	;; [unrolled: 1-line block ×7, first 2 shown]
	ds_bpermute_b32 v16, v60, v16
	ds_bpermute_b32 v12, v60, v12
	;; [unrolled: 1-line block ×5, first 2 shown]
	s_max_i32 s6, s70, 0
	v_add_u32_e32 v35, s6, v48
	v_cmp_gt_u32_e32 vcc, 16, v35
	s_and_saveexec_b64 s[12:13], vcc
	s_cbranch_execz .LBB142_38
; %bb.36:                               ;   in Loop: Header=BB142_7 Depth=1
	v_cmp_eq_u32_e64 s[8:9], 1, v50
	v_cmp_eq_u32_e64 s[10:11], 0, v50
	v_cmp_eq_u32_e32 vcc, 3, v50
	s_waitcnt lgkmcnt(4)
	v_cndmask_b32_e64 v22, v22, v16, s[8:9]
	s_waitcnt lgkmcnt(3)
	v_cndmask_b32_e64 v19, v19, v12, s[8:9]
	;; [unrolled: 2-line block ×4, first 2 shown]
	v_cndmask_b32_e64 v38, v38, v2, s[8:9]
	s_waitcnt lgkmcnt(0)
	v_cndmask_b32_e64 v40, v0, v11, s[8:9]
	s_mul_i32 s8, s68, s21
	s_ashr_i32 s9, s8, 31
	s_lshl_b64 s[8:9], s[8:9], 1
	v_cndmask_b32_e64 v23, v23, v16, s[10:11]
	v_cndmask_b32_e64 v33, v33, v12, s[10:11]
	;; [unrolled: 1-line block ×6, first 2 shown]
	s_add_u32 s10, s40, s8
	s_addc_u32 s11, s41, s9
	s_ashr_i32 s49, s48, 31
	v_cvt_f16_f32_e32 v23, v23
	v_cvt_f16_f32_sdwa v22, v22 dst_sel:WORD_1 dst_unused:UNUSED_PAD src0_sel:DWORD
	v_cvt_f16_f32_e32 v33, v33
	v_cvt_f16_f32_sdwa v19, v19 dst_sel:WORD_1 dst_unused:UNUSED_PAD src0_sel:DWORD
	s_lshl_b64 s[8:9], s[48:49], 1
	s_add_u32 s8, s10, s8
	s_addc_u32 s9, s11, s9
	v_lshl_add_u64 v[0:1], v[26:27], 1, s[8:9]
	v_or_b32_e32 v22, v22, v23
	v_or_b32_e32 v19, v19, v33
	;;#ASMSTART
	global_atomic_pk_add_f16 v[0:1], v22, off
	
	;;#ASMEND
	v_lshl_add_u64 v[22:23], v[0:1], 0, 32
	;;#ASMSTART
	global_atomic_pk_add_f16 v[22:23], v19, off
	
	;;#ASMEND
	v_cvt_f16_f32_e32 v19, v34
	v_cvt_f16_f32_sdwa v15, v15 dst_sel:WORD_1 dst_unused:UNUSED_PAD src0_sel:DWORD
	v_cvt_f16_f32_e32 v33, v37
	v_cvt_f16_f32_sdwa v34, v36 dst_sel:WORD_1 dst_unused:UNUSED_PAD src0_sel:DWORD
	v_lshl_add_u64 v[22:23], v[0:1], 0, 64
	v_or_b32_e32 v15, v15, v19
	;;#ASMSTART
	global_atomic_pk_add_f16 v[22:23], v15, off
	
	;;#ASMEND
	v_or_b32_e32 v15, v34, v33
	v_lshl_add_u64 v[22:23], v[0:1], 0, s[30:31]
	;;#ASMSTART
	global_atomic_pk_add_f16 v[22:23], v15, off
	
	;;#ASMEND
	v_cvt_f16_f32_e32 v15, v39
	v_cvt_f16_f32_sdwa v19, v38 dst_sel:WORD_1 dst_unused:UNUSED_PAD src0_sel:DWORD
	v_cvt_f16_f32_e32 v33, v41
	v_cvt_f16_f32_sdwa v34, v40 dst_sel:WORD_1 dst_unused:UNUSED_PAD src0_sel:DWORD
	v_cmp_eq_u32_e64 s[6:7], 2, v50
	v_lshl_add_u64 v[22:23], v[0:1], 0, s[34:35]
	v_or_b32_e32 v15, v19, v15
	v_cmp_gt_u32_e64 s[8:9], 14, v35
	;;#ASMSTART
	global_atomic_pk_add_f16 v[22:23], v15, off
	
	;;#ASMEND
	v_lshl_add_u64 v[22:23], v[0:1], 0, s[44:45]
	v_or_b32_e32 v15, v34, v33
	;;#ASMSTART
	global_atomic_pk_add_f16 v[22:23], v15, off
	
	;;#ASMEND
	s_and_b64 exec, exec, s[8:9]
	s_cbranch_execz .LBB142_38
; %bb.37:                               ;   in Loop: Header=BB142_7 Depth=1
	v_cndmask_b32_e32 v15, v20, v16, vcc
	v_cndmask_b32_e64 v16, v21, v16, s[6:7]
	v_cndmask_b32_e32 v17, v17, v12, vcc
	v_cndmask_b32_e64 v12, v18, v12, s[6:7]
	;; [unrolled: 2-line block ×5, first 2 shown]
	v_cvt_f16_f32_e32 v2, v16
	v_cvt_f16_f32_sdwa v3, v15 dst_sel:WORD_1 dst_unused:UNUSED_PAD src0_sel:DWORD
	v_cvt_f16_f32_e32 v11, v12
	v_cvt_f16_f32_sdwa v12, v17 dst_sel:WORD_1 dst_unused:UNUSED_PAD src0_sel:DWORD
	v_cndmask_b32_e32 v13, v13, v8, vcc
	v_cndmask_b32_e64 v8, v14, v8, s[6:7]
	v_lshl_add_u64 v[0:1], s[28:29], 2, v[0:1]
	v_or_b32_e32 v2, v3, v2
	v_or_b32_e32 v11, v12, v11
	v_cvt_f16_f32_e32 v4, v4
	v_cvt_f16_f32_sdwa v9, v9 dst_sel:WORD_1 dst_unused:UNUSED_PAD src0_sel:DWORD
	;;#ASMSTART
	global_atomic_pk_add_f16 v[0:1], v2, off
	
	;;#ASMEND
	v_lshl_add_u64 v[2:3], v[0:1], 0, 32
	;;#ASMSTART
	global_atomic_pk_add_f16 v[2:3], v11, off
	
	;;#ASMEND
	v_cvt_f16_f32_e32 v8, v8
	v_cvt_f16_f32_sdwa v11, v13 dst_sel:WORD_1 dst_unused:UNUSED_PAD src0_sel:DWORD
	v_lshl_add_u64 v[2:3], v[0:1], 0, 64
	v_or_b32_e32 v4, v9, v4
	v_cvt_f16_f32_sdwa v5, v5 dst_sel:WORD_1 dst_unused:UNUSED_PAD src0_sel:DWORD
	v_or_b32_e32 v8, v11, v8
	;;#ASMSTART
	global_atomic_pk_add_f16 v[2:3], v8, off
	
	;;#ASMEND
	v_lshl_add_u64 v[2:3], v[0:1], 0, s[30:31]
	;;#ASMSTART
	global_atomic_pk_add_f16 v[2:3], v4, off
	
	;;#ASMEND
	v_cvt_f16_f32_e32 v4, v6
	v_cvt_f16_f32_e32 v6, v7
	v_cvt_f16_f32_sdwa v7, v10 dst_sel:WORD_1 dst_unused:UNUSED_PAD src0_sel:DWORD
	v_lshl_add_u64 v[2:3], v[0:1], 0, s[34:35]
	v_or_b32_e32 v4, v5, v4
	;;#ASMSTART
	global_atomic_pk_add_f16 v[2:3], v4, off
	
	;;#ASMEND
	v_lshl_add_u64 v[0:1], v[0:1], 0, s[44:45]
	v_or_b32_e32 v2, v7, v6
	;;#ASMSTART
	global_atomic_pk_add_f16 v[0:1], v2, off
	
	;;#ASMEND
.LBB142_38:                             ;   in Loop: Header=BB142_7 Depth=1
	s_or_b64 exec, exec, s[12:13]
	v_subrev_u32_e32 v62, s67, v62
.LBB142_39:                             ;   in Loop: Header=BB142_7 Depth=1
	s_or_b64 exec, exec, s[52:53]
.LBB142_40:                             ;   in Loop: Header=BB142_7 Depth=1
	s_andn2_saveexec_b64 s[6:7], s[50:51]
	s_cbranch_execz .LBB142_49
; %bb.41:                               ;   in Loop: Header=BB142_7 Depth=1
	s_mul_i32 s16, s67, 6
	v_cmp_gt_i32_e32 vcc, s16, v62
	s_and_saveexec_b64 s[8:9], vcc
	s_cbranch_execz .LBB142_48
; %bb.42:                               ;   in Loop: Header=BB142_7 Depth=1
	s_mul_i32 s10, s48, s23
	s_ashr_i32 s11, s10, 31
	s_waitcnt lgkmcnt(0)
	s_add_u32 s10, s38, s10
	s_addc_u32 s11, s39, s11
	s_ashr_i32 s12, s69, 31
	s_add_u32 s10, s10, s69
	s_addc_u32 s11, s11, s12
	v_lshl_add_u64 v[0:1], s[10:11], 0, v[30:31]
	v_lshl_add_u64 v[8:9], v[0:1], 0, v[28:29]
	s_mov_b64 s[10:11], 0
	s_branch .LBB142_44
.LBB142_43:                             ;   in Loop: Header=BB142_44 Depth=2
	s_or_b64 exec, exec, s[12:13]
	v_lshl_or_b32 v12, v10, 11, v56
	;;#ASMSTART
	s_waitcnt vmcnt(1)
	;;#ASMEND
	ds_write2_b32 v12, v4, v5 offset1:32
	ds_write2_b32 v12, v6, v7 offset0:64 offset1:96
	v_add_u32_e32 v4, 0x400, v12
	v_add_u32_e32 v62, s26, v62
	;;#ASMSTART
	s_waitcnt vmcnt(0)
	;;#ASMEND
	ds_write2_b32 v4, v0, v1 offset1:32
	ds_write2_b32 v4, v2, v3 offset0:64 offset1:96
	v_add_u32_e32 v0, 1, v46
	v_add_u32_e32 v32, s26, v10
	v_cmp_le_i32_e32 vcc, s16, v62
	ds_write_b32 v11, v0 offset:16
	v_add_u32_e32 v0, 2, v46
	s_or_b64 s[10:11], vcc, s[10:11]
	v_cmp_lt_i32_e32 vcc, 23, v32
	s_nop 1
	v_cndmask_b32_e32 v46, v46, v0, vcc
	s_andn2_b64 exec, exec, s[10:11]
	s_cbranch_execz .LBB142_47
.LBB142_44:                             ;   Parent Loop BB142_7 Depth=1
                                        ; =>  This Loop Header: Depth=2
                                        ;       Child Loop BB142_46 Depth 3
	v_cmp_gt_i32_e32 vcc, 24, v32
	s_nop 1
	v_cndmask_b32_e64 v0, v61, 0, vcc
	v_add_u32_e32 v10, v0, v32
	v_mul_hi_i32 v0, v62, s56
	v_lshrrev_b32_e32 v1, 31, v0
	v_add_u32_e32 v0, v0, v1
	v_mul_lo_u32 v1, v0, 6
	v_sub_u32_e32 v2, v62, v1
	v_lshlrev_b32_e32 v0, 7, v0
	v_ashrrev_i32_e32 v1, 31, v0
	v_mul_lo_u32 v2, s60, v2
	v_lshl_add_u64 v[0:1], v[8:9], 0, v[0:1]
	v_ashrrev_i32_e32 v3, 31, v2
	v_lshl_add_u64 v[0:1], v[0:1], 0, v[2:3]
	v_lshlrev_b32_e32 v11, 2, v10
	;;#ASMSTART
	global_load_dwordx4 v[4:7], v[0:1], off offset:0   sc0 sc1 nt  
	global_load_dwordx4 v[0:3], v[0:1], off offset:64  sc0 sc1 nt  
	
	;;#ASMEND
	ds_read_b32 v12, v11 offset:57360
	v_add_u32_e32 v11, 0xe000, v11
	s_waitcnt lgkmcnt(0)
	v_cmp_ne_u32_e32 vcc, v12, v46
	s_and_saveexec_b64 s[12:13], vcc
	s_cbranch_execz .LBB142_43
; %bb.45:                               ;   in Loop: Header=BB142_44 Depth=2
	s_mov_b64 s[14:15], 0
.LBB142_46:                             ;   Parent Loop BB142_7 Depth=1
                                        ;     Parent Loop BB142_44 Depth=2
                                        ; =>    This Inner Loop Header: Depth=3
	;;#ASMSTART
	s_sleep 0
	;;#ASMEND
	ds_read_b32 v12, v11 offset:16
	s_waitcnt lgkmcnt(0)
	v_cmp_eq_u32_e32 vcc, v12, v46
	s_or_b64 s[14:15], vcc, s[14:15]
	s_andn2_b64 exec, exec, s[14:15]
	s_cbranch_execnz .LBB142_46
	s_branch .LBB142_43
.LBB142_47:                             ;   in Loop: Header=BB142_7 Depth=1
	s_or_b64 exec, exec, s[10:11]
.LBB142_48:                             ;   in Loop: Header=BB142_7 Depth=1
	s_or_b64 exec, exec, s[8:9]
	v_subrev_u32_e32 v62, s16, v62
.LBB142_49:                             ;   in Loop: Header=BB142_7 Depth=1
	s_or_b64 exec, exec, s[6:7]
.LBB142_50:                             ;   in Loop: Header=BB142_7 Depth=1
	s_andn2_saveexec_b64 s[6:7], s[46:47]
	s_cbranch_execz .LBB142_6
; %bb.51:                               ;   in Loop: Header=BB142_7 Depth=1
	v_cmp_gt_i32_e32 vcc, s67, v62
	s_and_saveexec_b64 s[8:9], vcc
	s_cbranch_execz .LBB142_5
; %bb.52:                               ;   in Loop: Header=BB142_7 Depth=1
	s_mul_i32 s68, s68, s22
	s_ashr_i32 s10, s68, 31
	s_waitcnt lgkmcnt(0)
	s_add_u32 s11, s36, s68
	s_addc_u32 s12, s37, s10
	s_ashr_i32 s13, s69, 31
	v_cmp_le_i32_e32 vcc, s70, v57
	s_add_u32 s10, s11, s69
	s_addc_u32 s11, s12, s13
	v_cndmask_b32_e32 v0, 0, v58, vcc
	v_ashrrev_i32_e32 v1, 31, v0
	v_lshl_add_u64 v[0:1], s[10:11], 0, v[0:1]
	v_lshl_add_u64 v[8:9], v[0:1], 0, v[28:29]
	s_mov_b64 s[10:11], 0
	s_branch .LBB142_54
.LBB142_53:                             ;   in Loop: Header=BB142_54 Depth=2
	s_or_b64 exec, exec, s[12:13]
	v_lshl_add_u32 v12, v10, 11, v59
	;;#ASMSTART
	s_waitcnt vmcnt(1)
	;;#ASMEND
	ds_write2_b32 v12, v4, v5 offset1:32
	ds_write2_b32 v12, v6, v7 offset0:64 offset1:96
	v_add_u32_e32 v4, 0x400, v12
	v_add_u32_e32 v62, s25, v62
	;;#ASMSTART
	s_waitcnt vmcnt(0)
	;;#ASMEND
	ds_write2_b32 v4, v0, v1 offset1:32
	ds_write2_b32 v4, v2, v3 offset0:64 offset1:96
	v_add_u32_e32 v0, 1, v46
	v_add_u32_e32 v32, s25, v10
	v_cmp_le_i32_e32 vcc, s67, v62
	ds_write_b32 v11, v0
	v_add_u32_e32 v0, 2, v46
	s_or_b64 s[10:11], vcc, s[10:11]
	v_cmp_lt_i32_e32 vcc, 3, v32
	s_nop 1
	v_cndmask_b32_e32 v46, v46, v0, vcc
	s_andn2_b64 exec, exec, s[10:11]
	s_cbranch_execz .LBB142_4
.LBB142_54:                             ;   Parent Loop BB142_7 Depth=1
                                        ; =>  This Loop Header: Depth=2
                                        ;       Child Loop BB142_56 Depth 3
	v_cmp_gt_i32_e32 vcc, 4, v32
	s_nop 1
	v_cndmask_b32_e64 v0, -4, 0, vcc
	v_add_u32_e32 v10, v0, v32
	v_lshlrev_b32_e32 v0, 7, v62
	v_ashrrev_i32_e32 v1, 31, v0
	v_lshl_add_u64 v[0:1], v[8:9], 0, v[0:1]
	v_lshlrev_b32_e32 v11, 2, v10
	;;#ASMSTART
	global_load_dwordx4 v[4:7], v[0:1], off offset:0   
	global_load_dwordx4 v[0:3], v[0:1], off offset:64  
	
	;;#ASMEND
	ds_read_b32 v12, v11 offset:57344
	v_add_u32_e32 v11, 0xe000, v11
	s_waitcnt lgkmcnt(0)
	v_cmp_ne_u32_e32 vcc, v12, v46
	s_and_saveexec_b64 s[12:13], vcc
	s_cbranch_execz .LBB142_53
; %bb.55:                               ;   in Loop: Header=BB142_54 Depth=2
	s_mov_b64 s[14:15], 0
.LBB142_56:                             ;   Parent Loop BB142_7 Depth=1
                                        ;     Parent Loop BB142_54 Depth=2
                                        ; =>    This Inner Loop Header: Depth=3
	;;#ASMSTART
	s_sleep 0
	;;#ASMEND
	ds_read_b32 v12, v11
	s_waitcnt lgkmcnt(0)
	v_cmp_eq_u32_e32 vcc, v12, v46
	s_or_b64 s[14:15], vcc, s[14:15]
	s_andn2_b64 exec, exec, s[14:15]
	s_cbranch_execnz .LBB142_56
	s_branch .LBB142_53
.LBB142_57:
	s_endpgm
	.section	.rodata,"a",@progbits
	.p2align	6, 0x0
	.amdhsa_kernel _Z19_skinny_gemm_kernelILi1ELi6ELi4ELi16ELi4EEvPKhS1_P6__halfPKfiiiiiiii
		.amdhsa_group_segment_fixed_size 57456
		.amdhsa_private_segment_fixed_size 0
		.amdhsa_kernarg_size 64
		.amdhsa_user_sgpr_count 2
		.amdhsa_user_sgpr_dispatch_ptr 0
		.amdhsa_user_sgpr_queue_ptr 0
		.amdhsa_user_sgpr_kernarg_segment_ptr 1
		.amdhsa_user_sgpr_dispatch_id 0
		.amdhsa_user_sgpr_kernarg_preload_length 0
		.amdhsa_user_sgpr_kernarg_preload_offset 0
		.amdhsa_user_sgpr_private_segment_size 0
		.amdhsa_uses_dynamic_stack 0
		.amdhsa_enable_private_segment 0
		.amdhsa_system_sgpr_workgroup_id_x 1
		.amdhsa_system_sgpr_workgroup_id_y 0
		.amdhsa_system_sgpr_workgroup_id_z 0
		.amdhsa_system_sgpr_workgroup_info 0
		.amdhsa_system_vgpr_workitem_id 0
		.amdhsa_next_free_vgpr 70
		.amdhsa_next_free_sgpr 71
		.amdhsa_accum_offset 72
		.amdhsa_reserve_vcc 1
		.amdhsa_float_round_mode_32 0
		.amdhsa_float_round_mode_16_64 0
		.amdhsa_float_denorm_mode_32 3
		.amdhsa_float_denorm_mode_16_64 3
		.amdhsa_dx10_clamp 1
		.amdhsa_ieee_mode 1
		.amdhsa_fp16_overflow 0
		.amdhsa_tg_split 0
		.amdhsa_exception_fp_ieee_invalid_op 0
		.amdhsa_exception_fp_denorm_src 0
		.amdhsa_exception_fp_ieee_div_zero 0
		.amdhsa_exception_fp_ieee_overflow 0
		.amdhsa_exception_fp_ieee_underflow 0
		.amdhsa_exception_fp_ieee_inexact 0
		.amdhsa_exception_int_div_zero 0
	.end_amdhsa_kernel
	.section	.text._Z19_skinny_gemm_kernelILi1ELi6ELi4ELi16ELi4EEvPKhS1_P6__halfPKfiiiiiiii,"axG",@progbits,_Z19_skinny_gemm_kernelILi1ELi6ELi4ELi16ELi4EEvPKhS1_P6__halfPKfiiiiiiii,comdat
.Lfunc_end142:
	.size	_Z19_skinny_gemm_kernelILi1ELi6ELi4ELi16ELi4EEvPKhS1_P6__halfPKfiiiiiiii, .Lfunc_end142-_Z19_skinny_gemm_kernelILi1ELi6ELi4ELi16ELi4EEvPKhS1_P6__halfPKfiiiiiiii
                                        ; -- End function
	.set _Z19_skinny_gemm_kernelILi1ELi6ELi4ELi16ELi4EEvPKhS1_P6__halfPKfiiiiiiii.num_vgpr, 70
	.set _Z19_skinny_gemm_kernelILi1ELi6ELi4ELi16ELi4EEvPKhS1_P6__halfPKfiiiiiiii.num_agpr, 0
	.set _Z19_skinny_gemm_kernelILi1ELi6ELi4ELi16ELi4EEvPKhS1_P6__halfPKfiiiiiiii.numbered_sgpr, 71
	.set _Z19_skinny_gemm_kernelILi1ELi6ELi4ELi16ELi4EEvPKhS1_P6__halfPKfiiiiiiii.num_named_barrier, 0
	.set _Z19_skinny_gemm_kernelILi1ELi6ELi4ELi16ELi4EEvPKhS1_P6__halfPKfiiiiiiii.private_seg_size, 0
	.set _Z19_skinny_gemm_kernelILi1ELi6ELi4ELi16ELi4EEvPKhS1_P6__halfPKfiiiiiiii.uses_vcc, 1
	.set _Z19_skinny_gemm_kernelILi1ELi6ELi4ELi16ELi4EEvPKhS1_P6__halfPKfiiiiiiii.uses_flat_scratch, 0
	.set _Z19_skinny_gemm_kernelILi1ELi6ELi4ELi16ELi4EEvPKhS1_P6__halfPKfiiiiiiii.has_dyn_sized_stack, 0
	.set _Z19_skinny_gemm_kernelILi1ELi6ELi4ELi16ELi4EEvPKhS1_P6__halfPKfiiiiiiii.has_recursion, 0
	.set _Z19_skinny_gemm_kernelILi1ELi6ELi4ELi16ELi4EEvPKhS1_P6__halfPKfiiiiiiii.has_indirect_call, 0
	.section	.AMDGPU.csdata,"",@progbits
; Kernel info:
; codeLenInByte = 5036
; TotalNumSgprs: 77
; NumVgprs: 70
; NumAgprs: 0
; TotalNumVgprs: 70
; ScratchSize: 0
; MemoryBound: 0
; FloatMode: 240
; IeeeMode: 1
; LDSByteSize: 57456 bytes/workgroup (compile time only)
; SGPRBlocks: 9
; VGPRBlocks: 8
; NumSGPRsForWavesPerEU: 77
; NumVGPRsForWavesPerEU: 70
; AccumOffset: 72
; Occupancy: 7
; WaveLimiterHint : 0
; COMPUTE_PGM_RSRC2:SCRATCH_EN: 0
; COMPUTE_PGM_RSRC2:USER_SGPR: 2
; COMPUTE_PGM_RSRC2:TRAP_HANDLER: 0
; COMPUTE_PGM_RSRC2:TGID_X_EN: 1
; COMPUTE_PGM_RSRC2:TGID_Y_EN: 0
; COMPUTE_PGM_RSRC2:TGID_Z_EN: 0
; COMPUTE_PGM_RSRC2:TIDIG_COMP_CNT: 0
; COMPUTE_PGM_RSRC3_GFX90A:ACCUM_OFFSET: 17
; COMPUTE_PGM_RSRC3_GFX90A:TG_SPLIT: 0
	.section	.text._Z19_skinny_gemm_kernelILi1ELi6ELi4ELi32ELi4EEvPKhS1_P6__halfPKfiiiiiiii,"axG",@progbits,_Z19_skinny_gemm_kernelILi1ELi6ELi4ELi32ELi4EEvPKhS1_P6__halfPKfiiiiiiii,comdat
	.protected	_Z19_skinny_gemm_kernelILi1ELi6ELi4ELi32ELi4EEvPKhS1_P6__halfPKfiiiiiiii ; -- Begin function _Z19_skinny_gemm_kernelILi1ELi6ELi4ELi32ELi4EEvPKhS1_P6__halfPKfiiiiiiii
	.globl	_Z19_skinny_gemm_kernelILi1ELi6ELi4ELi32ELi4EEvPKhS1_P6__halfPKfiiiiiiii
	.p2align	8
	.type	_Z19_skinny_gemm_kernelILi1ELi6ELi4ELi32ELi4EEvPKhS1_P6__halfPKfiiiiiiii,@function
_Z19_skinny_gemm_kernelILi1ELi6ELi4ELi32ELi4EEvPKhS1_P6__halfPKfiiiiiiii: ; @_Z19_skinny_gemm_kernelILi1ELi6ELi4ELi32ELi4EEvPKhS1_P6__halfPKfiiiiiiii
; %bb.0:
	v_cmp_gt_u32_e32 vcc, 28, v0
	s_and_saveexec_b64 s[4:5], vcc
; %bb.1:
	v_lshlrev_b32_e32 v1, 2, v0
	v_mov_b32_e32 v2, 0
	ds_write_b32 v1, v2 offset:57344
; %bb.2:
	s_or_b64 exec, exec, s[4:5]
	s_load_dwordx8 s[88:95], s[0:1], 0x20
	s_waitcnt lgkmcnt(0)
	s_barrier
	s_add_i32 s3, s88, 31
	s_ashr_i32 s5, s3, 31
	s_add_i32 s4, s89, 0xbf
	s_lshr_b32 s5, s5, 27
	s_mul_hi_i32 s4, s4, 0x2aaaaaab
	s_add_i32 s3, s3, s5
	s_ashr_i32 s11, s3, 5
	s_lshr_b32 s3, s4, 31
	s_ashr_i32 s4, s4, 5
	s_add_i32 s12, s4, s3
	s_mul_i32 s3, s12, s11
	s_mul_i32 s3, s3, s92
	s_add_i32 s4, s3, 0x12f
	s_mul_hi_i32 s4, s4, 0x6bca1af3
	s_lshr_b32 s5, s4, 31
	s_ashr_i32 s4, s4, 7
	s_add_i32 s4, s4, s5
	s_add_i32 s5, s2, 1
	s_mul_i32 s5, s4, s5
	v_cvt_f64_i32_e32 v[2:3], s3
	v_cvt_f64_u32_e32 v[4:5], s5
	v_min_f64 v[2:3], v[2:3], v[4:5]
	v_cvt_i32_f64_e32 v13, v[2:3]
	s_mul_i32 s33, s4, s2
	v_cmp_ge_i32_e32 vcc, s33, v13
	s_cbranch_vccnz .LBB143_58
; %bb.3:
	s_load_dwordx8 s[52:59], s[0:1], 0x0
	v_lshrrev_b32_e32 v1, 6, v0
	s_add_i32 s0, s94, s93
	v_cmp_le_i32_e64 s[14:15], s0, v1
	v_mov_b32_e32 v2, s93
	v_cmp_le_i32_e64 s[24:25], s93, v1
	v_mov_b32_e32 v3, s94
	v_cndmask_b32_e64 v3, 0, v3, s[14:15]
	v_cndmask_b32_e64 v2, 0, v2, s[24:25]
	s_abs_i32 s1, s92
	v_add_u32_e32 v2, v2, v3
	v_cvt_f32_u32_e32 v3, s1
	v_sub_u32_e32 v104, v1, v2
	s_ashr_i32 s2, s90, 31
	s_lshr_b32 s2, s2, 26
	v_rcp_iflag_f32_e32 v2, v3
	s_sub_i32 s5, 0, s1
	s_add_i32 s2, s90, s2
	s_ashr_i32 s2, s2, 6
	v_mul_f32_e32 v2, 0x4f7ffffe, v2
	v_cvt_u32_f32_e32 v2, v2
	s_abs_i32 s4, s2
	s_xor_b32 s3, s2, s92
	s_ashr_i32 s3, s3, 31
	v_readfirstlane_b32 s6, v2
	s_mul_i32 s5, s5, s6
	s_mul_hi_u32 s5, s6, s5
	s_add_i32 s6, s6, s5
	s_mul_hi_u32 s5, s4, s6
	s_mul_i32 s6, s5, s1
	s_sub_i32 s4, s4, s6
	s_add_i32 s6, s5, 1
	s_sub_i32 s7, s4, s1
	s_cmp_ge_u32 s4, s1
	s_cselect_b32 s5, s6, s5
	s_cselect_b32 s4, s7, s4
	s_add_i32 s6, s5, 1
	s_cmp_ge_u32 s4, s1
	s_cselect_b32 s1, s6, s5
	s_add_i32 s0, s0, s95
	v_and_b32_e32 v120, 31, v0
	v_lshrrev_b32_e32 v2, 3, v0
	v_cmp_gt_i32_e64 s[28:29], s0, v1
	v_lshlrev_b32_e32 v1, 2, v120
	v_and_b32_e32 v3, 4, v2
	v_lshlrev_b32_e32 v2, 6, v3
	v_or_b32_e32 v4, 0xc000, v1
	v_and_b32_e32 v5, 1, v0
	v_or_b32_e32 v115, v4, v2
	v_or_b32_e32 v116, v1, v2
	v_lshlrev_b32_e32 v2, 1, v5
	v_sub_u32_e32 v2, v0, v2
	v_mul_lo_u32 v8, s91, v120
	v_add_u32_e32 v2, 1, v2
	v_ashrrev_i32_e32 v9, 31, v8
	s_abs_i32 s30, s11
                                        ; implicit-def: $vgpr127 : SGPR spill to VGPR lane
	v_and_b32_e32 v6, 63, v2
	v_bitop3_b32 v2, v0, 1, v0 bitop3:0xc
	scratch_store_dwordx2 off, v[8:9], off offset:92 ; 8-byte Folded Spill
	v_cvt_f32_u32_e32 v8, s30
	v_writelane_b32 v127, s11, 0
	scratch_store_dword off, v2, off offset:52 ; 4-byte Folded Spill
	v_bitop3_b32 v2, v0, 3, 1 bitop3:0x6c
	v_lshrrev_b32_e32 v7, 1, v0
	v_writelane_b32 v127, s12, 1
	scratch_store_dword off, v2, off offset:56 ; 4-byte Folded Spill
	v_bitop3_b32 v2, v0, 5, 1 bitop3:0x6c
	v_and_b32_e32 v14, 16, v7
	v_lshlrev_b32_e32 v7, 4, v0
	s_waitcnt lgkmcnt(0)
	v_writelane_b32 v127, s52, 2
	scratch_store_dword off, v2, off offset:60 ; 4-byte Folded Spill
	v_bitop3_b32 v2, v0, 7, 1 bitop3:0x6c
	v_and_b32_e32 v7, 0x200, v7
	v_writelane_b32 v127, s53, 3
	scratch_store_dword off, v2, off offset:64 ; 4-byte Folded Spill
	v_bitop3_b32 v2, v0, 9, 1 bitop3:0x6c
	v_or_b32_e32 v16, v1, v7
	v_rcp_iflag_f32_e32 v1, v8
	v_writelane_b32 v127, s54, 4
	scratch_store_dword off, v2, off offset:68 ; 4-byte Folded Spill
	v_bitop3_b32 v2, v0, 11, 1 bitop3:0x6c
	v_writelane_b32 v127, s55, 5
	scratch_store_dword off, v2, off offset:72 ; 4-byte Folded Spill
	v_bitop3_b32 v2, v0, 13, 1 bitop3:0x6c
	;; [unrolled: 3-line block ×3, first 2 shown]
	s_abs_i32 s34, s12
	v_writelane_b32 v127, s57, 7
	scratch_store_dword off, v2, off offset:80 ; 4-byte Folded Spill
	v_and_b32_e32 v2, 30, v0
	v_bitop3_b32 v17, v0, 31, v0 bitop3:0xc
	v_mul_f32_e32 v0, 0x4f7ffffe, v1
	v_cvt_f32_u32_e32 v1, s34
	v_writelane_b32 v127, s58, 8
	v_writelane_b32 v127, s59, 9
	v_cndmask_b32_e64 v111, 0, 1, s[14:15]
	v_writelane_b32 v127, s14, 10
	s_xor_b32 s1, s1, s3
	v_cvt_u32_f32_e32 v0, v0
	v_writelane_b32 v127, s15, 11
	v_rcp_iflag_f32_e32 v1, v1
	v_writelane_b32 v127, s24, 12
	s_sub_i32 s13, s1, s3
	s_add_i32 s26, s92, -1
	v_writelane_b32 v127, s25, 13
	s_mul_i32 s1, s13, s26
	v_writelane_b32 v127, s13, 14
	s_sub_i32 s27, s2, s1
	v_writelane_b32 v127, s26, 15
	v_readfirstlane_b32 s1, v0
	v_mul_f32_e32 v0, 0x4f7ffffe, v1
	v_writelane_b32 v127, s27, 16
	v_cvt_u32_f32_e32 v0, v0
	v_writelane_b32 v127, s28, 17
	s_sub_i32 s0, 0, s30
	s_lshl_b32 s31, s91, 5
	v_writelane_b32 v127, s29, 18
	s_mul_i32 s0, s0, s1
	v_writelane_b32 v127, s30, 19
	s_mul_hi_u32 s0, s1, s0
	v_writelane_b32 v127, s31, 20
	s_ashr_i32 s35, s11, 31
	s_add_i32 s36, s1, s0
	s_sub_i32 s0, 0, s34
	v_readfirstlane_b32 s1, v0
	v_writelane_b32 v127, s34, 21
	s_mul_i32 s0, s0, s1
	v_mbcnt_lo_u32_b32 v0, -1, 0
	v_writelane_b32 v127, s35, 22
	s_ashr_i32 s37, s12, 31
	s_mul_hi_u32 s0, s1, s0
	v_mbcnt_hi_u32_b32 v0, -1, v0
	v_writelane_b32 v127, s36, 23
	v_mov_b32_e32 v123, 0
	s_add_i32 s38, s1, s0
	v_and_or_b32 v0, v0, 64, v6
	v_writelane_b32 v127, s37, 24
	v_mov_b32_e32 v15, v123
	v_or_b32_e32 v125, v4, v7
	v_lshlrev_b32_e32 v122, 1, v2
	v_lshlrev_b32_e32 v118, 2, v0
	v_mov_b32_e32 v101, v104
	v_writelane_b32 v127, s38, 25
	v_or_b32_e32 v100, v5, v3
	scratch_store_dword off, v13, off offset:36 ; 4-byte Folded Spill
	scratch_store_dword off, v120, off offset:40 ; 4-byte Folded Spill
	;; [unrolled: 1-line block ×4, first 2 shown]
	scratch_store_dwordx2 off, v[14:15], off offset:84 ; 8-byte Folded Spill
	scratch_store_dword off, v16, off offset:100 ; 4-byte Folded Spill
	scratch_store_dword off, v17, off offset:104 ; 4-byte Folded Spill
	;; [unrolled: 1-line block ×3, first 2 shown]
	s_branch .LBB143_7
.LBB143_4:                              ;   in Loop: Header=BB143_7 Depth=1
	s_or_b64 exec, exec, s[4:5]
.LBB143_5:                              ;   in Loop: Header=BB143_7 Depth=1
	s_or_b64 exec, exec, s[2:3]
	v_subrev_u32_e32 v101, s92, v101
.LBB143_6:                              ;   in Loop: Header=BB143_7 Depth=1
	s_or_b64 exec, exec, s[0:1]
	s_add_i32 s33, s33, 1
	s_waitcnt vmcnt(4)
	v_cmp_ge_i32_e32 vcc, s33, v13
	s_cbranch_vccnz .LBB143_58
.LBB143_7:                              ; =>This Loop Header: Depth=1
                                        ;     Child Loop BB143_13 Depth 2
                                        ;       Child Loop BB143_15 Depth 3
                                        ;       Child Loop BB143_18 Depth 3
	;; [unrolled: 1-line block ×7, first 2 shown]
                                        ;     Child Loop BB143_37 Depth 2
                                        ;     Child Loop BB143_45 Depth 2
                                        ;       Child Loop BB143_47 Depth 3
                                        ;     Child Loop BB143_55 Depth 2
                                        ;       Child Loop BB143_57 Depth 3
	s_abs_i32 s1, s33
	s_mul_hi_u32 s2, s1, s36
	s_mul_i32 s3, s2, s30
	s_ashr_i32 s0, s33, 31
	s_sub_i32 s1, s1, s3
	s_xor_b32 s0, s0, s35
	s_add_i32 s3, s2, 1
	s_sub_i32 s4, s1, s30
	s_cmp_ge_u32 s1, s30
	s_cselect_b32 s2, s3, s2
	s_cselect_b32 s1, s4, s1
	s_add_i32 s3, s2, 1
	s_cmp_ge_u32 s1, s30
	s_cselect_b32 s1, s3, s2
	s_xor_b32 s1, s1, s0
	s_sub_i32 s0, s1, s0
	s_abs_i32 s2, s0
	s_mul_i32 s1, s0, s11
	s_mul_hi_u32 s3, s2, s38
	s_sub_i32 s1, s33, s1
	s_mul_i32 s4, s3, s34
	s_lshl_b32 s39, s1, 5
	s_ashr_i32 s1, s0, 31
	s_sub_i32 s2, s2, s4
	s_xor_b32 s1, s1, s37
	s_add_i32 s4, s3, 1
	s_sub_i32 s5, s2, s34
	s_cmp_ge_u32 s2, s34
	s_cselect_b32 s3, s4, s3
	s_cselect_b32 s2, s5, s2
	s_add_i32 s4, s3, 1
	s_cmp_ge_u32 s2, s34
	s_cselect_b32 s2, s4, s3
	s_xor_b32 s2, s2, s1
	s_sub_i32 s1, s2, s1
	s_mul_i32 s2, s1, s13
	s_lshl_b32 s41, s2, 6
	s_cmp_eq_u32 s1, s26
	s_cselect_b32 s92, s27, s13
	s_sub_i32 s2, s39, s88
	s_add_i32 s40, s2, 32
	s_and_saveexec_b64 s[2:3], s[24:25]
	s_xor_b64 s[42:43], exec, s[2:3]
	s_cbranch_execz .LBB143_51
; %bb.8:                                ;   in Loop: Header=BB143_7 Depth=1
	s_mul_i32 s1, s1, s12
	s_sub_i32 s0, s0, s1
	s_mulk_i32 s0, 0xc0
	s_sub_i32 s8, s0, s89
	s_addk_i32 s8, 0xc0
	s_max_i32 s1, s8, 0
	s_sub_i32 s44, s0, s1
	s_and_saveexec_b64 s[0:1], s[14:15]
	s_xor_b64 s[46:47], exec, s[0:1]
	s_cbranch_execz .LBB143_41
; %bb.9:                                ;   in Loop: Header=BB143_7 Depth=1
	s_and_saveexec_b64 s[48:49], s[28:29]
	s_cbranch_execz .LBB143_40
; %bb.10:                               ;   in Loop: Header=BB143_7 Depth=1
	global_load_dword v124, v123, s[58:59]
	v_mov_b32_e32 v95, 0
	v_cmp_gt_i32_e32 vcc, s92, v101
	v_mov_b32_e32 v94, v95
	v_mov_b32_e32 v93, v95
	;; [unrolled: 1-line block ×77, first 2 shown]
	s_waitcnt vmcnt(1)
	v_mov_b32_e32 v17, v95
	v_mov_b32_e32 v16, v95
	v_mov_b32_e32 v15, v95
	v_mov_b32_e32 v14, v95
	v_mov_b32_e32 v13, v95
	v_mov_b32_e32 v12, v95
	v_mov_b32_e32 v11, v95
	v_mov_b32_e32 v10, v95
	v_mov_b32_e32 v9, v95
	v_mov_b32_e32 v8, v95
	v_mov_b32_e32 v7, v95
	v_mov_b32_e32 v6, v95
	v_mov_b32_e32 v5, v95
	v_mov_b32_e32 v4, v95
	v_mov_b32_e32 v3, v95
	v_mov_b32_e32 v2, v95
	v_mov_b32_e32 v1, v95
	v_mov_b32_e32 v0, v95
	s_and_saveexec_b64 s[0:1], vcc
	s_cbranch_execz .LBB143_35
; %bb.11:                               ;   in Loop: Header=BB143_7 Depth=1
	v_mov_b32_e32 v0, 0
	s_mov_b64 s[2:3], 0
	v_mov_b32_e32 v1, v0
	v_mov_b32_e32 v2, v0
	;; [unrolled: 1-line block ×95, first 2 shown]
	s_branch .LBB143_13
.LBB143_12:                             ;   in Loop: Header=BB143_13 Depth=2
	s_or_b64 exec, exec, s[4:5]
	v_add_u32_e32 v110, 0x2800, v99
	ds_read2_b32 v[112:113], v110 offset1:32
	v_add_u32_e32 v99, 0x2c00, v99
	v_add_u32_e32 v101, s95, v101
	s_waitcnt lgkmcnt(0)
	v_mfma_f32_32x32x16_fp8_fp8 v[0:15], v[108:109], v[112:113], v[0:15]
	ds_read2_b32 v[108:109], v110 offset0:128 offset1:160
	s_waitcnt lgkmcnt(0)
	v_mfma_f32_32x32x16_fp8_fp8 v[0:15], v[106:107], v[108:109], v[0:15]
	ds_read2_b32 v[106:107], v99 offset1:32
	ds_read2_b32 v[108:109], v99 offset0:128 offset1:160
	ds_write_b32 v97, v98 offset:57388
	s_waitcnt lgkmcnt(2)
	v_mfma_f32_32x32x16_fp8_fp8 v[0:15], v[104:105], v[106:107], v[0:15]
	v_add_u32_e32 v104, s95, v96
	v_add_u32_e32 v96, 2, v111
	v_cmp_lt_i32_e32 vcc, 3, v104
	s_nop 1
	v_cndmask_b32_e32 v111, v111, v96, vcc
	v_cmp_le_i32_e32 vcc, s92, v101
	s_waitcnt lgkmcnt(1)
	v_mfma_f32_32x32x16_fp8_fp8 v[0:15], v[102:103], v[108:109], v[0:15]
	s_or_b64 s[2:3], vcc, s[2:3]
	s_andn2_b64 exec, exec, s[2:3]
	s_cbranch_execz .LBB143_34
.LBB143_13:                             ;   Parent Loop BB143_7 Depth=1
                                        ; =>  This Loop Header: Depth=2
                                        ;       Child Loop BB143_15 Depth 3
                                        ;       Child Loop BB143_18 Depth 3
	;; [unrolled: 1-line block ×7, first 2 shown]
	v_cmp_gt_i32_e32 vcc, 4, v104
	s_nop 1
	v_cndmask_b32_e64 v96, -4, 0, vcc
	v_add_u32_e32 v96, v96, v104
	v_mul_lo_u32 v97, v96, 48
	ds_read_b32 v98, v97 offset:57344
	s_waitcnt lgkmcnt(0)
	v_cmp_ne_u32_e32 vcc, v98, v111
	s_and_saveexec_b64 s[4:5], vcc
	s_cbranch_execz .LBB143_16
; %bb.14:                               ;   in Loop: Header=BB143_13 Depth=2
	s_mov_b64 s[6:7], 0
.LBB143_15:                             ;   Parent Loop BB143_7 Depth=1
                                        ;     Parent Loop BB143_13 Depth=2
                                        ; =>    This Inner Loop Header: Depth=3
	;;#ASMSTART
	s_sleep 0
	;;#ASMEND
	ds_read_b32 v98, v97 offset:57344
	s_waitcnt lgkmcnt(0)
	v_cmp_eq_u32_e32 vcc, v98, v111
	s_or_b64 s[6:7], vcc, s[6:7]
	s_andn2_b64 exec, exec, s[6:7]
	s_cbranch_execnz .LBB143_15
.LBB143_16:                             ;   in Loop: Header=BB143_13 Depth=2
	s_or_b64 exec, exec, s[4:5]
	v_lshl_add_u32 v98, v96, 11, v115
	ds_read2_b32 v[108:109], v98 offset1:32
	ds_read2_b32 v[106:107], v98 offset0:128 offset1:160
	v_add_u32_e32 v98, 0x400, v98
	ds_read2_b32 v[104:105], v98 offset1:32
	ds_read_b32 v99, v97 offset:57348
	ds_read2_b32 v[102:103], v98 offset0:128 offset1:160
	v_add_u32_e32 v98, 1, v111
	ds_write_b32 v97, v98 offset:57344
	s_waitcnt lgkmcnt(2)
	v_cmp_ne_u32_e32 vcc, v99, v111
	s_and_saveexec_b64 s[4:5], vcc
	s_cbranch_execz .LBB143_19
; %bb.17:                               ;   in Loop: Header=BB143_13 Depth=2
	s_mov_b64 s[6:7], 0
.LBB143_18:                             ;   Parent Loop BB143_7 Depth=1
                                        ;     Parent Loop BB143_13 Depth=2
                                        ; =>    This Inner Loop Header: Depth=3
	;;#ASMSTART
	s_sleep 0
	;;#ASMEND
	ds_read_b32 v99, v97 offset:57348
	s_waitcnt lgkmcnt(0)
	v_cmp_eq_u32_e32 vcc, v99, v111
	s_or_b64 s[6:7], vcc, s[6:7]
	s_andn2_b64 exec, exec, s[6:7]
	s_cbranch_execnz .LBB143_18
.LBB143_19:                             ;   in Loop: Header=BB143_13 Depth=2
	s_or_b64 exec, exec, s[4:5]
	s_movk_i32 s4, 0x3000
	v_mul_lo_u32 v99, v96, s4
	v_or_b32_e32 v110, v116, v99
	ds_read2_b32 v[112:113], v110 offset1:32
	ds_write_b32 v97, v98 offset:57348
	s_waitcnt lgkmcnt(1)
	v_mfma_f32_32x32x16_fp8_fp8 v[80:95], v[108:109], v[112:113], v[80:95]
	ds_read2_b32 v[112:113], v110 offset0:128 offset1:160
	v_add_u32_e32 v110, 0x400, v110
	s_waitcnt lgkmcnt(0)
	v_mfma_f32_32x32x16_fp8_fp8 v[80:95], v[106:107], v[112:113], v[80:95]
	ds_read2_b32 v[112:113], v110 offset1:32
	s_waitcnt lgkmcnt(0)
	v_mfma_f32_32x32x16_fp8_fp8 v[80:95], v[104:105], v[112:113], v[80:95]
	ds_read2_b32 v[112:113], v110 offset0:128 offset1:160
	ds_read_b32 v110, v97 offset:57356
	s_waitcnt lgkmcnt(0)
	v_cmp_ne_u32_e32 vcc, v110, v111
	v_mfma_f32_32x32x16_fp8_fp8 v[80:95], v[102:103], v[112:113], v[80:95]
	s_and_saveexec_b64 s[4:5], vcc
	s_cbranch_execz .LBB143_22
; %bb.20:                               ;   in Loop: Header=BB143_13 Depth=2
	s_mov_b64 s[6:7], 0
.LBB143_21:                             ;   Parent Loop BB143_7 Depth=1
                                        ;     Parent Loop BB143_13 Depth=2
                                        ; =>    This Inner Loop Header: Depth=3
	;;#ASMSTART
	s_sleep 0
	;;#ASMEND
	ds_read_b32 v110, v97 offset:57356
	s_waitcnt lgkmcnt(0)
	v_cmp_eq_u32_e32 vcc, v110, v111
	s_or_b64 s[6:7], vcc, s[6:7]
	s_andn2_b64 exec, exec, s[6:7]
	s_cbranch_execnz .LBB143_21
.LBB143_22:                             ;   in Loop: Header=BB143_13 Depth=2
	s_or_b64 exec, exec, s[4:5]
	v_add_u32_e32 v99, v116, v99
	v_add_u32_e32 v110, 0x800, v99
	ds_read2_b32 v[112:113], v110 offset1:32
	ds_write_b32 v97, v98 offset:57356
	s_waitcnt lgkmcnt(1)
	v_mfma_f32_32x32x16_fp8_fp8 v[64:79], v[108:109], v[112:113], v[64:79]
	ds_read2_b32 v[112:113], v110 offset0:128 offset1:160
	v_add_u32_e32 v110, 0xc00, v99
	s_waitcnt lgkmcnt(0)
	v_mfma_f32_32x32x16_fp8_fp8 v[64:79], v[106:107], v[112:113], v[64:79]
	ds_read2_b32 v[112:113], v110 offset1:32
	s_waitcnt lgkmcnt(0)
	v_mfma_f32_32x32x16_fp8_fp8 v[64:79], v[104:105], v[112:113], v[64:79]
	ds_read2_b32 v[112:113], v110 offset0:128 offset1:160
	ds_read_b32 v110, v97 offset:57364
	s_waitcnt lgkmcnt(0)
	v_cmp_ne_u32_e32 vcc, v110, v111
	v_mfma_f32_32x32x16_fp8_fp8 v[64:79], v[102:103], v[112:113], v[64:79]
	s_and_saveexec_b64 s[4:5], vcc
	s_cbranch_execz .LBB143_25
; %bb.23:                               ;   in Loop: Header=BB143_13 Depth=2
	s_mov_b64 s[6:7], 0
.LBB143_24:                             ;   Parent Loop BB143_7 Depth=1
                                        ;     Parent Loop BB143_13 Depth=2
                                        ; =>    This Inner Loop Header: Depth=3
	;;#ASMSTART
	s_sleep 0
	;;#ASMEND
	ds_read_b32 v110, v97 offset:57364
	s_waitcnt lgkmcnt(0)
	v_cmp_eq_u32_e32 vcc, v110, v111
	s_or_b64 s[6:7], vcc, s[6:7]
	s_andn2_b64 exec, exec, s[6:7]
	s_cbranch_execnz .LBB143_24
.LBB143_25:                             ;   in Loop: Header=BB143_13 Depth=2
	s_or_b64 exec, exec, s[4:5]
	v_add_u32_e32 v110, 0x1000, v99
	ds_read2_b32 v[112:113], v110 offset1:32
	s_waitcnt lgkmcnt(0)
	v_mfma_f32_32x32x16_fp8_fp8 v[48:63], v[108:109], v[112:113], v[48:63]
	ds_read2_b32 v[112:113], v110 offset0:128 offset1:160
	v_add_u32_e32 v110, 0x1400, v99
	s_waitcnt lgkmcnt(0)
	v_mfma_f32_32x32x16_fp8_fp8 v[48:63], v[106:107], v[112:113], v[48:63]
	ds_read2_b32 v[112:113], v110 offset1:32
	s_waitcnt lgkmcnt(0)
	v_mfma_f32_32x32x16_fp8_fp8 v[48:63], v[104:105], v[112:113], v[48:63]
	ds_read_b32 v114, v97 offset:57372
	ds_read2_b32 v[112:113], v110 offset0:128 offset1:160
	ds_write_b32 v97, v98 offset:57364
	s_waitcnt lgkmcnt(2)
	v_cmp_ne_u32_e32 vcc, v114, v111
	s_waitcnt lgkmcnt(1)
	v_mfma_f32_32x32x16_fp8_fp8 v[48:63], v[102:103], v[112:113], v[48:63]
	s_and_saveexec_b64 s[4:5], vcc
	s_cbranch_execz .LBB143_28
; %bb.26:                               ;   in Loop: Header=BB143_13 Depth=2
	s_mov_b64 s[6:7], 0
.LBB143_27:                             ;   Parent Loop BB143_7 Depth=1
                                        ;     Parent Loop BB143_13 Depth=2
                                        ; =>    This Inner Loop Header: Depth=3
	;;#ASMSTART
	s_sleep 0
	;;#ASMEND
	ds_read_b32 v110, v97 offset:57372
	s_waitcnt lgkmcnt(0)
	v_cmp_eq_u32_e32 vcc, v110, v111
	s_or_b64 s[6:7], vcc, s[6:7]
	s_andn2_b64 exec, exec, s[6:7]
	s_cbranch_execnz .LBB143_27
.LBB143_28:                             ;   in Loop: Header=BB143_13 Depth=2
	s_or_b64 exec, exec, s[4:5]
	v_add_u32_e32 v110, 0x1800, v99
	ds_read2_b32 v[112:113], v110 offset1:32
	s_waitcnt lgkmcnt(0)
	v_mfma_f32_32x32x16_fp8_fp8 v[32:47], v[108:109], v[112:113], v[32:47]
	ds_read2_b32 v[112:113], v110 offset0:128 offset1:160
	v_add_u32_e32 v110, 0x1c00, v99
	s_waitcnt lgkmcnt(0)
	v_mfma_f32_32x32x16_fp8_fp8 v[32:47], v[106:107], v[112:113], v[32:47]
	ds_read2_b32 v[112:113], v110 offset1:32
	s_waitcnt lgkmcnt(0)
	v_mfma_f32_32x32x16_fp8_fp8 v[32:47], v[104:105], v[112:113], v[32:47]
	ds_read_b32 v114, v97 offset:57380
	ds_read2_b32 v[112:113], v110 offset0:128 offset1:160
	ds_write_b32 v97, v98 offset:57372
	s_waitcnt lgkmcnt(2)
	v_cmp_ne_u32_e32 vcc, v114, v111
	s_waitcnt lgkmcnt(1)
	;; [unrolled: 36-line block ×3, first 2 shown]
	v_mfma_f32_32x32x16_fp8_fp8 v[16:31], v[102:103], v[112:113], v[16:31]
	s_and_saveexec_b64 s[4:5], vcc
	s_cbranch_execz .LBB143_12
; %bb.32:                               ;   in Loop: Header=BB143_13 Depth=2
	s_mov_b64 s[6:7], 0
.LBB143_33:                             ;   Parent Loop BB143_7 Depth=1
                                        ;     Parent Loop BB143_13 Depth=2
                                        ; =>    This Inner Loop Header: Depth=3
	;;#ASMSTART
	s_sleep 0
	;;#ASMEND
	ds_read_b32 v110, v97 offset:57388
	s_waitcnt lgkmcnt(0)
	v_cmp_eq_u32_e32 vcc, v110, v111
	s_or_b64 s[6:7], vcc, s[6:7]
	s_andn2_b64 exec, exec, s[6:7]
	s_cbranch_execnz .LBB143_33
	s_branch .LBB143_12
.LBB143_34:                             ;   in Loop: Header=BB143_7 Depth=1
	s_or_b64 exec, exec, s[2:3]
.LBB143_35:                             ;   in Loop: Header=BB143_7 Depth=1
	v_writelane_b32 v127, s48, 26
	s_nop 1
	v_writelane_b32 v127, s49, 27
	v_writelane_b32 v127, s46, 28
	s_nop 1
	v_writelane_b32 v127, s47, 29
	;; [unrolled: 3-line block ×4, first 2 shown]
	v_writelane_b32 v127, s41, 34
	v_writelane_b32 v127, s40, 35
	;; [unrolled: 1-line block ×3, first 2 shown]
	s_or_b64 exec, exec, s[0:1]
	scratch_load_dword v100, off, off offset:52 ; 4-byte Folded Reload
	scratch_load_dword v117, off, off offset:60 ; 4-byte Folded Reload
	v_cmp_le_i32_e32 vcc, s8, v120
	v_or_b32_e32 v102, 32, v120
	scratch_store_dwordx2 off, v[122:123], off ; 8-byte Folded Spill
	s_waitcnt vmcnt(3)
	v_cndmask_b32_e32 v96, 0, v124, vcc
	v_cmp_le_i32_e32 vcc, s8, v102
	v_pk_mul_f32 v[106:107], v[96:97], v[94:95] op_sel_hi:[0,1]
	v_pk_mul_f32 v[108:109], v[96:97], v[92:93] op_sel_hi:[0,1]
	;; [unrolled: 1-line block ×8, first 2 shown]
	v_cndmask_b32_e32 v96, 0, v124, vcc
	v_pk_mul_f32 v[78:79], v[96:97], v[78:79] op_sel_hi:[0,1]
	v_pk_mul_f32 v[76:77], v[96:97], v[76:77] op_sel_hi:[0,1]
	;; [unrolled: 1-line block ×8, first 2 shown]
	v_or_b32_e32 v96, 64, v120
	v_cmp_le_i32_e32 vcc, s8, v96
	v_or_b32_e32 v96, 0x60, v120
	v_subrev_u32_e32 v101, s92, v101
	v_cndmask_b32_e32 v66, 0, v124, vcc
	v_cmp_le_i32_e32 vcc, s8, v96
	v_or_b32_e32 v96, 0x80, v120
	v_pk_mul_f32 v[64:65], v[66:67], v[48:49] op_sel_hi:[0,1]
	v_cndmask_b32_e32 v48, 0, v124, vcc
	v_cmp_le_i32_e32 vcc, s8, v96
	v_or_b32_e32 v96, 0xa0, v120
	v_pk_mul_f32 v[46:47], v[48:49], v[46:47] op_sel_hi:[0,1]
	v_pk_mul_f32 v[44:45], v[48:49], v[44:45] op_sel_hi:[0,1]
	;; [unrolled: 1-line block ×8, first 2 shown]
	v_cndmask_b32_e32 v48, 0, v124, vcc
	v_cmp_le_i32_e32 vcc, s8, v96
	v_pk_mul_f32 v[30:31], v[48:49], v[30:31] op_sel_hi:[0,1]
	v_pk_mul_f32 v[28:29], v[48:49], v[28:29] op_sel_hi:[0,1]
	;; [unrolled: 1-line block ×8, first 2 shown]
	v_cndmask_b32_e32 v48, 0, v124, vcc
	v_pk_mul_f32 v[14:15], v[48:49], v[14:15] op_sel_hi:[0,1]
	v_pk_mul_f32 v[12:13], v[48:49], v[12:13] op_sel_hi:[0,1]
	;; [unrolled: 1-line block ×15, first 2 shown]
	s_waitcnt vmcnt(2)
	v_cmp_eq_u32_e64 s[6:7], 1, v100
	s_nop 1
	v_cndmask_b32_e64 v48, v80, v81, s[6:7]
	v_cmp_eq_u32_e64 s[38:39], 2, v100
	v_cmp_eq_u32_e32 vcc, 3, v100
	v_cmp_eq_u32_e64 s[0:1], 4, v100
	v_cndmask_b32_e64 v48, v48, v82, s[38:39]
	v_cndmask_b32_e32 v48, v48, v83, vcc
	v_cndmask_b32_e64 v48, v48, v84, s[0:1]
	v_cmp_eq_u32_e64 s[2:3], 5, v100
	v_cmp_eq_u32_e64 s[34:35], 6, v100
	v_cmp_eq_u32_e64 s[26:27], 7, v100
	v_cndmask_b32_e64 v48, v48, v85, s[2:3]
	v_cndmask_b32_e64 v48, v48, v86, s[34:35]
	v_cndmask_b32_e64 v48, v48, v87, s[26:27]
	v_cmp_eq_u32_e64 s[24:25], 8, v100
	v_cmp_eq_u32_e64 s[22:23], 9, v100
	v_cmp_eq_u32_e64 s[20:21], 10, v100
	v_cndmask_b32_e64 v48, v48, v88, s[24:25]
	v_cndmask_b32_e64 v48, v48, v89, s[22:23]
	;; [unrolled: 6-line block ×4, first 2 shown]
	ds_bpermute_b32 v48, v118, v48
	s_waitcnt vmcnt(1)
	v_cmp_eq_u32_e64 s[40:41], 1, v117
	s_waitcnt lgkmcnt(0)
	v_cndmask_b32_e64 v75, v86, v48, s[34:35]
	scratch_load_dword v86, off, off offset:56 ; 4-byte Folded Reload
	v_cndmask_b32_e64 v49, v107, v48, s[8:9]
	v_cndmask_b32_e64 v66, v106, v48, s[10:11]
	;; [unrolled: 1-line block ×11, first 2 shown]
	v_cndmask_b32_e32 v83, v83, v48, vcc
	v_cndmask_b32_e64 v82, v82, v48, s[38:39]
	v_cndmask_b32_e64 v81, v81, v48, s[6:7]
	;; [unrolled: 1-line block ×3, first 2 shown]
	s_waitcnt vmcnt(0)
	v_cmp_eq_u32_e64 s[4:5], 1, v86
	s_nop 1
	v_cndmask_b32_e64 v74, v48, v81, s[4:5]
	v_cmp_eq_u32_e64 s[28:29], 2, v86
	v_cmp_eq_u32_e64 s[30:31], 3, v86
	v_cmp_eq_u32_e64 s[36:37], 4, v86
	v_cndmask_b32_e64 v74, v74, v82, s[28:29]
	v_cndmask_b32_e64 v74, v74, v83, s[30:31]
	v_cndmask_b32_e64 v74, v74, v84, s[36:37]
	v_cmp_eq_u32_e64 s[44:45], 5, v86
	v_cmp_eq_u32_e64 s[48:49], 6, v86
	v_cmp_eq_u32_e64 s[52:53], 7, v86
	v_cndmask_b32_e64 v74, v74, v85, s[44:45]
	v_cndmask_b32_e64 v74, v74, v75, s[48:49]
	;; [unrolled: 6-line block ×5, first 2 shown]
	ds_bpermute_b32 v80, v118, v74
	s_waitcnt lgkmcnt(0)
	v_cndmask_b32_e64 v121, v49, v80, s[84:85]
	v_cndmask_b32_e64 v74, v72, v80, s[56:57]
	;; [unrolled: 1-line block ×8, first 2 shown]
	v_cndmask_b32_e32 v49, v49, v99, vcc
	v_cndmask_b32_e32 v75, v75, v51, vcc
	v_cndmask_b32_e64 v49, v49, v94, s[0:1]
	v_cndmask_b32_e64 v75, v75, v52, s[0:1]
	;; [unrolled: 1-line block ×34, first 2 shown]
	ds_bpermute_b32 v82, v118, v49
	v_cndmask_b32_e64 v49, v81, v80, s[4:5]
	v_cndmask_b32_e64 v48, v48, v80, s[16:17]
	ds_bpermute_b32 v80, v118, v75
	s_waitcnt lgkmcnt(1)
	v_cndmask_b32_e64 v106, v77, v82, s[12:13]
	v_cndmask_b32_e32 v75, v99, v82, vcc
	v_cndmask_b32_e64 v77, v93, v82, s[6:7]
	s_waitcnt lgkmcnt(0)
	v_cndmask_b32_e64 v96, v52, v80, s[0:1]
	v_cndmask_b32_e64 v52, v32, v33, s[6:7]
	;; [unrolled: 1-line block ×3, first 2 shown]
	v_cndmask_b32_e32 v52, v52, v35, vcc
	v_cndmask_b32_e64 v52, v52, v36, s[0:1]
	v_cndmask_b32_e64 v52, v52, v37, s[2:3]
	;; [unrolled: 1-line block ×12, first 2 shown]
	ds_bpermute_b32 v52, v118, v52
	v_cndmask_b32_e64 v99, v65, v80, s[6:7]
	v_cndmask_b32_e64 v79, v79, v82, s[8:9]
	;; [unrolled: 1-line block ×4, first 2 shown]
	s_waitcnt lgkmcnt(0)
	v_cndmask_b32_e64 v83, v33, v52, s[6:7]
	scratch_load_dword v33, off, off offset:64 ; 4-byte Folded Reload
	v_cndmask_b32_e64 v36, v36, v52, s[0:1]
	scratch_store_dword off, v36, off offset:12 ; 4-byte Folded Spill
	v_cndmask_b32_e64 v36, v16, v17, s[6:7]
	v_cndmask_b32_e64 v36, v36, v18, s[38:39]
	v_cndmask_b32_e32 v36, v36, v19, vcc
	v_cndmask_b32_e64 v36, v36, v20, s[0:1]
	v_cndmask_b32_e64 v36, v36, v21, s[2:3]
	;; [unrolled: 1-line block ×12, first 2 shown]
	ds_bpermute_b32 v36, v118, v36
	v_cndmask_b32_e64 v47, v47, v52, s[8:9]
	v_cndmask_b32_e64 v37, v37, v52, s[2:3]
	;; [unrolled: 1-line block ×4, first 2 shown]
	s_waitcnt lgkmcnt(0)
	v_cndmask_b32_e64 v17, v17, v36, s[6:7]
	scratch_store_dword off, v17, off offset:32 ; 4-byte Folded Spill
	v_cndmask_b32_e64 v17, v0, v1, s[6:7]
	v_cndmask_b32_e64 v17, v17, v2, s[38:39]
	v_cndmask_b32_e32 v17, v17, v3, vcc
	v_cndmask_b32_e64 v17, v17, v4, s[0:1]
	v_cndmask_b32_e64 v17, v17, v5, s[2:3]
	;; [unrolled: 1-line block ×12, first 2 shown]
	ds_bpermute_b32 v17, v118, v17
	v_cndmask_b32_e64 v85, v16, v36, s[42:43]
	v_cndmask_b32_e64 v16, v48, v49, s[40:41]
	v_cmp_eq_u32_e64 s[6:7], 2, v117
	v_cndmask_b32_e64 v31, v31, v36, s[8:9]
	s_waitcnt lgkmcnt(0)
	v_cndmask_b32_e64 v15, v15, v17, s[8:9]
	v_cndmask_b32_e64 v16, v16, v69, s[6:7]
	v_cmp_eq_u32_e64 s[8:9], 3, v117
	scratch_store_dword off, v37, off offset:8 ; 4-byte Folded Spill
	v_cndmask_b32_e64 v37, v30, v36, s[10:11]
	v_cndmask_b32_e64 v16, v16, v68, s[8:9]
	;; [unrolled: 1-line block ×3, first 2 shown]
	v_cmp_eq_u32_e64 s[10:11], 4, v117
	v_cndmask_b32_e64 v90, v61, v80, s[12:13]
	v_cndmask_b32_e64 v45, v45, v52, s[12:13]
	;; [unrolled: 1-line block ×6, first 2 shown]
	v_cmp_eq_u32_e64 s[12:13], 5, v117
	v_cndmask_b32_e64 v107, v76, v82, s[14:15]
	v_cndmask_b32_e64 v110, v113, v82, s[22:23]
	;; [unrolled: 1-line block ×10, first 2 shown]
	v_cmp_eq_u32_e64 s[14:15], 6, v117
	v_cndmask_b32_e64 v108, v103, v82, s[18:19]
	v_cndmask_b32_e64 v116, v94, v82, s[0:1]
	;; [unrolled: 1-line block ×9, first 2 shown]
	v_cmp_eq_u32_e64 s[18:19], 7, v117
	v_cndmask_b32_e64 v109, v102, v82, s[20:21]
	v_cndmask_b32_e64 v93, v58, v80, s[20:21]
	;; [unrolled: 1-line block ×6, first 2 shown]
	v_cmp_eq_u32_e64 s[20:21], 8, v117
	v_cndmask_b32_e64 v59, v41, v52, s[22:23]
	v_cndmask_b32_e64 v61, v25, v36, s[22:23]
	v_cndmask_b32_e64 v10, v16, v74, s[20:21]
	v_cndmask_b32_e64 v119, v9, v17, s[22:23]
	v_cmp_eq_u32_e64 s[22:23], 9, v117
	v_cndmask_b32_e64 v112, v112, v82, s[24:25]
	v_cndmask_b32_e64 v60, v40, v52, s[24:25]
	v_cndmask_b32_e64 v62, v24, v36, s[24:25]
	v_cndmask_b32_e64 v9, v10, v67, s[22:23]
	v_cndmask_b32_e64 v29, v8, v17, s[24:25]
	v_cmp_eq_u32_e64 s[24:25], 10, v117
	v_cndmask_b32_e64 v55, v55, v80, s[26:27]
	;; [unrolled: 6-line block ×3, first 2 shown]
	v_cndmask_b32_e64 v54, v54, v80, s[34:35]
	v_cndmask_b32_e64 v102, v64, v80, s[42:43]
	;; [unrolled: 1-line block ×5, first 2 shown]
	v_cmp_eq_u32_e64 s[34:35], 12, v117
	v_cndmask_b32_e64 v53, v53, v80, s[2:3]
	v_cndmask_b32_e64 v81, v21, v36, s[2:3]
	;; [unrolled: 1-line block ×4, first 2 shown]
	v_cmp_eq_u32_e64 s[2:3], 13, v117
	v_cndmask_b32_e64 v20, v20, v36, s[0:1]
	v_cndmask_b32_e64 v4, v4, v17, s[0:1]
	;; [unrolled: 1-line block ×3, first 2 shown]
	v_cmp_eq_u32_e64 s[0:1], 14, v117
	v_cndmask_b32_e32 v97, v51, v80, vcc
	v_cndmask_b32_e32 v35, v35, v52, vcc
	;; [unrolled: 1-line block ×3, first 2 shown]
	v_cndmask_b32_e64 v6, v6, v122, s[0:1]
	v_cndmask_b32_e32 v3, v3, v17, vcc
	v_cmp_eq_u32_e32 vcc, 15, v117
	v_cndmask_b32_e64 v76, v98, v82, s[38:39]
	v_cndmask_b32_e64 v98, v50, v80, s[38:39]
	v_cndmask_b32_e32 v6, v6, v121, vcc
	ds_bpermute_b32 v7, v118, v6
	v_cndmask_b32_e64 v84, v34, v52, s[38:39]
	v_cndmask_b32_e64 v18, v18, v36, s[38:39]
	;; [unrolled: 1-line block ×3, first 2 shown]
	v_cmp_ne_u32_e64 s[38:39], 0, v100
	v_cndmask_b32_e64 v82, v32, v52, s[42:43]
	s_waitcnt lgkmcnt(0)
	v_cndmask_b32_e64 v28, v49, v7, s[40:41]
	v_cndmask_b32_e64 v1, v1, v17, s[38:39]
	v_cmp_eq_u32_e64 s[38:39], 0, v117
	s_waitcnt vmcnt(3)
	v_cmp_eq_u32_e64 s[58:59], 1, v33
	v_cndmask_b32_e64 v27, v69, v7, s[6:7]
	v_writelane_b32 v127, s38, 37
	v_cndmask_b32_e64 v80, v0, v17, s[42:43]
	v_cndmask_b32_e64 v26, v68, v7, s[8:9]
	;; [unrolled: 1-line block ×3, first 2 shown]
	v_writelane_b32 v127, s39, 38
	v_cndmask_b32_e64 v0, v32, v28, s[58:59]
	v_cmp_eq_u32_e64 s[38:39], 2, v33
	v_cmp_eq_u32_e64 s[46:47], 3, v33
	v_cndmask_b32_e64 v25, v71, v7, s[10:11]
	v_cndmask_b32_e64 v0, v0, v27, s[38:39]
	;; [unrolled: 1-line block ×3, first 2 shown]
	v_cmp_eq_u32_e64 s[50:51], 4, v33
	v_cndmask_b32_e64 v24, v70, v7, s[12:13]
	v_cmp_eq_u32_e64 s[54:55], 5, v33
	v_cndmask_b32_e64 v0, v0, v25, s[50:51]
	v_cndmask_b32_e64 v23, v73, v7, s[14:15]
	;; [unrolled: 1-line block ×3, first 2 shown]
	v_cmp_eq_u32_e64 s[62:63], 6, v33
	v_cndmask_b32_e64 v22, v72, v7, s[18:19]
	v_cmp_eq_u32_e64 s[66:67], 7, v33
	v_cndmask_b32_e64 v0, v0, v23, s[62:63]
	v_cndmask_b32_e64 v21, v74, v7, s[20:21]
	v_cndmask_b32_e64 v0, v0, v22, s[66:67]
	v_cmp_eq_u32_e64 s[70:71], 8, v33
	scratch_store_dword off, v20, off offset:16 ; 4-byte Folded Spill
	v_cndmask_b32_e64 v20, v67, v7, s[22:23]
	v_cndmask_b32_e64 v0, v0, v21, s[70:71]
	v_cmp_eq_u32_e64 s[74:75], 9, v33
	scratch_store_dword off, v19, off offset:24 ; 4-byte Folded Spill
	v_cndmask_b32_e64 v19, v66, v7, s[24:25]
	v_cndmask_b32_e64 v0, v0, v20, s[74:75]
	;; [unrolled: 4-line block ×3, first 2 shown]
	v_cmp_eq_u32_e64 s[82:83], 11, v33
	v_cndmask_b32_e64 v16, v124, v7, s[34:35]
	v_cmp_eq_u32_e64 s[86:87], 12, v33
	v_cndmask_b32_e64 v0, v0, v18, s[82:83]
	v_cndmask_b32_e64 v10, v123, v7, s[2:3]
	s_mov_b64 s[96:97], s[38:39]
	v_cndmask_b32_e64 v0, v0, v16, s[86:87]
	v_cmp_eq_u32_e64 s[38:39], 13, v33
	v_cndmask_b32_e64 v9, v122, v7, s[0:1]
	v_cmp_eq_u32_e64 s[42:43], 14, v33
	v_cndmask_b32_e64 v0, v0, v10, s[38:39]
	v_cndmask_b32_e32 v8, v121, v7, vcc
	v_cndmask_b32_e64 v0, v0, v9, s[42:43]
	v_cmp_eq_u32_e64 s[98:99], 15, v33
	v_writelane_b32 v127, s96, 39
	scratch_store_dword off, v35, off offset:20 ; 4-byte Folded Spill
	v_cndmask_b32_e64 v0, v0, v8, s[98:99]
	ds_bpermute_b32 v17, v118, v0
	v_writelane_b32 v127, s97, 40
	s_waitcnt lgkmcnt(0)
	v_cndmask_b32_e64 v51, v27, v17, s[96:97]
	v_cmp_eq_u32_e64 s[96:97], 0, v33
	v_cndmask_b32_e64 v2, v8, v17, s[98:99]
	v_cndmask_b32_e64 v7, v9, v17, s[42:43]
	;; [unrolled: 1-line block ×14, first 2 shown]
	v_writelane_b32 v127, s96, 41
	v_cndmask_b32_e64 v16, v78, v77, s[4:5]
	v_cndmask_b32_e64 v16, v16, v76, s[28:29]
	;; [unrolled: 1-line block ×31, first 2 shown]
	ds_bpermute_b32 v41, v118, v17
	ds_bpermute_b32 v19, v118, v16
	v_writelane_b32 v127, s97, 42
	s_waitcnt lgkmcnt(1)
	v_cndmask_b32_e64 v124, v89, v41, s[80:81]
	scratch_load_dword v89, off, off offset:20 ; 4-byte Folded Reload
	s_waitcnt lgkmcnt(0)
	v_cndmask_b32_e64 v121, v78, v19, s[16:17]
	scratch_load_dword v78, off, off offset:12 ; 4-byte Folded Reload
	v_cndmask_b32_e64 v122, v88, v41, s[84:85]
	v_cndmask_b32_e64 v32, v90, v41, s[76:77]
	;; [unrolled: 1-line block ×5, first 2 shown]
	scratch_load_dword v88, off, off offset:32 ; 4-byte Folded Reload
	scratch_load_dword v90, off, off offset:28 ; 4-byte Folded Reload
	;; [unrolled: 1-line block ×5, first 2 shown]
	v_cndmask_b32_e64 v21, v53, v41, s[44:45]
	v_cndmask_b32_e64 v53, v82, v83, s[4:5]
	;; [unrolled: 1-line block ×27, first 2 shown]
	s_waitcnt vmcnt(6)
	v_cndmask_b32_e64 v53, v53, v89, s[30:31]
	s_waitcnt vmcnt(5)
	v_cndmask_b32_e64 v53, v53, v78, s[36:37]
	;; [unrolled: 2-line block ×3, first 2 shown]
	v_cndmask_b32_e64 v53, v53, v65, s[48:49]
	v_cndmask_b32_e64 v53, v53, v39, s[52:53]
	;; [unrolled: 1-line block ×10, first 2 shown]
	ds_bpermute_b32 v75, v118, v53
	v_cndmask_b32_e64 v53, v85, v88, s[4:5]
	v_cndmask_b32_e64 v53, v53, v90, s[28:29]
	;; [unrolled: 1-line block ×15, first 2 shown]
	ds_bpermute_b32 v76, v118, v53
	v_cndmask_b32_e64 v53, v80, v1, s[4:5]
	v_cndmask_b32_e64 v53, v53, v6, s[28:29]
	v_cndmask_b32_e64 v53, v53, v3, s[30:31]
	v_cndmask_b32_e64 v53, v53, v4, s[36:37]
	v_cndmask_b32_e64 v53, v53, v5, s[44:45]
	v_cndmask_b32_e64 v53, v53, v103, s[48:49]
	v_cndmask_b32_e64 v53, v53, v30, s[52:53]
	v_cndmask_b32_e64 v53, v53, v29, s[56:57]
	v_cndmask_b32_e64 v53, v53, v119, s[60:61]
	v_cndmask_b32_e64 v53, v53, v120, s[64:65]
	v_cndmask_b32_e64 v53, v53, v11, s[68:69]
	v_cndmask_b32_e64 v53, v53, v12, s[72:73]
	v_cndmask_b32_e64 v53, v53, v13, s[76:77]
	v_cndmask_b32_e64 v53, v53, v14, s[80:81]
	v_cndmask_b32_e64 v53, v53, v15, s[84:85]
	ds_bpermute_b32 v77, v118, v53
	s_waitcnt lgkmcnt(2)
	v_cndmask_b32_e64 v96, v84, v75, s[28:29]
	s_waitcnt lgkmcnt(1)
	v_cndmask_b32_e64 v102, v90, v76, s[28:29]
	v_cndmask_b32_e64 v54, v37, v76, s[80:81]
	;; [unrolled: 1-line block ×3, first 2 shown]
	s_waitcnt lgkmcnt(0)
	v_cndmask_b32_e64 v108, v12, v77, s[72:73]
	scratch_load_dword v12, off, off offset:68 ; 4-byte Folded Reload
	v_cndmask_b32_e64 v112, v119, v77, s[60:61]
	v_cndmask_b32_e64 v119, v6, v77, s[28:29]
	;; [unrolled: 1-line block ×41, first 2 shown]
	v_readlane_b32 s36, v127, 37
	v_cndmask_b32_e64 v59, v59, v75, s[60:61]
	v_cndmask_b32_e64 v61, v61, v76, s[60:61]
	v_readlane_b32 s37, v127, 38
	s_waitcnt vmcnt(0)
	v_cmp_eq_u32_e64 s[28:29], 1, v12
	s_nop 1
	v_cndmask_b32_e64 v11, v74, v52, s[28:29]
	v_cmp_eq_u32_e64 s[44:45], 2, v12
	v_cmp_eq_u32_e64 s[48:49], 3, v12
	v_cmp_eq_u32_e64 s[52:53], 4, v12
	v_cndmask_b32_e64 v11, v11, v51, s[44:45]
	v_cndmask_b32_e64 v11, v11, v50, s[48:49]
	v_cndmask_b32_e64 v11, v11, v49, s[52:53]
	v_cmp_eq_u32_e64 s[56:57], 5, v12
	v_cmp_eq_u32_e64 s[64:65], 6, v12
	v_cmp_eq_u32_e64 s[68:69], 7, v12
	v_cndmask_b32_e64 v11, v11, v48, s[56:57]
	v_cndmask_b32_e64 v11, v11, v70, s[64:65]
	v_cndmask_b32_e64 v11, v11, v69, s[68:69]
	v_cmp_eq_u32_e64 s[72:73], 8, v12
	v_cmp_eq_u32_e64 s[76:77], 9, v12
	v_cmp_eq_u32_e64 s[80:81], 10, v12
	v_cndmask_b32_e64 v11, v11, v68, s[72:73]
	v_cndmask_b32_e64 v11, v11, v72, s[76:77]
	v_cndmask_b32_e64 v11, v11, v0, s[80:81]
	v_cmp_eq_u32_e64 s[84:85], 11, v12
	v_cmp_eq_u32_e64 s[16:17], 12, v12
	v_cmp_eq_u32_e64 s[30:31], 13, v12
	v_cndmask_b32_e64 v11, v11, v10, s[84:85]
	v_cndmask_b32_e64 v11, v11, v9, s[16:17]
	v_cndmask_b32_e64 v11, v11, v8, s[30:31]
	v_cmp_eq_u32_e64 s[96:97], 14, v12
	v_cmp_eq_u32_e64 s[4:5], 15, v12
	v_cmp_eq_u32_e64 s[60:61], 0, v12
	v_cndmask_b32_e64 v11, v11, v7, s[96:97]
	v_cndmask_b32_e64 v11, v11, v2, s[4:5]
	ds_bpermute_b32 v11, v118, v11
	s_waitcnt lgkmcnt(0)
	v_cndmask_b32_e64 v86, v0, v11, s[80:81]
	v_cndmask_b32_e64 v0, v121, v28, s[40:41]
	;; [unrolled: 1-line block ×15, first 2 shown]
	v_cndmask_b32_e32 v0, v0, v79, vcc
	v_cndmask_b32_e64 v81, v2, v11, s[4:5]
	ds_bpermute_b32 v0, v118, v0
	v_cndmask_b32_e64 v2, v41, v126, s[40:41]
	v_cndmask_b32_e64 v2, v2, v123, s[6:7]
	;; [unrolled: 1-line block ×12, first 2 shown]
	s_waitcnt lgkmcnt(0)
	v_cndmask_b32_e32 v68, v79, v0, vcc
	v_cndmask_b32_e64 v69, v66, v0, s[0:1]
	v_cndmask_b32_e64 v70, v67, v0, s[2:3]
	;; [unrolled: 1-line block ×33, first 2 shown]
	v_cndmask_b32_e32 v2, v2, v122, vcc
	v_cndmask_b32_e64 v0, v0, v46, s[24:25]
	ds_bpermute_b32 v2, v118, v2
	v_cndmask_b32_e64 v0, v0, v45, s[26:27]
	v_cndmask_b32_e64 v0, v0, v44, s[34:35]
	;; [unrolled: 1-line block ×4, first 2 shown]
	v_cndmask_b32_e32 v0, v0, v47, vcc
	s_waitcnt lgkmcnt(0)
	v_cndmask_b32_e64 v13, v32, v2, s[2:3]
	ds_bpermute_b32 v32, v118, v0
	v_cndmask_b32_e64 v0, v3, v103, s[40:41]
	v_cndmask_b32_e64 v0, v0, v102, s[6:7]
	;; [unrolled: 1-line block ×4, first 2 shown]
	s_waitcnt lgkmcnt(0)
	v_cndmask_b32_e64 v29, v14, v32, s[2:3]
	scratch_load_dword v14, off, off offset:72 ; 4-byte Folded Reload
	v_cndmask_b32_e64 v0, v0, v65, s[12:13]
	v_cndmask_b32_e64 v0, v0, v64, s[14:15]
	;; [unrolled: 1-line block ×10, first 2 shown]
	v_cndmask_b32_e32 v0, v0, v53, vcc
	v_cndmask_b32_e64 v82, v7, v11, s[96:97]
	v_cndmask_b32_e64 v83, v8, v11, s[30:31]
	;; [unrolled: 1-line block ×7, first 2 shown]
	v_cndmask_b32_e32 v11, v122, v2, vcc
	v_cndmask_b32_e64 v122, v33, v2, s[34:35]
	ds_bpermute_b32 v33, v118, v0
	v_cndmask_b32_e64 v0, v6, v120, s[40:41]
	v_cndmask_b32_e64 v0, v0, v119, s[6:7]
	;; [unrolled: 1-line block ×14, first 2 shown]
	v_cndmask_b32_e32 v0, v0, v105, vcc
	v_cndmask_b32_e64 v15, v34, v2, s[26:27]
	ds_bpermute_b32 v34, v118, v0
	v_cndmask_b32_e64 v12, v124, v2, s[0:1]
	v_cndmask_b32_e64 v26, v41, v2, s[36:37]
	;; [unrolled: 1-line block ×3, first 2 shown]
	s_waitcnt lgkmcnt(1)
	v_cndmask_b32_e64 v41, v54, v33, s[0:1]
	s_waitcnt lgkmcnt(0)
	v_cndmask_b32_e64 v54, v106, v34, s[0:1]
	s_mov_b64 s[0:1], s[36:37]
	v_cndmask_b32_e64 v1, v1, v32, s[0:1]
	v_cndmask_b32_e64 v3, v3, v33, s[0:1]
	;; [unrolled: 1-line block ×5, first 2 shown]
	v_cndmask_b32_e32 v27, v47, v32, vcc
	v_cndmask_b32_e64 v42, v55, v33, s[2:3]
	v_cndmask_b32_e64 v55, v107, v34, s[2:3]
	;; [unrolled: 1-line block ×29, first 2 shown]
	s_waitcnt vmcnt(0)
	v_cmp_eq_u32_e64 s[0:1], 1, v14
	v_cmp_eq_u32_e64 s[8:9], 2, v14
	;; [unrolled: 1-line block ×3, first 2 shown]
	v_cndmask_b32_e64 v32, v80, v93, s[0:1]
	v_cndmask_b32_e64 v32, v32, v92, s[8:9]
	;; [unrolled: 1-line block ×3, first 2 shown]
	v_cmp_eq_u32_e64 s[26:27], 4, v14
	s_mov_b64 s[34:35], s[0:1]
	v_cmp_eq_u32_e64 s[0:1], 5, v14
	v_cndmask_b32_e64 v32, v32, v94, s[26:27]
	s_mov_b64 s[36:37], s[0:1]
	v_cndmask_b32_e64 v32, v32, v91, s[0:1]
	v_cmp_eq_u32_e64 s[0:1], 6, v14
	v_cndmask_b32_e64 v24, v123, v2, s[6:7]
	v_cndmask_b32_e64 v25, v126, v2, s[40:41]
	;; [unrolled: 1-line block ×5, first 2 shown]
	s_mov_b64 s[40:41], s[0:1]
	v_cmp_eq_u32_e64 s[0:1], 7, v14
	v_cndmask_b32_e64 v8, v102, v33, s[6:7]
	v_cndmask_b32_e64 v4, v119, v34, s[6:7]
	;; [unrolled: 1-line block ×3, first 2 shown]
	s_mov_b64 s[6:7], s[0:1]
	v_cmp_eq_u32_e64 s[0:1], 8, v14
	v_cndmask_b32_e64 v49, v64, v33, s[14:15]
	v_cndmask_b32_e64 v51, v98, v33, s[10:11]
	v_cndmask_b32_e64 v64, v100, v34, s[10:11]
	v_cndmask_b32_e64 v32, v32, v88, s[0:1]
	s_mov_b64 s[10:11], s[0:1]
	v_cmp_eq_u32_e64 s[0:1], 9, v14
	v_cndmask_b32_e64 v48, v63, v33, s[18:19]
	v_cndmask_b32_e64 v63, v116, v34, s[12:13]
	v_writelane_b32 v127, s36, 43
	v_cndmask_b32_e64 v32, v32, v87, s[0:1]
	s_mov_b64 s[12:13], s[0:1]
	v_cmp_eq_u32_e64 s[0:1], 10, v14
	v_cndmask_b32_e64 v47, v62, v33, s[20:21]
	v_cndmask_b32_e64 v62, v115, v34, s[14:15]
	v_writelane_b32 v127, s37, 44
	v_cndmask_b32_e64 v32, v32, v86, s[0:1]
	;; [unrolled: 6-line block ×3, first 2 shown]
	s_mov_b64 s[18:19], s[0:1]
	v_cmp_eq_u32_e64 s[0:1], 12, v14
	v_cndmask_b32_e64 v60, v113, v34, s[20:21]
	v_writelane_b32 v127, s41, 46
	v_cndmask_b32_e64 v32, v32, v84, s[0:1]
	s_mov_b64 s[20:21], s[0:1]
	v_cmp_eq_u32_e64 s[0:1], 13, v14
	v_cmp_eq_u32_e64 s[2:3], 14, v14
	v_cndmask_b32_e64 v59, v112, v34, s[22:23]
	v_writelane_b32 v127, s0, 47
	v_cmp_eq_u32_e64 s[22:23], 15, v14
	v_cndmask_b32_e32 v40, v53, v33, vcc
	v_writelane_b32 v127, s1, 48
	v_cndmask_b32_e64 v32, v32, v83, s[0:1]
	v_writelane_b32 v127, s2, 49
	v_cndmask_b32_e64 v33, v10, v9, s[58:59]
	v_cndmask_b32_e32 v53, v105, v34, vcc
	v_writelane_b32 v127, s3, 50
	v_cndmask_b32_e64 v32, v32, v82, s[2:3]
	v_writelane_b32 v127, s22, 37
	s_nop 1
	v_cndmask_b32_e64 v32, v32, v81, s[22:23]
	ds_bpermute_b32 v32, v118, v32
	v_writelane_b32 v127, s23, 38
	s_waitcnt lgkmcnt(0)
	v_cndmask_b32_e64 v82, v82, v32, s[2:3]
	v_readlane_b32 s2, v127, 39
	v_readlane_b32 s3, v127, 40
	v_cndmask_b32_e64 v83, v83, v32, s[0:1]
	v_cmp_eq_u32_e64 s[0:1], 0, v14
	v_cndmask_b32_e64 v33, v33, v67, s[2:3]
	v_cndmask_b32_e64 v33, v33, v66, s[46:47]
	;; [unrolled: 1-line block ×14, first 2 shown]
	v_writelane_b32 v127, s0, 51
	v_cndmask_b32_e64 v81, v81, v32, s[22:23]
	v_cndmask_b32_e64 v84, v84, v32, s[20:21]
	v_cndmask_b32_e64 v85, v85, v32, s[18:19]
	v_cndmask_b32_e64 v86, v86, v32, s[14:15]
	v_cndmask_b32_e64 v87, v87, v32, s[12:13]
	v_cndmask_b32_e64 v88, v88, v32, s[10:11]
	v_cndmask_b32_e64 v89, v89, v32, s[6:7]
	v_cndmask_b32_e64 v90, v90, v32, s[40:41]
	v_cndmask_b32_e64 v91, v91, v32, s[36:37]
	v_cndmask_b32_e64 v94, v94, v32, s[26:27]
	v_cndmask_b32_e64 v95, v95, v32, s[24:25]
	ds_bpermute_b32 v33, v118, v33
	v_cndmask_b32_e64 v92, v92, v32, s[8:9]
	v_cndmask_b32_e64 v93, v93, v32, s[34:35]
	v_writelane_b32 v127, s1, 52
	v_cndmask_b32_e64 v80, v80, v32, s[0:1]
	v_cndmask_b32_e64 v32, v26, v25, s[58:59]
	s_mov_b64 s[0:1], s[2:3]
	v_cndmask_b32_e64 v32, v32, v24, s[0:1]
	v_cndmask_b32_e64 v32, v32, v23, s[46:47]
	;; [unrolled: 1-line block ×5, first 2 shown]
	s_waitcnt lgkmcnt(0)
	v_cndmask_b32_e64 v35, v9, v33, s[58:59]
	v_cndmask_b32_e64 v9, v1, v0, s[58:59]
	;; [unrolled: 1-line block ×21, first 2 shown]
	ds_bpermute_b32 v73, v118, v32
	v_cndmask_b32_e64 v9, v9, v31, s[82:83]
	v_cndmask_b32_e64 v9, v9, v30, s[86:87]
	;; [unrolled: 1-line block ×5, first 2 shown]
	s_waitcnt lgkmcnt(0)
	v_cndmask_b32_e64 v32, v16, v73, s[78:79]
	ds_bpermute_b32 v16, v118, v9
	v_cndmask_b32_e64 v9, v3, v2, s[58:59]
	v_cndmask_b32_e64 v9, v9, v8, s[0:1]
	;; [unrolled: 1-line block ×13, first 2 shown]
	v_readlane_b32 s2, v127, 41
	v_cndmask_b32_e64 v9, v9, v41, s[42:43]
	v_readlane_b32 s3, v127, 42
	v_cndmask_b32_e64 v9, v9, v40, s[98:99]
	v_cndmask_b32_e64 v68, v68, v33, s[98:99]
	;; [unrolled: 1-line block ×16, first 2 shown]
	ds_bpermute_b32 v17, v118, v9
	v_cndmask_b32_e64 v9, v6, v5, s[58:59]
	v_cndmask_b32_e64 v9, v9, v4, s[0:1]
	;; [unrolled: 1-line block ×16, first 2 shown]
	ds_bpermute_b32 v18, v118, v9
	v_cndmask_b32_e64 v24, v24, v73, s[0:1]
	s_waitcnt lgkmcnt(2)
	v_cndmask_b32_e64 v9, v7, v16, s[0:1]
	s_waitcnt lgkmcnt(1)
	v_cndmask_b32_e64 v8, v8, v17, s[0:1]
	v_cndmask_b32_e64 v102, v40, v17, s[98:99]
	s_waitcnt lgkmcnt(0)
	v_cndmask_b32_e64 v115, v4, v18, s[0:1]
	s_mov_b64 s[0:1], s[2:3]
	v_cndmask_b32_e64 v97, v53, v18, s[98:99]
	v_cndmask_b32_e64 v53, v41, v17, s[42:43]
	;; [unrolled: 1-line block ×24, first 2 shown]
	scratch_load_dword v17, off, off offset:76 ; 4-byte Folded Reload
	v_cndmask_b32_e64 v25, v25, v73, s[58:59]
	v_cndmask_b32_e64 v26, v26, v73, s[2:3]
	;; [unrolled: 1-line block ×44, first 2 shown]
	ds_bpermute_b32 v49, v118, v37
	v_cndmask_b32_e64 v30, v30, v16, s[86:87]
	v_cndmask_b32_e64 v27, v27, v16, s[98:99]
	s_mov_b64 s[22:23], s[34:35]
	v_cndmask_b32_e64 v29, v29, v16, s[38:39]
	s_waitcnt lgkmcnt(0)
	v_cndmask_b32_e64 v46, v11, v49, s[4:5]
	v_cndmask_b32_e64 v37, v12, v49, s[96:97]
	;; [unrolled: 1-line block ×30, first 2 shown]
	s_waitcnt vmcnt(0)
	v_cmp_eq_u32_e64 s[0:1], 1, v17
	s_mov_b64 s[42:43], s[0:1]
	v_cmp_eq_u32_e64 s[98:99], 14, v17
	v_cndmask_b32_e64 v0, v80, v93, s[0:1]
	v_cmp_eq_u32_e64 s[0:1], 2, v17
	s_mov_b64 s[46:47], s[0:1]
	v_cmp_eq_u32_e64 s[34:35], 15, v17
	v_cndmask_b32_e64 v0, v0, v92, s[0:1]
	v_cmp_eq_u32_e64 s[0:1], 3, v17
	s_mov_b64 s[50:51], s[0:1]
	v_cndmask_b32_e64 v11, v11, v102, s[4:5]
	v_cndmask_b32_e64 v0, v0, v95, s[0:1]
	v_cmp_eq_u32_e64 s[0:1], 4, v17
	s_mov_b64 s[54:55], s[0:1]
	v_cndmask_b32_e64 v12, v12, v97, s[4:5]
	v_cndmask_b32_e64 v0, v0, v94, s[0:1]
	v_cmp_eq_u32_e64 s[0:1], 5, v17
	s_mov_b64 s[58:59], s[0:1]
	ds_bpermute_b32 v11, v118, v11
	v_cndmask_b32_e64 v0, v0, v91, s[0:1]
	v_cmp_eq_u32_e64 s[0:1], 6, v17
	s_mov_b64 s[62:63], s[0:1]
	ds_bpermute_b32 v12, v118, v12
	v_cndmask_b32_e64 v0, v0, v90, s[0:1]
	v_cmp_eq_u32_e64 s[0:1], 7, v17
	s_mov_b64 s[66:67], s[0:1]
	v_cmp_eq_u32_e32 vcc, 0, v17
	v_cndmask_b32_e64 v0, v0, v89, s[0:1]
	v_cmp_eq_u32_e64 s[0:1], 8, v17
	s_mov_b64 s[70:71], s[0:1]
	v_cndmask_b32_e64 v38, v13, v49, s[30:31]
	v_cndmask_b32_e64 v0, v0, v88, s[0:1]
	v_cmp_eq_u32_e64 s[0:1], 9, v17
	s_mov_b64 s[74:75], s[0:1]
	s_waitcnt lgkmcnt(0)
	v_cndmask_b32_e64 v13, v97, v12, s[4:5]
	v_cndmask_b32_e64 v0, v0, v87, s[0:1]
	v_cmp_eq_u32_e64 s[0:1], 10, v17
	s_mov_b64 s[78:79], s[0:1]
	v_cndmask_b32_e64 v43, v34, v49, s[72:73]
	v_cndmask_b32_e64 v0, v0, v86, s[0:1]
	v_cmp_eq_u32_e64 s[0:1], 11, v17
	s_mov_b64 s[82:83], s[0:1]
	v_cndmask_b32_e64 v34, v24, v49, s[44:45]
	v_cndmask_b32_e64 v0, v0, v85, s[0:1]
	v_cmp_eq_u32_e64 s[0:1], 12, v17
	s_mov_b64 s[86:87], s[0:1]
	scratch_store_dword off, v13, off offset:8 ; 4-byte Folded Spill
	v_cndmask_b32_e64 v0, v0, v84, s[0:1]
	v_cmp_eq_u32_e64 s[0:1], 13, v17
	v_cndmask_b32_e64 v13, v98, v12, s[96:97]
	v_cndmask_b32_e64 v98, v112, v12, s[16:17]
	v_writelane_b32 v127, s0, 53
	v_cndmask_b32_e64 v112, v115, v12, s[44:45]
	v_cndmask_b32_e64 v42, v33, v49, s[76:77]
	;; [unrolled: 1-line block ×3, first 2 shown]
	v_writelane_b32 v127, s1, 54
	v_cndmask_b32_e64 v0, v0, v82, s[98:99]
	v_writelane_b32 v127, s34, 41
	v_cndmask_b32_e64 v33, v23, v49, s[48:49]
	v_cndmask_b32_e64 v41, v32, v49, s[80:81]
	;; [unrolled: 1-line block ×3, first 2 shown]
	ds_bpermute_b32 v16, v118, v0
	v_cndmask_b32_e64 v0, v10, v35, s[28:29]
	v_cndmask_b32_e64 v0, v0, v67, s[44:45]
	;; [unrolled: 1-line block ×15, first 2 shown]
	ds_bpermute_b32 v36, v118, v0
	s_waitcnt lgkmcnt(1)
	v_cndmask_b32_e64 v64, v82, v16, s[98:99]
	v_cndmask_b32_e64 v82, v84, v16, s[86:87]
	;; [unrolled: 1-line block ×4, first 2 shown]
	s_waitcnt lgkmcnt(0)
	v_cndmask_b32_e64 v18, v72, v36, s[84:85]
	v_cndmask_b32_e64 v72, v123, v36, s[80:81]
	;; [unrolled: 1-line block ×7, first 2 shown]
	scratch_load_dword v124, off, off offset:80 ; 4-byte Folded Reload
	v_cndmask_b32_e64 v88, v90, v16, s[62:63]
	v_cndmask_b32_e64 v90, v94, v16, s[54:55]
	;; [unrolled: 1-line block ×19, first 2 shown]
	ds_bpermute_b32 v10, v118, v10
	v_writelane_b32 v127, s35, 42
	v_cndmask_b32_e64 v6, v81, v16, s[34:35]
	v_cndmask_b32_e64 v1, v93, v16, s[42:43]
	v_cndmask_b32_e32 v65, v80, v16, vcc
	v_cndmask_b32_e64 v0, v92, v16, s[46:47]
	v_cndmask_b32_e64 v74, v70, v36, s[30:31]
	;; [unrolled: 1-line block ×5, first 2 shown]
	s_waitcnt lgkmcnt(0)
	v_cndmask_b32_e64 v63, v2, v10, s[60:61]
	v_cndmask_b32_e64 v81, v83, v16, s[0:1]
	;; [unrolled: 1-line block ×50, first 2 shown]
	s_waitcnt vmcnt(0)
	v_cmp_eq_u32_e64 s[34:35], 1, v124
	v_cmp_eq_u32_e64 s[36:37], 2, v124
	v_cmp_eq_u32_e64 s[38:39], 3, v124
	v_cndmask_b32_e64 v2, v65, v1, s[34:35]
	v_cndmask_b32_e64 v2, v2, v0, s[36:37]
	v_cndmask_b32_e64 v2, v2, v91, s[38:39]
	v_cmp_eq_u32_e64 s[40:41], 4, v124
	v_cmp_eq_u32_e64 s[44:45], 5, v124
	v_cmp_eq_u32_e64 s[48:49], 6, v124
	v_cndmask_b32_e64 v2, v2, v90, s[40:41]
	v_cndmask_b32_e64 v2, v2, v89, s[44:45]
	v_cndmask_b32_e64 v2, v2, v88, s[48:49]
	;; [unrolled: 6-line block ×4, first 2 shown]
	v_cmp_eq_u32_e64 s[84:85], 13, v124
	v_cmp_eq_u32_e64 s[2:3], 14, v124
	v_cndmask_b32_e64 v49, v27, v10, s[4:5]
	v_cndmask_b32_e64 v2, v2, v81, s[84:85]
	v_writelane_b32 v127, s2, 55
	v_cndmask_b32_e64 v95, v102, v11, s[4:5]
	v_cmp_eq_u32_e64 s[4:5], 15, v124
	v_writelane_b32 v127, s3, 56
	v_cndmask_b32_e64 v2, v2, v64, s[2:3]
	v_writelane_b32 v127, s4, 39
	v_cndmask_b32_e64 v52, v30, v10, s[16:17]
	s_mov_b64 s[16:17], s[22:23]
	v_cndmask_b32_e64 v2, v2, v6, s[4:5]
	ds_bpermute_b32 v19, v118, v2
	v_cndmask_b32_e64 v102, v113, v12, s[80:81]
	v_cndmask_b32_e64 v62, v4, v10, s[28:29]
	;; [unrolled: 1-line block ×4, first 2 shown]
	s_waitcnt lgkmcnt(0)
	v_cndmask_b32_e64 v2, v0, v19, s[36:37]
	v_cndmask_b32_e64 v0, v75, v76, s[16:17]
	v_writelane_b32 v127, s5, 40
	v_cndmask_b32_e64 v0, v0, v77, s[8:9]
	s_mov_b64 s[28:29], s[24:25]
	v_cndmask_b32_e64 v50, v28, v10, s[96:97]
	v_cndmask_b32_e64 v51, v29, v10, s[30:31]
	;; [unrolled: 1-line block ×3, first 2 shown]
	s_mov_b64 s[30:31], s[26:27]
	v_readlane_b32 s96, v127, 43
	v_cndmask_b32_e64 v15, v6, v19, s[4:5]
	v_cndmask_b32_e64 v0, v0, v92, s[30:31]
	v_readlane_b32 s97, v127, 44
	v_readlane_b32 s4, v127, 45
	;; [unrolled: 1-line block ×3, first 2 shown]
	v_cndmask_b32_e64 v0, v0, v93, s[96:97]
	v_readlane_b32 s24, v127, 47
	v_cndmask_b32_e64 v0, v0, v123, s[4:5]
	v_cndmask_b32_e64 v0, v0, v126, s[6:7]
	;; [unrolled: 1-line block ×7, first 2 shown]
	v_readlane_b32 s25, v127, 48
	v_readlane_b32 s26, v127, 49
	;; [unrolled: 1-line block ×3, first 2 shown]
	v_cndmask_b32_e64 v0, v0, v74, s[24:25]
	v_readlane_b32 s0, v127, 37
	v_cndmask_b32_e64 v0, v0, v17, s[26:27]
	v_readlane_b32 s1, v127, 38
	;; [unrolled: 2-line block ×3, first 2 shown]
	v_cndmask_b32_e64 v0, v0, v16, s[0:1]
	ds_bpermute_b32 v0, v118, v0
	v_readlane_b32 s3, v127, 52
	s_mov_b64 s[22:23], s[20:21]
	v_cndmask_b32_e64 v55, v55, v10, s[76:77]
	s_mov_b64 s[76:77], s[74:75]
	s_waitcnt lgkmcnt(0)
	v_cndmask_b32_e64 v16, v16, v0, s[0:1]
	v_cndmask_b32_e64 v17, v17, v0, s[26:27]
	;; [unrolled: 1-line block ×5, first 2 shown]
	s_mov_b64 s[20:21], s[18:19]
	v_cndmask_b32_e64 v22, v72, v0, s[14:15]
	s_mov_b64 s[18:19], s[14:15]
	v_cndmask_b32_e64 v23, v71, v0, s[12:13]
	;; [unrolled: 2-line block ×5, first 2 shown]
	v_cndmask_b32_e64 v27, v93, v0, s[96:97]
	v_cndmask_b32_e64 v28, v92, v0, s[30:31]
	;; [unrolled: 1-line block ×6, first 2 shown]
	s_mov_b64 s[6:7], s[42:43]
	v_cndmask_b32_e64 v47, v0, v31, s[6:7]
	s_mov_b64 s[42:43], s[46:47]
	v_cndmask_b32_e64 v47, v47, v30, s[42:43]
	;; [unrolled: 2-line block ×8, first 2 shown]
	v_cndmask_b32_e64 v47, v47, v23, s[76:77]
	s_mov_b64 s[74:75], s[78:79]
	v_cndmask_b32_e64 v54, v54, v10, s[80:81]
	v_cndmask_b32_e64 v47, v47, v22, s[74:75]
	s_mov_b64 s[80:81], s[82:83]
	v_cndmask_b32_e64 v47, v47, v18, s[80:81]
	s_mov_b64 s[82:83], s[86:87]
	v_readlane_b32 s86, v127, 53
	v_cndmask_b32_e64 v47, v47, v21, s[82:83]
	v_readlane_b32 s87, v127, 54
	v_readlane_b32 s0, v127, 41
	;; [unrolled: 1-line block ×3, first 2 shown]
	v_cndmask_b32_e64 v47, v47, v20, s[86:87]
	v_cndmask_b32_e64 v47, v47, v17, s[98:99]
	;; [unrolled: 1-line block ×3, first 2 shown]
	ds_bpermute_b32 v47, v118, v47
	scratch_store_dword off, v13, off offset:12 ; 4-byte Folded Spill
	v_cndmask_b32_e64 v13, v81, v19, s[84:85]
	v_cndmask_b32_e64 v12, v82, v19, s[72:73]
	;; [unrolled: 1-line block ×3, first 2 shown]
	s_waitcnt lgkmcnt(0)
	v_cndmask_b32_e64 v16, v16, v47, s[0:1]
	v_cndmask_b32_e64 v17, v17, v47, s[98:99]
	;; [unrolled: 1-line block ×15, first 2 shown]
	v_cndmask_b32_e32 v47, v0, v47, vcc
	v_cndmask_b32_e64 v0, v47, v76, s[34:35]
	v_cndmask_b32_e64 v0, v0, v75, s[36:37]
	;; [unrolled: 1-line block ×11, first 2 shown]
	s_mov_b64 s[74:75], s[70:71]
	v_cndmask_b32_e64 v0, v0, v21, s[72:73]
	v_readlane_b32 s70, v127, 55
	s_mov_b64 s[66:67], s[62:63]
	s_mov_b64 s[62:63], s[58:59]
	;; [unrolled: 1-line block ×4, first 2 shown]
	v_cndmask_b32_e64 v0, v0, v20, s[84:85]
	v_readlane_b32 s71, v127, 56
	v_readlane_b32 s50, v127, 39
	;; [unrolled: 1-line block ×3, first 2 shown]
	v_cndmask_b32_e64 v0, v0, v17, s[70:71]
	v_cmp_eq_u32_e64 s[0:1], 0, v124
	v_cndmask_b32_e64 v0, v0, v16, s[50:51]
	ds_bpermute_b32 v77, v118, v0
	v_cndmask_b32_e64 v0, v65, v19, s[0:1]
	v_writelane_b32 v127, s0, 57
	v_cndmask_b32_e64 v10, v84, v19, s[64:65]
	v_cndmask_b32_e64 v9, v85, v19, s[60:61]
	s_waitcnt lgkmcnt(0)
	v_cndmask_b32_e64 v31, v16, v77, s[50:51]
	v_cndmask_b32_e64 v16, v36, v35, s[16:17]
	;; [unrolled: 1-line block ×7, first 2 shown]
	s_mov_b64 s[70:71], s[4:5]
	v_cndmask_b32_e64 v16, v16, v45, s[70:71]
	v_cndmask_b32_e64 v16, v16, v44, s[10:11]
	;; [unrolled: 1-line block ×6, first 2 shown]
	v_writelane_b32 v127, s1, 58
	v_cndmask_b32_e64 v16, v16, v39, s[22:23]
	v_cndmask_b32_e64 v16, v16, v38, s[24:25]
	v_readlane_b32 s50, v127, 37
	v_cndmask_b32_e64 v16, v16, v37, s[26:27]
	v_readlane_b32 s51, v127, 38
	v_readlane_b32 s4, v127, 41
	;; [unrolled: 1-line block ×3, first 2 shown]
	v_cndmask_b32_e64 v16, v16, v46, s[50:51]
	ds_bpermute_b32 v16, v118, v16
	v_cndmask_b32_e64 v8, v86, v19, s[56:57]
	v_cndmask_b32_e64 v7, v87, v19, s[52:53]
	;; [unrolled: 1-line block ×4, first 2 shown]
	s_waitcnt lgkmcnt(0)
	v_cndmask_b32_e64 v46, v46, v16, s[50:51]
	v_cndmask_b32_e64 v37, v37, v16, s[26:27]
	;; [unrolled: 1-line block ×16, first 2 shown]
	s_mov_b64 s[50:51], s[6:7]
	v_cndmask_b32_e64 v36, v16, v35, s[50:51]
	v_cndmask_b32_e64 v36, v36, v34, s[42:43]
	;; [unrolled: 1-line block ×15, first 2 shown]
	ds_bpermute_b32 v36, v118, v36
	v_cndmask_b32_e64 v4, v90, v19, s[40:41]
	v_cndmask_b32_e64 v3, v91, v19, s[38:39]
	;; [unrolled: 1-line block ×4, first 2 shown]
	s_waitcnt lgkmcnt(0)
	v_cndmask_b32_e64 v46, v46, v36, s[4:5]
	s_mov_b64 s[4:5], vcc
	v_cndmask_b32_e64 v20, v73, v77, s[40:41]
	v_cndmask_b32_e64 v19, v74, v77, s[38:39]
	;; [unrolled: 1-line block ×34, first 2 shown]
	v_readlane_b32 s6, v127, 55
	v_cndmask_b32_e64 v37, v37, v36, s[98:99]
	v_cndmask_b32_e64 v16, v16, v38, s[84:85]
	v_readlane_b32 s7, v127, 56
	v_readlane_b32 s2, v127, 39
	;; [unrolled: 1-line block ×3, first 2 shown]
	v_cndmask_b32_e64 v16, v16, v37, s[6:7]
	v_cndmask_b32_e64 v27, v18, v77, s[68:69]
	;; [unrolled: 1-line block ×4, first 2 shown]
	ds_bpermute_b32 v75, v118, v16
	v_cndmask_b32_e64 v16, v47, v77, s[0:1]
	v_readlane_b32 s0, v127, 37
	v_readlane_b32 s1, v127, 38
	v_cndmask_b32_e64 v24, v24, v77, s[56:57]
	s_waitcnt lgkmcnt(0)
	v_cndmask_b32_e64 v36, v32, v75, s[40:41]
	v_cndmask_b32_e64 v32, v63, v62, s[16:17]
	;; [unrolled: 1-line block ×9, first 2 shown]
	s_mov_b64 s[6:7], s[10:11]
	v_cndmask_b32_e64 v32, v32, v110, s[6:7]
	s_mov_b64 s[10:11], s[12:13]
	v_cndmask_b32_e64 v32, v32, v56, s[10:11]
	s_mov_b64 s[12:13], s[14:15]
	v_cndmask_b32_e64 v32, v32, v55, s[12:13]
	s_mov_b64 s[14:15], s[18:19]
	v_cndmask_b32_e64 v32, v32, v54, s[14:15]
	s_mov_b64 s[18:19], s[20:21]
	v_cndmask_b32_e64 v32, v32, v53, s[18:19]
	s_mov_b64 s[20:21], s[22:23]
	v_cndmask_b32_e64 v32, v32, v52, s[20:21]
	v_cndmask_b32_e64 v32, v32, v51, s[24:25]
	v_cndmask_b32_e64 v32, v32, v50, s[26:27]
	;; [unrolled: 1-line block ×3, first 2 shown]
	ds_bpermute_b32 v32, v118, v32
	v_cndmask_b32_e64 v37, v48, v75, s[44:45]
	v_readlane_b32 s2, v127, 41
	v_readlane_b32 s3, v127, 42
	v_cndmask_b32_e64 v17, v76, v77, s[34:35]
	s_waitcnt lgkmcnt(0)
	v_cndmask_b32_e64 v48, v49, v32, s[0:1]
	v_readlane_b32 s0, v127, 51
	v_readlane_b32 s1, v127, 52
	v_cndmask_b32_e64 v49, v50, v32, s[26:27]
	v_cndmask_b32_e64 v50, v51, v32, s[24:25]
	;; [unrolled: 1-line block ×30, first 2 shown]
	ds_bpermute_b32 v63, v118, v63
	v_cndmask_b32_e64 v35, v33, v75, s[38:39]
	v_cndmask_b32_e64 v33, v73, v75, s[34:35]
	;; [unrolled: 1-line block ×4, first 2 shown]
	s_waitcnt lgkmcnt(0)
	v_cndmask_b32_e64 v77, v62, v63, s[50:51]
	v_cndmask_b32_e64 v78, v32, v63, s[4:5]
	;; [unrolled: 1-line block ×31, first 2 shown]
	s_mov_b64 vcc, s[42:43]
	v_cndmask_b32_e64 v32, v32, v51, s[72:73]
	v_readlane_b32 s42, v127, 55
	s_mov_b64 s[20:21], s[18:19]
	s_mov_b64 s[18:19], s[14:15]
	;; [unrolled: 1-line block ×5, first 2 shown]
	v_cndmask_b32_e64 v49, v49, v63, s[98:99]
	v_cndmask_b32_e64 v32, v32, v50, s[84:85]
	v_readlane_b32 s43, v127, 56
	v_readlane_b32 s6, v127, 39
	v_cndmask_b32_e64 v48, v48, v63, s[2:3]
	v_cndmask_b32_e64 v32, v32, v49, s[42:43]
	v_readlane_b32 s7, v127, 40
	s_mov_b64 s[2:3], s[4:5]
	v_readlane_b32 s4, v127, 57
	v_cndmask_b32_e64 v32, v32, v48, s[6:7]
	ds_bpermute_b32 v81, v118, v32
	v_readlane_b32 s5, v127, 58
	v_cndmask_b32_e64 v34, v34, v75, s[36:37]
	s_waitcnt lgkmcnt(0)
	v_cndmask_b32_e64 v63, v48, v81, s[6:7]
	v_cndmask_b32_e64 v48, v79, v115, s[16:17]
	;; [unrolled: 1-line block ×15, first 2 shown]
	s_mov_b64 s[6:7], s[34:35]
	v_cndmask_b32_e64 v48, v48, v66, s[24:25]
	v_readlane_b32 s34, v127, 37
	v_cndmask_b32_e64 v48, v48, v80, s[26:27]
	v_readlane_b32 s35, v127, 38
	v_cndmask_b32_e64 v32, v74, v75, s[4:5]
	v_cndmask_b32_e64 v61, v50, v81, s[84:85]
	v_cndmask_b32_e64 v48, v48, v95, s[34:35]
	ds_bpermute_b32 v48, v118, v48
	v_cndmask_b32_e64 v60, v51, v81, s[72:73]
	v_cndmask_b32_e64 v59, v52, v81, s[68:69]
	;; [unrolled: 1-line block ×11, first 2 shown]
	s_waitcnt lgkmcnt(0)
	v_cndmask_b32_e64 v64, v95, v48, s[34:35]
	v_cndmask_b32_e64 v65, v80, v48, s[26:27]
	;; [unrolled: 1-line block ×16, first 2 shown]
	s_mov_b64 s[42:43], s[50:51]
	v_cndmask_b32_e64 v79, v48, v80, s[42:43]
	s_mov_b64 s[0:1], vcc
	v_cndmask_b32_e64 v79, v79, v77, s[0:1]
	v_cndmask_b32_e64 v79, v79, v76, s[46:47]
	s_mov_b64 s[50:51], s[54:55]
	v_cndmask_b32_e64 v79, v79, v75, s[50:51]
	s_mov_b64 s[54:55], s[58:59]
	;; [unrolled: 2-line block ×7, first 2 shown]
	v_cndmask_b32_e64 v79, v79, v69, s[74:75]
	v_cndmask_b32_e64 v79, v79, v68, s[80:81]
	;; [unrolled: 1-line block ×4, first 2 shown]
	v_readlane_b32 s76, v127, 41
	v_cndmask_b32_e64 v79, v79, v65, s[98:99]
	v_readlane_b32 s77, v127, 42
	s_mov_b64 s[78:79], s[80:81]
	scratch_load_dwordx2 v[122:123], off, off ; 8-byte Folded Reload
	v_cndmask_b32_e64 v79, v79, v64, s[76:77]
	ds_bpermute_b32 v79, v118, v79
	s_mov_b64 vcc, s[50:51]
	s_waitcnt lgkmcnt(0)
	v_cndmask_b32_e64 v82, v64, v79, s[76:77]
	v_cndmask_b32_e64 v89, v80, v79, s[42:43]
	;; [unrolled: 1-line block ×27, first 2 shown]
	s_mov_b64 s[76:77], s[84:85]
	v_readlane_b32 s80, v127, 55
	v_cndmask_b32_e64 v65, v65, v79, s[98:99]
	v_cndmask_b32_e64 v48, v48, v66, s[76:77]
	v_readlane_b32 s81, v127, 56
	v_readlane_b32 s84, v127, 39
	;; [unrolled: 1-line block ×3, first 2 shown]
	v_cndmask_b32_e64 v48, v48, v65, s[80:81]
	s_mov_b64 s[50:51], s[0:1]
	v_cndmask_b32_e64 v48, v48, v82, s[84:85]
	ds_bpermute_b32 v80, v118, v48
	v_cndmask_b32_e64 v48, v78, v81, s[4:5]
	v_cndmask_b32_e64 v81, v114, v113, s[16:17]
	v_cndmask_b32_e64 v81, v81, v112, s[8:9]
	v_cndmask_b32_e64 v81, v81, v96, s[28:29]
	s_waitcnt lgkmcnt(0)
	v_cndmask_b32_e64 v72, v71, v80, s[56:57]
	v_cndmask_b32_e64 v71, v83, v80, s[52:53]
	scratch_load_dword v83, off, off offset:12 ; 4-byte Folded Reload
	v_cndmask_b32_e64 v79, v82, v80, s[84:85]
	scratch_load_dword v82, off, off offset:8 ; 4-byte Folded Reload
	scratch_load_dword v115, off, off offset:44 ; 4-byte Folded Reload
	;; [unrolled: 1-line block ×4, first 2 shown]
	v_cndmask_b32_e64 v81, v81, v109, s[30:31]
	v_readlane_b32 s0, v127, 45
	v_cndmask_b32_e64 v81, v81, v108, s[96:97]
	v_readlane_b32 s1, v127, 46
	v_cndmask_b32_e64 v78, v65, v80, s[80:81]
	v_cndmask_b32_e64 v77, v66, v80, s[76:77]
	;; [unrolled: 1-line block ×21, first 2 shown]
	s_waitcnt vmcnt(4)
	v_cndmask_b32_e64 v81, v81, v83, s[26:27]
	s_waitcnt vmcnt(3)
	v_cndmask_b32_e64 v81, v81, v82, s[34:35]
	ds_bpermute_b32 v81, v118, v81
	s_waitcnt lgkmcnt(0)
	v_cndmask_b32_e64 v91, v107, v81, s[0:1]
	v_readlane_b32 s0, v127, 51
	v_readlane_b32 s1, v127, 52
	v_cndmask_b32_e64 v82, v82, v81, s[34:35]
	v_cndmask_b32_e64 v83, v83, v81, s[26:27]
	;; [unrolled: 1-line block ×18, first 2 shown]
	v_cndmask_b32_e32 v97, v97, v93, vcc
	v_cndmask_b32_e64 v97, v97, v92, s[54:55]
	v_cndmask_b32_e64 v97, v97, v91, s[58:59]
	;; [unrolled: 1-line block ×9, first 2 shown]
	v_readlane_b32 s0, v127, 41
	v_cndmask_b32_e64 v97, v97, v83, s[98:99]
	v_readlane_b32 s1, v127, 42
	s_mov_b64 s[8:9], s[6:7]
	v_readlane_b32 s14, v127, 10
	v_cndmask_b32_e64 v97, v97, v82, s[0:1]
	ds_bpermute_b32 v97, v118, v97
	v_readlane_b32 s24, v127, 12
	v_readlane_b32 s28, v127, 17
	s_mov_b32 s6, 0
	v_readlane_b32 s12, v127, 1
	s_waitcnt lgkmcnt(0)
	v_cndmask_b32_e64 v82, v82, v97, s[0:1]
	v_cndmask_b32_e64 v83, v83, v97, s[98:99]
	;; [unrolled: 1-line block ×11, first 2 shown]
	v_cndmask_b32_e32 v105, v93, v97, vcc
	v_cndmask_b32_e64 v106, v94, v97, s[46:47]
	v_cndmask_b32_e64 v107, v95, v97, s[50:51]
	;; [unrolled: 1-line block ×19, first 2 shown]
	ds_bpermute_b32 v108, v118, v81
	v_readlane_b32 s42, v127, 32
	v_readlane_b32 s46, v127, 28
	;; [unrolled: 1-line block ×4, first 2 shown]
	s_waitcnt lgkmcnt(0)
	v_cndmask_b32_e64 v94, v83, v108, s[80:81]
	v_cndmask_b32_e64 v83, v106, v108, s[38:39]
	v_readlane_b32 s39, v127, 36
	s_mul_i32 s0, s39, s89
	v_cndmask_b32_e64 v90, v87, v108, s[64:65]
	v_cndmask_b32_e64 v89, v88, v108, s[60:61]
	;; [unrolled: 1-line block ×4, first 2 shown]
	s_ashr_i32 s1, s0, 31
	v_readlane_b32 s52, v127, 2
	v_cndmask_b32_e64 v92, v85, v108, s[72:73]
	v_cndmask_b32_e64 v85, v103, v108, s[44:45]
	s_lshl_b64 s[0:1], s[0:1], 1
	v_readlane_b32 s56, v127, 6
	v_readlane_b32 s44, v127, 30
	;; [unrolled: 1-line block ×3, first 2 shown]
	s_add_u32 s2, s56, s0
	v_readlane_b32 s45, v127, 31
	s_addc_u32 s3, s57, s1
	s_ashr_i32 s45, s44, 31
	s_lshl_b64 s[0:1], s[44:45], 1
	s_add_u32 s0, s2, s0
	v_cndmask_b32_e64 v93, v84, v108, s[76:77]
	v_cndmask_b32_e64 v91, v86, v108, s[68:69]
	v_cndmask_b32_e64 v86, v102, v108, s[48:49]
	v_cndmask_b32_e64 v84, v105, v108, s[40:41]
	s_addc_u32 s1, s3, s1
	v_readlane_b32 s40, v127, 35
	v_readlane_b32 s48, v127, 26
	v_cndmask_b32_e64 v95, v82, v108, s[84:85]
	v_cndmask_b32_e64 v82, v107, v108, s[36:37]
	v_readlane_b32 s53, v127, 3
	v_readlane_b32 s54, v127, 4
	;; [unrolled: 1-line block ×5, first 2 shown]
	s_max_i32 s7, s40, 0
	v_cndmask_b32_e64 v81, v96, v108, s[8:9]
	v_cndmask_b32_e64 v80, v97, v108, s[4:5]
	v_lshl_add_u64 v[102:103], s[0:1], 0, v[122:123]
	s_mov_b64 s[0:1], 0
	s_mov_b32 s8, 0
	v_readlane_b32 s13, v127, 14
	v_readlane_b32 s26, v127, 15
	;; [unrolled: 1-line block ×15, first 2 shown]
                                        ; implicit-def: $sgpr2_sgpr3
	s_branch .LBB143_37
.LBB143_36:                             ;   in Loop: Header=BB143_37 Depth=2
	s_or_b64 exec, exec, s[4:5]
	s_and_b64 s[4:5], exec, s[2:3]
	s_or_b64 s[0:1], s[4:5], s[0:1]
	s_andn2_b64 exec, exec, s[0:1]
	s_cbranch_execz .LBB143_39
.LBB143_37:                             ;   Parent Loop BB143_7 Depth=1
                                        ; =>  This Inner Loop Header: Depth=2
	s_and_b32 s4, s8, 2
	s_and_b32 s5, s6, 24
	s_or_b32 s4, s5, s4
	s_waitcnt vmcnt(0)
	v_or_b32_e32 v96, s4, v100
	v_add_u32_e32 v97, s7, v96
	v_cmp_gt_u32_e32 vcc, 32, v97
	s_or_b64 s[2:3], s[2:3], exec
	s_and_saveexec_b64 s[4:5], vcc
	s_cbranch_execz .LBB143_36
; %bb.38:                               ;   in Loop: Header=BB143_37 Depth=2
	s_add_i32 s9, s8, 1
	s_set_gpr_idx_on s8, gpr_idx(SRC0)
	v_mov_b32_e32 v97, v0
	s_set_gpr_idx_off
	v_cvt_f16_f32_e32 v98, v97
	s_set_gpr_idx_on s9, gpr_idx(SRC0)
	v_mov_b32_e32 v97, v0
	s_set_gpr_idx_off
	v_cvt_f16_f32_sdwa v99, v97 dst_sel:WORD_1 dst_unused:UNUSED_PAD src0_sel:DWORD
	v_mul_lo_u32 v96, v96, s89
	v_ashrrev_i32_e32 v97, 31, v96
	v_lshl_add_u64 v[96:97], v[96:97], 1, v[102:103]
	v_or_b32_e32 v98, v99, v98
	;;#ASMSTART
	global_atomic_pk_add_f16 v[96:97], v98, off
	
	;;#ASMEND
	s_set_gpr_idx_on s8, gpr_idx(SRC0)
	v_mov_b32_e32 v98, v16
	s_set_gpr_idx_off
	v_cvt_f16_f32_e32 v105, v98
	s_set_gpr_idx_on s9, gpr_idx(SRC0)
	v_mov_b32_e32 v98, v16
	s_set_gpr_idx_off
	v_cvt_f16_f32_sdwa v106, v98 dst_sel:WORD_1 dst_unused:UNUSED_PAD src0_sel:DWORD
	v_lshl_add_u64 v[98:99], v[96:97], 0, 64
	s_mov_b64 s[10:11], 0x80
	s_add_i32 s6, s6, 4
	v_or_b32_e32 v105, v106, v105
	;;#ASMSTART
	global_atomic_pk_add_f16 v[98:99], v105, off
	
	;;#ASMEND
	s_set_gpr_idx_on s8, gpr_idx(SRC0)
	v_mov_b32_e32 v98, v32
	s_set_gpr_idx_off
	v_cvt_f16_f32_e32 v105, v98
	s_set_gpr_idx_on s9, gpr_idx(SRC0)
	v_mov_b32_e32 v98, v32
	s_set_gpr_idx_off
	v_cvt_f16_f32_sdwa v106, v98 dst_sel:WORD_1 dst_unused:UNUSED_PAD src0_sel:DWORD
	v_lshl_add_u64 v[98:99], v[96:97], 0, s[10:11]
	s_mov_b64 s[10:11], 0xc0
	v_or_b32_e32 v105, v106, v105
	;;#ASMSTART
	global_atomic_pk_add_f16 v[98:99], v105, off
	
	;;#ASMEND
	s_set_gpr_idx_on s8, gpr_idx(SRC0)
	v_mov_b32_e32 v98, v48
	s_set_gpr_idx_off
	v_cvt_f16_f32_e32 v105, v98
	s_set_gpr_idx_on s9, gpr_idx(SRC0)
	v_mov_b32_e32 v98, v48
	s_set_gpr_idx_off
	v_cvt_f16_f32_sdwa v106, v98 dst_sel:WORD_1 dst_unused:UNUSED_PAD src0_sel:DWORD
	v_lshl_add_u64 v[98:99], v[96:97], 0, s[10:11]
	s_mov_b64 s[10:11], 0x100
	;; [unrolled: 15-line block ×3, first 2 shown]
	v_lshl_add_u64 v[96:97], v[96:97], 0, s[10:11]
	v_or_b32_e32 v105, v106, v105
	;;#ASMSTART
	global_atomic_pk_add_f16 v[98:99], v105, off
	
	;;#ASMEND
	s_set_gpr_idx_on s8, gpr_idx(SRC0)
	v_mov_b32_e32 v98, v80
	s_set_gpr_idx_off
	v_cvt_f16_f32_e32 v98, v98
	s_set_gpr_idx_on s9, gpr_idx(SRC0)
	v_mov_b32_e32 v99, v80
	s_set_gpr_idx_off
	s_add_i32 s8, s8, 2
	v_cvt_f16_f32_sdwa v99, v99 dst_sel:WORD_1 dst_unused:UNUSED_PAD src0_sel:DWORD
	s_cmp_eq_u32 s8, 16
	s_cselect_b64 s[10:11], -1, 0
	s_andn2_b64 s[2:3], s[2:3], exec
	s_and_b64 s[10:11], s[10:11], exec
	s_or_b64 s[2:3], s[2:3], s[10:11]
	v_or_b32_e32 v98, v99, v98
	;;#ASMSTART
	global_atomic_pk_add_f16 v[96:97], v98, off
	
	;;#ASMEND
	s_branch .LBB143_36
.LBB143_39:                             ;   in Loop: Header=BB143_7 Depth=1
	s_or_b64 exec, exec, s[0:1]
	scratch_load_dword v13, off, off offset:36 ; 4-byte Folded Reload
	scratch_load_dword v120, off, off offset:40 ; 4-byte Folded Reload
	scratch_load_dwordx2 v[14:15], off, off offset:84 ; 8-byte Folded Reload
	scratch_load_dword v16, off, off offset:100 ; 4-byte Folded Reload
	scratch_load_dword v17, off, off offset:104 ; 4-byte Folded Reload
	v_readlane_b32 s11, v127, 0
.LBB143_40:                             ;   in Loop: Header=BB143_7 Depth=1
	s_or_b64 exec, exec, s[48:49]
.LBB143_41:                             ;   in Loop: Header=BB143_7 Depth=1
	s_andn2_saveexec_b64 s[0:1], s[46:47]
	s_cbranch_execz .LBB143_50
; %bb.42:                               ;   in Loop: Header=BB143_7 Depth=1
	s_mul_i32 s10, s92, 6
	v_cmp_gt_i32_e32 vcc, s10, v101
	s_and_saveexec_b64 s[2:3], vcc
	s_cbranch_execz .LBB143_49
; %bb.43:                               ;   in Loop: Header=BB143_7 Depth=1
	scratch_load_dwordx2 v[0:1], off, off offset:92 ; 8-byte Folded Reload
	s_mul_i32 s4, s44, s91
	s_ashr_i32 s5, s4, 31
	s_add_u32 s4, s54, s4
	s_addc_u32 s5, s55, s5
	s_ashr_i32 s6, s41, 31
	s_add_u32 s4, s4, s41
	s_addc_u32 s5, s5, s6
	s_waitcnt vmcnt(0)
	v_lshl_add_u64 v[0:1], s[4:5], 0, v[0:1]
	v_lshl_add_u64 v[8:9], v[0:1], 0, v[14:15]
	s_mov_b64 s[4:5], 0
	s_branch .LBB143_45
.LBB143_44:                             ;   in Loop: Header=BB143_45 Depth=2
	s_or_b64 exec, exec, s[6:7]
	v_lshl_or_b32 v12, v10, 11, v16
	;;#ASMSTART
	s_waitcnt vmcnt(1)
	;;#ASMEND
	ds_write2_b32 v12, v4, v5 offset1:32
	ds_write2_b32 v12, v6, v7 offset0:64 offset1:96
	v_add_u32_e32 v4, 0x400, v12
	v_add_u32_e32 v101, s94, v101
	;;#ASMSTART
	s_waitcnt vmcnt(0)
	;;#ASMEND
	ds_write2_b32 v4, v0, v1 offset1:32
	ds_write2_b32 v4, v2, v3 offset0:64 offset1:96
	v_add_u32_e32 v0, 1, v111
	v_add_u32_e32 v104, s94, v10
	v_cmp_le_i32_e32 vcc, s10, v101
	ds_write_b32 v11, v0 offset:16
	v_add_u32_e32 v0, 2, v111
	s_or_b64 s[4:5], vcc, s[4:5]
	v_cmp_lt_i32_e32 vcc, 23, v104
	s_nop 1
	v_cndmask_b32_e32 v111, v111, v0, vcc
	s_andn2_b64 exec, exec, s[4:5]
	s_cbranch_execz .LBB143_48
.LBB143_45:                             ;   Parent Loop BB143_7 Depth=1
                                        ; =>  This Loop Header: Depth=2
                                        ;       Child Loop BB143_47 Depth 3
	v_not_b32_e32 v0, 23
	v_cmp_gt_i32_e32 vcc, 24, v104
	s_mov_b32 s6, 0x2aaaaaab
	s_nop 0
	v_cndmask_b32_e64 v0, v0, 0, vcc
	v_add_u32_e32 v10, v0, v104
	v_mul_hi_i32 v0, v101, s6
	v_lshrrev_b32_e32 v1, 31, v0
	v_add_u32_e32 v0, v0, v1
	v_mul_lo_u32 v1, v0, 6
	v_sub_u32_e32 v2, v101, v1
	v_lshlrev_b32_e32 v0, 6, v0
	v_ashrrev_i32_e32 v1, 31, v0
	v_mul_lo_u32 v2, s31, v2
	v_lshl_add_u64 v[0:1], v[8:9], 0, v[0:1]
	v_ashrrev_i32_e32 v3, 31, v2
	v_lshl_add_u64 v[0:1], v[0:1], 0, v[2:3]
	v_lshlrev_b32_e32 v11, 2, v10
	;;#ASMSTART
	global_load_dwordx4 v[4:7], v[0:1], off offset:0   sc0 sc1 nt  
	global_load_dwordx4 v[0:3], v[0:1], off offset:32  sc0 sc1 nt  
	
	;;#ASMEND
	ds_read_b32 v12, v11 offset:57360
	v_add_u32_e32 v11, 0xe000, v11
	s_waitcnt lgkmcnt(0)
	v_cmp_ne_u32_e32 vcc, v12, v111
	s_and_saveexec_b64 s[6:7], vcc
	s_cbranch_execz .LBB143_44
; %bb.46:                               ;   in Loop: Header=BB143_45 Depth=2
	s_mov_b64 s[8:9], 0
.LBB143_47:                             ;   Parent Loop BB143_7 Depth=1
                                        ;     Parent Loop BB143_45 Depth=2
                                        ; =>    This Inner Loop Header: Depth=3
	;;#ASMSTART
	s_sleep 0
	;;#ASMEND
	ds_read_b32 v12, v11 offset:16
	s_waitcnt lgkmcnt(0)
	v_cmp_eq_u32_e32 vcc, v12, v111
	s_or_b64 s[8:9], vcc, s[8:9]
	s_andn2_b64 exec, exec, s[8:9]
	s_cbranch_execnz .LBB143_47
	s_branch .LBB143_44
.LBB143_48:                             ;   in Loop: Header=BB143_7 Depth=1
	s_or_b64 exec, exec, s[4:5]
.LBB143_49:                             ;   in Loop: Header=BB143_7 Depth=1
	s_or_b64 exec, exec, s[2:3]
	v_subrev_u32_e32 v101, s10, v101
.LBB143_50:                             ;   in Loop: Header=BB143_7 Depth=1
	s_or_b64 exec, exec, s[0:1]
.LBB143_51:                             ;   in Loop: Header=BB143_7 Depth=1
	s_andn2_saveexec_b64 s[0:1], s[42:43]
	s_cbranch_execz .LBB143_6
; %bb.52:                               ;   in Loop: Header=BB143_7 Depth=1
	v_cmp_gt_i32_e32 vcc, s92, v101
	s_and_saveexec_b64 s[2:3], vcc
	s_cbranch_execz .LBB143_5
; %bb.53:                               ;   in Loop: Header=BB143_7 Depth=1
	s_mul_i32 s4, s39, s90
	s_ashr_i32 s5, s4, 31
	s_add_u32 s4, s52, s4
	s_addc_u32 s5, s53, s5
	s_ashr_i32 s6, s41, 31
	s_waitcnt vmcnt(3)
	v_mul_lo_u32 v0, s90, v120
	s_waitcnt vmcnt(0)
	v_cmp_le_i32_e32 vcc, s40, v17
	s_add_u32 s4, s4, s41
	s_addc_u32 s5, s5, s6
	v_cndmask_b32_e32 v0, 0, v0, vcc
	v_ashrrev_i32_e32 v1, 31, v0
	v_lshl_add_u64 v[0:1], s[4:5], 0, v[0:1]
	v_lshl_add_u64 v[8:9], v[0:1], 0, v[14:15]
	s_mov_b64 s[4:5], 0
	s_branch .LBB143_55
.LBB143_54:                             ;   in Loop: Header=BB143_55 Depth=2
	s_or_b64 exec, exec, s[6:7]
	v_lshl_add_u32 v12, v10, 11, v125
	;;#ASMSTART
	s_waitcnt vmcnt(1)
	;;#ASMEND
	ds_write2_b32 v12, v4, v5 offset1:32
	ds_write2_b32 v12, v6, v7 offset0:64 offset1:96
	v_add_u32_e32 v4, 0x400, v12
	v_add_u32_e32 v101, s93, v101
	;;#ASMSTART
	s_waitcnt vmcnt(0)
	;;#ASMEND
	ds_write2_b32 v4, v0, v1 offset1:32
	ds_write2_b32 v4, v2, v3 offset0:64 offset1:96
	v_add_u32_e32 v0, 1, v111
	v_add_u32_e32 v104, s93, v10
	v_cmp_le_i32_e32 vcc, s92, v101
	ds_write_b32 v11, v0
	v_add_u32_e32 v0, 2, v111
	s_or_b64 s[4:5], vcc, s[4:5]
	v_cmp_lt_i32_e32 vcc, 3, v104
	s_nop 1
	v_cndmask_b32_e32 v111, v111, v0, vcc
	s_andn2_b64 exec, exec, s[4:5]
	s_cbranch_execz .LBB143_4
.LBB143_55:                             ;   Parent Loop BB143_7 Depth=1
                                        ; =>  This Loop Header: Depth=2
                                        ;       Child Loop BB143_57 Depth 3
	v_cmp_gt_i32_e32 vcc, 4, v104
	s_nop 1
	v_cndmask_b32_e64 v0, -4, 0, vcc
	v_add_u32_e32 v10, v0, v104
	v_lshlrev_b32_e32 v0, 6, v101
	v_ashrrev_i32_e32 v1, 31, v0
	v_lshl_add_u64 v[0:1], v[8:9], 0, v[0:1]
	v_lshlrev_b32_e32 v11, 2, v10
	;;#ASMSTART
	global_load_dwordx4 v[4:7], v[0:1], off offset:0   
	global_load_dwordx4 v[0:3], v[0:1], off offset:32  
	
	;;#ASMEND
	ds_read_b32 v12, v11 offset:57344
	v_add_u32_e32 v11, 0xe000, v11
	s_waitcnt lgkmcnt(0)
	v_cmp_ne_u32_e32 vcc, v12, v111
	s_and_saveexec_b64 s[6:7], vcc
	s_cbranch_execz .LBB143_54
; %bb.56:                               ;   in Loop: Header=BB143_55 Depth=2
	s_mov_b64 s[8:9], 0
.LBB143_57:                             ;   Parent Loop BB143_7 Depth=1
                                        ;     Parent Loop BB143_55 Depth=2
                                        ; =>    This Inner Loop Header: Depth=3
	;;#ASMSTART
	s_sleep 0
	;;#ASMEND
	ds_read_b32 v12, v11
	s_waitcnt lgkmcnt(0)
	v_cmp_eq_u32_e32 vcc, v12, v111
	s_or_b64 s[8:9], vcc, s[8:9]
	s_andn2_b64 exec, exec, s[8:9]
	s_cbranch_execnz .LBB143_57
	s_branch .LBB143_54
.LBB143_58:
	s_endpgm
	.section	.rodata,"a",@progbits
	.p2align	6, 0x0
	.amdhsa_kernel _Z19_skinny_gemm_kernelILi1ELi6ELi4ELi32ELi4EEvPKhS1_P6__halfPKfiiiiiiii
		.amdhsa_group_segment_fixed_size 57456
		.amdhsa_private_segment_fixed_size 116
		.amdhsa_kernarg_size 64
		.amdhsa_user_sgpr_count 2
		.amdhsa_user_sgpr_dispatch_ptr 0
		.amdhsa_user_sgpr_queue_ptr 0
		.amdhsa_user_sgpr_kernarg_segment_ptr 1
		.amdhsa_user_sgpr_dispatch_id 0
		.amdhsa_user_sgpr_kernarg_preload_length 0
		.amdhsa_user_sgpr_kernarg_preload_offset 0
		.amdhsa_user_sgpr_private_segment_size 0
		.amdhsa_uses_dynamic_stack 0
		.amdhsa_enable_private_segment 1
		.amdhsa_system_sgpr_workgroup_id_x 1
		.amdhsa_system_sgpr_workgroup_id_y 0
		.amdhsa_system_sgpr_workgroup_id_z 0
		.amdhsa_system_sgpr_workgroup_info 0
		.amdhsa_system_vgpr_workitem_id 0
		.amdhsa_next_free_vgpr 128
		.amdhsa_next_free_sgpr 100
		.amdhsa_accum_offset 128
		.amdhsa_reserve_vcc 1
		.amdhsa_float_round_mode_32 0
		.amdhsa_float_round_mode_16_64 0
		.amdhsa_float_denorm_mode_32 3
		.amdhsa_float_denorm_mode_16_64 3
		.amdhsa_dx10_clamp 1
		.amdhsa_ieee_mode 1
		.amdhsa_fp16_overflow 0
		.amdhsa_tg_split 0
		.amdhsa_exception_fp_ieee_invalid_op 0
		.amdhsa_exception_fp_denorm_src 0
		.amdhsa_exception_fp_ieee_div_zero 0
		.amdhsa_exception_fp_ieee_overflow 0
		.amdhsa_exception_fp_ieee_underflow 0
		.amdhsa_exception_fp_ieee_inexact 0
		.amdhsa_exception_int_div_zero 0
	.end_amdhsa_kernel
	.section	.text._Z19_skinny_gemm_kernelILi1ELi6ELi4ELi32ELi4EEvPKhS1_P6__halfPKfiiiiiiii,"axG",@progbits,_Z19_skinny_gemm_kernelILi1ELi6ELi4ELi32ELi4EEvPKhS1_P6__halfPKfiiiiiiii,comdat
.Lfunc_end143:
	.size	_Z19_skinny_gemm_kernelILi1ELi6ELi4ELi32ELi4EEvPKhS1_P6__halfPKfiiiiiiii, .Lfunc_end143-_Z19_skinny_gemm_kernelILi1ELi6ELi4ELi32ELi4EEvPKhS1_P6__halfPKfiiiiiiii
                                        ; -- End function
	.set _Z19_skinny_gemm_kernelILi1ELi6ELi4ELi32ELi4EEvPKhS1_P6__halfPKfiiiiiiii.num_vgpr, 128
	.set _Z19_skinny_gemm_kernelILi1ELi6ELi4ELi32ELi4EEvPKhS1_P6__halfPKfiiiiiiii.num_agpr, 0
	.set _Z19_skinny_gemm_kernelILi1ELi6ELi4ELi32ELi4EEvPKhS1_P6__halfPKfiiiiiiii.numbered_sgpr, 100
	.set _Z19_skinny_gemm_kernelILi1ELi6ELi4ELi32ELi4EEvPKhS1_P6__halfPKfiiiiiiii.num_named_barrier, 0
	.set _Z19_skinny_gemm_kernelILi1ELi6ELi4ELi32ELi4EEvPKhS1_P6__halfPKfiiiiiiii.private_seg_size, 116
	.set _Z19_skinny_gemm_kernelILi1ELi6ELi4ELi32ELi4EEvPKhS1_P6__halfPKfiiiiiiii.uses_vcc, 1
	.set _Z19_skinny_gemm_kernelILi1ELi6ELi4ELi32ELi4EEvPKhS1_P6__halfPKfiiiiiiii.uses_flat_scratch, 0
	.set _Z19_skinny_gemm_kernelILi1ELi6ELi4ELi32ELi4EEvPKhS1_P6__halfPKfiiiiiiii.has_dyn_sized_stack, 0
	.set _Z19_skinny_gemm_kernelILi1ELi6ELi4ELi32ELi4EEvPKhS1_P6__halfPKfiiiiiiii.has_recursion, 0
	.set _Z19_skinny_gemm_kernelILi1ELi6ELi4ELi32ELi4EEvPKhS1_P6__halfPKfiiiiiiii.has_indirect_call, 0
	.section	.AMDGPU.csdata,"",@progbits
; Kernel info:
; codeLenInByte = 20512
; TotalNumSgprs: 106
; NumVgprs: 128
; NumAgprs: 0
; TotalNumVgprs: 128
; ScratchSize: 116
; MemoryBound: 0
; FloatMode: 240
; IeeeMode: 1
; LDSByteSize: 57456 bytes/workgroup (compile time only)
; SGPRBlocks: 13
; VGPRBlocks: 15
; NumSGPRsForWavesPerEU: 106
; NumVGPRsForWavesPerEU: 128
; AccumOffset: 128
; Occupancy: 4
; WaveLimiterHint : 0
; COMPUTE_PGM_RSRC2:SCRATCH_EN: 1
; COMPUTE_PGM_RSRC2:USER_SGPR: 2
; COMPUTE_PGM_RSRC2:TRAP_HANDLER: 0
; COMPUTE_PGM_RSRC2:TGID_X_EN: 1
; COMPUTE_PGM_RSRC2:TGID_Y_EN: 0
; COMPUTE_PGM_RSRC2:TGID_Z_EN: 0
; COMPUTE_PGM_RSRC2:TIDIG_COMP_CNT: 0
; COMPUTE_PGM_RSRC3_GFX90A:ACCUM_OFFSET: 31
; COMPUTE_PGM_RSRC3_GFX90A:TG_SPLIT: 0
	.section	.text._Z19_skinny_gemm_kernelILi2ELi1ELi1ELi16ELi4EEvPKhS1_P6__halfPKfiiiiiiii,"axG",@progbits,_Z19_skinny_gemm_kernelILi2ELi1ELi1ELi16ELi4EEvPKhS1_P6__halfPKfiiiiiiii,comdat
	.protected	_Z19_skinny_gemm_kernelILi2ELi1ELi1ELi16ELi4EEvPKhS1_P6__halfPKfiiiiiiii ; -- Begin function _Z19_skinny_gemm_kernelILi2ELi1ELi1ELi16ELi4EEvPKhS1_P6__halfPKfiiiiiiii
	.globl	_Z19_skinny_gemm_kernelILi2ELi1ELi1ELi16ELi4EEvPKhS1_P6__halfPKfiiiiiiii
	.p2align	8
	.type	_Z19_skinny_gemm_kernelILi2ELi1ELi1ELi16ELi4EEvPKhS1_P6__halfPKfiiiiiiii,@function
_Z19_skinny_gemm_kernelILi2ELi1ELi1ELi16ELi4EEvPKhS1_P6__halfPKfiiiiiiii: ; @_Z19_skinny_gemm_kernelILi2ELi1ELi1ELi16ELi4EEvPKhS1_P6__halfPKfiiiiiiii
; %bb.0:
	v_cmp_gt_u32_e32 vcc, 3, v0
	v_lshlrev_b32_e32 v1, 2, v0
	s_and_saveexec_b64 s[4:5], vcc
; %bb.1:
	v_mov_b32_e32 v2, 0
	ds_write_b32 v1, v2 offset:6144
; %bb.2:
	s_or_b64 exec, exec, s[4:5]
	s_load_dwordx8 s[12:19], s[0:1], 0x20
	s_waitcnt lgkmcnt(0)
	s_barrier
	s_add_i32 s3, s12, 31
	s_ashr_i32 s5, s3, 31
	s_add_i32 s4, s13, 15
	s_lshr_b32 s5, s5, 27
	s_ashr_i32 s6, s4, 31
	s_add_i32 s3, s3, s5
	s_ashr_i32 s33, s3, 5
	s_lshr_b32 s3, s6, 28
	s_add_i32 s4, s4, s3
	s_ashr_i32 s42, s4, 4
	s_mul_i32 s3, s42, s33
	s_mul_i32 s3, s3, s16
	s_add_i32 s4, s3, 0x12f
	s_mul_hi_i32 s4, s4, 0x6bca1af3
	s_lshr_b32 s5, s4, 31
	s_ashr_i32 s4, s4, 7
	s_add_i32 s4, s4, s5
	s_add_i32 s5, s2, 1
	s_mul_i32 s5, s4, s5
	v_cvt_f64_i32_e32 v[2:3], s3
	v_cvt_f64_u32_e32 v[4:5], s5
	v_min_f64 v[2:3], v[2:3], v[4:5]
	v_cvt_i32_f64_e32 v9, v[2:3]
	s_mul_i32 s43, s4, s2
	v_cmp_ge_i32_e32 vcc, s43, v9
	s_cbranch_vccnz .LBB144_47
; %bb.3:
	v_lshrrev_b32_e32 v2, 6, v0
	s_add_i32 s4, s18, s17
	s_load_dwordx8 s[20:27], s[0:1], 0x0
	v_cmp_le_i32_e64 s[0:1], s4, v2
	v_mov_b32_e32 v3, s17
	v_cmp_le_i32_e64 s[2:3], s17, v2
	v_mov_b32_e32 v4, s18
	v_cndmask_b32_e64 v4, 0, v4, s[0:1]
	v_cndmask_b32_e64 v3, 0, v3, s[2:3]
	s_abs_i32 s5, s16
	v_add_u32_e32 v3, v3, v4
	v_cvt_f32_u32_e32 v4, s5
	v_sub_u32_e32 v22, v2, v3
	s_ashr_i32 s6, s14, 31
	s_lshr_b32 s6, s6, 25
	v_rcp_iflag_f32_e32 v3, v4
	s_sub_i32 s9, 0, s5
	s_add_i32 s6, s14, s6
	s_ashr_i32 s6, s6, 7
	v_mul_f32_e32 v3, 0x4f7ffffe, v3
	v_cvt_u32_f32_e32 v3, v3
	s_abs_i32 s8, s6
	s_xor_b32 s7, s6, s16
	s_ashr_i32 s7, s7, 31
	v_readfirstlane_b32 s10, v3
	s_mul_i32 s9, s9, s10
	s_mul_hi_u32 s9, s10, s9
	s_add_i32 s10, s10, s9
	s_mul_hi_u32 s9, s8, s10
	s_mul_i32 s10, s9, s5
	s_sub_i32 s8, s8, s10
	s_add_i32 s10, s9, 1
	s_sub_i32 s11, s8, s5
	s_cmp_ge_u32 s8, s5
	s_cselect_b32 s9, s10, s9
	s_cselect_b32 s8, s11, s8
	s_add_i32 s10, s9, 1
	s_cmp_ge_u32 s8, s5
	s_cselect_b32 s5, s10, s9
	s_xor_b32 s5, s5, s7
	s_sub_i32 s44, s5, s7
	s_add_i32 s16, s16, -1
	s_mul_i32 s5, s44, s16
	s_add_i32 s4, s4, s19
	s_sub_i32 s45, s6, s5
	v_cmp_gt_i32_e64 s[4:5], s4, v2
	v_lshlrev_b32_e32 v2, 1, v0
	v_lshlrev_b32_e32 v3, 4, v0
	v_and_b32_e32 v1, 60, v1
	v_and_b32_e32 v2, 64, v2
	;; [unrolled: 1-line block ×3, first 2 shown]
	v_or3_b32 v27, v1, v2, v4
	v_and_b32_e32 v1, 1, v0
	v_lshrrev_b32_e32 v4, 2, v0
	s_abs_i32 s46, s33
	v_and_or_b32 v31, v4, 12, v1
	v_cvt_f32_u32_e32 v4, s46
	v_lshlrev_b32_e32 v2, 1, v1
	v_and_b32_e32 v8, 14, v0
	v_sub_u32_e32 v2, v0, v2
	v_bitop3_b32 v29, v0, 1, v0 bitop3:0xc
	v_bitop3_b32 v30, v0, 3, 1 bitop3:0x6c
	v_and_b32_e32 v14, 48, v3
	v_bfe_u32 v33, v0, 2, 4
	v_and_b32_e32 v1, 60, v0
	v_lshlrev_b32_e32 v3, 8, v0
	v_lshlrev_b32_e32 v0, 6, v0
	v_and_b32_e32 v3, 0x200, v3
	v_and_b32_e32 v0, 64, v0
	v_rcp_iflag_f32_e32 v4, v4
	s_abs_i32 s47, s42
	v_or3_b32 v34, v1, v3, v0
	v_cvt_f32_u32_e32 v1, s47
	v_mul_f32_e32 v0, 0x4f7ffffe, v4
	v_cvt_u32_f32_e32 v0, v0
	v_mad_u64_u32 v[10:11], s[6:7], s13, v31, v[8:9]
	v_rcp_iflag_f32_e32 v1, v1
	v_readfirstlane_b32 s7, v0
	s_sub_i32 s6, 0, s46
	s_mul_i32 s6, s6, s7
	v_mul_f32_e32 v0, 0x4f7ffffe, v1
	v_cvt_u32_f32_e32 v0, v0
	s_mul_hi_u32 s6, s7, s6
	v_add_u32_e32 v2, 1, v2
	s_add_i32 s49, s7, s6
	s_sub_i32 s6, 0, s47
	v_readfirstlane_b32 s7, v0
	v_mbcnt_lo_u32_b32 v0, -1, 0
	v_and_b32_e32 v2, 63, v2
	s_mul_i32 s6, s6, s7
	v_mbcnt_hi_u32_b32 v0, -1, v0
	v_lshl_add_u32 v12, s13, 4, v10
	v_mul_lo_u32 v16, s15, v33
	s_mul_hi_u32 s6, s7, s6
	v_and_or_b32 v0, v0, 64, v2
	v_cndmask_b32_e64 v26, 0, 1, s[0:1]
	v_or_b32_e32 v28, 0x1000, v27
	s_ashr_i32 s11, s13, 31
	s_mov_b32 s10, s13
	v_ashrrev_i32_e32 v11, 31, v10
	v_or_b32_e32 v32, 16, v31
	v_ashrrev_i32_e32 v13, 31, v12
	v_ashrrev_i32_e32 v17, 31, v16
	v_mov_b32_e32 v15, 0
	v_or_b32_e32 v35, 0x1000, v34
	v_mul_lo_u32 v36, s14, v33
	s_ashr_i32 s48, s33, 31
	s_ashr_i32 s50, s42, 31
	s_add_i32 s51, s7, s6
	v_lshlrev_b32_e32 v37, 2, v0
	v_mov_b32_e32 v38, v22
	s_branch .LBB144_7
.LBB144_4:                              ;   in Loop: Header=BB144_7 Depth=1
	s_or_b64 exec, exec, s[28:29]
.LBB144_5:                              ;   in Loop: Header=BB144_7 Depth=1
	s_or_b64 exec, exec, s[8:9]
	v_subrev_u32_e32 v38, s36, v38
.LBB144_6:                              ;   in Loop: Header=BB144_7 Depth=1
	s_or_b64 exec, exec, s[6:7]
	s_add_i32 s43, s43, 1
	v_cmp_ge_i32_e32 vcc, s43, v9
	s_cbranch_vccnz .LBB144_47
.LBB144_7:                              ; =>This Loop Header: Depth=1
                                        ;     Child Loop BB144_13 Depth 2
                                        ;       Child Loop BB144_15 Depth 3
                                        ;       Child Loop BB144_18 Depth 3
	;; [unrolled: 1-line block ×3, first 2 shown]
                                        ;     Child Loop BB144_34 Depth 2
                                        ;       Child Loop BB144_36 Depth 3
                                        ;     Child Loop BB144_44 Depth 2
                                        ;       Child Loop BB144_46 Depth 3
	s_abs_i32 s7, s43
	s_mul_hi_u32 s8, s7, s49
	s_mul_i32 s9, s8, s46
	s_ashr_i32 s6, s43, 31
	s_sub_i32 s7, s7, s9
	s_xor_b32 s6, s6, s48
	s_add_i32 s9, s8, 1
	s_sub_i32 s28, s7, s46
	s_cmp_ge_u32 s7, s46
	s_cselect_b32 s8, s9, s8
	s_cselect_b32 s7, s28, s7
	s_add_i32 s9, s8, 1
	s_cmp_ge_u32 s7, s46
	s_cselect_b32 s7, s9, s8
	s_xor_b32 s7, s7, s6
	s_sub_i32 s6, s7, s6
	s_abs_i32 s8, s6
	s_mul_i32 s7, s6, s33
	s_mul_hi_u32 s9, s8, s51
	s_sub_i32 s7, s43, s7
	s_mul_i32 s28, s9, s47
	s_lshl_b32 s52, s7, 5
	s_ashr_i32 s7, s6, 31
	s_sub_i32 s8, s8, s28
	s_xor_b32 s7, s7, s50
	s_add_i32 s28, s9, 1
	s_sub_i32 s29, s8, s47
	s_cmp_ge_u32 s8, s47
	s_cselect_b32 s9, s28, s9
	s_cselect_b32 s8, s29, s8
	s_add_i32 s28, s9, 1
	s_cmp_ge_u32 s8, s47
	s_cselect_b32 s8, s28, s9
	s_xor_b32 s8, s8, s7
	s_sub_i32 s7, s8, s7
	s_mul_i32 s8, s7, s44
	s_lshl_b32 s53, s8, 7
	s_cmp_eq_u32 s7, s16
	s_cselect_b32 s55, s45, s44
	s_sub_i32 s8, s52, s12
	s_add_i32 s8, s8, 32
	s_max_i32 s54, s8, 0
	s_and_saveexec_b64 s[8:9], s[2:3]
	s_xor_b64 s[28:29], exec, s[8:9]
	s_cbranch_execz .LBB144_40
; %bb.8:                                ;   in Loop: Header=BB144_7 Depth=1
	s_mul_i32 s7, s7, s42
	s_sub_i32 s6, s6, s7
	s_lshl_b32 s6, s6, 4
	s_sub_i32 s31, s6, s13
	s_add_i32 s31, s31, 16
	s_max_i32 s7, s31, 0
	s_sub_i32 s30, s6, s7
	s_and_saveexec_b64 s[6:7], s[0:1]
	s_xor_b64 s[34:35], exec, s[6:7]
	s_cbranch_execz .LBB144_30
; %bb.9:                                ;   in Loop: Header=BB144_7 Depth=1
	s_and_saveexec_b64 s[36:37], s[4:5]
	s_cbranch_execz .LBB144_29
; %bb.10:                               ;   in Loop: Header=BB144_7 Depth=1
	s_waitcnt lgkmcnt(0)
	global_load_dword v39, v15, s[26:27]
	v_mov_b32_e32 v7, 0
	v_cmp_gt_i32_e32 vcc, s55, v38
	v_mov_b32_e32 v6, v7
	v_mov_b32_e32 v5, v7
	;; [unrolled: 1-line block ×7, first 2 shown]
	s_and_saveexec_b64 s[6:7], vcc
	s_cbranch_execz .LBB144_23
; %bb.11:                               ;   in Loop: Header=BB144_7 Depth=1
	v_mov_b32_e32 v0, 0
	s_mov_b64 s[8:9], 0
	v_mov_b32_e32 v1, v0
	v_mov_b32_e32 v2, v0
	;; [unrolled: 1-line block ×7, first 2 shown]
	s_branch .LBB144_13
.LBB144_12:                             ;   in Loop: Header=BB144_13 Depth=2
	s_or_b64 exec, exec, s[38:39]
	v_add_u32_e32 v43, v27, v43
	v_add_u32_e32 v46, 0x800, v43
	ds_read2_b32 v[44:45], v46 offset1:32
	ds_read2_b32 v[46:47], v46 offset0:128 offset1:160
	v_add_u32_e32 v43, 0xc00, v43
	v_add_u32_e32 v38, s19, v38
	v_cmp_le_i32_e32 vcc, s55, v38
	s_waitcnt lgkmcnt(1)
	v_mfma_f32_16x16x32_fp8_fp8 v[0:3], v[44:45], v[22:23], v[0:3]
	ds_read2_b32 v[44:45], v43 offset1:32
	v_add_u32_e32 v22, s19, v40
	v_add_u32_e32 v23, 2, v26
	s_waitcnt lgkmcnt(1)
	v_mfma_f32_16x16x32_fp8_fp8 v[0:3], v[46:47], v[24:25], v[0:3]
	ds_read2_b32 v[24:25], v43 offset0:128 offset1:160
	s_or_b64 s[8:9], vcc, s[8:9]
	v_cmp_lt_i32_e32 vcc, 0, v22
	;;#ASMSTART
	s_waitcnt lgkmcnt(0)
	;;#ASMEND
	s_waitcnt lgkmcnt(1)
	v_mfma_f32_16x16x32_fp8_fp8 v[0:3], v[44:45], v[20:21], v[0:3]
	v_cndmask_b32_e32 v26, v26, v23, vcc
	ds_write_b32 v42, v41 offset:6148
	s_waitcnt lgkmcnt(1)
	v_mfma_f32_16x16x32_fp8_fp8 v[0:3], v[24:25], v[18:19], v[0:3]
	s_andn2_b64 exec, exec, s[8:9]
	s_cbranch_execz .LBB144_22
.LBB144_13:                             ;   Parent Loop BB144_7 Depth=1
                                        ; =>  This Loop Header: Depth=2
                                        ;       Child Loop BB144_15 Depth 3
                                        ;       Child Loop BB144_18 Depth 3
	;; [unrolled: 1-line block ×3, first 2 shown]
	v_cmp_lt_i32_e32 vcc, 0, v22
	s_nop 1
	v_subbrev_co_u32_e32 v40, vcc, 0, v22, vcc
	v_lshlrev_b32_e32 v18, 2, v40
	ds_read_b32 v19, v18 offset:6152
	v_add_u32_e32 v42, 0x1800, v18
	s_waitcnt lgkmcnt(0)
	v_cmp_ne_u32_e32 vcc, v19, v26
	s_and_saveexec_b64 s[38:39], vcc
	s_cbranch_execz .LBB144_16
; %bb.14:                               ;   in Loop: Header=BB144_13 Depth=2
	s_mov_b64 s[40:41], 0
.LBB144_15:                             ;   Parent Loop BB144_7 Depth=1
                                        ;     Parent Loop BB144_13 Depth=2
                                        ; =>    This Inner Loop Header: Depth=3
	;;#ASMSTART
	s_sleep 0
	;;#ASMEND
	ds_read_b32 v18, v42 offset:8
	s_waitcnt lgkmcnt(0)
	v_cmp_eq_u32_e32 vcc, v18, v26
	s_or_b64 s[40:41], vcc, s[40:41]
	s_andn2_b64 exec, exec, s[40:41]
	s_cbranch_execnz .LBB144_15
.LBB144_16:                             ;   in Loop: Header=BB144_13 Depth=2
	s_or_b64 exec, exec, s[38:39]
	v_lshl_add_u32 v18, v40, 11, v28
	ds_read2_b32 v[22:23], v18 offset1:32
	ds_read2_b32 v[24:25], v18 offset0:128 offset1:160
	v_add_u32_e32 v18, 0x400, v18
	v_add_u32_e32 v41, 1, v26
	ds_read2_b32 v[20:21], v18 offset1:32
	ds_read2_b32 v[18:19], v18 offset0:128 offset1:160
	;;#ASMSTART
	s_waitcnt lgkmcnt(0)
	;;#ASMEND
	ds_write_b32 v42, v41 offset:8
	v_lshlrev_b32_e32 v42, 3, v40
	ds_read_b32 v43, v42 offset:6144
	s_waitcnt lgkmcnt(0)
	v_cmp_ne_u32_e32 vcc, v43, v26
	s_and_saveexec_b64 s[38:39], vcc
	s_cbranch_execz .LBB144_19
; %bb.17:                               ;   in Loop: Header=BB144_13 Depth=2
	s_mov_b64 s[40:41], 0
.LBB144_18:                             ;   Parent Loop BB144_7 Depth=1
                                        ;     Parent Loop BB144_13 Depth=2
                                        ; =>    This Inner Loop Header: Depth=3
	;;#ASMSTART
	s_sleep 0
	;;#ASMEND
	ds_read_b32 v43, v42 offset:6144
	s_waitcnt lgkmcnt(0)
	v_cmp_eq_u32_e32 vcc, v43, v26
	s_or_b64 s[40:41], vcc, s[40:41]
	s_andn2_b64 exec, exec, s[40:41]
	s_cbranch_execnz .LBB144_18
.LBB144_19:                             ;   in Loop: Header=BB144_13 Depth=2
	s_or_b64 exec, exec, s[38:39]
	v_lshlrev_b32_e32 v43, 12, v40
	v_or_b32_e32 v48, v27, v43
	ds_read2_b32 v[44:45], v48 offset1:32
	ds_read2_b32 v[46:47], v48 offset0:128 offset1:160
	v_add_u32_e32 v48, 0x400, v48
	s_waitcnt lgkmcnt(1)
	v_mfma_f32_16x16x32_fp8_fp8 v[4:7], v[44:45], v[22:23], v[4:7]
	ds_read2_b32 v[44:45], v48 offset1:32
	s_waitcnt lgkmcnt(1)
	v_mfma_f32_16x16x32_fp8_fp8 v[4:7], v[46:47], v[24:25], v[4:7]
	ds_read2_b32 v[46:47], v48 offset0:128 offset1:160
	;;#ASMSTART
	s_waitcnt lgkmcnt(0)
	;;#ASMEND
	ds_write_b32 v42, v41 offset:6144
	s_waitcnt lgkmcnt(2)
	v_mfma_f32_16x16x32_fp8_fp8 v[4:7], v[44:45], v[20:21], v[4:7]
	ds_read_b32 v44, v42 offset:6148
	s_waitcnt lgkmcnt(0)
	v_cmp_ne_u32_e32 vcc, v44, v26
	v_mfma_f32_16x16x32_fp8_fp8 v[4:7], v[46:47], v[18:19], v[4:7]
	s_and_saveexec_b64 s[38:39], vcc
	s_cbranch_execz .LBB144_12
; %bb.20:                               ;   in Loop: Header=BB144_13 Depth=2
	s_mov_b64 s[40:41], 0
.LBB144_21:                             ;   Parent Loop BB144_7 Depth=1
                                        ;     Parent Loop BB144_13 Depth=2
                                        ; =>    This Inner Loop Header: Depth=3
	;;#ASMSTART
	s_sleep 0
	;;#ASMEND
	ds_read_b32 v44, v42 offset:6148
	s_waitcnt lgkmcnt(0)
	v_cmp_eq_u32_e32 vcc, v44, v26
	s_or_b64 s[40:41], vcc, s[40:41]
	s_andn2_b64 exec, exec, s[40:41]
	s_cbranch_execnz .LBB144_21
	s_branch .LBB144_12
.LBB144_22:                             ;   in Loop: Header=BB144_7 Depth=1
	s_or_b64 exec, exec, s[8:9]
.LBB144_23:                             ;   in Loop: Header=BB144_7 Depth=1
	s_or_b64 exec, exec, s[6:7]
	v_cmp_le_i32_e32 vcc, s31, v8
	v_cmp_eq_u32_e64 s[6:7], 3, v29
	s_waitcnt vmcnt(0)
	v_cndmask_b32_e32 v18, 0, v39, vcc
	v_pk_mul_f32 v[24:25], v[18:19], v[4:5] op_sel_hi:[0,1]
	v_cmp_eq_u32_e32 vcc, 1, v29
	v_pk_mul_f32 v[6:7], v[18:19], v[6:7] op_sel_hi:[0,1]
	v_add_u32_e32 v19, s54, v31
	v_cndmask_b32_e32 v4, v24, v25, vcc
	v_cmp_eq_u32_e32 vcc, 2, v29
	s_nop 1
	v_cndmask_b32_e32 v4, v4, v6, vcc
	v_cndmask_b32_e64 v4, v4, v7, s[6:7]
	ds_bpermute_b32 v5, v37, v4
	s_waitcnt lgkmcnt(0)
	v_cndmask_b32_e32 v6, v6, v5, vcc
	v_cmp_ne_u32_e32 vcc, 0, v29
	v_cndmask_b32_e64 v20, v7, v5, s[6:7]
	s_nop 0
	v_cndmask_b32_e32 v4, v25, v5, vcc
	v_cmp_eq_u32_e32 vcc, 0, v29
	s_nop 1
	v_cndmask_b32_e32 v5, v24, v5, vcc
	v_cmp_eq_u32_e32 vcc, 1, v30
	;; [unrolled: 3-line block ×4, first 2 shown]
	s_nop 1
	v_cndmask_b32_e32 v7, v7, v20, vcc
	ds_bpermute_b32 v7, v37, v7
	v_cmp_gt_u32_e32 vcc, 32, v19
	s_and_saveexec_b64 s[38:39], vcc
	s_cbranch_execz .LBB144_28
; %bb.24:                               ;   in Loop: Header=BB144_7 Depth=1
	v_cmp_eq_u32_e64 s[8:9], 1, v30
	v_cmp_eq_u32_e64 s[6:7], 3, v30
	v_cmp_eq_u32_e32 vcc, 2, v30
	s_waitcnt lgkmcnt(0)
	v_cndmask_b32_e64 v4, v4, v7, s[8:9]
	v_cmp_eq_u32_e64 s[8:9], 0, v30
	v_cvt_f16_f32_sdwa v23, v4 dst_sel:WORD_1 dst_unused:UNUSED_PAD src0_sel:DWORD
	s_nop 0
	v_cndmask_b32_e64 v5, v5, v7, s[8:9]
	s_mul_i32 s8, s52, s13
	s_ashr_i32 s9, s8, 31
	s_lshl_b64 s[8:9], s[8:9], 1
	s_add_u32 s40, s24, s8
	s_addc_u32 s41, s25, s9
	s_ashr_i32 s31, s30, 31
	s_lshl_b64 s[8:9], s[30:31], 1
	v_cvt_f16_f32_e32 v21, v5
	s_add_u32 s40, s40, s8
	s_addc_u32 s41, s41, s9
	v_lshl_add_u64 v[4:5], v[10:11], 1, s[40:41]
	v_cmp_gt_u32_e64 s[8:9], 30, v19
	v_or_b32_e32 v21, v23, v21
	;;#ASMSTART
	global_atomic_pk_add_f16 v[4:5], v21, off
	
	;;#ASMEND
	s_and_b64 exec, exec, s[8:9]
	s_cbranch_execz .LBB144_28
; %bb.25:                               ;   in Loop: Header=BB144_7 Depth=1
	v_mov_b32_e32 v19, v18
	v_cndmask_b32_e64 v23, v20, v7, s[6:7]
	v_mov_b32_e32 v20, v18
	v_mov_b32_e32 v21, v18
	v_pk_mul_f32 v[18:19], v[18:19], v[0:1]
	v_cmp_eq_u32_e64 s[6:7], 1, v29
	v_pk_mul_f32 v[20:21], v[20:21], v[2:3]
	v_cmp_eq_u32_e64 s[8:9], 3, v29
	v_cndmask_b32_e64 v0, v18, v19, s[6:7]
	v_cmp_eq_u32_e64 s[6:7], 2, v29
	v_cvt_f16_f32_sdwa v23, v23 dst_sel:WORD_1 dst_unused:UNUSED_PAD src0_sel:DWORD
	s_nop 0
	v_cndmask_b32_e64 v0, v0, v20, s[6:7]
	v_cndmask_b32_e64 v0, v0, v21, s[8:9]
	ds_bpermute_b32 v1, v37, v0
	v_cndmask_b32_e32 v0, v6, v7, vcc
	v_cmp_ne_u32_e32 vcc, 0, v29
	v_lshl_add_u64 v[6:7], s[10:11], 2, v[4:5]
	v_cvt_f16_f32_e32 v5, v0
	s_waitcnt lgkmcnt(0)
	v_cndmask_b32_e32 v0, v19, v1, vcc
	v_cmp_eq_u32_e32 vcc, 0, v29
	v_cndmask_b32_e64 v2, v21, v1, s[8:9]
	v_cndmask_b32_e64 v3, v20, v1, s[6:7]
	v_cndmask_b32_e32 v1, v18, v1, vcc
	v_cmp_eq_u32_e32 vcc, 1, v30
	v_or_b32_e32 v5, v23, v5
	;;#ASMSTART
	global_atomic_pk_add_f16 v[6:7], v5, off
	
	;;#ASMEND
	v_add_u32_e32 v5, s54, v32
	v_cndmask_b32_e32 v4, v1, v0, vcc
	v_cmp_eq_u32_e32 vcc, 2, v30
	s_nop 1
	v_cndmask_b32_e32 v4, v4, v3, vcc
	v_cmp_eq_u32_e32 vcc, 3, v30
	s_nop 1
	v_cndmask_b32_e32 v4, v4, v2, vcc
	ds_bpermute_b32 v4, v37, v4
	v_cmp_gt_u32_e32 vcc, 32, v5
	s_and_b64 exec, exec, vcc
	s_cbranch_execz .LBB144_28
; %bb.26:                               ;   in Loop: Header=BB144_7 Depth=1
	v_cmp_eq_u32_e32 vcc, 1, v30
	v_cmp_eq_u32_e64 s[6:7], 2, v30
	v_cmp_gt_u32_e64 s[8:9], 30, v5
	s_waitcnt lgkmcnt(0)
	v_cndmask_b32_e32 v0, v0, v4, vcc
	v_cmp_eq_u32_e32 vcc, 0, v30
	v_cvt_f16_f32_sdwa v7, v0 dst_sel:WORD_1 dst_unused:UNUSED_PAD src0_sel:DWORD
	s_nop 0
	v_cndmask_b32_e32 v1, v1, v4, vcc
	v_cvt_f16_f32_e32 v6, v1
	v_cmp_eq_u32_e32 vcc, 3, v30
	v_lshl_add_u64 v[0:1], v[12:13], 1, s[40:41]
	v_or_b32_e32 v6, v7, v6
	;;#ASMSTART
	global_atomic_pk_add_f16 v[0:1], v6, off
	
	;;#ASMEND
	s_and_b64 exec, exec, s[8:9]
	s_cbranch_execz .LBB144_28
; %bb.27:                               ;   in Loop: Header=BB144_7 Depth=1
	v_cndmask_b32_e32 v2, v2, v4, vcc
	v_cndmask_b32_e64 v3, v3, v4, s[6:7]
	v_cvt_f16_f32_sdwa v2, v2 dst_sel:WORD_1 dst_unused:UNUSED_PAD src0_sel:DWORD
	v_cvt_f16_f32_e32 v3, v3
	v_lshl_add_u64 v[0:1], s[10:11], 2, v[0:1]
	v_or_b32_e32 v2, v2, v3
	;;#ASMSTART
	global_atomic_pk_add_f16 v[0:1], v2, off
	
	;;#ASMEND
.LBB144_28:                             ;   in Loop: Header=BB144_7 Depth=1
	s_or_b64 exec, exec, s[38:39]
	v_subrev_u32_e32 v38, s55, v38
.LBB144_29:                             ;   in Loop: Header=BB144_7 Depth=1
	s_or_b64 exec, exec, s[36:37]
.LBB144_30:                             ;   in Loop: Header=BB144_7 Depth=1
	s_andn2_saveexec_b64 s[6:7], s[34:35]
	s_cbranch_execz .LBB144_39
; %bb.31:                               ;   in Loop: Header=BB144_7 Depth=1
	v_cmp_gt_i32_e32 vcc, s55, v38
	s_and_saveexec_b64 s[8:9], vcc
	s_cbranch_execz .LBB144_38
; %bb.32:                               ;   in Loop: Header=BB144_7 Depth=1
	s_mul_i32 s30, s30, s15
	s_ashr_i32 s31, s30, 31
	s_waitcnt lgkmcnt(0)
	s_add_u32 s30, s22, s30
	s_addc_u32 s31, s23, s31
	s_ashr_i32 s34, s53, 31
	s_add_u32 s30, s30, s53
	s_addc_u32 s31, s31, s34
	v_lshl_add_u64 v[0:1], s[30:31], 0, v[16:17]
	v_lshl_add_u64 v[18:19], v[0:1], 0, v[14:15]
	s_mov_b64 s[30:31], 0
	s_branch .LBB144_34
.LBB144_33:                             ;   in Loop: Header=BB144_34 Depth=2
	s_or_b64 exec, exec, s[34:35]
	v_lshl_add_u32 v22, v20, 11, v35
	;;#ASMSTART
	s_waitcnt vmcnt(1)
	;;#ASMEND
	ds_write2_b32 v22, v4, v5 offset1:32
	ds_write2_b32 v22, v6, v7 offset0:64 offset1:96
	v_add_u32_e32 v4, 0x400, v22
	v_add_u32_e32 v38, s18, v38
	;;#ASMSTART
	s_waitcnt vmcnt(0)
	;;#ASMEND
	ds_write2_b32 v4, v0, v1 offset1:32
	ds_write2_b32 v4, v2, v3 offset0:64 offset1:96
	v_add_u32_e32 v0, 1, v26
	v_add_u32_e32 v22, s18, v20
	v_cmp_le_i32_e32 vcc, s55, v38
	ds_write_b32 v21, v0 offset:8
	v_add_u32_e32 v0, 2, v26
	s_or_b64 s[30:31], vcc, s[30:31]
	v_cmp_lt_i32_e32 vcc, 0, v22
	s_nop 1
	v_cndmask_b32_e32 v26, v26, v0, vcc
	s_andn2_b64 exec, exec, s[30:31]
	s_cbranch_execz .LBB144_37
.LBB144_34:                             ;   Parent Loop BB144_7 Depth=1
                                        ; =>  This Loop Header: Depth=2
                                        ;       Child Loop BB144_36 Depth 3
	v_cmp_lt_i32_e32 vcc, 0, v22
	v_lshlrev_b32_e32 v0, 7, v38
	v_ashrrev_i32_e32 v1, 31, v0
	v_subbrev_co_u32_e32 v20, vcc, 0, v22, vcc
	v_lshl_add_u64 v[0:1], v[18:19], 0, v[0:1]
	v_lshlrev_b32_e32 v21, 2, v20
	;;#ASMSTART
	global_load_dwordx4 v[4:7], v[0:1], off offset:0   sc0 sc1 nt  
	global_load_dwordx4 v[0:3], v[0:1], off offset:64  sc0 sc1 nt  
	
	;;#ASMEND
	ds_read_b32 v22, v21 offset:6152
	v_add_u32_e32 v21, 0x1800, v21
	s_waitcnt lgkmcnt(0)
	v_cmp_ne_u32_e32 vcc, v22, v26
	s_and_saveexec_b64 s[34:35], vcc
	s_cbranch_execz .LBB144_33
; %bb.35:                               ;   in Loop: Header=BB144_34 Depth=2
	s_mov_b64 s[36:37], 0
.LBB144_36:                             ;   Parent Loop BB144_7 Depth=1
                                        ;     Parent Loop BB144_34 Depth=2
                                        ; =>    This Inner Loop Header: Depth=3
	;;#ASMSTART
	s_sleep 0
	;;#ASMEND
	ds_read_b32 v22, v21 offset:8
	s_waitcnt lgkmcnt(0)
	v_cmp_eq_u32_e32 vcc, v22, v26
	s_or_b64 s[36:37], vcc, s[36:37]
	s_andn2_b64 exec, exec, s[36:37]
	s_cbranch_execnz .LBB144_36
	s_branch .LBB144_33
.LBB144_37:                             ;   in Loop: Header=BB144_7 Depth=1
	s_or_b64 exec, exec, s[30:31]
.LBB144_38:                             ;   in Loop: Header=BB144_7 Depth=1
	s_or_b64 exec, exec, s[8:9]
	v_subrev_u32_e32 v38, s55, v38
.LBB144_39:                             ;   in Loop: Header=BB144_7 Depth=1
	s_or_b64 exec, exec, s[6:7]
.LBB144_40:                             ;   in Loop: Header=BB144_7 Depth=1
	s_andn2_saveexec_b64 s[6:7], s[28:29]
	s_cbranch_execz .LBB144_6
; %bb.41:                               ;   in Loop: Header=BB144_7 Depth=1
	s_lshl_b32 s36, s55, 1
	v_cmp_gt_i32_e32 vcc, s36, v38
	s_and_saveexec_b64 s[8:9], vcc
	s_cbranch_execz .LBB144_5
; %bb.42:                               ;   in Loop: Header=BB144_7 Depth=1
	s_mul_i32 s52, s52, s14
	s_ashr_i32 s28, s52, 31
	s_waitcnt lgkmcnt(0)
	s_add_u32 s29, s20, s52
	v_add_u32_e32 v2, s54, v33
	s_addc_u32 s30, s21, s28
	s_ashr_i32 s31, s53, 31
	v_cmp_gt_u32_e32 vcc, 32, v2
	s_add_u32 s28, s29, s53
	s_addc_u32 s29, s30, s31
	v_cndmask_b32_e32 v0, 0, v36, vcc
	v_ashrrev_i32_e32 v1, 31, v0
	v_lshl_add_u64 v[0:1], s[28:29], 0, v[0:1]
	v_lshl_add_u64 v[18:19], v[0:1], 0, v[14:15]
	v_sub_u32_e32 v20, 31, v2
	s_mov_b64 s[28:29], 0
	s_branch .LBB144_44
.LBB144_43:                             ;   in Loop: Header=BB144_44 Depth=2
	s_or_b64 exec, exec, s[30:31]
	v_lshl_or_b32 v23, v21, 11, v34
	;;#ASMSTART
	s_waitcnt vmcnt(1)
	;;#ASMEND
	ds_write2_b32 v23, v4, v5 offset1:32
	ds_write2_b32 v23, v6, v7 offset0:64 offset1:96
	v_add_u32_e32 v4, 0x400, v23
	;;#ASMSTART
	s_waitcnt vmcnt(0)
	;;#ASMEND
	ds_write2_b32 v4, v0, v1 offset1:32
	ds_write2_b32 v4, v2, v3 offset0:64 offset1:96
	v_add_u32_e32 v0, 1, v26
	v_add_u32_e32 v38, s17, v38
	ds_write_b32 v22, v0
	v_add_u32_e32 v22, s17, v21
	v_cmp_le_i32_e32 vcc, s36, v38
	v_add_u32_e32 v0, 2, v26
	s_or_b64 s[28:29], vcc, s[28:29]
	v_cmp_lt_i32_e32 vcc, 1, v22
	s_nop 1
	v_cndmask_b32_e32 v26, v26, v0, vcc
	s_andn2_b64 exec, exec, s[28:29]
	s_cbranch_execz .LBB144_4
.LBB144_44:                             ;   Parent Loop BB144_7 Depth=1
                                        ; =>  This Loop Header: Depth=2
                                        ;       Child Loop BB144_46 Depth 3
	v_cmp_gt_i32_e32 vcc, 2, v22
	s_nop 1
	v_cndmask_b32_e64 v0, -2, 0, vcc
	v_add_u32_e32 v21, v0, v22
	v_lshrrev_b32_e32 v0, 31, v38
	v_add_u32_e32 v0, v38, v0
	v_and_b32_e32 v1, 0xffffffe, v0
	v_sub_u32_e32 v1, v38, v1
	v_lshlrev_b32_e32 v1, 4, v1
	v_cmp_le_i32_e32 vcc, v1, v20
	v_lshlrev_b32_e32 v0, 6, v0
	v_and_b32_e32 v0, 0xffffff80, v0
	v_cndmask_b32_e32 v2, 0, v1, vcc
	v_ashrrev_i32_e32 v1, 31, v0
	v_mul_lo_u32 v2, v2, s14
	v_lshl_add_u64 v[0:1], v[18:19], 0, v[0:1]
	v_ashrrev_i32_e32 v3, 31, v2
	v_lshl_add_u64 v[0:1], v[0:1], 0, v[2:3]
	v_lshlrev_b32_e32 v22, 2, v21
	;;#ASMSTART
	global_load_dwordx4 v[4:7], v[0:1], off offset:0   
	global_load_dwordx4 v[0:3], v[0:1], off offset:64  
	
	;;#ASMEND
	ds_read_b32 v23, v22 offset:6144
	v_add_u32_e32 v22, 0x1800, v22
	s_waitcnt lgkmcnt(0)
	v_cmp_ne_u32_e32 vcc, v23, v26
	s_and_saveexec_b64 s[30:31], vcc
	s_cbranch_execz .LBB144_43
; %bb.45:                               ;   in Loop: Header=BB144_44 Depth=2
	s_mov_b64 s[34:35], 0
.LBB144_46:                             ;   Parent Loop BB144_7 Depth=1
                                        ;     Parent Loop BB144_44 Depth=2
                                        ; =>    This Inner Loop Header: Depth=3
	;;#ASMSTART
	s_sleep 0
	;;#ASMEND
	ds_read_b32 v23, v22
	s_waitcnt lgkmcnt(0)
	v_cmp_eq_u32_e32 vcc, v23, v26
	s_or_b64 s[34:35], vcc, s[34:35]
	s_andn2_b64 exec, exec, s[34:35]
	s_cbranch_execnz .LBB144_46
	s_branch .LBB144_43
.LBB144_47:
	s_endpgm
	.section	.rodata,"a",@progbits
	.p2align	6, 0x0
	.amdhsa_kernel _Z19_skinny_gemm_kernelILi2ELi1ELi1ELi16ELi4EEvPKhS1_P6__halfPKfiiiiiiii
		.amdhsa_group_segment_fixed_size 6156
		.amdhsa_private_segment_fixed_size 0
		.amdhsa_kernarg_size 64
		.amdhsa_user_sgpr_count 2
		.amdhsa_user_sgpr_dispatch_ptr 0
		.amdhsa_user_sgpr_queue_ptr 0
		.amdhsa_user_sgpr_kernarg_segment_ptr 1
		.amdhsa_user_sgpr_dispatch_id 0
		.amdhsa_user_sgpr_kernarg_preload_length 0
		.amdhsa_user_sgpr_kernarg_preload_offset 0
		.amdhsa_user_sgpr_private_segment_size 0
		.amdhsa_uses_dynamic_stack 0
		.amdhsa_enable_private_segment 0
		.amdhsa_system_sgpr_workgroup_id_x 1
		.amdhsa_system_sgpr_workgroup_id_y 0
		.amdhsa_system_sgpr_workgroup_id_z 0
		.amdhsa_system_sgpr_workgroup_info 0
		.amdhsa_system_vgpr_workitem_id 0
		.amdhsa_next_free_vgpr 49
		.amdhsa_next_free_sgpr 56
		.amdhsa_accum_offset 52
		.amdhsa_reserve_vcc 1
		.amdhsa_float_round_mode_32 0
		.amdhsa_float_round_mode_16_64 0
		.amdhsa_float_denorm_mode_32 3
		.amdhsa_float_denorm_mode_16_64 3
		.amdhsa_dx10_clamp 1
		.amdhsa_ieee_mode 1
		.amdhsa_fp16_overflow 0
		.amdhsa_tg_split 0
		.amdhsa_exception_fp_ieee_invalid_op 0
		.amdhsa_exception_fp_denorm_src 0
		.amdhsa_exception_fp_ieee_div_zero 0
		.amdhsa_exception_fp_ieee_overflow 0
		.amdhsa_exception_fp_ieee_underflow 0
		.amdhsa_exception_fp_ieee_inexact 0
		.amdhsa_exception_int_div_zero 0
	.end_amdhsa_kernel
	.section	.text._Z19_skinny_gemm_kernelILi2ELi1ELi1ELi16ELi4EEvPKhS1_P6__halfPKfiiiiiiii,"axG",@progbits,_Z19_skinny_gemm_kernelILi2ELi1ELi1ELi16ELi4EEvPKhS1_P6__halfPKfiiiiiiii,comdat
.Lfunc_end144:
	.size	_Z19_skinny_gemm_kernelILi2ELi1ELi1ELi16ELi4EEvPKhS1_P6__halfPKfiiiiiiii, .Lfunc_end144-_Z19_skinny_gemm_kernelILi2ELi1ELi1ELi16ELi4EEvPKhS1_P6__halfPKfiiiiiiii
                                        ; -- End function
	.set _Z19_skinny_gemm_kernelILi2ELi1ELi1ELi16ELi4EEvPKhS1_P6__halfPKfiiiiiiii.num_vgpr, 49
	.set _Z19_skinny_gemm_kernelILi2ELi1ELi1ELi16ELi4EEvPKhS1_P6__halfPKfiiiiiiii.num_agpr, 0
	.set _Z19_skinny_gemm_kernelILi2ELi1ELi1ELi16ELi4EEvPKhS1_P6__halfPKfiiiiiiii.numbered_sgpr, 56
	.set _Z19_skinny_gemm_kernelILi2ELi1ELi1ELi16ELi4EEvPKhS1_P6__halfPKfiiiiiiii.num_named_barrier, 0
	.set _Z19_skinny_gemm_kernelILi2ELi1ELi1ELi16ELi4EEvPKhS1_P6__halfPKfiiiiiiii.private_seg_size, 0
	.set _Z19_skinny_gemm_kernelILi2ELi1ELi1ELi16ELi4EEvPKhS1_P6__halfPKfiiiiiiii.uses_vcc, 1
	.set _Z19_skinny_gemm_kernelILi2ELi1ELi1ELi16ELi4EEvPKhS1_P6__halfPKfiiiiiiii.uses_flat_scratch, 0
	.set _Z19_skinny_gemm_kernelILi2ELi1ELi1ELi16ELi4EEvPKhS1_P6__halfPKfiiiiiiii.has_dyn_sized_stack, 0
	.set _Z19_skinny_gemm_kernelILi2ELi1ELi1ELi16ELi4EEvPKhS1_P6__halfPKfiiiiiiii.has_recursion, 0
	.set _Z19_skinny_gemm_kernelILi2ELi1ELi1ELi16ELi4EEvPKhS1_P6__halfPKfiiiiiiii.has_indirect_call, 0
	.section	.AMDGPU.csdata,"",@progbits
; Kernel info:
; codeLenInByte = 3220
; TotalNumSgprs: 62
; NumVgprs: 49
; NumAgprs: 0
; TotalNumVgprs: 49
; ScratchSize: 0
; MemoryBound: 0
; FloatMode: 240
; IeeeMode: 1
; LDSByteSize: 6156 bytes/workgroup (compile time only)
; SGPRBlocks: 7
; VGPRBlocks: 6
; NumSGPRsForWavesPerEU: 62
; NumVGPRsForWavesPerEU: 49
; AccumOffset: 52
; Occupancy: 8
; WaveLimiterHint : 0
; COMPUTE_PGM_RSRC2:SCRATCH_EN: 0
; COMPUTE_PGM_RSRC2:USER_SGPR: 2
; COMPUTE_PGM_RSRC2:TRAP_HANDLER: 0
; COMPUTE_PGM_RSRC2:TGID_X_EN: 1
; COMPUTE_PGM_RSRC2:TGID_Y_EN: 0
; COMPUTE_PGM_RSRC2:TGID_Z_EN: 0
; COMPUTE_PGM_RSRC2:TIDIG_COMP_CNT: 0
; COMPUTE_PGM_RSRC3_GFX90A:ACCUM_OFFSET: 12
; COMPUTE_PGM_RSRC3_GFX90A:TG_SPLIT: 0
	.section	.text._Z19_skinny_gemm_kernelILi2ELi1ELi1ELi16ELi8EEvPKhS1_P6__halfPKfiiiiiiii,"axG",@progbits,_Z19_skinny_gemm_kernelILi2ELi1ELi1ELi16ELi8EEvPKhS1_P6__halfPKfiiiiiiii,comdat
	.protected	_Z19_skinny_gemm_kernelILi2ELi1ELi1ELi16ELi8EEvPKhS1_P6__halfPKfiiiiiiii ; -- Begin function _Z19_skinny_gemm_kernelILi2ELi1ELi1ELi16ELi8EEvPKhS1_P6__halfPKfiiiiiiii
	.globl	_Z19_skinny_gemm_kernelILi2ELi1ELi1ELi16ELi8EEvPKhS1_P6__halfPKfiiiiiiii
	.p2align	8
	.type	_Z19_skinny_gemm_kernelILi2ELi1ELi1ELi16ELi8EEvPKhS1_P6__halfPKfiiiiiiii,@function
_Z19_skinny_gemm_kernelILi2ELi1ELi1ELi16ELi8EEvPKhS1_P6__halfPKfiiiiiiii: ; @_Z19_skinny_gemm_kernelILi2ELi1ELi1ELi16ELi8EEvPKhS1_P6__halfPKfiiiiiiii
; %bb.0:
	v_cmp_gt_u32_e32 vcc, 3, v0
	v_lshlrev_b32_e32 v1, 2, v0
	s_and_saveexec_b64 s[4:5], vcc
; %bb.1:
	v_mov_b32_e32 v2, 0
	ds_write_b32 v1, v2 offset:12288
; %bb.2:
	s_or_b64 exec, exec, s[4:5]
	s_load_dwordx8 s[12:19], s[0:1], 0x20
	s_waitcnt lgkmcnt(0)
	s_barrier
	s_add_i32 s3, s12, 31
	s_ashr_i32 s5, s3, 31
	s_add_i32 s4, s13, 15
	s_lshr_b32 s5, s5, 27
	s_ashr_i32 s6, s4, 31
	s_add_i32 s3, s3, s5
	s_ashr_i32 s33, s3, 5
	s_lshr_b32 s3, s6, 28
	s_add_i32 s4, s4, s3
	s_ashr_i32 s42, s4, 4
	s_mul_i32 s3, s42, s33
	s_mul_i32 s3, s3, s16
	s_add_i32 s4, s3, 0x12f
	s_mul_hi_i32 s4, s4, 0x6bca1af3
	s_lshr_b32 s5, s4, 31
	s_ashr_i32 s4, s4, 7
	s_add_i32 s4, s4, s5
	s_add_i32 s5, s2, 1
	s_mul_i32 s5, s4, s5
	v_cvt_f64_i32_e32 v[2:3], s3
	v_cvt_f64_u32_e32 v[4:5], s5
	v_min_f64 v[2:3], v[2:3], v[4:5]
	v_cvt_i32_f64_e32 v17, v[2:3]
	s_mul_i32 s43, s4, s2
	v_cmp_ge_i32_e32 vcc, s43, v17
	s_cbranch_vccnz .LBB145_47
; %bb.3:
	v_lshrrev_b32_e32 v2, 6, v0
	s_add_i32 s4, s18, s17
	s_load_dwordx8 s[20:27], s[0:1], 0x0
	v_cmp_le_i32_e64 s[0:1], s4, v2
	v_mov_b32_e32 v3, s17
	v_cmp_le_i32_e64 s[2:3], s17, v2
	v_mov_b32_e32 v4, s18
	v_cndmask_b32_e64 v4, 0, v4, s[0:1]
	v_cndmask_b32_e64 v3, 0, v3, s[2:3]
	s_abs_i32 s5, s16
	v_add_u32_e32 v3, v3, v4
	v_cvt_f32_u32_e32 v4, s5
	v_sub_u32_e32 v10, v2, v3
	s_ashr_i32 s6, s14, 31
	s_lshr_b32 s6, s6, 24
	v_rcp_iflag_f32_e32 v3, v4
	s_sub_i32 s9, 0, s5
	s_add_i32 s6, s14, s6
	s_ashr_i32 s6, s6, 8
	v_mul_f32_e32 v3, 0x4f7ffffe, v3
	v_cvt_u32_f32_e32 v3, v3
	s_abs_i32 s8, s6
	s_xor_b32 s7, s6, s16
	s_ashr_i32 s7, s7, 31
	v_readfirstlane_b32 s10, v3
	s_mul_i32 s9, s9, s10
	s_mul_hi_u32 s9, s10, s9
	s_add_i32 s10, s10, s9
	s_mul_hi_u32 s9, s8, s10
	s_mul_i32 s10, s9, s5
	s_sub_i32 s8, s8, s10
	s_add_i32 s10, s9, 1
	s_sub_i32 s11, s8, s5
	s_cmp_ge_u32 s8, s5
	s_cselect_b32 s9, s10, s9
	s_cselect_b32 s8, s11, s8
	s_add_i32 s10, s9, 1
	s_cmp_ge_u32 s8, s5
	s_cselect_b32 s5, s10, s9
	s_xor_b32 s5, s5, s7
	s_sub_i32 s44, s5, s7
	s_add_i32 s16, s16, -1
	s_mul_i32 s5, s44, s16
	s_add_i32 s4, s4, s19
	s_sub_i32 s45, s6, s5
	v_cmp_gt_i32_e64 s[4:5], s4, v2
	v_lshlrev_b32_e32 v2, 1, v0
	v_lshlrev_b32_e32 v3, 4, v0
	v_and_b32_e32 v1, 60, v1
	v_and_b32_e32 v2, 64, v2
	;; [unrolled: 1-line block ×3, first 2 shown]
	v_or3_b32 v35, v1, v2, v4
	v_and_b32_e32 v1, 1, v0
	v_lshrrev_b32_e32 v4, 2, v0
	s_abs_i32 s46, s33
	v_and_or_b32 v39, v4, 12, v1
	v_cvt_f32_u32_e32 v4, s46
	v_lshlrev_b32_e32 v2, 1, v1
	v_and_b32_e32 v16, 14, v0
	v_sub_u32_e32 v2, v0, v2
	v_bitop3_b32 v37, v0, 1, v0 bitop3:0xc
	v_bitop3_b32 v38, v0, 3, 1 bitop3:0x6c
	v_and_b32_e32 v22, 48, v3
	v_bfe_u32 v41, v0, 2, 4
	v_and_b32_e32 v1, 60, v0
	v_lshlrev_b32_e32 v3, 8, v0
	v_lshlrev_b32_e32 v0, 6, v0
	v_and_b32_e32 v3, 0x200, v3
	v_and_b32_e32 v0, 64, v0
	v_rcp_iflag_f32_e32 v4, v4
	s_abs_i32 s47, s42
	v_or3_b32 v42, v1, v3, v0
	v_cvt_f32_u32_e32 v1, s47
	v_mul_f32_e32 v0, 0x4f7ffffe, v4
	v_cvt_u32_f32_e32 v0, v0
	v_mad_u64_u32 v[18:19], s[6:7], s13, v39, v[16:17]
	v_rcp_iflag_f32_e32 v1, v1
	v_readfirstlane_b32 s7, v0
	s_sub_i32 s6, 0, s46
	s_mul_i32 s6, s6, s7
	v_mul_f32_e32 v0, 0x4f7ffffe, v1
	v_cvt_u32_f32_e32 v0, v0
	s_mul_hi_u32 s6, s7, s6
	v_add_u32_e32 v2, 1, v2
	s_add_i32 s49, s7, s6
	s_sub_i32 s6, 0, s47
	v_readfirstlane_b32 s7, v0
	v_mbcnt_lo_u32_b32 v0, -1, 0
	v_and_b32_e32 v2, 63, v2
	s_mul_i32 s6, s6, s7
	v_mbcnt_hi_u32_b32 v0, -1, v0
	v_lshl_add_u32 v20, s13, 4, v18
	v_mul_lo_u32 v24, s15, v41
	s_mul_hi_u32 s6, s7, s6
	v_and_or_b32 v0, v0, 64, v2
	v_cndmask_b32_e64 v34, 0, 1, s[0:1]
	v_or_b32_e32 v36, 0x2000, v35
	s_ashr_i32 s11, s13, 31
	s_mov_b32 s10, s13
	v_ashrrev_i32_e32 v19, 31, v18
	v_or_b32_e32 v40, 16, v39
	v_ashrrev_i32_e32 v21, 31, v20
	v_ashrrev_i32_e32 v25, 31, v24
	v_mov_b32_e32 v23, 0
	v_or_b32_e32 v43, 0x2000, v42
	v_mul_lo_u32 v44, s14, v41
	s_ashr_i32 s48, s33, 31
	s_ashr_i32 s50, s42, 31
	s_add_i32 s51, s7, s6
	v_lshlrev_b32_e32 v45, 2, v0
	v_mov_b32_e32 v46, v10
	s_branch .LBB145_7
.LBB145_4:                              ;   in Loop: Header=BB145_7 Depth=1
	s_or_b64 exec, exec, s[28:29]
.LBB145_5:                              ;   in Loop: Header=BB145_7 Depth=1
	s_or_b64 exec, exec, s[8:9]
	v_subrev_u32_e32 v46, s36, v46
.LBB145_6:                              ;   in Loop: Header=BB145_7 Depth=1
	s_or_b64 exec, exec, s[6:7]
	s_add_i32 s43, s43, 1
	v_cmp_ge_i32_e32 vcc, s43, v17
	s_cbranch_vccnz .LBB145_47
.LBB145_7:                              ; =>This Loop Header: Depth=1
                                        ;     Child Loop BB145_13 Depth 2
                                        ;       Child Loop BB145_15 Depth 3
                                        ;       Child Loop BB145_18 Depth 3
	;; [unrolled: 1-line block ×3, first 2 shown]
                                        ;     Child Loop BB145_34 Depth 2
                                        ;       Child Loop BB145_36 Depth 3
                                        ;     Child Loop BB145_44 Depth 2
                                        ;       Child Loop BB145_46 Depth 3
	s_abs_i32 s7, s43
	s_mul_hi_u32 s8, s7, s49
	s_mul_i32 s9, s8, s46
	s_ashr_i32 s6, s43, 31
	s_sub_i32 s7, s7, s9
	s_xor_b32 s6, s6, s48
	s_add_i32 s9, s8, 1
	s_sub_i32 s28, s7, s46
	s_cmp_ge_u32 s7, s46
	s_cselect_b32 s8, s9, s8
	s_cselect_b32 s7, s28, s7
	s_add_i32 s9, s8, 1
	s_cmp_ge_u32 s7, s46
	s_cselect_b32 s7, s9, s8
	s_xor_b32 s7, s7, s6
	s_sub_i32 s6, s7, s6
	s_abs_i32 s8, s6
	s_mul_i32 s7, s6, s33
	s_mul_hi_u32 s9, s8, s51
	s_sub_i32 s7, s43, s7
	s_mul_i32 s28, s9, s47
	s_lshl_b32 s52, s7, 5
	s_ashr_i32 s7, s6, 31
	s_sub_i32 s8, s8, s28
	s_xor_b32 s7, s7, s50
	s_add_i32 s28, s9, 1
	s_sub_i32 s29, s8, s47
	s_cmp_ge_u32 s8, s47
	s_cselect_b32 s9, s28, s9
	s_cselect_b32 s8, s29, s8
	s_add_i32 s28, s9, 1
	s_cmp_ge_u32 s8, s47
	s_cselect_b32 s8, s28, s9
	s_xor_b32 s8, s8, s7
	s_sub_i32 s7, s8, s7
	s_mul_i32 s8, s7, s44
	s_lshl_b32 s53, s8, 8
	s_cmp_eq_u32 s7, s16
	s_cselect_b32 s55, s45, s44
	s_sub_i32 s8, s52, s12
	s_add_i32 s8, s8, 32
	s_max_i32 s54, s8, 0
	s_and_saveexec_b64 s[8:9], s[2:3]
	s_xor_b64 s[28:29], exec, s[8:9]
	s_cbranch_execz .LBB145_40
; %bb.8:                                ;   in Loop: Header=BB145_7 Depth=1
	s_mul_i32 s7, s7, s42
	s_sub_i32 s6, s6, s7
	s_lshl_b32 s6, s6, 4
	s_sub_i32 s31, s6, s13
	s_add_i32 s31, s31, 16
	s_max_i32 s7, s31, 0
	s_sub_i32 s30, s6, s7
	s_and_saveexec_b64 s[6:7], s[0:1]
	s_xor_b64 s[34:35], exec, s[6:7]
	s_cbranch_execz .LBB145_30
; %bb.9:                                ;   in Loop: Header=BB145_7 Depth=1
	s_and_saveexec_b64 s[36:37], s[4:5]
	s_cbranch_execz .LBB145_29
; %bb.10:                               ;   in Loop: Header=BB145_7 Depth=1
	s_waitcnt lgkmcnt(0)
	global_load_dword v47, v23, s[26:27]
	v_mov_b32_e32 v7, 0
	v_cmp_gt_i32_e32 vcc, s55, v46
	v_mov_b32_e32 v6, v7
	v_mov_b32_e32 v5, v7
	;; [unrolled: 1-line block ×7, first 2 shown]
	s_and_saveexec_b64 s[6:7], vcc
	s_cbranch_execz .LBB145_23
; %bb.11:                               ;   in Loop: Header=BB145_7 Depth=1
	v_mov_b32_e32 v0, 0
	s_mov_b64 s[8:9], 0
	v_mov_b32_e32 v1, v0
	v_mov_b32_e32 v2, v0
	;; [unrolled: 1-line block ×7, first 2 shown]
	s_branch .LBB145_13
.LBB145_12:                             ;   in Loop: Header=BB145_13 Depth=2
	s_or_b64 exec, exec, s[38:39]
	v_add_u32_e32 v51, v35, v51
	v_add_u32_e32 v54, 0x1000, v51
	ds_read2_b32 v[52:53], v54 offset1:32
	ds_read2_b32 v[54:55], v54 offset0:128 offset1:160
	v_add_u32_e32 v56, 0x1400, v51
	v_add_u32_e32 v46, s19, v46
	v_cmp_le_i32_e32 vcc, s55, v46
	s_waitcnt lgkmcnt(1)
	v_mfma_f32_16x16x32_fp8_fp8 v[0:3], v[52:53], v[10:11], v[0:3]
	ds_read2_b32 v[10:11], v56 offset1:32
	v_add_u32_e32 v52, 0x1800, v51
	s_or_b64 s[8:9], vcc, s[8:9]
	s_waitcnt lgkmcnt(1)
	v_mfma_f32_16x16x32_fp8_fp8 v[0:3], v[54:55], v[12:13], v[0:3]
	ds_read2_b32 v[12:13], v56 offset0:128 offset1:160
	s_waitcnt lgkmcnt(1)
	v_mfma_f32_16x16x32_fp8_fp8 v[0:3], v[10:11], v[26:27], v[0:3]
	ds_read2_b32 v[10:11], v52 offset1:32
	s_waitcnt lgkmcnt(1)
	v_mfma_f32_16x16x32_fp8_fp8 v[0:3], v[12:13], v[28:29], v[0:3]
	ds_read2_b32 v[12:13], v52 offset0:128 offset1:160
	v_add_u32_e32 v28, 0x1c00, v51
	ds_read2_b32 v[26:27], v28 offset1:32
	s_waitcnt lgkmcnt(2)
	v_mfma_f32_16x16x32_fp8_fp8 v[0:3], v[10:11], v[30:31], v[0:3]
	v_add_u32_e32 v10, s19, v48
	v_add_u32_e32 v11, 2, v34
	v_cmp_lt_i32_e32 vcc, 0, v10
	s_waitcnt lgkmcnt(1)
	v_mfma_f32_16x16x32_fp8_fp8 v[0:3], v[12:13], v[32:33], v[0:3]
	ds_read2_b32 v[12:13], v28 offset0:128 offset1:160
	v_cndmask_b32_e32 v34, v34, v11, vcc
	;;#ASMSTART
	s_waitcnt lgkmcnt(0)
	;;#ASMEND
	s_waitcnt lgkmcnt(1)
	v_mfma_f32_16x16x32_fp8_fp8 v[0:3], v[26:27], v[14:15], v[0:3]
	ds_write_b32 v50, v49 offset:12292
	s_waitcnt lgkmcnt(1)
	v_mfma_f32_16x16x32_fp8_fp8 v[0:3], v[12:13], v[8:9], v[0:3]
	s_andn2_b64 exec, exec, s[8:9]
	s_cbranch_execz .LBB145_22
.LBB145_13:                             ;   Parent Loop BB145_7 Depth=1
                                        ; =>  This Loop Header: Depth=2
                                        ;       Child Loop BB145_15 Depth 3
                                        ;       Child Loop BB145_18 Depth 3
	;; [unrolled: 1-line block ×3, first 2 shown]
	v_cmp_lt_i32_e32 vcc, 0, v10
	s_nop 1
	v_subbrev_co_u32_e32 v48, vcc, 0, v10, vcc
	v_lshlrev_b32_e32 v8, 2, v48
	ds_read_b32 v9, v8 offset:12296
	v_add_u32_e32 v50, 0x3000, v8
	s_waitcnt lgkmcnt(0)
	v_cmp_ne_u32_e32 vcc, v9, v34
	s_and_saveexec_b64 s[38:39], vcc
	s_cbranch_execz .LBB145_16
; %bb.14:                               ;   in Loop: Header=BB145_13 Depth=2
	s_mov_b64 s[40:41], 0
.LBB145_15:                             ;   Parent Loop BB145_7 Depth=1
                                        ;     Parent Loop BB145_13 Depth=2
                                        ; =>    This Inner Loop Header: Depth=3
	;;#ASMSTART
	s_sleep 0
	;;#ASMEND
	ds_read_b32 v8, v50 offset:8
	s_waitcnt lgkmcnt(0)
	v_cmp_eq_u32_e32 vcc, v8, v34
	s_or_b64 s[40:41], vcc, s[40:41]
	s_andn2_b64 exec, exec, s[40:41]
	s_cbranch_execnz .LBB145_15
.LBB145_16:                             ;   in Loop: Header=BB145_13 Depth=2
	s_or_b64 exec, exec, s[38:39]
	v_lshl_add_u32 v8, v48, 12, v36
	v_add_u32_e32 v9, 0x400, v8
	ds_read2_b32 v[10:11], v8 offset1:32
	ds_read2_b32 v[12:13], v8 offset0:128 offset1:160
	ds_read2_b32 v[26:27], v9 offset1:32
	ds_read2_b32 v[28:29], v9 offset0:128 offset1:160
	v_add_u32_e32 v9, 0x800, v8
	v_add_u32_e32 v8, 0xc00, v8
	;; [unrolled: 1-line block ×3, first 2 shown]
	ds_read2_b32 v[30:31], v9 offset1:32
	ds_read2_b32 v[32:33], v9 offset0:128 offset1:160
	ds_read2_b32 v[14:15], v8 offset1:32
	ds_read2_b32 v[8:9], v8 offset0:128 offset1:160
	;;#ASMSTART
	s_waitcnt lgkmcnt(0)
	;;#ASMEND
	ds_write_b32 v50, v49 offset:8
	v_lshlrev_b32_e32 v50, 3, v48
	ds_read_b32 v51, v50 offset:12288
	s_waitcnt lgkmcnt(0)
	v_cmp_ne_u32_e32 vcc, v51, v34
	s_and_saveexec_b64 s[38:39], vcc
	s_cbranch_execz .LBB145_19
; %bb.17:                               ;   in Loop: Header=BB145_13 Depth=2
	s_mov_b64 s[40:41], 0
.LBB145_18:                             ;   Parent Loop BB145_7 Depth=1
                                        ;     Parent Loop BB145_13 Depth=2
                                        ; =>    This Inner Loop Header: Depth=3
	;;#ASMSTART
	s_sleep 0
	;;#ASMEND
	ds_read_b32 v51, v50 offset:12288
	s_waitcnt lgkmcnt(0)
	v_cmp_eq_u32_e32 vcc, v51, v34
	s_or_b64 s[40:41], vcc, s[40:41]
	s_andn2_b64 exec, exec, s[40:41]
	s_cbranch_execnz .LBB145_18
.LBB145_19:                             ;   in Loop: Header=BB145_13 Depth=2
	s_or_b64 exec, exec, s[38:39]
	v_lshlrev_b32_e32 v51, 13, v48
	v_or_b32_e32 v56, v35, v51
	ds_read2_b32 v[52:53], v56 offset1:32
	ds_read2_b32 v[54:55], v56 offset0:128 offset1:160
	v_add_u32_e32 v57, 0x400, v56
	s_waitcnt lgkmcnt(1)
	v_mfma_f32_16x16x32_fp8_fp8 v[4:7], v[52:53], v[10:11], v[4:7]
	ds_read2_b32 v[52:53], v57 offset1:32
	s_waitcnt lgkmcnt(1)
	v_mfma_f32_16x16x32_fp8_fp8 v[4:7], v[54:55], v[12:13], v[4:7]
	ds_read2_b32 v[54:55], v57 offset0:128 offset1:160
	v_add_u32_e32 v57, 0x800, v56
	v_add_u32_e32 v56, 0xc00, v56
	s_waitcnt lgkmcnt(1)
	v_mfma_f32_16x16x32_fp8_fp8 v[4:7], v[52:53], v[26:27], v[4:7]
	ds_read2_b32 v[52:53], v57 offset1:32
	s_waitcnt lgkmcnt(1)
	v_mfma_f32_16x16x32_fp8_fp8 v[4:7], v[54:55], v[28:29], v[4:7]
	ds_read2_b32 v[54:55], v57 offset0:128 offset1:160
	s_waitcnt lgkmcnt(1)
	v_mfma_f32_16x16x32_fp8_fp8 v[4:7], v[52:53], v[30:31], v[4:7]
	ds_read2_b32 v[52:53], v56 offset1:32
	s_waitcnt lgkmcnt(1)
	v_mfma_f32_16x16x32_fp8_fp8 v[4:7], v[54:55], v[32:33], v[4:7]
	ds_read2_b32 v[54:55], v56 offset0:128 offset1:160
	;;#ASMSTART
	s_waitcnt lgkmcnt(0)
	;;#ASMEND
	ds_write_b32 v50, v49 offset:12288
	s_waitcnt lgkmcnt(2)
	v_mfma_f32_16x16x32_fp8_fp8 v[4:7], v[52:53], v[14:15], v[4:7]
	ds_read_b32 v52, v50 offset:12292
	s_waitcnt lgkmcnt(0)
	v_cmp_ne_u32_e32 vcc, v52, v34
	v_mfma_f32_16x16x32_fp8_fp8 v[4:7], v[54:55], v[8:9], v[4:7]
	s_and_saveexec_b64 s[38:39], vcc
	s_cbranch_execz .LBB145_12
; %bb.20:                               ;   in Loop: Header=BB145_13 Depth=2
	s_mov_b64 s[40:41], 0
.LBB145_21:                             ;   Parent Loop BB145_7 Depth=1
                                        ;     Parent Loop BB145_13 Depth=2
                                        ; =>    This Inner Loop Header: Depth=3
	;;#ASMSTART
	s_sleep 0
	;;#ASMEND
	ds_read_b32 v52, v50 offset:12292
	s_waitcnt lgkmcnt(0)
	v_cmp_eq_u32_e32 vcc, v52, v34
	s_or_b64 s[40:41], vcc, s[40:41]
	s_andn2_b64 exec, exec, s[40:41]
	s_cbranch_execnz .LBB145_21
	s_branch .LBB145_12
.LBB145_22:                             ;   in Loop: Header=BB145_7 Depth=1
	s_or_b64 exec, exec, s[8:9]
.LBB145_23:                             ;   in Loop: Header=BB145_7 Depth=1
	s_or_b64 exec, exec, s[6:7]
	v_cmp_le_i32_e32 vcc, s31, v16
	v_cmp_eq_u32_e64 s[6:7], 3, v37
	s_waitcnt vmcnt(0)
	v_cndmask_b32_e32 v8, 0, v47, vcc
	v_pk_mul_f32 v[12:13], v[8:9], v[4:5] op_sel_hi:[0,1]
	v_cmp_eq_u32_e32 vcc, 1, v37
	v_pk_mul_f32 v[6:7], v[8:9], v[6:7] op_sel_hi:[0,1]
	v_add_u32_e32 v9, s54, v39
	v_cndmask_b32_e32 v4, v12, v13, vcc
	v_cmp_eq_u32_e32 vcc, 2, v37
	s_nop 1
	v_cndmask_b32_e32 v4, v4, v6, vcc
	v_cndmask_b32_e64 v4, v4, v7, s[6:7]
	ds_bpermute_b32 v5, v45, v4
	s_waitcnt lgkmcnt(0)
	v_cndmask_b32_e32 v6, v6, v5, vcc
	v_cmp_ne_u32_e32 vcc, 0, v37
	v_cndmask_b32_e64 v11, v7, v5, s[6:7]
	s_nop 0
	v_cndmask_b32_e32 v4, v13, v5, vcc
	v_cmp_eq_u32_e32 vcc, 0, v37
	s_nop 1
	v_cndmask_b32_e32 v5, v12, v5, vcc
	v_cmp_eq_u32_e32 vcc, 1, v38
	;; [unrolled: 3-line block ×4, first 2 shown]
	s_nop 1
	v_cndmask_b32_e32 v7, v7, v11, vcc
	ds_bpermute_b32 v7, v45, v7
	v_cmp_gt_u32_e32 vcc, 32, v9
	s_and_saveexec_b64 s[38:39], vcc
	s_cbranch_execz .LBB145_28
; %bb.24:                               ;   in Loop: Header=BB145_7 Depth=1
	v_cmp_eq_u32_e64 s[8:9], 1, v38
	v_cmp_eq_u32_e64 s[6:7], 3, v38
	v_cmp_eq_u32_e32 vcc, 2, v38
	s_waitcnt lgkmcnt(0)
	v_cndmask_b32_e64 v4, v4, v7, s[8:9]
	v_cmp_eq_u32_e64 s[8:9], 0, v38
	v_cvt_f16_f32_sdwa v13, v4 dst_sel:WORD_1 dst_unused:UNUSED_PAD src0_sel:DWORD
	s_nop 0
	v_cndmask_b32_e64 v5, v5, v7, s[8:9]
	s_mul_i32 s8, s52, s13
	s_ashr_i32 s9, s8, 31
	s_lshl_b64 s[8:9], s[8:9], 1
	s_add_u32 s40, s24, s8
	s_addc_u32 s41, s25, s9
	s_ashr_i32 s31, s30, 31
	s_lshl_b64 s[8:9], s[30:31], 1
	v_cvt_f16_f32_e32 v12, v5
	s_add_u32 s40, s40, s8
	s_addc_u32 s41, s41, s9
	v_lshl_add_u64 v[4:5], v[18:19], 1, s[40:41]
	v_cmp_gt_u32_e64 s[8:9], 30, v9
	v_or_b32_e32 v12, v13, v12
	;;#ASMSTART
	global_atomic_pk_add_f16 v[4:5], v12, off
	
	;;#ASMEND
	s_and_b64 exec, exec, s[8:9]
	s_cbranch_execz .LBB145_28
; %bb.25:                               ;   in Loop: Header=BB145_7 Depth=1
	v_mov_b32_e32 v9, v8
	v_cndmask_b32_e64 v11, v11, v7, s[6:7]
	v_mov_b32_e32 v12, v8
	v_mov_b32_e32 v13, v8
	v_pk_mul_f32 v[8:9], v[8:9], v[0:1]
	v_cmp_eq_u32_e64 s[6:7], 1, v37
	v_pk_mul_f32 v[12:13], v[12:13], v[2:3]
	v_cmp_eq_u32_e64 s[8:9], 3, v37
	v_cndmask_b32_e64 v0, v8, v9, s[6:7]
	v_cmp_eq_u32_e64 s[6:7], 2, v37
	v_cvt_f16_f32_sdwa v11, v11 dst_sel:WORD_1 dst_unused:UNUSED_PAD src0_sel:DWORD
	s_nop 0
	v_cndmask_b32_e64 v0, v0, v12, s[6:7]
	v_cndmask_b32_e64 v0, v0, v13, s[8:9]
	ds_bpermute_b32 v1, v45, v0
	v_cndmask_b32_e32 v0, v6, v7, vcc
	v_cmp_ne_u32_e32 vcc, 0, v37
	v_lshl_add_u64 v[6:7], s[10:11], 2, v[4:5]
	v_cvt_f16_f32_e32 v5, v0
	s_waitcnt lgkmcnt(0)
	v_cndmask_b32_e32 v0, v9, v1, vcc
	v_cmp_eq_u32_e32 vcc, 0, v37
	v_cndmask_b32_e64 v2, v13, v1, s[8:9]
	v_cndmask_b32_e64 v3, v12, v1, s[6:7]
	v_cndmask_b32_e32 v1, v8, v1, vcc
	v_cmp_eq_u32_e32 vcc, 1, v38
	v_or_b32_e32 v5, v11, v5
	;;#ASMSTART
	global_atomic_pk_add_f16 v[6:7], v5, off
	
	;;#ASMEND
	v_add_u32_e32 v5, s54, v40
	v_cndmask_b32_e32 v4, v1, v0, vcc
	v_cmp_eq_u32_e32 vcc, 2, v38
	s_nop 1
	v_cndmask_b32_e32 v4, v4, v3, vcc
	v_cmp_eq_u32_e32 vcc, 3, v38
	s_nop 1
	v_cndmask_b32_e32 v4, v4, v2, vcc
	ds_bpermute_b32 v4, v45, v4
	v_cmp_gt_u32_e32 vcc, 32, v5
	s_and_b64 exec, exec, vcc
	s_cbranch_execz .LBB145_28
; %bb.26:                               ;   in Loop: Header=BB145_7 Depth=1
	v_cmp_eq_u32_e32 vcc, 1, v38
	v_cmp_eq_u32_e64 s[6:7], 2, v38
	v_cmp_gt_u32_e64 s[8:9], 30, v5
	s_waitcnt lgkmcnt(0)
	v_cndmask_b32_e32 v0, v0, v4, vcc
	v_cmp_eq_u32_e32 vcc, 0, v38
	v_cvt_f16_f32_sdwa v7, v0 dst_sel:WORD_1 dst_unused:UNUSED_PAD src0_sel:DWORD
	s_nop 0
	v_cndmask_b32_e32 v1, v1, v4, vcc
	v_cvt_f16_f32_e32 v6, v1
	v_cmp_eq_u32_e32 vcc, 3, v38
	v_lshl_add_u64 v[0:1], v[20:21], 1, s[40:41]
	v_or_b32_e32 v6, v7, v6
	;;#ASMSTART
	global_atomic_pk_add_f16 v[0:1], v6, off
	
	;;#ASMEND
	s_and_b64 exec, exec, s[8:9]
	s_cbranch_execz .LBB145_28
; %bb.27:                               ;   in Loop: Header=BB145_7 Depth=1
	v_cndmask_b32_e32 v2, v2, v4, vcc
	v_cndmask_b32_e64 v3, v3, v4, s[6:7]
	v_cvt_f16_f32_sdwa v2, v2 dst_sel:WORD_1 dst_unused:UNUSED_PAD src0_sel:DWORD
	v_cvt_f16_f32_e32 v3, v3
	v_lshl_add_u64 v[0:1], s[10:11], 2, v[0:1]
	v_or_b32_e32 v2, v2, v3
	;;#ASMSTART
	global_atomic_pk_add_f16 v[0:1], v2, off
	
	;;#ASMEND
.LBB145_28:                             ;   in Loop: Header=BB145_7 Depth=1
	s_or_b64 exec, exec, s[38:39]
	v_subrev_u32_e32 v46, s55, v46
.LBB145_29:                             ;   in Loop: Header=BB145_7 Depth=1
	s_or_b64 exec, exec, s[36:37]
.LBB145_30:                             ;   in Loop: Header=BB145_7 Depth=1
	s_andn2_saveexec_b64 s[6:7], s[34:35]
	s_cbranch_execz .LBB145_39
; %bb.31:                               ;   in Loop: Header=BB145_7 Depth=1
	v_cmp_gt_i32_e32 vcc, s55, v46
	s_and_saveexec_b64 s[8:9], vcc
	s_cbranch_execz .LBB145_38
; %bb.32:                               ;   in Loop: Header=BB145_7 Depth=1
	s_mul_i32 s30, s30, s15
	s_ashr_i32 s31, s30, 31
	s_waitcnt lgkmcnt(0)
	s_add_u32 s30, s22, s30
	s_addc_u32 s31, s23, s31
	s_ashr_i32 s34, s53, 31
	s_add_u32 s30, s30, s53
	s_addc_u32 s31, s31, s34
	v_lshl_add_u64 v[0:1], s[30:31], 0, v[24:25]
	v_lshl_add_u64 v[26:27], v[0:1], 0, v[22:23]
	s_mov_b64 s[30:31], 0
	s_branch .LBB145_34
.LBB145_33:                             ;   in Loop: Header=BB145_34 Depth=2
	s_or_b64 exec, exec, s[34:35]
	v_lshl_add_u32 v30, v28, 12, v43
	;;#ASMSTART
	s_waitcnt vmcnt(3)
	;;#ASMEND
	ds_write2_b32 v30, v12, v13 offset1:32
	ds_write2_b32 v30, v14, v15 offset0:64 offset1:96
	v_add_u32_e32 v12, 0x400, v30
	;;#ASMSTART
	s_waitcnt vmcnt(2)
	;;#ASMEND
	ds_write2_b32 v12, v8, v9 offset1:32
	ds_write2_b32 v12, v10, v11 offset0:64 offset1:96
	v_add_u32_e32 v8, 0x800, v30
	;; [unrolled: 6-line block ×3, first 2 shown]
	v_add_u32_e32 v46, s18, v46
	;;#ASMSTART
	s_waitcnt vmcnt(0)
	;;#ASMEND
	ds_write2_b32 v4, v0, v1 offset1:32
	ds_write2_b32 v4, v2, v3 offset0:64 offset1:96
	v_add_u32_e32 v0, 1, v34
	v_add_u32_e32 v10, s18, v28
	v_cmp_le_i32_e32 vcc, s55, v46
	ds_write_b32 v29, v0 offset:8
	v_add_u32_e32 v0, 2, v34
	s_or_b64 s[30:31], vcc, s[30:31]
	v_cmp_lt_i32_e32 vcc, 0, v10
	s_nop 1
	v_cndmask_b32_e32 v34, v34, v0, vcc
	s_andn2_b64 exec, exec, s[30:31]
	s_cbranch_execz .LBB145_37
.LBB145_34:                             ;   Parent Loop BB145_7 Depth=1
                                        ; =>  This Loop Header: Depth=2
                                        ;       Child Loop BB145_36 Depth 3
	v_cmp_lt_i32_e32 vcc, 0, v10
	v_lshlrev_b32_e32 v0, 8, v46
	v_ashrrev_i32_e32 v1, 31, v0
	v_subbrev_co_u32_e32 v28, vcc, 0, v10, vcc
	v_lshl_add_u64 v[0:1], v[26:27], 0, v[0:1]
	v_lshlrev_b32_e32 v29, 2, v28
	;;#ASMSTART
	global_load_dwordx4 v[12:15], v[0:1], off offset:0    sc0 sc1 nt  
	global_load_dwordx4 v[8:11], v[0:1], off offset:64   sc0 sc1 nt  
	global_load_dwordx4 v[4:7], v[0:1], off offset:128  sc0 sc1 nt  
	global_load_dwordx4 v[0:3], v[0:1], off offset:192  sc0 sc1 nt  
	
	;;#ASMEND
	ds_read_b32 v30, v29 offset:12296
	v_add_u32_e32 v29, 0x3000, v29
	s_waitcnt lgkmcnt(0)
	v_cmp_ne_u32_e32 vcc, v30, v34
	s_and_saveexec_b64 s[34:35], vcc
	s_cbranch_execz .LBB145_33
; %bb.35:                               ;   in Loop: Header=BB145_34 Depth=2
	s_mov_b64 s[36:37], 0
.LBB145_36:                             ;   Parent Loop BB145_7 Depth=1
                                        ;     Parent Loop BB145_34 Depth=2
                                        ; =>    This Inner Loop Header: Depth=3
	;;#ASMSTART
	s_sleep 0
	;;#ASMEND
	ds_read_b32 v30, v29 offset:8
	s_waitcnt lgkmcnt(0)
	v_cmp_eq_u32_e32 vcc, v30, v34
	s_or_b64 s[36:37], vcc, s[36:37]
	s_andn2_b64 exec, exec, s[36:37]
	s_cbranch_execnz .LBB145_36
	s_branch .LBB145_33
.LBB145_37:                             ;   in Loop: Header=BB145_7 Depth=1
	s_or_b64 exec, exec, s[30:31]
.LBB145_38:                             ;   in Loop: Header=BB145_7 Depth=1
	s_or_b64 exec, exec, s[8:9]
	v_subrev_u32_e32 v46, s55, v46
.LBB145_39:                             ;   in Loop: Header=BB145_7 Depth=1
	s_or_b64 exec, exec, s[6:7]
.LBB145_40:                             ;   in Loop: Header=BB145_7 Depth=1
	s_andn2_saveexec_b64 s[6:7], s[28:29]
	s_cbranch_execz .LBB145_6
; %bb.41:                               ;   in Loop: Header=BB145_7 Depth=1
	s_lshl_b32 s36, s55, 1
	v_cmp_gt_i32_e32 vcc, s36, v46
	s_and_saveexec_b64 s[8:9], vcc
	s_cbranch_execz .LBB145_5
; %bb.42:                               ;   in Loop: Header=BB145_7 Depth=1
	s_mul_i32 s52, s52, s14
	s_ashr_i32 s28, s52, 31
	s_waitcnt lgkmcnt(0)
	s_add_u32 s29, s20, s52
	v_add_u32_e32 v2, s54, v41
	s_addc_u32 s30, s21, s28
	s_ashr_i32 s31, s53, 31
	v_cmp_gt_u32_e32 vcc, 32, v2
	s_add_u32 s28, s29, s53
	s_addc_u32 s29, s30, s31
	v_cndmask_b32_e32 v0, 0, v44, vcc
	v_ashrrev_i32_e32 v1, 31, v0
	v_lshl_add_u64 v[0:1], s[28:29], 0, v[0:1]
	v_lshl_add_u64 v[26:27], v[0:1], 0, v[22:23]
	v_sub_u32_e32 v28, 31, v2
	s_mov_b64 s[28:29], 0
	s_branch .LBB145_44
.LBB145_43:                             ;   in Loop: Header=BB145_44 Depth=2
	s_or_b64 exec, exec, s[30:31]
	v_lshl_or_b32 v31, v29, 12, v42
	;;#ASMSTART
	s_waitcnt vmcnt(3)
	;;#ASMEND
	ds_write2_b32 v31, v12, v13 offset1:32
	ds_write2_b32 v31, v14, v15 offset0:64 offset1:96
	v_add_u32_e32 v12, 0x400, v31
	;;#ASMSTART
	s_waitcnt vmcnt(2)
	;;#ASMEND
	ds_write2_b32 v12, v8, v9 offset1:32
	ds_write2_b32 v12, v10, v11 offset0:64 offset1:96
	v_add_u32_e32 v8, 0x800, v31
	;; [unrolled: 6-line block ×3, first 2 shown]
	v_add_u32_e32 v46, s17, v46
	;;#ASMSTART
	s_waitcnt vmcnt(0)
	;;#ASMEND
	ds_write2_b32 v4, v0, v1 offset1:32
	ds_write2_b32 v4, v2, v3 offset0:64 offset1:96
	v_add_u32_e32 v0, 1, v34
	v_add_u32_e32 v10, s17, v29
	v_cmp_le_i32_e32 vcc, s36, v46
	ds_write_b32 v30, v0
	v_add_u32_e32 v0, 2, v34
	s_or_b64 s[28:29], vcc, s[28:29]
	v_cmp_lt_i32_e32 vcc, 1, v10
	s_nop 1
	v_cndmask_b32_e32 v34, v34, v0, vcc
	s_andn2_b64 exec, exec, s[28:29]
	s_cbranch_execz .LBB145_4
.LBB145_44:                             ;   Parent Loop BB145_7 Depth=1
                                        ; =>  This Loop Header: Depth=2
                                        ;       Child Loop BB145_46 Depth 3
	v_cmp_gt_i32_e32 vcc, 2, v10
	s_nop 1
	v_cndmask_b32_e64 v0, -2, 0, vcc
	v_add_u32_e32 v29, v0, v10
	v_lshrrev_b32_e32 v0, 31, v46
	v_add_u32_e32 v0, v46, v0
	v_and_b32_e32 v1, 0xffffffe, v0
	v_sub_u32_e32 v1, v46, v1
	v_lshlrev_b32_e32 v1, 4, v1
	v_cmp_le_i32_e32 vcc, v1, v28
	v_lshlrev_b32_e32 v0, 7, v0
	v_and_b32_e32 v0, 0xffffff00, v0
	v_cndmask_b32_e32 v2, 0, v1, vcc
	v_ashrrev_i32_e32 v1, 31, v0
	v_mul_lo_u32 v2, v2, s14
	v_lshl_add_u64 v[0:1], v[26:27], 0, v[0:1]
	v_ashrrev_i32_e32 v3, 31, v2
	v_lshl_add_u64 v[0:1], v[0:1], 0, v[2:3]
	v_lshlrev_b32_e32 v30, 2, v29
	;;#ASMSTART
	global_load_dwordx4 v[12:15], v[0:1], off offset:0    
	global_load_dwordx4 v[8:11], v[0:1], off offset:64   
	;; [unrolled: 1-line block ×4, first 2 shown]
	
	;;#ASMEND
	ds_read_b32 v31, v30 offset:12288
	v_add_u32_e32 v30, 0x3000, v30
	s_waitcnt lgkmcnt(0)
	v_cmp_ne_u32_e32 vcc, v31, v34
	s_and_saveexec_b64 s[30:31], vcc
	s_cbranch_execz .LBB145_43
; %bb.45:                               ;   in Loop: Header=BB145_44 Depth=2
	s_mov_b64 s[34:35], 0
.LBB145_46:                             ;   Parent Loop BB145_7 Depth=1
                                        ;     Parent Loop BB145_44 Depth=2
                                        ; =>    This Inner Loop Header: Depth=3
	;;#ASMSTART
	s_sleep 0
	;;#ASMEND
	ds_read_b32 v31, v30
	s_waitcnt lgkmcnt(0)
	v_cmp_eq_u32_e32 vcc, v31, v34
	s_or_b64 s[34:35], vcc, s[34:35]
	s_andn2_b64 exec, exec, s[34:35]
	s_cbranch_execnz .LBB145_46
	s_branch .LBB145_43
.LBB145_47:
	s_endpgm
	.section	.rodata,"a",@progbits
	.p2align	6, 0x0
	.amdhsa_kernel _Z19_skinny_gemm_kernelILi2ELi1ELi1ELi16ELi8EEvPKhS1_P6__halfPKfiiiiiiii
		.amdhsa_group_segment_fixed_size 12300
		.amdhsa_private_segment_fixed_size 0
		.amdhsa_kernarg_size 64
		.amdhsa_user_sgpr_count 2
		.amdhsa_user_sgpr_dispatch_ptr 0
		.amdhsa_user_sgpr_queue_ptr 0
		.amdhsa_user_sgpr_kernarg_segment_ptr 1
		.amdhsa_user_sgpr_dispatch_id 0
		.amdhsa_user_sgpr_kernarg_preload_length 0
		.amdhsa_user_sgpr_kernarg_preload_offset 0
		.amdhsa_user_sgpr_private_segment_size 0
		.amdhsa_uses_dynamic_stack 0
		.amdhsa_enable_private_segment 0
		.amdhsa_system_sgpr_workgroup_id_x 1
		.amdhsa_system_sgpr_workgroup_id_y 0
		.amdhsa_system_sgpr_workgroup_id_z 0
		.amdhsa_system_sgpr_workgroup_info 0
		.amdhsa_system_vgpr_workitem_id 0
		.amdhsa_next_free_vgpr 58
		.amdhsa_next_free_sgpr 56
		.amdhsa_accum_offset 60
		.amdhsa_reserve_vcc 1
		.amdhsa_float_round_mode_32 0
		.amdhsa_float_round_mode_16_64 0
		.amdhsa_float_denorm_mode_32 3
		.amdhsa_float_denorm_mode_16_64 3
		.amdhsa_dx10_clamp 1
		.amdhsa_ieee_mode 1
		.amdhsa_fp16_overflow 0
		.amdhsa_tg_split 0
		.amdhsa_exception_fp_ieee_invalid_op 0
		.amdhsa_exception_fp_denorm_src 0
		.amdhsa_exception_fp_ieee_div_zero 0
		.amdhsa_exception_fp_ieee_overflow 0
		.amdhsa_exception_fp_ieee_underflow 0
		.amdhsa_exception_fp_ieee_inexact 0
		.amdhsa_exception_int_div_zero 0
	.end_amdhsa_kernel
	.section	.text._Z19_skinny_gemm_kernelILi2ELi1ELi1ELi16ELi8EEvPKhS1_P6__halfPKfiiiiiiii,"axG",@progbits,_Z19_skinny_gemm_kernelILi2ELi1ELi1ELi16ELi8EEvPKhS1_P6__halfPKfiiiiiiii,comdat
.Lfunc_end145:
	.size	_Z19_skinny_gemm_kernelILi2ELi1ELi1ELi16ELi8EEvPKhS1_P6__halfPKfiiiiiiii, .Lfunc_end145-_Z19_skinny_gemm_kernelILi2ELi1ELi1ELi16ELi8EEvPKhS1_P6__halfPKfiiiiiiii
                                        ; -- End function
	.set _Z19_skinny_gemm_kernelILi2ELi1ELi1ELi16ELi8EEvPKhS1_P6__halfPKfiiiiiiii.num_vgpr, 58
	.set _Z19_skinny_gemm_kernelILi2ELi1ELi1ELi16ELi8EEvPKhS1_P6__halfPKfiiiiiiii.num_agpr, 0
	.set _Z19_skinny_gemm_kernelILi2ELi1ELi1ELi16ELi8EEvPKhS1_P6__halfPKfiiiiiiii.numbered_sgpr, 56
	.set _Z19_skinny_gemm_kernelILi2ELi1ELi1ELi16ELi8EEvPKhS1_P6__halfPKfiiiiiiii.num_named_barrier, 0
	.set _Z19_skinny_gemm_kernelILi2ELi1ELi1ELi16ELi8EEvPKhS1_P6__halfPKfiiiiiiii.private_seg_size, 0
	.set _Z19_skinny_gemm_kernelILi2ELi1ELi1ELi16ELi8EEvPKhS1_P6__halfPKfiiiiiiii.uses_vcc, 1
	.set _Z19_skinny_gemm_kernelILi2ELi1ELi1ELi16ELi8EEvPKhS1_P6__halfPKfiiiiiiii.uses_flat_scratch, 0
	.set _Z19_skinny_gemm_kernelILi2ELi1ELi1ELi16ELi8EEvPKhS1_P6__halfPKfiiiiiiii.has_dyn_sized_stack, 0
	.set _Z19_skinny_gemm_kernelILi2ELi1ELi1ELi16ELi8EEvPKhS1_P6__halfPKfiiiiiiii.has_recursion, 0
	.set _Z19_skinny_gemm_kernelILi2ELi1ELi1ELi16ELi8EEvPKhS1_P6__halfPKfiiiiiiii.has_indirect_call, 0
	.section	.AMDGPU.csdata,"",@progbits
; Kernel info:
; codeLenInByte = 3684
; TotalNumSgprs: 62
; NumVgprs: 58
; NumAgprs: 0
; TotalNumVgprs: 58
; ScratchSize: 0
; MemoryBound: 0
; FloatMode: 240
; IeeeMode: 1
; LDSByteSize: 12300 bytes/workgroup (compile time only)
; SGPRBlocks: 7
; VGPRBlocks: 7
; NumSGPRsForWavesPerEU: 62
; NumVGPRsForWavesPerEU: 58
; AccumOffset: 60
; Occupancy: 8
; WaveLimiterHint : 0
; COMPUTE_PGM_RSRC2:SCRATCH_EN: 0
; COMPUTE_PGM_RSRC2:USER_SGPR: 2
; COMPUTE_PGM_RSRC2:TRAP_HANDLER: 0
; COMPUTE_PGM_RSRC2:TGID_X_EN: 1
; COMPUTE_PGM_RSRC2:TGID_Y_EN: 0
; COMPUTE_PGM_RSRC2:TGID_Z_EN: 0
; COMPUTE_PGM_RSRC2:TIDIG_COMP_CNT: 0
; COMPUTE_PGM_RSRC3_GFX90A:ACCUM_OFFSET: 14
; COMPUTE_PGM_RSRC3_GFX90A:TG_SPLIT: 0
	.section	.text._Z19_skinny_gemm_kernelILi2ELi1ELi1ELi32ELi4EEvPKhS1_P6__halfPKfiiiiiiii,"axG",@progbits,_Z19_skinny_gemm_kernelILi2ELi1ELi1ELi32ELi4EEvPKhS1_P6__halfPKfiiiiiiii,comdat
	.protected	_Z19_skinny_gemm_kernelILi2ELi1ELi1ELi32ELi4EEvPKhS1_P6__halfPKfiiiiiiii ; -- Begin function _Z19_skinny_gemm_kernelILi2ELi1ELi1ELi32ELi4EEvPKhS1_P6__halfPKfiiiiiiii
	.globl	_Z19_skinny_gemm_kernelILi2ELi1ELi1ELi32ELi4EEvPKhS1_P6__halfPKfiiiiiiii
	.p2align	8
	.type	_Z19_skinny_gemm_kernelILi2ELi1ELi1ELi32ELi4EEvPKhS1_P6__halfPKfiiiiiiii,@function
_Z19_skinny_gemm_kernelILi2ELi1ELi1ELi32ELi4EEvPKhS1_P6__halfPKfiiiiiiii: ; @_Z19_skinny_gemm_kernelILi2ELi1ELi1ELi32ELi4EEvPKhS1_P6__halfPKfiiiiiiii
; %bb.0:
	v_cmp_gt_u32_e32 vcc, 3, v0
	s_and_saveexec_b64 s[4:5], vcc
; %bb.1:
	v_lshlrev_b32_e32 v1, 2, v0
	v_mov_b32_e32 v2, 0
	ds_write_b32 v1, v2 offset:6144
; %bb.2:
	s_or_b64 exec, exec, s[4:5]
	s_load_dwordx8 s[36:43], s[0:1], 0x20
	s_waitcnt lgkmcnt(0)
	s_barrier
	s_add_i32 s3, s36, 63
	s_ashr_i32 s5, s3, 31
	s_add_i32 s4, s37, 31
	s_lshr_b32 s5, s5, 26
	s_ashr_i32 s6, s4, 31
	s_add_i32 s3, s3, s5
	s_ashr_i32 s33, s3, 6
	s_lshr_b32 s3, s6, 27
	s_add_i32 s4, s4, s3
	s_ashr_i32 s62, s4, 5
	s_mul_i32 s3, s62, s33
	s_mul_i32 s3, s3, s40
	s_add_i32 s4, s3, 0x12f
	s_mul_hi_i32 s4, s4, 0x6bca1af3
	s_lshr_b32 s5, s4, 31
	s_ashr_i32 s4, s4, 7
	s_add_i32 s4, s4, s5
	s_add_i32 s5, s2, 1
	s_mul_i32 s5, s4, s5
	v_cvt_f64_i32_e32 v[2:3], s3
	v_cvt_f64_u32_e32 v[4:5], s5
	v_min_f64 v[2:3], v[2:3], v[4:5]
	v_cvt_i32_f64_e32 v46, v[2:3]
	s_mul_i32 s63, s4, s2
	v_cmp_ge_i32_e32 vcc, s63, v46
	s_cbranch_vccnz .LBB146_48
; %bb.3:
	v_lshrrev_b32_e32 v1, 6, v0
	s_add_i32 s4, s42, s41
	s_load_dwordx8 s[44:51], s[0:1], 0x0
	v_cmp_le_i32_e64 s[0:1], s4, v1
	v_mov_b32_e32 v2, s41
	v_cmp_le_i32_e64 s[2:3], s41, v1
	v_mov_b32_e32 v3, s42
	v_cndmask_b32_e64 v3, 0, v3, s[0:1]
	v_cndmask_b32_e64 v2, 0, v2, s[2:3]
	s_abs_i32 s5, s40
	v_add_u32_e32 v2, v2, v3
	v_cvt_f32_u32_e32 v3, s5
	v_sub_u32_e32 v40, v1, v2
	s_ashr_i32 s6, s38, 31
	s_lshr_b32 s6, s6, 26
	v_rcp_iflag_f32_e32 v2, v3
	s_sub_i32 s9, 0, s5
	s_add_i32 s6, s38, s6
	s_ashr_i32 s6, s6, 6
	v_mul_f32_e32 v2, 0x4f7ffffe, v2
	v_cvt_u32_f32_e32 v2, v2
	s_abs_i32 s8, s6
	s_xor_b32 s7, s6, s40
	s_ashr_i32 s7, s7, 31
	v_readfirstlane_b32 s10, v2
	s_mul_i32 s9, s9, s10
	s_mul_hi_u32 s9, s10, s9
	s_add_i32 s10, s10, s9
	s_mul_hi_u32 s9, s8, s10
	s_mul_i32 s10, s9, s5
	s_sub_i32 s8, s8, s10
	s_add_i32 s10, s9, 1
	s_sub_i32 s11, s8, s5
	s_cmp_ge_u32 s8, s5
	s_cselect_b32 s9, s10, s9
	s_cselect_b32 s8, s11, s8
	s_add_i32 s10, s9, 1
	s_cmp_ge_u32 s8, s5
	s_cselect_b32 s5, s10, s9
	s_xor_b32 s5, s5, s7
	s_sub_i32 s64, s5, s7
	s_add_i32 s40, s40, -1
	s_mul_i32 s5, s64, s40
	s_add_i32 s4, s4, s43
	v_and_b32_e32 v48, 31, v0
	v_lshrrev_b32_e32 v2, 3, v0
	s_sub_i32 s65, s6, s5
	v_cmp_gt_i32_e64 s[4:5], s4, v1
	v_lshlrev_b32_e32 v1, 2, v48
	v_and_b32_e32 v3, 4, v2
	v_and_b32_e32 v5, 1, v0
	v_lshlrev_b32_e32 v2, 6, v3
	v_or_b32_e32 v4, 0x1000, v1
	v_or_b32_e32 v3, v3, v5
	;; [unrolled: 1-line block ×4, first 2 shown]
	v_lshlrev_b32_e32 v2, 1, v5
	v_or_b32_e32 v5, 2, v3
	v_sub_u32_e32 v60, 32, v5
	v_or_b32_e32 v5, 8, v3
	v_sub_u32_e32 v61, 32, v5
	;; [unrolled: 2-line block ×5, first 2 shown]
	v_mul_lo_u32 v18, s37, v3
	v_sub_u32_e32 v64, 32, v5
	v_or_b32_e32 v5, 24, v3
	v_or_b32_e32 v3, 26, v3
	v_sub_u32_e32 v66, 32, v3
	v_lshrrev_b32_e32 v3, 1, v0
	s_abs_i32 s66, s33
	v_and_b32_e32 v34, 16, v3
	v_cvt_f32_u32_e32 v3, s66
	v_sub_u32_e32 v2, v0, v2
	v_add_u32_e32 v2, 1, v2
	v_and_b32_e32 v6, 63, v2
	v_bitop3_b32 v51, v0, 1, v0 bitop3:0xc
	v_bitop3_b32 v52, v0, 3, 1 bitop3:0x6c
	;; [unrolled: 1-line block ×8, first 2 shown]
	v_and_b32_e32 v2, 30, v0
	v_lshlrev_b32_e32 v0, 4, v0
	v_and_b32_e32 v0, 0x200, v0
	v_rcp_iflag_f32_e32 v3, v3
	s_abs_i32 s67, s62
	v_or_b32_e32 v69, v1, v0
	v_cvt_f32_u32_e32 v1, s67
	s_lshl_b32 s6, s37, 1
	v_add_u32_e32 v20, s6, v18
	s_mul_i32 s7, s37, 6
	v_or_b32_e32 v67, v4, v0
	v_mul_f32_e32 v0, 0x4f7ffffe, v3
	v_add_u32_e32 v22, s7, v20
	v_cvt_u32_f32_e32 v0, v0
	v_rcp_iflag_f32_e32 v1, v1
	v_add_u32_e32 v24, s6, v22
	v_add_u32_e32 v26, s7, v24
	;; [unrolled: 1-line block ×4, first 2 shown]
	v_readfirstlane_b32 s7, v0
	v_mul_f32_e32 v0, 0x4f7ffffe, v1
	v_cvt_u32_f32_e32 v0, v0
	v_add_u32_e32 v32, s6, v30
	s_sub_i32 s6, 0, s66
	s_mul_i32 s6, s6, s7
	s_mul_hi_u32 s6, s7, s6
	s_add_i32 s69, s7, s6
	s_sub_i32 s6, 0, s67
	v_readfirstlane_b32 s7, v0
	v_mbcnt_lo_u32_b32 v0, -1, 0
	s_mul_i32 s6, s6, s7
	v_mbcnt_hi_u32_b32 v0, -1, v0
	v_mov_b32_e32 v17, 0
	v_mul_lo_u32 v36, s39, v48
	s_mul_hi_u32 s6, s7, s6
	v_and_or_b32 v0, v0, 64, v6
	v_cndmask_b32_e64 v47, 0, 1, s[0:1]
	v_ashrrev_i32_e32 v19, 31, v18
	v_ashrrev_i32_e32 v21, 31, v20
	;; [unrolled: 1-line block ×6, first 2 shown]
	v_sub_u32_e32 v65, 32, v5
	v_ashrrev_i32_e32 v31, 31, v30
	v_ashrrev_i32_e32 v33, 31, v32
	;; [unrolled: 1-line block ×3, first 2 shown]
	v_mov_b32_e32 v35, v17
	v_mul_lo_u32 v68, s38, v48
	s_ashr_i32 s68, s33, 31
	s_ashr_i32 s70, s62, 31
	s_add_i32 s71, s7, s6
	v_lshlrev_b32_e32 v16, 1, v2
	v_lshlrev_b32_e32 v70, 2, v0
	v_mov_b32_e32 v71, v40
	s_branch .LBB146_7
.LBB146_4:                              ;   in Loop: Header=BB146_7 Depth=1
	s_or_b64 exec, exec, s[10:11]
.LBB146_5:                              ;   in Loop: Header=BB146_7 Depth=1
	s_or_b64 exec, exec, s[8:9]
	v_subrev_u32_e32 v71, s16, v71
.LBB146_6:                              ;   in Loop: Header=BB146_7 Depth=1
	s_or_b64 exec, exec, s[6:7]
	s_add_i32 s63, s63, 1
	v_cmp_ge_i32_e32 vcc, s63, v46
	s_cbranch_vccnz .LBB146_48
.LBB146_7:                              ; =>This Loop Header: Depth=1
                                        ;     Child Loop BB146_13 Depth 2
                                        ;       Child Loop BB146_15 Depth 3
                                        ;       Child Loop BB146_18 Depth 3
                                        ;     Child Loop BB146_35 Depth 2
                                        ;       Child Loop BB146_37 Depth 3
                                        ;     Child Loop BB146_45 Depth 2
                                        ;       Child Loop BB146_47 Depth 3
	s_abs_i32 s7, s63
	s_mul_hi_u32 s8, s7, s69
	s_mul_i32 s9, s8, s66
	s_ashr_i32 s6, s63, 31
	s_sub_i32 s7, s7, s9
	s_xor_b32 s6, s6, s68
	s_add_i32 s9, s8, 1
	s_sub_i32 s10, s7, s66
	s_cmp_ge_u32 s7, s66
	s_cselect_b32 s8, s9, s8
	s_cselect_b32 s7, s10, s7
	s_add_i32 s9, s8, 1
	s_cmp_ge_u32 s7, s66
	s_cselect_b32 s7, s9, s8
	s_xor_b32 s7, s7, s6
	s_sub_i32 s6, s7, s6
	s_abs_i32 s8, s6
	s_mul_i32 s7, s6, s33
	s_mul_hi_u32 s9, s8, s71
	s_sub_i32 s7, s63, s7
	s_mul_i32 s10, s9, s67
	s_lshl_b32 s72, s7, 6
	s_ashr_i32 s7, s6, 31
	s_sub_i32 s8, s8, s10
	s_xor_b32 s7, s7, s70
	s_add_i32 s10, s9, 1
	s_sub_i32 s11, s8, s67
	s_cmp_ge_u32 s8, s67
	s_cselect_b32 s9, s10, s9
	s_cselect_b32 s8, s11, s8
	s_add_i32 s10, s9, 1
	s_cmp_ge_u32 s8, s67
	s_cselect_b32 s8, s10, s9
	s_xor_b32 s8, s8, s7
	s_sub_i32 s7, s8, s7
	s_mul_i32 s8, s7, s64
	s_lshl_b32 s73, s8, 6
	s_cmp_eq_u32 s7, s40
	s_cselect_b32 s75, s65, s64
	s_sub_i32 s74, s72, s36
	s_add_i32 s74, s74, 64
	s_and_saveexec_b64 s[8:9], s[2:3]
	s_xor_b64 s[52:53], exec, s[8:9]
	s_cbranch_execz .LBB146_41
; %bb.8:                                ;   in Loop: Header=BB146_7 Depth=1
	s_mul_i32 s7, s7, s62
	s_sub_i32 s6, s6, s7
	s_lshl_b32 s6, s6, 5
	s_sub_i32 s14, s6, s37
	s_add_i32 s14, s14, 32
	s_max_i32 s7, s14, 0
	s_sub_i32 s54, s6, s7
	s_and_saveexec_b64 s[6:7], s[0:1]
	s_xor_b64 s[56:57], exec, s[6:7]
	s_cbranch_execz .LBB146_31
; %bb.9:                                ;   in Loop: Header=BB146_7 Depth=1
	s_and_saveexec_b64 s[58:59], s[4:5]
	s_cbranch_execz .LBB146_30
; %bb.10:                               ;   in Loop: Header=BB146_7 Depth=1
	s_waitcnt lgkmcnt(0)
	global_load_dword v72, v17, s[50:51]
	v_mov_b32_e32 v15, 0
	v_cmp_gt_i32_e32 vcc, s75, v71
	v_mov_b32_e32 v14, v15
	v_mov_b32_e32 v13, v15
	;; [unrolled: 1-line block ×15, first 2 shown]
	s_and_saveexec_b64 s[6:7], vcc
	s_cbranch_execz .LBB146_20
; %bb.11:                               ;   in Loop: Header=BB146_7 Depth=1
	v_mov_b32_e32 v0, 0
	s_mov_b64 s[8:9], 0
	v_mov_b32_e32 v1, v0
	v_mov_b32_e32 v2, v0
	;; [unrolled: 1-line block ×15, first 2 shown]
	s_branch .LBB146_13
.LBB146_12:                             ;   in Loop: Header=BB146_13 Depth=2
	s_or_b64 exec, exec, s[10:11]
	v_add_u32_e32 v78, v50, v76
	ds_read2_b32 v[76:77], v78 offset1:32
	v_add_u32_e32 v71, s43, v71
	s_waitcnt lgkmcnt(0)
	v_mfma_f32_32x32x16_fp8_fp8 v[0:15], v[44:45], v[76:77], v[0:15]
	ds_read2_b32 v[44:45], v78 offset0:128 offset1:160
	s_waitcnt lgkmcnt(0)
	v_mfma_f32_32x32x16_fp8_fp8 v[0:15], v[42:43], v[44:45], v[0:15]
	v_add_u32_e32 v44, 0x400, v78
	ds_read2_b32 v[42:43], v44 offset1:32
	ds_read2_b32 v[44:45], v44 offset0:128 offset1:160
	ds_write_b32 v74, v75 offset:6148
	s_waitcnt lgkmcnt(2)
	v_mfma_f32_32x32x16_fp8_fp8 v[0:15], v[40:41], v[42:43], v[0:15]
	v_add_u32_e32 v40, s43, v73
	v_add_u32_e32 v41, 2, v47
	v_cmp_lt_i32_e32 vcc, 0, v40
	s_nop 1
	v_cndmask_b32_e32 v47, v47, v41, vcc
	v_cmp_le_i32_e32 vcc, s75, v71
	s_waitcnt lgkmcnt(1)
	v_mfma_f32_32x32x16_fp8_fp8 v[0:15], v[38:39], v[44:45], v[0:15]
	s_or_b64 s[8:9], vcc, s[8:9]
	s_andn2_b64 exec, exec, s[8:9]
	s_cbranch_execz .LBB146_19
.LBB146_13:                             ;   Parent Loop BB146_7 Depth=1
                                        ; =>  This Loop Header: Depth=2
                                        ;       Child Loop BB146_15 Depth 3
                                        ;       Child Loop BB146_18 Depth 3
	v_cmp_lt_i32_e32 vcc, 0, v40
	s_nop 1
	v_subbrev_co_u32_e32 v73, vcc, 0, v40, vcc
	v_lshlrev_b32_e32 v74, 3, v73
	ds_read_b32 v38, v74 offset:6144
	s_waitcnt lgkmcnt(0)
	v_cmp_ne_u32_e32 vcc, v38, v47
	s_and_saveexec_b64 s[10:11], vcc
	s_cbranch_execz .LBB146_16
; %bb.14:                               ;   in Loop: Header=BB146_13 Depth=2
	s_mov_b64 s[12:13], 0
.LBB146_15:                             ;   Parent Loop BB146_7 Depth=1
                                        ;     Parent Loop BB146_13 Depth=2
                                        ; =>    This Inner Loop Header: Depth=3
	;;#ASMSTART
	s_sleep 0
	;;#ASMEND
	ds_read_b32 v38, v74 offset:6144
	s_waitcnt lgkmcnt(0)
	v_cmp_eq_u32_e32 vcc, v38, v47
	s_or_b64 s[12:13], vcc, s[12:13]
	s_andn2_b64 exec, exec, s[12:13]
	s_cbranch_execnz .LBB146_15
.LBB146_16:                             ;   in Loop: Header=BB146_13 Depth=2
	s_or_b64 exec, exec, s[10:11]
	v_lshlrev_b32_e32 v76, 11, v73
	v_or_b32_e32 v38, v49, v76
	ds_read2_b32 v[44:45], v38 offset1:32
	ds_read2_b32 v[42:43], v38 offset0:128 offset1:160
	v_add_u32_e32 v38, 0x400, v38
	ds_read2_b32 v[40:41], v38 offset1:32
	ds_read_b32 v77, v74 offset:6148
	ds_read2_b32 v[38:39], v38 offset0:128 offset1:160
	v_add_u32_e32 v75, 1, v47
	ds_write_b32 v74, v75 offset:6144
	s_waitcnt lgkmcnt(2)
	v_cmp_ne_u32_e32 vcc, v77, v47
	s_and_saveexec_b64 s[10:11], vcc
	s_cbranch_execz .LBB146_12
; %bb.17:                               ;   in Loop: Header=BB146_13 Depth=2
	s_mov_b64 s[12:13], 0
.LBB146_18:                             ;   Parent Loop BB146_7 Depth=1
                                        ;     Parent Loop BB146_13 Depth=2
                                        ; =>    This Inner Loop Header: Depth=3
	;;#ASMSTART
	s_sleep 0
	;;#ASMEND
	ds_read_b32 v77, v74 offset:6148
	s_waitcnt lgkmcnt(0)
	v_cmp_eq_u32_e32 vcc, v77, v47
	s_or_b64 s[12:13], vcc, s[12:13]
	s_andn2_b64 exec, exec, s[12:13]
	s_cbranch_execnz .LBB146_18
	s_branch .LBB146_12
.LBB146_19:                             ;   in Loop: Header=BB146_7 Depth=1
	s_or_b64 exec, exec, s[8:9]
.LBB146_20:                             ;   in Loop: Header=BB146_7 Depth=1
	s_or_b64 exec, exec, s[6:7]
	v_cmp_le_i32_e32 vcc, s14, v48
	v_cmp_eq_u32_e64 s[6:7], 3, v51
	v_cmp_eq_u32_e64 s[8:9], 4, v51
	s_waitcnt vmcnt(0)
	v_cndmask_b32_e32 v38, 0, v72, vcc
	s_nop 1
	v_pk_mul_f32 v[0:1], v[38:39], v[0:1] op_sel_hi:[0,1]
	v_cmp_eq_u32_e32 vcc, 1, v51
	v_pk_mul_f32 v[14:15], v[38:39], v[14:15] op_sel_hi:[0,1]
	v_pk_mul_f32 v[12:13], v[38:39], v[12:13] op_sel_hi:[0,1]
	v_pk_mul_f32 v[10:11], v[38:39], v[10:11] op_sel_hi:[0,1]
	v_pk_mul_f32 v[8:9], v[38:39], v[8:9] op_sel_hi:[0,1]
	v_pk_mul_f32 v[6:7], v[38:39], v[6:7] op_sel_hi:[0,1]
	v_pk_mul_f32 v[4:5], v[38:39], v[4:5] op_sel_hi:[0,1]
	v_pk_mul_f32 v[2:3], v[38:39], v[2:3] op_sel_hi:[0,1]
	v_cndmask_b32_e32 v38, v0, v1, vcc
	v_cmp_eq_u32_e32 vcc, 2, v51
	v_cmp_eq_u32_e64 s[10:11], 5, v51
	v_cmp_eq_u32_e64 s[12:13], 6, v51
	v_cndmask_b32_e32 v38, v38, v2, vcc
	v_cndmask_b32_e64 v38, v38, v3, s[6:7]
	v_cndmask_b32_e64 v38, v38, v4, s[8:9]
	;; [unrolled: 1-line block ×4, first 2 shown]
	v_cmp_eq_u32_e64 s[14:15], 7, v51
	v_cmp_eq_u32_e64 s[16:17], 8, v51
	v_cmp_eq_u32_e64 s[18:19], 9, v51
	v_cndmask_b32_e64 v38, v38, v7, s[14:15]
	v_cndmask_b32_e64 v38, v38, v8, s[16:17]
	v_cndmask_b32_e64 v38, v38, v9, s[18:19]
	v_cmp_eq_u32_e64 s[20:21], 10, v51
	v_cmp_eq_u32_e64 s[22:23], 11, v51
	v_cmp_eq_u32_e64 s[24:25], 12, v51
	v_cndmask_b32_e64 v38, v38, v10, s[20:21]
	v_cndmask_b32_e64 v38, v38, v11, s[22:23]
	v_cndmask_b32_e64 v38, v38, v12, s[24:25]
	v_cmp_eq_u32_e64 s[26:27], 13, v51
	v_cmp_eq_u32_e64 s[28:29], 14, v51
	v_cmp_eq_u32_e64 s[30:31], 15, v51
	v_cndmask_b32_e64 v38, v38, v13, s[26:27]
	v_cndmask_b32_e64 v38, v38, v14, s[28:29]
	v_cndmask_b32_e64 v38, v38, v15, s[30:31]
	ds_bpermute_b32 v38, v70, v38
	v_cmp_eq_u32_e64 s[34:35], 15, v52
	s_waitcnt lgkmcnt(0)
	v_cndmask_b32_e32 v2, v2, v38, vcc
	v_cmp_ne_u32_e32 vcc, 0, v51
	v_cndmask_b32_e64 v15, v15, v38, s[30:31]
	v_cndmask_b32_e64 v14, v14, v38, s[28:29]
	v_cndmask_b32_e32 v1, v1, v38, vcc
	v_cmp_eq_u32_e32 vcc, 0, v51
	v_cndmask_b32_e64 v13, v13, v38, s[26:27]
	v_cndmask_b32_e64 v12, v12, v38, s[24:25]
	v_cndmask_b32_e32 v0, v0, v38, vcc
	v_cmp_eq_u32_e32 vcc, 1, v52
	v_cndmask_b32_e64 v11, v11, v38, s[22:23]
	v_cndmask_b32_e64 v10, v10, v38, s[20:21]
	;; [unrolled: 1-line block ×9, first 2 shown]
	v_cndmask_b32_e32 v38, v0, v1, vcc
	v_cmp_eq_u32_e64 s[6:7], 2, v52
	v_cmp_eq_u32_e64 s[8:9], 3, v52
	v_cmp_eq_u32_e64 s[10:11], 4, v52
	v_cndmask_b32_e64 v38, v38, v2, s[6:7]
	v_cndmask_b32_e64 v38, v38, v3, s[8:9]
	v_cndmask_b32_e64 v38, v38, v4, s[10:11]
	v_cmp_eq_u32_e64 s[12:13], 5, v52
	v_cmp_eq_u32_e64 s[14:15], 6, v52
	v_cmp_eq_u32_e64 s[16:17], 7, v52
	v_cndmask_b32_e64 v38, v38, v5, s[12:13]
	v_cndmask_b32_e64 v38, v38, v6, s[14:15]
	v_cndmask_b32_e64 v38, v38, v7, s[16:17]
	;; [unrolled: 6-line block ×4, first 2 shown]
	v_cmp_eq_u32_e64 s[30:31], 14, v52
	s_nop 1
	v_cndmask_b32_e64 v38, v38, v14, s[30:31]
	v_cndmask_b32_e64 v38, v38, v15, s[34:35]
	ds_bpermute_b32 v38, v70, v38
	s_waitcnt lgkmcnt(0)
	v_cndmask_b32_e32 v1, v1, v38, vcc
	v_cmp_eq_u32_e32 vcc, 0, v52
	v_cndmask_b32_e64 v15, v15, v38, s[34:35]
	v_cndmask_b32_e64 v14, v14, v38, s[30:31]
	v_cndmask_b32_e32 v0, v0, v38, vcc
	v_cmp_eq_u32_e32 vcc, 1, v53
	v_cndmask_b32_e64 v13, v13, v38, s[28:29]
	v_cndmask_b32_e64 v12, v12, v38, s[26:27]
	v_cndmask_b32_e64 v11, v11, v38, s[24:25]
	v_cndmask_b32_e64 v10, v10, v38, s[22:23]
	v_cndmask_b32_e64 v9, v9, v38, s[20:21]
	v_cndmask_b32_e64 v8, v8, v38, s[18:19]
	v_cndmask_b32_e64 v7, v7, v38, s[16:17]
	v_cndmask_b32_e64 v6, v6, v38, s[14:15]
	v_cndmask_b32_e64 v5, v5, v38, s[12:13]
	v_cndmask_b32_e64 v4, v4, v38, s[10:11]
	v_cndmask_b32_e64 v3, v3, v38, s[8:9]
	v_cndmask_b32_e64 v2, v2, v38, s[6:7]
	v_cndmask_b32_e32 v38, v0, v1, vcc
	v_cmp_eq_u32_e64 s[6:7], 2, v53
	v_cmp_eq_u32_e64 s[8:9], 3, v53
	v_cmp_eq_u32_e64 s[10:11], 4, v53
	v_cndmask_b32_e64 v38, v38, v2, s[6:7]
	v_cndmask_b32_e64 v38, v38, v3, s[8:9]
	v_cndmask_b32_e64 v38, v38, v4, s[10:11]
	v_cmp_eq_u32_e64 s[12:13], 5, v53
	v_cmp_eq_u32_e64 s[14:15], 6, v53
	v_cmp_eq_u32_e64 s[16:17], 7, v53
	v_cndmask_b32_e64 v38, v38, v5, s[12:13]
	v_cndmask_b32_e64 v38, v38, v6, s[14:15]
	v_cndmask_b32_e64 v38, v38, v7, s[16:17]
	v_cmp_eq_u32_e64 s[18:19], 8, v53
	v_cmp_eq_u32_e64 s[20:21], 9, v53
	v_cmp_eq_u32_e64 s[22:23], 10, v53
	v_cndmask_b32_e64 v38, v38, v8, s[18:19]
	v_cndmask_b32_e64 v38, v38, v9, s[20:21]
	v_cndmask_b32_e64 v38, v38, v10, s[22:23]
	v_cmp_eq_u32_e64 s[24:25], 11, v53
	v_cmp_eq_u32_e64 s[26:27], 12, v53
	v_cmp_eq_u32_e64 s[28:29], 13, v53
	v_cndmask_b32_e64 v38, v38, v11, s[24:25]
	v_cndmask_b32_e64 v38, v38, v12, s[26:27]
	v_cndmask_b32_e64 v38, v38, v13, s[28:29]
	v_cmp_eq_u32_e64 s[30:31], 14, v53
	v_cmp_eq_u32_e64 s[34:35], 15, v53
	s_nop 0
	v_cndmask_b32_e64 v38, v38, v14, s[30:31]
	v_cndmask_b32_e64 v38, v38, v15, s[34:35]
	ds_bpermute_b32 v38, v70, v38
	s_waitcnt lgkmcnt(0)
	v_cndmask_b32_e32 v1, v1, v38, vcc
	v_cmp_eq_u32_e32 vcc, 0, v53
	v_cndmask_b32_e64 v15, v15, v38, s[34:35]
	v_cndmask_b32_e64 v14, v14, v38, s[30:31]
	v_cndmask_b32_e32 v0, v0, v38, vcc
	v_cmp_eq_u32_e32 vcc, 1, v54
	v_cndmask_b32_e64 v13, v13, v38, s[28:29]
	v_cndmask_b32_e64 v12, v12, v38, s[26:27]
	v_cndmask_b32_e64 v11, v11, v38, s[24:25]
	v_cndmask_b32_e64 v10, v10, v38, s[22:23]
	v_cndmask_b32_e64 v9, v9, v38, s[20:21]
	v_cndmask_b32_e64 v8, v8, v38, s[18:19]
	v_cndmask_b32_e64 v7, v7, v38, s[16:17]
	v_cndmask_b32_e64 v6, v6, v38, s[14:15]
	v_cndmask_b32_e64 v5, v5, v38, s[12:13]
	v_cndmask_b32_e64 v4, v4, v38, s[10:11]
	v_cndmask_b32_e64 v3, v3, v38, s[8:9]
	v_cndmask_b32_e64 v2, v2, v38, s[6:7]
	v_cndmask_b32_e32 v38, v0, v1, vcc
	v_cmp_eq_u32_e64 s[6:7], 2, v54
	v_cmp_eq_u32_e64 s[8:9], 3, v54
	v_cmp_eq_u32_e64 s[10:11], 4, v54
	v_cndmask_b32_e64 v38, v38, v2, s[6:7]
	v_cndmask_b32_e64 v38, v38, v3, s[8:9]
	v_cndmask_b32_e64 v38, v38, v4, s[10:11]
	v_cmp_eq_u32_e64 s[12:13], 5, v54
	v_cmp_eq_u32_e64 s[14:15], 6, v54
	v_cmp_eq_u32_e64 s[16:17], 7, v54
	v_cndmask_b32_e64 v38, v38, v5, s[12:13]
	v_cndmask_b32_e64 v38, v38, v6, s[14:15]
	v_cndmask_b32_e64 v38, v38, v7, s[16:17]
	v_cmp_eq_u32_e64 s[18:19], 8, v54
	v_cmp_eq_u32_e64 s[20:21], 9, v54
	v_cmp_eq_u32_e64 s[22:23], 10, v54
	v_cndmask_b32_e64 v38, v38, v8, s[18:19]
	v_cndmask_b32_e64 v38, v38, v9, s[20:21]
	v_cndmask_b32_e64 v38, v38, v10, s[22:23]
	v_cmp_eq_u32_e64 s[24:25], 11, v54
	v_cmp_eq_u32_e64 s[26:27], 12, v54
	v_cmp_eq_u32_e64 s[28:29], 13, v54
	v_cndmask_b32_e64 v38, v38, v11, s[24:25]
	v_cndmask_b32_e64 v38, v38, v12, s[26:27]
	v_cndmask_b32_e64 v38, v38, v13, s[28:29]
	v_cmp_eq_u32_e64 s[30:31], 14, v54
	v_cmp_eq_u32_e64 s[34:35], 15, v54
	s_nop 0
	v_cndmask_b32_e64 v38, v38, v14, s[30:31]
	v_cndmask_b32_e64 v38, v38, v15, s[34:35]
	ds_bpermute_b32 v38, v70, v38
	s_waitcnt lgkmcnt(0)
	v_cndmask_b32_e32 v1, v1, v38, vcc
	v_cmp_eq_u32_e32 vcc, 0, v54
	v_cndmask_b32_e64 v15, v15, v38, s[34:35]
	v_cndmask_b32_e64 v14, v14, v38, s[30:31]
	v_cndmask_b32_e32 v0, v0, v38, vcc
	v_cmp_eq_u32_e32 vcc, 1, v55
	v_cndmask_b32_e64 v13, v13, v38, s[28:29]
	v_cndmask_b32_e64 v12, v12, v38, s[26:27]
	v_cndmask_b32_e64 v11, v11, v38, s[24:25]
	v_cndmask_b32_e64 v10, v10, v38, s[22:23]
	v_cndmask_b32_e64 v9, v9, v38, s[20:21]
	v_cndmask_b32_e64 v8, v8, v38, s[18:19]
	v_cndmask_b32_e64 v7, v7, v38, s[16:17]
	v_cndmask_b32_e64 v6, v6, v38, s[14:15]
	v_cndmask_b32_e64 v5, v5, v38, s[12:13]
	v_cndmask_b32_e64 v4, v4, v38, s[10:11]
	v_cndmask_b32_e64 v3, v3, v38, s[8:9]
	v_cndmask_b32_e64 v2, v2, v38, s[6:7]
	v_cndmask_b32_e32 v38, v0, v1, vcc
	v_cmp_eq_u32_e64 s[6:7], 2, v55
	v_cmp_eq_u32_e64 s[8:9], 3, v55
	v_cmp_eq_u32_e64 s[10:11], 4, v55
	v_cndmask_b32_e64 v38, v38, v2, s[6:7]
	v_cndmask_b32_e64 v38, v38, v3, s[8:9]
	v_cndmask_b32_e64 v38, v38, v4, s[10:11]
	v_cmp_eq_u32_e64 s[12:13], 5, v55
	v_cmp_eq_u32_e64 s[14:15], 6, v55
	v_cmp_eq_u32_e64 s[16:17], 7, v55
	v_cndmask_b32_e64 v38, v38, v5, s[12:13]
	v_cndmask_b32_e64 v38, v38, v6, s[14:15]
	v_cndmask_b32_e64 v38, v38, v7, s[16:17]
	v_cmp_eq_u32_e64 s[18:19], 8, v55
	v_cmp_eq_u32_e64 s[20:21], 9, v55
	v_cmp_eq_u32_e64 s[22:23], 10, v55
	v_cndmask_b32_e64 v38, v38, v8, s[18:19]
	v_cndmask_b32_e64 v38, v38, v9, s[20:21]
	v_cndmask_b32_e64 v38, v38, v10, s[22:23]
	v_cmp_eq_u32_e64 s[24:25], 11, v55
	v_cmp_eq_u32_e64 s[26:27], 12, v55
	v_cmp_eq_u32_e64 s[28:29], 13, v55
	v_cndmask_b32_e64 v38, v38, v11, s[24:25]
	v_cndmask_b32_e64 v38, v38, v12, s[26:27]
	v_cndmask_b32_e64 v38, v38, v13, s[28:29]
	v_cmp_eq_u32_e64 s[30:31], 14, v55
	v_cmp_eq_u32_e64 s[34:35], 15, v55
	s_nop 0
	v_cndmask_b32_e64 v38, v38, v14, s[30:31]
	v_cndmask_b32_e64 v38, v38, v15, s[34:35]
	ds_bpermute_b32 v38, v70, v38
	s_waitcnt lgkmcnt(0)
	v_cndmask_b32_e32 v1, v1, v38, vcc
	v_cmp_eq_u32_e32 vcc, 0, v55
	v_cndmask_b32_e64 v15, v15, v38, s[34:35]
	v_cndmask_b32_e64 v14, v14, v38, s[30:31]
	v_cndmask_b32_e32 v0, v0, v38, vcc
	v_cmp_eq_u32_e32 vcc, 1, v56
	v_cndmask_b32_e64 v13, v13, v38, s[28:29]
	v_cndmask_b32_e64 v12, v12, v38, s[26:27]
	v_cndmask_b32_e64 v11, v11, v38, s[24:25]
	v_cndmask_b32_e64 v10, v10, v38, s[22:23]
	v_cndmask_b32_e64 v9, v9, v38, s[20:21]
	v_cndmask_b32_e64 v8, v8, v38, s[18:19]
	v_cndmask_b32_e64 v7, v7, v38, s[16:17]
	v_cndmask_b32_e64 v6, v6, v38, s[14:15]
	v_cndmask_b32_e64 v5, v5, v38, s[12:13]
	v_cndmask_b32_e64 v4, v4, v38, s[10:11]
	v_cndmask_b32_e64 v3, v3, v38, s[8:9]
	v_cndmask_b32_e64 v2, v2, v38, s[6:7]
	v_cndmask_b32_e32 v38, v0, v1, vcc
	v_cmp_eq_u32_e64 s[6:7], 2, v56
	v_cmp_eq_u32_e64 s[8:9], 3, v56
	v_cmp_eq_u32_e64 s[10:11], 4, v56
	v_cndmask_b32_e64 v38, v38, v2, s[6:7]
	v_cndmask_b32_e64 v38, v38, v3, s[8:9]
	v_cndmask_b32_e64 v38, v38, v4, s[10:11]
	v_cmp_eq_u32_e64 s[12:13], 5, v56
	v_cmp_eq_u32_e64 s[14:15], 6, v56
	v_cmp_eq_u32_e64 s[16:17], 7, v56
	v_cndmask_b32_e64 v38, v38, v5, s[12:13]
	v_cndmask_b32_e64 v38, v38, v6, s[14:15]
	v_cndmask_b32_e64 v38, v38, v7, s[16:17]
	v_cmp_eq_u32_e64 s[18:19], 8, v56
	v_cmp_eq_u32_e64 s[20:21], 9, v56
	v_cmp_eq_u32_e64 s[22:23], 10, v56
	v_cndmask_b32_e64 v38, v38, v8, s[18:19]
	v_cndmask_b32_e64 v38, v38, v9, s[20:21]
	v_cndmask_b32_e64 v38, v38, v10, s[22:23]
	v_cmp_eq_u32_e64 s[24:25], 11, v56
	v_cmp_eq_u32_e64 s[26:27], 12, v56
	v_cmp_eq_u32_e64 s[28:29], 13, v56
	v_cndmask_b32_e64 v38, v38, v11, s[24:25]
	v_cndmask_b32_e64 v38, v38, v12, s[26:27]
	v_cndmask_b32_e64 v38, v38, v13, s[28:29]
	v_cmp_eq_u32_e64 s[30:31], 14, v56
	v_cmp_eq_u32_e64 s[34:35], 15, v56
	s_nop 0
	v_cndmask_b32_e64 v38, v38, v14, s[30:31]
	v_cndmask_b32_e64 v38, v38, v15, s[34:35]
	ds_bpermute_b32 v38, v70, v38
	s_waitcnt lgkmcnt(0)
	v_cndmask_b32_e32 v1, v1, v38, vcc
	v_cmp_eq_u32_e32 vcc, 0, v56
	v_cndmask_b32_e64 v15, v15, v38, s[34:35]
	v_cndmask_b32_e64 v14, v14, v38, s[30:31]
	;; [unrolled: 1-line block ×14, first 2 shown]
	v_cndmask_b32_e32 v38, v0, v38, vcc
	v_cmp_eq_u32_e32 vcc, 1, v57
	v_cmp_eq_u32_e64 s[6:7], 2, v57
	v_cmp_eq_u32_e64 s[8:9], 3, v57
	v_cndmask_b32_e32 v0, v38, v1, vcc
	v_cndmask_b32_e64 v0, v0, v73, s[6:7]
	v_cndmask_b32_e64 v0, v0, v72, s[8:9]
	v_cmp_eq_u32_e64 s[10:11], 4, v57
	v_cmp_eq_u32_e64 s[12:13], 5, v57
	v_cmp_eq_u32_e64 s[14:15], 6, v57
	v_cndmask_b32_e64 v0, v0, v45, s[10:11]
	v_cndmask_b32_e64 v0, v0, v44, s[12:13]
	v_cndmask_b32_e64 v0, v0, v43, s[14:15]
	v_cmp_eq_u32_e64 s[16:17], 7, v57
	v_cmp_eq_u32_e64 s[18:19], 8, v57
	v_cmp_eq_u32_e64 s[20:21], 9, v57
	v_cndmask_b32_e64 v0, v0, v42, s[16:17]
	;; [unrolled: 6-line block ×4, first 2 shown]
	v_cndmask_b32_e64 v0, v0, v14, s[30:31]
	v_cndmask_b32_e64 v0, v0, v15, s[34:35]
	ds_bpermute_b32 v74, v70, v0
	s_waitcnt lgkmcnt(0)
	v_cndmask_b32_e32 v0, v1, v74, vcc
	v_cmp_eq_u32_e32 vcc, 0, v57
	v_cndmask_b32_e64 v4, v15, v74, s[34:35]
	v_cndmask_b32_e64 v15, v73, v74, s[6:7]
	v_cndmask_b32_e32 v1, v38, v74, vcc
	v_cmp_eq_u32_e32 vcc, 1, v58
	v_cndmask_b32_e64 v5, v14, v74, s[30:31]
	v_cndmask_b32_e64 v14, v72, v74, s[8:9]
	;; [unrolled: 4-line block ×7, first 2 shown]
	v_cndmask_b32_e32 v38, v38, v13, vcc
	v_cmp_eq_u32_e32 vcc, 7, v58
	s_nop 1
	v_cndmask_b32_e32 v38, v38, v12, vcc
	v_cmp_eq_u32_e32 vcc, 8, v58
	s_nop 1
	;; [unrolled: 3-line block ×9, first 2 shown]
	v_cndmask_b32_e32 v38, v38, v4, vcc
	ds_bpermute_b32 v38, v70, v38
	v_cmp_lt_i32_e32 vcc, s74, v59
	s_and_saveexec_b64 s[60:61], vcc
	s_cbranch_execz .LBB146_29
; %bb.21:                               ;   in Loop: Header=BB146_7 Depth=1
	s_mul_i32 s6, s72, s37
	s_ashr_i32 s7, s6, 31
	s_lshl_b64 s[6:7], s[6:7], 1
	v_cmp_eq_u32_e64 s[30:31], 1, v58
	s_add_u32 s8, s48, s6
	s_addc_u32 s9, s49, s7
	s_waitcnt lgkmcnt(0)
	v_cndmask_b32_e64 v0, v0, v38, s[30:31]
	v_cmp_eq_u32_e64 s[30:31], 0, v58
	s_ashr_i32 s55, s54, 31
	s_lshl_b64 s[6:7], s[54:55], 1
	v_cndmask_b32_e64 v1, v1, v38, s[30:31]
	v_cvt_f16_f32_e32 v39, v1
	v_cvt_f16_f32_sdwa v41, v0 dst_sel:WORD_1 dst_unused:UNUSED_PAD src0_sel:DWORD
	s_add_u32 s34, s8, s6
	s_addc_u32 s35, s9, s7
	v_cmp_eq_u32_e64 s[8:9], 15, v58
	v_cmp_eq_u32_e64 s[10:11], 14, v58
	;; [unrolled: 1-line block ×10, first 2 shown]
	v_cmp_eq_u32_e32 vcc, 5, v58
	v_cmp_eq_u32_e64 s[6:7], 4, v58
	v_cmp_eq_u32_e64 s[28:29], 3, v58
	;; [unrolled: 1-line block ×3, first 2 shown]
	v_lshl_add_u64 v[0:1], s[34:35], 0, v[16:17]
	v_cmp_lt_i32_e64 s[34:35], s74, v60
	v_lshl_add_u64 v[42:43], v[18:19], 1, v[0:1]
	v_or_b32_e32 v39, v41, v39
	;;#ASMSTART
	global_atomic_pk_add_f16 v[42:43], v39, off
	
	;;#ASMEND
	s_and_b64 exec, exec, s[34:35]
	s_cbranch_execz .LBB146_29
; %bb.22:                               ;   in Loop: Header=BB146_7 Depth=1
	v_cndmask_b32_e64 v14, v14, v38, s[28:29]
	v_cndmask_b32_e64 v15, v15, v38, s[30:31]
	v_cvt_f16_f32_e32 v39, v15
	v_cvt_f16_f32_sdwa v41, v14 dst_sel:WORD_1 dst_unused:UNUSED_PAD src0_sel:DWORD
	v_cndmask_b32_e64 v4, v4, v38, s[8:9]
	v_cndmask_b32_e64 v5, v5, v38, s[10:11]
	;; [unrolled: 1-line block ×10, first 2 shown]
	v_cndmask_b32_e32 v2, v2, v38, vcc
	v_cndmask_b32_e64 v3, v3, v38, s[6:7]
	v_cmp_lt_i32_e32 vcc, s74, v61
	v_lshl_add_u64 v[14:15], v[20:21], 1, v[0:1]
	v_or_b32_e32 v38, v41, v39
	;;#ASMSTART
	global_atomic_pk_add_f16 v[14:15], v38, off
	
	;;#ASMEND
	s_and_b64 exec, exec, vcc
	s_cbranch_execz .LBB146_29
; %bb.23:                               ;   in Loop: Header=BB146_7 Depth=1
	v_cvt_f16_f32_e32 v14, v3
	v_cvt_f16_f32_sdwa v15, v2 dst_sel:WORD_1 dst_unused:UNUSED_PAD src0_sel:DWORD
	v_cmp_lt_i32_e32 vcc, s74, v62
	v_lshl_add_u64 v[2:3], v[22:23], 1, v[0:1]
	v_or_b32_e32 v14, v15, v14
	;;#ASMSTART
	global_atomic_pk_add_f16 v[2:3], v14, off
	
	;;#ASMEND
	s_and_b64 exec, exec, vcc
	s_cbranch_execz .LBB146_29
; %bb.24:                               ;   in Loop: Header=BB146_7 Depth=1
	v_cvt_f16_f32_e32 v13, v13
	v_cvt_f16_f32_sdwa v12, v12 dst_sel:WORD_1 dst_unused:UNUSED_PAD src0_sel:DWORD
	;; [unrolled: 12-line block ×6, first 2 shown]
	v_lshl_add_u64 v[0:1], v[32:33], 1, v[0:1]
	v_or_b32_e32 v2, v3, v2
	;;#ASMSTART
	global_atomic_pk_add_f16 v[0:1], v2, off
	
	;;#ASMEND
.LBB146_29:                             ;   in Loop: Header=BB146_7 Depth=1
	s_or_b64 exec, exec, s[60:61]
	v_subrev_u32_e32 v71, s75, v71
.LBB146_30:                             ;   in Loop: Header=BB146_7 Depth=1
	s_or_b64 exec, exec, s[58:59]
.LBB146_31:                             ;   in Loop: Header=BB146_7 Depth=1
	s_andn2_saveexec_b64 s[6:7], s[56:57]
	s_cbranch_execz .LBB146_40
; %bb.32:                               ;   in Loop: Header=BB146_7 Depth=1
	v_cmp_gt_i32_e32 vcc, s75, v71
	s_and_saveexec_b64 s[8:9], vcc
	s_cbranch_execz .LBB146_39
; %bb.33:                               ;   in Loop: Header=BB146_7 Depth=1
	s_mul_i32 s10, s54, s39
	s_ashr_i32 s11, s10, 31
	s_waitcnt lgkmcnt(0)
	s_add_u32 s10, s46, s10
	s_addc_u32 s11, s47, s11
	s_ashr_i32 s12, s73, 31
	s_add_u32 s10, s10, s73
	s_addc_u32 s11, s11, s12
	v_lshl_add_u64 v[0:1], s[10:11], 0, v[36:37]
	v_lshl_add_u64 v[8:9], v[0:1], 0, v[34:35]
	s_mov_b64 s[10:11], 0
	s_branch .LBB146_35
.LBB146_34:                             ;   in Loop: Header=BB146_35 Depth=2
	s_or_b64 exec, exec, s[12:13]
	v_lshl_add_u32 v12, v10, 11, v67
	;;#ASMSTART
	s_waitcnt vmcnt(1)
	;;#ASMEND
	ds_write2_b32 v12, v4, v5 offset1:32
	ds_write2_b32 v12, v6, v7 offset0:64 offset1:96
	v_add_u32_e32 v4, 0x400, v12
	v_add_u32_e32 v71, s42, v71
	;;#ASMSTART
	s_waitcnt vmcnt(0)
	;;#ASMEND
	ds_write2_b32 v4, v0, v1 offset1:32
	ds_write2_b32 v4, v2, v3 offset0:64 offset1:96
	v_add_u32_e32 v0, 1, v47
	v_add_u32_e32 v40, s42, v10
	v_cmp_le_i32_e32 vcc, s75, v71
	ds_write_b32 v11, v0 offset:8
	v_add_u32_e32 v0, 2, v47
	s_or_b64 s[10:11], vcc, s[10:11]
	v_cmp_lt_i32_e32 vcc, 0, v40
	s_nop 1
	v_cndmask_b32_e32 v47, v47, v0, vcc
	s_andn2_b64 exec, exec, s[10:11]
	s_cbranch_execz .LBB146_38
.LBB146_35:                             ;   Parent Loop BB146_7 Depth=1
                                        ; =>  This Loop Header: Depth=2
                                        ;       Child Loop BB146_37 Depth 3
	v_cmp_lt_i32_e32 vcc, 0, v40
	v_lshlrev_b32_e32 v0, 6, v71
	v_ashrrev_i32_e32 v1, 31, v0
	v_subbrev_co_u32_e32 v10, vcc, 0, v40, vcc
	v_lshl_add_u64 v[0:1], v[8:9], 0, v[0:1]
	v_lshlrev_b32_e32 v11, 2, v10
	;;#ASMSTART
	global_load_dwordx4 v[4:7], v[0:1], off offset:0   sc0 sc1 nt  
	global_load_dwordx4 v[0:3], v[0:1], off offset:32  sc0 sc1 nt  
	
	;;#ASMEND
	ds_read_b32 v12, v11 offset:6152
	v_add_u32_e32 v11, 0x1800, v11
	s_waitcnt lgkmcnt(0)
	v_cmp_ne_u32_e32 vcc, v12, v47
	s_and_saveexec_b64 s[12:13], vcc
	s_cbranch_execz .LBB146_34
; %bb.36:                               ;   in Loop: Header=BB146_35 Depth=2
	s_mov_b64 s[14:15], 0
.LBB146_37:                             ;   Parent Loop BB146_7 Depth=1
                                        ;     Parent Loop BB146_35 Depth=2
                                        ; =>    This Inner Loop Header: Depth=3
	;;#ASMSTART
	s_sleep 0
	;;#ASMEND
	ds_read_b32 v12, v11 offset:8
	s_waitcnt lgkmcnt(0)
	v_cmp_eq_u32_e32 vcc, v12, v47
	s_or_b64 s[14:15], vcc, s[14:15]
	s_andn2_b64 exec, exec, s[14:15]
	s_cbranch_execnz .LBB146_37
	s_branch .LBB146_34
.LBB146_38:                             ;   in Loop: Header=BB146_7 Depth=1
	s_or_b64 exec, exec, s[10:11]
.LBB146_39:                             ;   in Loop: Header=BB146_7 Depth=1
	s_or_b64 exec, exec, s[8:9]
	v_subrev_u32_e32 v71, s75, v71
.LBB146_40:                             ;   in Loop: Header=BB146_7 Depth=1
	s_or_b64 exec, exec, s[6:7]
.LBB146_41:                             ;   in Loop: Header=BB146_7 Depth=1
	s_andn2_saveexec_b64 s[6:7], s[52:53]
	s_cbranch_execz .LBB146_6
; %bb.42:                               ;   in Loop: Header=BB146_7 Depth=1
	s_lshl_b32 s16, s75, 1
	v_cmp_gt_i32_e32 vcc, s16, v71
	s_and_saveexec_b64 s[8:9], vcc
	s_cbranch_execz .LBB146_5
; %bb.43:                               ;   in Loop: Header=BB146_7 Depth=1
	s_mul_i32 s72, s72, s38
	s_max_i32 s12, s74, 0
	s_ashr_i32 s10, s72, 31
	s_waitcnt lgkmcnt(0)
	s_add_u32 s11, s44, s72
	v_add_u32_e32 v2, s12, v48
	s_addc_u32 s13, s45, s10
	s_ashr_i32 s14, s73, 31
	v_cmp_gt_u32_e32 vcc, 64, v2
	s_add_u32 s10, s11, s73
	s_addc_u32 s11, s13, s14
	v_cndmask_b32_e32 v0, 0, v68, vcc
	v_ashrrev_i32_e32 v1, 31, v0
	v_lshl_add_u64 v[0:1], s[10:11], 0, v[0:1]
	v_lshl_add_u64 v[8:9], v[0:1], 0, v[34:35]
	v_sub_u32_e32 v10, 63, v2
	s_mov_b64 s[10:11], 0
	s_branch .LBB146_45
.LBB146_44:                             ;   in Loop: Header=BB146_45 Depth=2
	s_or_b64 exec, exec, s[12:13]
	v_lshl_or_b32 v13, v11, 11, v69
	;;#ASMSTART
	s_waitcnt vmcnt(1)
	;;#ASMEND
	ds_write2_b32 v13, v4, v5 offset1:32
	ds_write2_b32 v13, v6, v7 offset0:64 offset1:96
	v_add_u32_e32 v4, 0x400, v13
	v_add_u32_e32 v71, s41, v71
	;;#ASMSTART
	s_waitcnt vmcnt(0)
	;;#ASMEND
	ds_write2_b32 v4, v0, v1 offset1:32
	ds_write2_b32 v4, v2, v3 offset0:64 offset1:96
	v_add_u32_e32 v0, 1, v47
	v_add_u32_e32 v40, s41, v11
	v_cmp_le_i32_e32 vcc, s16, v71
	ds_write_b32 v12, v0
	v_add_u32_e32 v0, 2, v47
	s_or_b64 s[10:11], vcc, s[10:11]
	v_cmp_lt_i32_e32 vcc, 1, v40
	s_nop 1
	v_cndmask_b32_e32 v47, v47, v0, vcc
	s_andn2_b64 exec, exec, s[10:11]
	s_cbranch_execz .LBB146_4
.LBB146_45:                             ;   Parent Loop BB146_7 Depth=1
                                        ; =>  This Loop Header: Depth=2
                                        ;       Child Loop BB146_47 Depth 3
	v_cmp_gt_i32_e32 vcc, 2, v40
	s_nop 1
	v_cndmask_b32_e64 v0, -2, 0, vcc
	v_add_u32_e32 v11, v0, v40
	v_lshrrev_b32_e32 v0, 31, v71
	v_add_u32_e32 v0, v71, v0
	v_and_b32_e32 v1, 0x7fffffe, v0
	v_sub_u32_e32 v1, v71, v1
	v_lshlrev_b32_e32 v1, 5, v1
	v_cmp_le_i32_e32 vcc, v1, v10
	v_lshlrev_b32_e32 v0, 5, v0
	v_and_b32_e32 v0, 0xffffffc0, v0
	v_cndmask_b32_e32 v2, 0, v1, vcc
	v_ashrrev_i32_e32 v1, 31, v0
	v_mul_lo_u32 v2, v2, s38
	v_lshl_add_u64 v[0:1], v[8:9], 0, v[0:1]
	v_ashrrev_i32_e32 v3, 31, v2
	v_lshl_add_u64 v[0:1], v[0:1], 0, v[2:3]
	v_lshlrev_b32_e32 v12, 2, v11
	;;#ASMSTART
	global_load_dwordx4 v[4:7], v[0:1], off offset:0   
	global_load_dwordx4 v[0:3], v[0:1], off offset:32  
	
	;;#ASMEND
	ds_read_b32 v13, v12 offset:6144
	v_add_u32_e32 v12, 0x1800, v12
	s_waitcnt lgkmcnt(0)
	v_cmp_ne_u32_e32 vcc, v13, v47
	s_and_saveexec_b64 s[12:13], vcc
	s_cbranch_execz .LBB146_44
; %bb.46:                               ;   in Loop: Header=BB146_45 Depth=2
	s_mov_b64 s[14:15], 0
.LBB146_47:                             ;   Parent Loop BB146_7 Depth=1
                                        ;     Parent Loop BB146_45 Depth=2
                                        ; =>    This Inner Loop Header: Depth=3
	;;#ASMSTART
	s_sleep 0
	;;#ASMEND
	ds_read_b32 v13, v12
	s_waitcnt lgkmcnt(0)
	v_cmp_eq_u32_e32 vcc, v13, v47
	s_or_b64 s[14:15], vcc, s[14:15]
	s_andn2_b64 exec, exec, s[14:15]
	s_cbranch_execnz .LBB146_47
	s_branch .LBB146_44
.LBB146_48:
	s_endpgm
	.section	.rodata,"a",@progbits
	.p2align	6, 0x0
	.amdhsa_kernel _Z19_skinny_gemm_kernelILi2ELi1ELi1ELi32ELi4EEvPKhS1_P6__halfPKfiiiiiiii
		.amdhsa_group_segment_fixed_size 6156
		.amdhsa_private_segment_fixed_size 0
		.amdhsa_kernarg_size 64
		.amdhsa_user_sgpr_count 2
		.amdhsa_user_sgpr_dispatch_ptr 0
		.amdhsa_user_sgpr_queue_ptr 0
		.amdhsa_user_sgpr_kernarg_segment_ptr 1
		.amdhsa_user_sgpr_dispatch_id 0
		.amdhsa_user_sgpr_kernarg_preload_length 0
		.amdhsa_user_sgpr_kernarg_preload_offset 0
		.amdhsa_user_sgpr_private_segment_size 0
		.amdhsa_uses_dynamic_stack 0
		.amdhsa_enable_private_segment 0
		.amdhsa_system_sgpr_workgroup_id_x 1
		.amdhsa_system_sgpr_workgroup_id_y 0
		.amdhsa_system_sgpr_workgroup_id_z 0
		.amdhsa_system_sgpr_workgroup_info 0
		.amdhsa_system_vgpr_workitem_id 0
		.amdhsa_next_free_vgpr 79
		.amdhsa_next_free_sgpr 76
		.amdhsa_accum_offset 80
		.amdhsa_reserve_vcc 1
		.amdhsa_float_round_mode_32 0
		.amdhsa_float_round_mode_16_64 0
		.amdhsa_float_denorm_mode_32 3
		.amdhsa_float_denorm_mode_16_64 3
		.amdhsa_dx10_clamp 1
		.amdhsa_ieee_mode 1
		.amdhsa_fp16_overflow 0
		.amdhsa_tg_split 0
		.amdhsa_exception_fp_ieee_invalid_op 0
		.amdhsa_exception_fp_denorm_src 0
		.amdhsa_exception_fp_ieee_div_zero 0
		.amdhsa_exception_fp_ieee_overflow 0
		.amdhsa_exception_fp_ieee_underflow 0
		.amdhsa_exception_fp_ieee_inexact 0
		.amdhsa_exception_int_div_zero 0
	.end_amdhsa_kernel
	.section	.text._Z19_skinny_gemm_kernelILi2ELi1ELi1ELi32ELi4EEvPKhS1_P6__halfPKfiiiiiiii,"axG",@progbits,_Z19_skinny_gemm_kernelILi2ELi1ELi1ELi32ELi4EEvPKhS1_P6__halfPKfiiiiiiii,comdat
.Lfunc_end146:
	.size	_Z19_skinny_gemm_kernelILi2ELi1ELi1ELi32ELi4EEvPKhS1_P6__halfPKfiiiiiiii, .Lfunc_end146-_Z19_skinny_gemm_kernelILi2ELi1ELi1ELi32ELi4EEvPKhS1_P6__halfPKfiiiiiiii
                                        ; -- End function
	.set _Z19_skinny_gemm_kernelILi2ELi1ELi1ELi32ELi4EEvPKhS1_P6__halfPKfiiiiiiii.num_vgpr, 79
	.set _Z19_skinny_gemm_kernelILi2ELi1ELi1ELi32ELi4EEvPKhS1_P6__halfPKfiiiiiiii.num_agpr, 0
	.set _Z19_skinny_gemm_kernelILi2ELi1ELi1ELi32ELi4EEvPKhS1_P6__halfPKfiiiiiiii.numbered_sgpr, 76
	.set _Z19_skinny_gemm_kernelILi2ELi1ELi1ELi32ELi4EEvPKhS1_P6__halfPKfiiiiiiii.num_named_barrier, 0
	.set _Z19_skinny_gemm_kernelILi2ELi1ELi1ELi32ELi4EEvPKhS1_P6__halfPKfiiiiiiii.private_seg_size, 0
	.set _Z19_skinny_gemm_kernelILi2ELi1ELi1ELi32ELi4EEvPKhS1_P6__halfPKfiiiiiiii.uses_vcc, 1
	.set _Z19_skinny_gemm_kernelILi2ELi1ELi1ELi32ELi4EEvPKhS1_P6__halfPKfiiiiiiii.uses_flat_scratch, 0
	.set _Z19_skinny_gemm_kernelILi2ELi1ELi1ELi32ELi4EEvPKhS1_P6__halfPKfiiiiiiii.has_dyn_sized_stack, 0
	.set _Z19_skinny_gemm_kernelILi2ELi1ELi1ELi32ELi4EEvPKhS1_P6__halfPKfiiiiiiii.has_recursion, 0
	.set _Z19_skinny_gemm_kernelILi2ELi1ELi1ELi32ELi4EEvPKhS1_P6__halfPKfiiiiiiii.has_indirect_call, 0
	.section	.AMDGPU.csdata,"",@progbits
; Kernel info:
; codeLenInByte = 6020
; TotalNumSgprs: 82
; NumVgprs: 79
; NumAgprs: 0
; TotalNumVgprs: 79
; ScratchSize: 0
; MemoryBound: 0
; FloatMode: 240
; IeeeMode: 1
; LDSByteSize: 6156 bytes/workgroup (compile time only)
; SGPRBlocks: 10
; VGPRBlocks: 9
; NumSGPRsForWavesPerEU: 82
; NumVGPRsForWavesPerEU: 79
; AccumOffset: 80
; Occupancy: 6
; WaveLimiterHint : 0
; COMPUTE_PGM_RSRC2:SCRATCH_EN: 0
; COMPUTE_PGM_RSRC2:USER_SGPR: 2
; COMPUTE_PGM_RSRC2:TRAP_HANDLER: 0
; COMPUTE_PGM_RSRC2:TGID_X_EN: 1
; COMPUTE_PGM_RSRC2:TGID_Y_EN: 0
; COMPUTE_PGM_RSRC2:TGID_Z_EN: 0
; COMPUTE_PGM_RSRC2:TIDIG_COMP_CNT: 0
; COMPUTE_PGM_RSRC3_GFX90A:ACCUM_OFFSET: 19
; COMPUTE_PGM_RSRC3_GFX90A:TG_SPLIT: 0
	.section	.text._Z19_skinny_gemm_kernelILi2ELi1ELi1ELi32ELi8EEvPKhS1_P6__halfPKfiiiiiiii,"axG",@progbits,_Z19_skinny_gemm_kernelILi2ELi1ELi1ELi32ELi8EEvPKhS1_P6__halfPKfiiiiiiii,comdat
	.protected	_Z19_skinny_gemm_kernelILi2ELi1ELi1ELi32ELi8EEvPKhS1_P6__halfPKfiiiiiiii ; -- Begin function _Z19_skinny_gemm_kernelILi2ELi1ELi1ELi32ELi8EEvPKhS1_P6__halfPKfiiiiiiii
	.globl	_Z19_skinny_gemm_kernelILi2ELi1ELi1ELi32ELi8EEvPKhS1_P6__halfPKfiiiiiiii
	.p2align	8
	.type	_Z19_skinny_gemm_kernelILi2ELi1ELi1ELi32ELi8EEvPKhS1_P6__halfPKfiiiiiiii,@function
_Z19_skinny_gemm_kernelILi2ELi1ELi1ELi32ELi8EEvPKhS1_P6__halfPKfiiiiiiii: ; @_Z19_skinny_gemm_kernelILi2ELi1ELi1ELi32ELi8EEvPKhS1_P6__halfPKfiiiiiiii
; %bb.0:
	v_cmp_gt_u32_e32 vcc, 3, v0
	s_and_saveexec_b64 s[4:5], vcc
; %bb.1:
	v_lshlrev_b32_e32 v1, 2, v0
	v_mov_b32_e32 v2, 0
	ds_write_b32 v1, v2 offset:12288
; %bb.2:
	s_or_b64 exec, exec, s[4:5]
	s_load_dwordx8 s[36:43], s[0:1], 0x20
	s_waitcnt lgkmcnt(0)
	s_barrier
	s_add_i32 s3, s36, 63
	s_ashr_i32 s5, s3, 31
	s_add_i32 s4, s37, 31
	s_lshr_b32 s5, s5, 26
	s_ashr_i32 s6, s4, 31
	s_add_i32 s3, s3, s5
	s_ashr_i32 s33, s3, 6
	s_lshr_b32 s3, s6, 27
	s_add_i32 s4, s4, s3
	s_ashr_i32 s62, s4, 5
	s_mul_i32 s3, s62, s33
	s_mul_i32 s3, s3, s40
	s_add_i32 s4, s3, 0x12f
	s_mul_hi_i32 s4, s4, 0x6bca1af3
	s_lshr_b32 s5, s4, 31
	s_ashr_i32 s4, s4, 7
	s_add_i32 s4, s4, s5
	s_add_i32 s5, s2, 1
	s_mul_i32 s5, s4, s5
	v_cvt_f64_i32_e32 v[2:3], s3
	v_cvt_f64_u32_e32 v[4:5], s5
	v_min_f64 v[2:3], v[2:3], v[4:5]
	v_cvt_i32_f64_e32 v54, v[2:3]
	s_mul_i32 s63, s4, s2
	v_cmp_ge_i32_e32 vcc, s63, v54
	s_cbranch_vccnz .LBB147_48
; %bb.3:
	v_lshrrev_b32_e32 v1, 6, v0
	s_add_i32 s4, s42, s41
	s_load_dwordx8 s[44:51], s[0:1], 0x0
	v_cmp_le_i32_e64 s[0:1], s4, v1
	v_mov_b32_e32 v2, s41
	v_cmp_le_i32_e64 s[2:3], s41, v1
	v_mov_b32_e32 v3, s42
	v_cndmask_b32_e64 v3, 0, v3, s[0:1]
	v_cndmask_b32_e64 v2, 0, v2, s[2:3]
	s_abs_i32 s5, s40
	v_add_u32_e32 v2, v2, v3
	v_cvt_f32_u32_e32 v3, s5
	v_sub_u32_e32 v40, v1, v2
	s_ashr_i32 s6, s38, 31
	s_lshr_b32 s6, s6, 25
	v_rcp_iflag_f32_e32 v2, v3
	s_sub_i32 s9, 0, s5
	s_add_i32 s6, s38, s6
	s_ashr_i32 s6, s6, 7
	v_mul_f32_e32 v2, 0x4f7ffffe, v2
	v_cvt_u32_f32_e32 v2, v2
	s_abs_i32 s8, s6
	s_xor_b32 s7, s6, s40
	s_ashr_i32 s7, s7, 31
	v_readfirstlane_b32 s10, v2
	s_mul_i32 s9, s9, s10
	s_mul_hi_u32 s9, s10, s9
	s_add_i32 s10, s10, s9
	s_mul_hi_u32 s9, s8, s10
	s_mul_i32 s10, s9, s5
	s_sub_i32 s8, s8, s10
	s_add_i32 s10, s9, 1
	s_sub_i32 s11, s8, s5
	s_cmp_ge_u32 s8, s5
	s_cselect_b32 s9, s10, s9
	s_cselect_b32 s8, s11, s8
	s_add_i32 s10, s9, 1
	s_cmp_ge_u32 s8, s5
	s_cselect_b32 s5, s10, s9
	s_xor_b32 s5, s5, s7
	s_sub_i32 s64, s5, s7
	s_add_i32 s40, s40, -1
	s_mul_i32 s5, s64, s40
	s_add_i32 s4, s4, s43
	v_and_b32_e32 v56, 31, v0
	v_lshrrev_b32_e32 v2, 3, v0
	s_sub_i32 s65, s6, s5
	v_cmp_gt_i32_e64 s[4:5], s4, v1
	v_lshlrev_b32_e32 v1, 2, v56
	v_and_b32_e32 v3, 4, v2
	v_and_b32_e32 v5, 1, v0
	v_lshlrev_b32_e32 v2, 6, v3
	v_or_b32_e32 v4, 0x2000, v1
	v_or_b32_e32 v3, v3, v5
	v_or_b32_e32 v57, v1, v2
	v_or_b32_e32 v58, v4, v2
	v_lshlrev_b32_e32 v2, 1, v5
	v_or_b32_e32 v5, 2, v3
	v_sub_u32_e32 v68, 32, v5
	v_or_b32_e32 v5, 8, v3
	v_sub_u32_e32 v69, 32, v5
	;; [unrolled: 2-line block ×5, first 2 shown]
	v_mul_lo_u32 v18, s37, v3
	v_sub_u32_e32 v72, 32, v5
	v_or_b32_e32 v5, 24, v3
	v_or_b32_e32 v3, 26, v3
	v_sub_u32_e32 v74, 32, v3
	v_lshrrev_b32_e32 v3, 1, v0
	s_abs_i32 s66, s33
	v_and_b32_e32 v34, 16, v3
	v_cvt_f32_u32_e32 v3, s66
	v_sub_u32_e32 v2, v0, v2
	v_add_u32_e32 v2, 1, v2
	v_and_b32_e32 v6, 63, v2
	v_bitop3_b32 v59, v0, 1, v0 bitop3:0xc
	v_bitop3_b32 v60, v0, 3, 1 bitop3:0x6c
	;; [unrolled: 1-line block ×8, first 2 shown]
	v_and_b32_e32 v2, 30, v0
	v_lshlrev_b32_e32 v0, 4, v0
	v_and_b32_e32 v0, 0x200, v0
	v_rcp_iflag_f32_e32 v3, v3
	s_abs_i32 s67, s62
	v_or_b32_e32 v77, v1, v0
	v_cvt_f32_u32_e32 v1, s67
	s_lshl_b32 s6, s37, 1
	v_add_u32_e32 v20, s6, v18
	s_mul_i32 s7, s37, 6
	v_or_b32_e32 v75, v4, v0
	v_mul_f32_e32 v0, 0x4f7ffffe, v3
	v_add_u32_e32 v22, s7, v20
	v_cvt_u32_f32_e32 v0, v0
	v_rcp_iflag_f32_e32 v1, v1
	v_add_u32_e32 v24, s6, v22
	v_add_u32_e32 v26, s7, v24
	;; [unrolled: 1-line block ×4, first 2 shown]
	v_readfirstlane_b32 s7, v0
	v_mul_f32_e32 v0, 0x4f7ffffe, v1
	v_cvt_u32_f32_e32 v0, v0
	v_add_u32_e32 v32, s6, v30
	s_sub_i32 s6, 0, s66
	s_mul_i32 s6, s6, s7
	s_mul_hi_u32 s6, s7, s6
	s_add_i32 s69, s7, s6
	s_sub_i32 s6, 0, s67
	v_readfirstlane_b32 s7, v0
	v_mbcnt_lo_u32_b32 v0, -1, 0
	s_mul_i32 s6, s6, s7
	v_mbcnt_hi_u32_b32 v0, -1, v0
	v_mov_b32_e32 v17, 0
	v_mul_lo_u32 v36, s39, v56
	s_mul_hi_u32 s6, s7, s6
	v_and_or_b32 v0, v0, 64, v6
	v_cndmask_b32_e64 v55, 0, 1, s[0:1]
	v_ashrrev_i32_e32 v19, 31, v18
	v_ashrrev_i32_e32 v21, 31, v20
	;; [unrolled: 1-line block ×6, first 2 shown]
	v_sub_u32_e32 v73, 32, v5
	v_ashrrev_i32_e32 v31, 31, v30
	v_ashrrev_i32_e32 v33, 31, v32
	;; [unrolled: 1-line block ×3, first 2 shown]
	v_mov_b32_e32 v35, v17
	v_mul_lo_u32 v76, s38, v56
	s_ashr_i32 s68, s33, 31
	s_ashr_i32 s70, s62, 31
	s_add_i32 s71, s7, s6
	v_lshlrev_b32_e32 v16, 1, v2
	v_lshlrev_b32_e32 v78, 2, v0
	v_mov_b32_e32 v79, v40
	s_branch .LBB147_7
.LBB147_4:                              ;   in Loop: Header=BB147_7 Depth=1
	s_or_b64 exec, exec, s[10:11]
.LBB147_5:                              ;   in Loop: Header=BB147_7 Depth=1
	s_or_b64 exec, exec, s[8:9]
	v_subrev_u32_e32 v79, s16, v79
.LBB147_6:                              ;   in Loop: Header=BB147_7 Depth=1
	s_or_b64 exec, exec, s[6:7]
	s_add_i32 s63, s63, 1
	v_cmp_ge_i32_e32 vcc, s63, v54
	s_cbranch_vccnz .LBB147_48
.LBB147_7:                              ; =>This Loop Header: Depth=1
                                        ;     Child Loop BB147_13 Depth 2
                                        ;       Child Loop BB147_15 Depth 3
                                        ;       Child Loop BB147_18 Depth 3
                                        ;     Child Loop BB147_35 Depth 2
                                        ;       Child Loop BB147_37 Depth 3
                                        ;     Child Loop BB147_45 Depth 2
                                        ;       Child Loop BB147_47 Depth 3
	s_abs_i32 s7, s63
	s_mul_hi_u32 s8, s7, s69
	s_mul_i32 s9, s8, s66
	s_ashr_i32 s6, s63, 31
	s_sub_i32 s7, s7, s9
	s_xor_b32 s6, s6, s68
	s_add_i32 s9, s8, 1
	s_sub_i32 s10, s7, s66
	s_cmp_ge_u32 s7, s66
	s_cselect_b32 s8, s9, s8
	s_cselect_b32 s7, s10, s7
	s_add_i32 s9, s8, 1
	s_cmp_ge_u32 s7, s66
	s_cselect_b32 s7, s9, s8
	s_xor_b32 s7, s7, s6
	s_sub_i32 s6, s7, s6
	s_abs_i32 s8, s6
	s_mul_i32 s7, s6, s33
	s_mul_hi_u32 s9, s8, s71
	s_sub_i32 s7, s63, s7
	s_mul_i32 s10, s9, s67
	s_lshl_b32 s72, s7, 6
	s_ashr_i32 s7, s6, 31
	s_sub_i32 s8, s8, s10
	s_xor_b32 s7, s7, s70
	s_add_i32 s10, s9, 1
	s_sub_i32 s11, s8, s67
	s_cmp_ge_u32 s8, s67
	s_cselect_b32 s9, s10, s9
	s_cselect_b32 s8, s11, s8
	s_add_i32 s10, s9, 1
	s_cmp_ge_u32 s8, s67
	s_cselect_b32 s8, s10, s9
	s_xor_b32 s8, s8, s7
	s_sub_i32 s7, s8, s7
	s_mul_i32 s8, s7, s64
	s_lshl_b32 s73, s8, 7
	s_cmp_eq_u32 s7, s40
	s_cselect_b32 s75, s65, s64
	s_sub_i32 s74, s72, s36
	s_add_i32 s74, s74, 64
	s_and_saveexec_b64 s[8:9], s[2:3]
	s_xor_b64 s[52:53], exec, s[8:9]
	s_cbranch_execz .LBB147_41
; %bb.8:                                ;   in Loop: Header=BB147_7 Depth=1
	s_mul_i32 s7, s7, s62
	s_sub_i32 s6, s6, s7
	s_lshl_b32 s6, s6, 5
	s_sub_i32 s14, s6, s37
	s_add_i32 s14, s14, 32
	s_max_i32 s7, s14, 0
	s_sub_i32 s54, s6, s7
	s_and_saveexec_b64 s[6:7], s[0:1]
	s_xor_b64 s[56:57], exec, s[6:7]
	s_cbranch_execz .LBB147_31
; %bb.9:                                ;   in Loop: Header=BB147_7 Depth=1
	s_and_saveexec_b64 s[58:59], s[4:5]
	s_cbranch_execz .LBB147_30
; %bb.10:                               ;   in Loop: Header=BB147_7 Depth=1
	s_waitcnt lgkmcnt(0)
	global_load_dword v80, v17, s[50:51]
	v_mov_b32_e32 v15, 0
	v_cmp_gt_i32_e32 vcc, s75, v79
	v_mov_b32_e32 v14, v15
	v_mov_b32_e32 v13, v15
	;; [unrolled: 1-line block ×15, first 2 shown]
	s_and_saveexec_b64 s[6:7], vcc
	s_cbranch_execz .LBB147_20
; %bb.11:                               ;   in Loop: Header=BB147_7 Depth=1
	v_mov_b32_e32 v0, 0
	s_mov_b64 s[8:9], 0
	v_mov_b32_e32 v1, v0
	v_mov_b32_e32 v2, v0
	;; [unrolled: 1-line block ×15, first 2 shown]
	s_branch .LBB147_13
.LBB147_12:                             ;   in Loop: Header=BB147_13 Depth=2
	s_or_b64 exec, exec, s[10:11]
	v_add_u32_e32 v86, v58, v84
	ds_read2_b32 v[84:85], v86 offset1:32
	v_add_u32_e32 v79, s43, v79
	s_waitcnt lgkmcnt(0)
	v_mfma_f32_32x32x16_fp8_fp8 v[0:15], v[52:53], v[84:85], v[0:15]
	ds_read2_b32 v[52:53], v86 offset0:128 offset1:160
	s_waitcnt lgkmcnt(0)
	v_mfma_f32_32x32x16_fp8_fp8 v[0:15], v[50:51], v[52:53], v[0:15]
	v_add_u32_e32 v52, 0x400, v86
	ds_read2_b32 v[50:51], v52 offset1:32
	s_waitcnt lgkmcnt(0)
	v_mfma_f32_32x32x16_fp8_fp8 v[0:15], v[48:49], v[50:51], v[0:15]
	ds_read2_b32 v[48:49], v52 offset0:128 offset1:160
	s_waitcnt lgkmcnt(0)
	v_mfma_f32_32x32x16_fp8_fp8 v[0:15], v[46:47], v[48:49], v[0:15]
	v_add_u32_e32 v48, 0x800, v86
	ds_read2_b32 v[46:47], v48 offset1:32
	;; [unrolled: 7-line block ×3, first 2 shown]
	ds_read2_b32 v[44:45], v44 offset0:128 offset1:160
	ds_write_b32 v82, v83 offset:12292
	s_waitcnt lgkmcnt(2)
	v_mfma_f32_32x32x16_fp8_fp8 v[0:15], v[40:41], v[42:43], v[0:15]
	v_add_u32_e32 v40, s43, v81
	v_add_u32_e32 v41, 2, v55
	v_cmp_lt_i32_e32 vcc, 0, v40
	s_nop 1
	v_cndmask_b32_e32 v55, v55, v41, vcc
	v_cmp_le_i32_e32 vcc, s75, v79
	s_waitcnt lgkmcnt(1)
	v_mfma_f32_32x32x16_fp8_fp8 v[0:15], v[38:39], v[44:45], v[0:15]
	s_or_b64 s[8:9], vcc, s[8:9]
	s_andn2_b64 exec, exec, s[8:9]
	s_cbranch_execz .LBB147_19
.LBB147_13:                             ;   Parent Loop BB147_7 Depth=1
                                        ; =>  This Loop Header: Depth=2
                                        ;       Child Loop BB147_15 Depth 3
                                        ;       Child Loop BB147_18 Depth 3
	v_cmp_lt_i32_e32 vcc, 0, v40
	s_nop 1
	v_subbrev_co_u32_e32 v81, vcc, 0, v40, vcc
	v_lshlrev_b32_e32 v82, 3, v81
	ds_read_b32 v38, v82 offset:12288
	s_waitcnt lgkmcnt(0)
	v_cmp_ne_u32_e32 vcc, v38, v55
	s_and_saveexec_b64 s[10:11], vcc
	s_cbranch_execz .LBB147_16
; %bb.14:                               ;   in Loop: Header=BB147_13 Depth=2
	s_mov_b64 s[12:13], 0
.LBB147_15:                             ;   Parent Loop BB147_7 Depth=1
                                        ;     Parent Loop BB147_13 Depth=2
                                        ; =>    This Inner Loop Header: Depth=3
	;;#ASMSTART
	s_sleep 0
	;;#ASMEND
	ds_read_b32 v38, v82 offset:12288
	s_waitcnt lgkmcnt(0)
	v_cmp_eq_u32_e32 vcc, v38, v55
	s_or_b64 s[12:13], vcc, s[12:13]
	s_andn2_b64 exec, exec, s[12:13]
	s_cbranch_execnz .LBB147_15
.LBB147_16:                             ;   in Loop: Header=BB147_13 Depth=2
	s_or_b64 exec, exec, s[10:11]
	v_lshlrev_b32_e32 v84, 12, v81
	v_or_b32_e32 v38, v57, v84
	v_add_u32_e32 v39, 0x400, v38
	ds_read2_b32 v[52:53], v38 offset1:32
	ds_read2_b32 v[50:51], v38 offset0:128 offset1:160
	ds_read2_b32 v[48:49], v39 offset1:32
	ds_read2_b32 v[46:47], v39 offset0:128 offset1:160
	v_add_u32_e32 v39, 0x800, v38
	v_add_u32_e32 v38, 0xc00, v38
	ds_read2_b32 v[44:45], v39 offset1:32
	ds_read2_b32 v[42:43], v39 offset0:128 offset1:160
	ds_read2_b32 v[40:41], v38 offset1:32
	ds_read_b32 v85, v82 offset:12292
	ds_read2_b32 v[38:39], v38 offset0:128 offset1:160
	v_add_u32_e32 v83, 1, v55
	ds_write_b32 v82, v83 offset:12288
	s_waitcnt lgkmcnt(2)
	v_cmp_ne_u32_e32 vcc, v85, v55
	s_and_saveexec_b64 s[10:11], vcc
	s_cbranch_execz .LBB147_12
; %bb.17:                               ;   in Loop: Header=BB147_13 Depth=2
	s_mov_b64 s[12:13], 0
.LBB147_18:                             ;   Parent Loop BB147_7 Depth=1
                                        ;     Parent Loop BB147_13 Depth=2
                                        ; =>    This Inner Loop Header: Depth=3
	;;#ASMSTART
	s_sleep 0
	;;#ASMEND
	ds_read_b32 v85, v82 offset:12292
	s_waitcnt lgkmcnt(0)
	v_cmp_eq_u32_e32 vcc, v85, v55
	s_or_b64 s[12:13], vcc, s[12:13]
	s_andn2_b64 exec, exec, s[12:13]
	s_cbranch_execnz .LBB147_18
	s_branch .LBB147_12
.LBB147_19:                             ;   in Loop: Header=BB147_7 Depth=1
	s_or_b64 exec, exec, s[8:9]
.LBB147_20:                             ;   in Loop: Header=BB147_7 Depth=1
	s_or_b64 exec, exec, s[6:7]
	v_cmp_le_i32_e32 vcc, s14, v56
	v_cmp_eq_u32_e64 s[6:7], 3, v59
	v_cmp_eq_u32_e64 s[8:9], 4, v59
	s_waitcnt vmcnt(0)
	v_cndmask_b32_e32 v38, 0, v80, vcc
	s_nop 1
	v_pk_mul_f32 v[0:1], v[38:39], v[0:1] op_sel_hi:[0,1]
	v_cmp_eq_u32_e32 vcc, 1, v59
	v_pk_mul_f32 v[14:15], v[38:39], v[14:15] op_sel_hi:[0,1]
	v_pk_mul_f32 v[12:13], v[38:39], v[12:13] op_sel_hi:[0,1]
	;; [unrolled: 1-line block ×7, first 2 shown]
	v_cndmask_b32_e32 v38, v0, v1, vcc
	v_cmp_eq_u32_e32 vcc, 2, v59
	v_cmp_eq_u32_e64 s[10:11], 5, v59
	v_cmp_eq_u32_e64 s[12:13], 6, v59
	v_cndmask_b32_e32 v38, v38, v2, vcc
	v_cndmask_b32_e64 v38, v38, v3, s[6:7]
	v_cndmask_b32_e64 v38, v38, v4, s[8:9]
	;; [unrolled: 1-line block ×4, first 2 shown]
	v_cmp_eq_u32_e64 s[14:15], 7, v59
	v_cmp_eq_u32_e64 s[16:17], 8, v59
	v_cmp_eq_u32_e64 s[18:19], 9, v59
	v_cndmask_b32_e64 v38, v38, v7, s[14:15]
	v_cndmask_b32_e64 v38, v38, v8, s[16:17]
	v_cndmask_b32_e64 v38, v38, v9, s[18:19]
	v_cmp_eq_u32_e64 s[20:21], 10, v59
	v_cmp_eq_u32_e64 s[22:23], 11, v59
	v_cmp_eq_u32_e64 s[24:25], 12, v59
	v_cndmask_b32_e64 v38, v38, v10, s[20:21]
	v_cndmask_b32_e64 v38, v38, v11, s[22:23]
	v_cndmask_b32_e64 v38, v38, v12, s[24:25]
	;; [unrolled: 6-line block ×3, first 2 shown]
	ds_bpermute_b32 v38, v78, v38
	v_cmp_eq_u32_e64 s[34:35], 15, v60
	s_waitcnt lgkmcnt(0)
	v_cndmask_b32_e32 v2, v2, v38, vcc
	v_cmp_ne_u32_e32 vcc, 0, v59
	v_cndmask_b32_e64 v15, v15, v38, s[30:31]
	v_cndmask_b32_e64 v14, v14, v38, s[28:29]
	v_cndmask_b32_e32 v1, v1, v38, vcc
	v_cmp_eq_u32_e32 vcc, 0, v59
	v_cndmask_b32_e64 v13, v13, v38, s[26:27]
	v_cndmask_b32_e64 v12, v12, v38, s[24:25]
	v_cndmask_b32_e32 v0, v0, v38, vcc
	v_cmp_eq_u32_e32 vcc, 1, v60
	v_cndmask_b32_e64 v11, v11, v38, s[22:23]
	v_cndmask_b32_e64 v10, v10, v38, s[20:21]
	;; [unrolled: 1-line block ×9, first 2 shown]
	v_cndmask_b32_e32 v38, v0, v1, vcc
	v_cmp_eq_u32_e64 s[6:7], 2, v60
	v_cmp_eq_u32_e64 s[8:9], 3, v60
	v_cmp_eq_u32_e64 s[10:11], 4, v60
	v_cndmask_b32_e64 v38, v38, v2, s[6:7]
	v_cndmask_b32_e64 v38, v38, v3, s[8:9]
	v_cndmask_b32_e64 v38, v38, v4, s[10:11]
	v_cmp_eq_u32_e64 s[12:13], 5, v60
	v_cmp_eq_u32_e64 s[14:15], 6, v60
	v_cmp_eq_u32_e64 s[16:17], 7, v60
	v_cndmask_b32_e64 v38, v38, v5, s[12:13]
	v_cndmask_b32_e64 v38, v38, v6, s[14:15]
	v_cndmask_b32_e64 v38, v38, v7, s[16:17]
	;; [unrolled: 6-line block ×4, first 2 shown]
	v_cmp_eq_u32_e64 s[30:31], 14, v60
	s_nop 1
	v_cndmask_b32_e64 v38, v38, v14, s[30:31]
	v_cndmask_b32_e64 v38, v38, v15, s[34:35]
	ds_bpermute_b32 v38, v78, v38
	s_waitcnt lgkmcnt(0)
	v_cndmask_b32_e32 v1, v1, v38, vcc
	v_cmp_eq_u32_e32 vcc, 0, v60
	v_cndmask_b32_e64 v15, v15, v38, s[34:35]
	v_cndmask_b32_e64 v14, v14, v38, s[30:31]
	v_cndmask_b32_e32 v0, v0, v38, vcc
	v_cmp_eq_u32_e32 vcc, 1, v61
	v_cndmask_b32_e64 v13, v13, v38, s[28:29]
	v_cndmask_b32_e64 v12, v12, v38, s[26:27]
	v_cndmask_b32_e64 v11, v11, v38, s[24:25]
	v_cndmask_b32_e64 v10, v10, v38, s[22:23]
	v_cndmask_b32_e64 v9, v9, v38, s[20:21]
	v_cndmask_b32_e64 v8, v8, v38, s[18:19]
	v_cndmask_b32_e64 v7, v7, v38, s[16:17]
	v_cndmask_b32_e64 v6, v6, v38, s[14:15]
	v_cndmask_b32_e64 v5, v5, v38, s[12:13]
	v_cndmask_b32_e64 v4, v4, v38, s[10:11]
	v_cndmask_b32_e64 v3, v3, v38, s[8:9]
	v_cndmask_b32_e64 v2, v2, v38, s[6:7]
	v_cndmask_b32_e32 v38, v0, v1, vcc
	v_cmp_eq_u32_e64 s[6:7], 2, v61
	v_cmp_eq_u32_e64 s[8:9], 3, v61
	v_cmp_eq_u32_e64 s[10:11], 4, v61
	v_cndmask_b32_e64 v38, v38, v2, s[6:7]
	v_cndmask_b32_e64 v38, v38, v3, s[8:9]
	v_cndmask_b32_e64 v38, v38, v4, s[10:11]
	v_cmp_eq_u32_e64 s[12:13], 5, v61
	v_cmp_eq_u32_e64 s[14:15], 6, v61
	v_cmp_eq_u32_e64 s[16:17], 7, v61
	v_cndmask_b32_e64 v38, v38, v5, s[12:13]
	v_cndmask_b32_e64 v38, v38, v6, s[14:15]
	v_cndmask_b32_e64 v38, v38, v7, s[16:17]
	v_cmp_eq_u32_e64 s[18:19], 8, v61
	v_cmp_eq_u32_e64 s[20:21], 9, v61
	v_cmp_eq_u32_e64 s[22:23], 10, v61
	v_cndmask_b32_e64 v38, v38, v8, s[18:19]
	v_cndmask_b32_e64 v38, v38, v9, s[20:21]
	v_cndmask_b32_e64 v38, v38, v10, s[22:23]
	v_cmp_eq_u32_e64 s[24:25], 11, v61
	v_cmp_eq_u32_e64 s[26:27], 12, v61
	v_cmp_eq_u32_e64 s[28:29], 13, v61
	v_cndmask_b32_e64 v38, v38, v11, s[24:25]
	v_cndmask_b32_e64 v38, v38, v12, s[26:27]
	v_cndmask_b32_e64 v38, v38, v13, s[28:29]
	v_cmp_eq_u32_e64 s[30:31], 14, v61
	v_cmp_eq_u32_e64 s[34:35], 15, v61
	s_nop 0
	v_cndmask_b32_e64 v38, v38, v14, s[30:31]
	v_cndmask_b32_e64 v38, v38, v15, s[34:35]
	ds_bpermute_b32 v38, v78, v38
	s_waitcnt lgkmcnt(0)
	v_cndmask_b32_e32 v1, v1, v38, vcc
	v_cmp_eq_u32_e32 vcc, 0, v61
	v_cndmask_b32_e64 v15, v15, v38, s[34:35]
	v_cndmask_b32_e64 v14, v14, v38, s[30:31]
	v_cndmask_b32_e32 v0, v0, v38, vcc
	v_cmp_eq_u32_e32 vcc, 1, v62
	v_cndmask_b32_e64 v13, v13, v38, s[28:29]
	v_cndmask_b32_e64 v12, v12, v38, s[26:27]
	v_cndmask_b32_e64 v11, v11, v38, s[24:25]
	v_cndmask_b32_e64 v10, v10, v38, s[22:23]
	v_cndmask_b32_e64 v9, v9, v38, s[20:21]
	v_cndmask_b32_e64 v8, v8, v38, s[18:19]
	v_cndmask_b32_e64 v7, v7, v38, s[16:17]
	v_cndmask_b32_e64 v6, v6, v38, s[14:15]
	v_cndmask_b32_e64 v5, v5, v38, s[12:13]
	v_cndmask_b32_e64 v4, v4, v38, s[10:11]
	v_cndmask_b32_e64 v3, v3, v38, s[8:9]
	v_cndmask_b32_e64 v2, v2, v38, s[6:7]
	v_cndmask_b32_e32 v38, v0, v1, vcc
	v_cmp_eq_u32_e64 s[6:7], 2, v62
	v_cmp_eq_u32_e64 s[8:9], 3, v62
	v_cmp_eq_u32_e64 s[10:11], 4, v62
	v_cndmask_b32_e64 v38, v38, v2, s[6:7]
	v_cndmask_b32_e64 v38, v38, v3, s[8:9]
	v_cndmask_b32_e64 v38, v38, v4, s[10:11]
	v_cmp_eq_u32_e64 s[12:13], 5, v62
	v_cmp_eq_u32_e64 s[14:15], 6, v62
	v_cmp_eq_u32_e64 s[16:17], 7, v62
	v_cndmask_b32_e64 v38, v38, v5, s[12:13]
	v_cndmask_b32_e64 v38, v38, v6, s[14:15]
	v_cndmask_b32_e64 v38, v38, v7, s[16:17]
	v_cmp_eq_u32_e64 s[18:19], 8, v62
	v_cmp_eq_u32_e64 s[20:21], 9, v62
	v_cmp_eq_u32_e64 s[22:23], 10, v62
	v_cndmask_b32_e64 v38, v38, v8, s[18:19]
	v_cndmask_b32_e64 v38, v38, v9, s[20:21]
	v_cndmask_b32_e64 v38, v38, v10, s[22:23]
	v_cmp_eq_u32_e64 s[24:25], 11, v62
	v_cmp_eq_u32_e64 s[26:27], 12, v62
	v_cmp_eq_u32_e64 s[28:29], 13, v62
	v_cndmask_b32_e64 v38, v38, v11, s[24:25]
	v_cndmask_b32_e64 v38, v38, v12, s[26:27]
	v_cndmask_b32_e64 v38, v38, v13, s[28:29]
	v_cmp_eq_u32_e64 s[30:31], 14, v62
	;; [unrolled: 50-line block ×4, first 2 shown]
	v_cmp_eq_u32_e64 s[34:35], 15, v64
	s_nop 0
	v_cndmask_b32_e64 v38, v38, v14, s[30:31]
	v_cndmask_b32_e64 v38, v38, v15, s[34:35]
	ds_bpermute_b32 v38, v78, v38
	s_waitcnt lgkmcnt(0)
	v_cndmask_b32_e32 v1, v1, v38, vcc
	v_cmp_eq_u32_e32 vcc, 0, v64
	v_cndmask_b32_e64 v15, v15, v38, s[34:35]
	v_cndmask_b32_e64 v14, v14, v38, s[30:31]
	;; [unrolled: 1-line block ×14, first 2 shown]
	v_cndmask_b32_e32 v38, v0, v38, vcc
	v_cmp_eq_u32_e32 vcc, 1, v65
	v_cmp_eq_u32_e64 s[6:7], 2, v65
	v_cmp_eq_u32_e64 s[8:9], 3, v65
	v_cndmask_b32_e32 v0, v38, v1, vcc
	v_cndmask_b32_e64 v0, v0, v47, s[6:7]
	v_cndmask_b32_e64 v0, v0, v46, s[8:9]
	v_cmp_eq_u32_e64 s[10:11], 4, v65
	v_cmp_eq_u32_e64 s[12:13], 5, v65
	v_cmp_eq_u32_e64 s[14:15], 6, v65
	v_cndmask_b32_e64 v0, v0, v45, s[10:11]
	v_cndmask_b32_e64 v0, v0, v44, s[12:13]
	v_cndmask_b32_e64 v0, v0, v43, s[14:15]
	v_cmp_eq_u32_e64 s[16:17], 7, v65
	v_cmp_eq_u32_e64 s[18:19], 8, v65
	v_cmp_eq_u32_e64 s[20:21], 9, v65
	v_cndmask_b32_e64 v0, v0, v42, s[16:17]
	;; [unrolled: 6-line block ×4, first 2 shown]
	v_cndmask_b32_e64 v0, v0, v14, s[30:31]
	v_cndmask_b32_e64 v0, v0, v15, s[34:35]
	ds_bpermute_b32 v48, v78, v0
	s_waitcnt lgkmcnt(0)
	v_cndmask_b32_e32 v0, v1, v48, vcc
	v_cmp_eq_u32_e32 vcc, 0, v65
	v_cndmask_b32_e64 v4, v15, v48, s[34:35]
	v_cndmask_b32_e64 v15, v47, v48, s[6:7]
	v_cndmask_b32_e32 v1, v38, v48, vcc
	v_cmp_eq_u32_e32 vcc, 1, v66
	v_cndmask_b32_e64 v5, v14, v48, s[30:31]
	v_cndmask_b32_e64 v14, v46, v48, s[8:9]
	;; [unrolled: 4-line block ×7, first 2 shown]
	v_cndmask_b32_e32 v38, v38, v13, vcc
	v_cmp_eq_u32_e32 vcc, 7, v66
	s_nop 1
	v_cndmask_b32_e32 v38, v38, v12, vcc
	v_cmp_eq_u32_e32 vcc, 8, v66
	s_nop 1
	;; [unrolled: 3-line block ×9, first 2 shown]
	v_cndmask_b32_e32 v38, v38, v4, vcc
	ds_bpermute_b32 v38, v78, v38
	v_cmp_lt_i32_e32 vcc, s74, v67
	s_and_saveexec_b64 s[60:61], vcc
	s_cbranch_execz .LBB147_29
; %bb.21:                               ;   in Loop: Header=BB147_7 Depth=1
	s_mul_i32 s6, s72, s37
	s_ashr_i32 s7, s6, 31
	s_lshl_b64 s[6:7], s[6:7], 1
	v_cmp_eq_u32_e64 s[30:31], 1, v66
	s_add_u32 s8, s48, s6
	s_addc_u32 s9, s49, s7
	s_waitcnt lgkmcnt(0)
	v_cndmask_b32_e64 v0, v0, v38, s[30:31]
	v_cmp_eq_u32_e64 s[30:31], 0, v66
	s_ashr_i32 s55, s54, 31
	s_lshl_b64 s[6:7], s[54:55], 1
	v_cndmask_b32_e64 v1, v1, v38, s[30:31]
	v_cvt_f16_f32_e32 v39, v1
	v_cvt_f16_f32_sdwa v41, v0 dst_sel:WORD_1 dst_unused:UNUSED_PAD src0_sel:DWORD
	s_add_u32 s34, s8, s6
	s_addc_u32 s35, s9, s7
	v_cmp_eq_u32_e64 s[8:9], 15, v66
	v_cmp_eq_u32_e64 s[10:11], 14, v66
	v_cmp_eq_u32_e64 s[12:13], 13, v66
	v_cmp_eq_u32_e64 s[14:15], 12, v66
	v_cmp_eq_u32_e64 s[16:17], 11, v66
	v_cmp_eq_u32_e64 s[18:19], 10, v66
	v_cmp_eq_u32_e64 s[20:21], 9, v66
	v_cmp_eq_u32_e64 s[22:23], 8, v66
	v_cmp_eq_u32_e64 s[24:25], 7, v66
	v_cmp_eq_u32_e64 s[26:27], 6, v66
	v_cmp_eq_u32_e32 vcc, 5, v66
	v_cmp_eq_u32_e64 s[6:7], 4, v66
	v_cmp_eq_u32_e64 s[28:29], 3, v66
	;; [unrolled: 1-line block ×3, first 2 shown]
	v_lshl_add_u64 v[0:1], s[34:35], 0, v[16:17]
	v_cmp_lt_i32_e64 s[34:35], s74, v68
	v_lshl_add_u64 v[42:43], v[18:19], 1, v[0:1]
	v_or_b32_e32 v39, v41, v39
	;;#ASMSTART
	global_atomic_pk_add_f16 v[42:43], v39, off
	
	;;#ASMEND
	s_and_b64 exec, exec, s[34:35]
	s_cbranch_execz .LBB147_29
; %bb.22:                               ;   in Loop: Header=BB147_7 Depth=1
	v_cndmask_b32_e64 v14, v14, v38, s[28:29]
	v_cndmask_b32_e64 v15, v15, v38, s[30:31]
	v_cvt_f16_f32_e32 v39, v15
	v_cvt_f16_f32_sdwa v41, v14 dst_sel:WORD_1 dst_unused:UNUSED_PAD src0_sel:DWORD
	v_cndmask_b32_e64 v4, v4, v38, s[8:9]
	v_cndmask_b32_e64 v5, v5, v38, s[10:11]
	;; [unrolled: 1-line block ×10, first 2 shown]
	v_cndmask_b32_e32 v2, v2, v38, vcc
	v_cndmask_b32_e64 v3, v3, v38, s[6:7]
	v_cmp_lt_i32_e32 vcc, s74, v69
	v_lshl_add_u64 v[14:15], v[20:21], 1, v[0:1]
	v_or_b32_e32 v38, v41, v39
	;;#ASMSTART
	global_atomic_pk_add_f16 v[14:15], v38, off
	
	;;#ASMEND
	s_and_b64 exec, exec, vcc
	s_cbranch_execz .LBB147_29
; %bb.23:                               ;   in Loop: Header=BB147_7 Depth=1
	v_cvt_f16_f32_e32 v14, v3
	v_cvt_f16_f32_sdwa v15, v2 dst_sel:WORD_1 dst_unused:UNUSED_PAD src0_sel:DWORD
	v_cmp_lt_i32_e32 vcc, s74, v70
	v_lshl_add_u64 v[2:3], v[22:23], 1, v[0:1]
	v_or_b32_e32 v14, v15, v14
	;;#ASMSTART
	global_atomic_pk_add_f16 v[2:3], v14, off
	
	;;#ASMEND
	s_and_b64 exec, exec, vcc
	s_cbranch_execz .LBB147_29
; %bb.24:                               ;   in Loop: Header=BB147_7 Depth=1
	v_cvt_f16_f32_e32 v13, v13
	v_cvt_f16_f32_sdwa v12, v12 dst_sel:WORD_1 dst_unused:UNUSED_PAD src0_sel:DWORD
	;; [unrolled: 12-line block ×6, first 2 shown]
	v_lshl_add_u64 v[0:1], v[32:33], 1, v[0:1]
	v_or_b32_e32 v2, v3, v2
	;;#ASMSTART
	global_atomic_pk_add_f16 v[0:1], v2, off
	
	;;#ASMEND
.LBB147_29:                             ;   in Loop: Header=BB147_7 Depth=1
	s_or_b64 exec, exec, s[60:61]
	v_subrev_u32_e32 v79, s75, v79
.LBB147_30:                             ;   in Loop: Header=BB147_7 Depth=1
	s_or_b64 exec, exec, s[58:59]
.LBB147_31:                             ;   in Loop: Header=BB147_7 Depth=1
	s_andn2_saveexec_b64 s[6:7], s[56:57]
	s_cbranch_execz .LBB147_40
; %bb.32:                               ;   in Loop: Header=BB147_7 Depth=1
	v_cmp_gt_i32_e32 vcc, s75, v79
	s_and_saveexec_b64 s[8:9], vcc
	s_cbranch_execz .LBB147_39
; %bb.33:                               ;   in Loop: Header=BB147_7 Depth=1
	s_mul_i32 s10, s54, s39
	s_ashr_i32 s11, s10, 31
	s_waitcnt lgkmcnt(0)
	s_add_u32 s10, s46, s10
	s_addc_u32 s11, s47, s11
	s_ashr_i32 s12, s73, 31
	s_add_u32 s10, s10, s73
	s_addc_u32 s11, s11, s12
	v_lshl_add_u64 v[0:1], s[10:11], 0, v[36:37]
	v_lshl_add_u64 v[38:39], v[0:1], 0, v[34:35]
	s_mov_b64 s[10:11], 0
	s_branch .LBB147_35
.LBB147_34:                             ;   in Loop: Header=BB147_35 Depth=2
	s_or_b64 exec, exec, s[12:13]
	v_lshl_add_u32 v42, v40, 12, v75
	;;#ASMSTART
	s_waitcnt vmcnt(3)
	;;#ASMEND
	ds_write2_b32 v42, v12, v13 offset1:32
	ds_write2_b32 v42, v14, v15 offset0:64 offset1:96
	v_add_u32_e32 v12, 0x400, v42
	;;#ASMSTART
	s_waitcnt vmcnt(2)
	;;#ASMEND
	ds_write2_b32 v12, v8, v9 offset1:32
	ds_write2_b32 v12, v10, v11 offset0:64 offset1:96
	v_add_u32_e32 v8, 0x800, v42
	;; [unrolled: 6-line block ×3, first 2 shown]
	v_add_u32_e32 v79, s42, v79
	;;#ASMSTART
	s_waitcnt vmcnt(0)
	;;#ASMEND
	ds_write2_b32 v4, v0, v1 offset1:32
	ds_write2_b32 v4, v2, v3 offset0:64 offset1:96
	v_add_u32_e32 v0, 1, v55
	v_add_u32_e32 v40, s42, v40
	v_cmp_le_i32_e32 vcc, s75, v79
	ds_write_b32 v41, v0 offset:8
	v_add_u32_e32 v0, 2, v55
	s_or_b64 s[10:11], vcc, s[10:11]
	v_cmp_lt_i32_e32 vcc, 0, v40
	s_nop 1
	v_cndmask_b32_e32 v55, v55, v0, vcc
	s_andn2_b64 exec, exec, s[10:11]
	s_cbranch_execz .LBB147_38
.LBB147_35:                             ;   Parent Loop BB147_7 Depth=1
                                        ; =>  This Loop Header: Depth=2
                                        ;       Child Loop BB147_37 Depth 3
	v_cmp_lt_i32_e32 vcc, 0, v40
	v_lshlrev_b32_e32 v0, 7, v79
	v_ashrrev_i32_e32 v1, 31, v0
	v_subbrev_co_u32_e32 v40, vcc, 0, v40, vcc
	v_lshl_add_u64 v[0:1], v[38:39], 0, v[0:1]
	v_lshlrev_b32_e32 v41, 2, v40
	;;#ASMSTART
	global_load_dwordx4 v[12:15], v[0:1], off offset:0   sc0 sc1 nt  
	global_load_dwordx4 v[8:11], v[0:1], off offset:32  sc0 sc1 nt  
	global_load_dwordx4 v[4:7], v[0:1], off offset:64  sc0 sc1 nt  
	;; [unrolled: 1-line block ×3, first 2 shown]
	
	;;#ASMEND
	ds_read_b32 v42, v41 offset:12296
	v_add_u32_e32 v41, 0x3000, v41
	s_waitcnt lgkmcnt(0)
	v_cmp_ne_u32_e32 vcc, v42, v55
	s_and_saveexec_b64 s[12:13], vcc
	s_cbranch_execz .LBB147_34
; %bb.36:                               ;   in Loop: Header=BB147_35 Depth=2
	s_mov_b64 s[14:15], 0
.LBB147_37:                             ;   Parent Loop BB147_7 Depth=1
                                        ;     Parent Loop BB147_35 Depth=2
                                        ; =>    This Inner Loop Header: Depth=3
	;;#ASMSTART
	s_sleep 0
	;;#ASMEND
	ds_read_b32 v42, v41 offset:8
	s_waitcnt lgkmcnt(0)
	v_cmp_eq_u32_e32 vcc, v42, v55
	s_or_b64 s[14:15], vcc, s[14:15]
	s_andn2_b64 exec, exec, s[14:15]
	s_cbranch_execnz .LBB147_37
	s_branch .LBB147_34
.LBB147_38:                             ;   in Loop: Header=BB147_7 Depth=1
	s_or_b64 exec, exec, s[10:11]
.LBB147_39:                             ;   in Loop: Header=BB147_7 Depth=1
	s_or_b64 exec, exec, s[8:9]
	v_subrev_u32_e32 v79, s75, v79
.LBB147_40:                             ;   in Loop: Header=BB147_7 Depth=1
	s_or_b64 exec, exec, s[6:7]
.LBB147_41:                             ;   in Loop: Header=BB147_7 Depth=1
	s_andn2_saveexec_b64 s[6:7], s[52:53]
	s_cbranch_execz .LBB147_6
; %bb.42:                               ;   in Loop: Header=BB147_7 Depth=1
	s_lshl_b32 s16, s75, 1
	v_cmp_gt_i32_e32 vcc, s16, v79
	s_and_saveexec_b64 s[8:9], vcc
	s_cbranch_execz .LBB147_5
; %bb.43:                               ;   in Loop: Header=BB147_7 Depth=1
	s_mul_i32 s72, s72, s38
	s_max_i32 s12, s74, 0
	s_ashr_i32 s10, s72, 31
	s_waitcnt lgkmcnt(0)
	s_add_u32 s11, s44, s72
	v_add_u32_e32 v2, s12, v56
	s_addc_u32 s13, s45, s10
	s_ashr_i32 s14, s73, 31
	v_cmp_gt_u32_e32 vcc, 64, v2
	s_add_u32 s10, s11, s73
	s_addc_u32 s11, s13, s14
	v_cndmask_b32_e32 v0, 0, v76, vcc
	v_ashrrev_i32_e32 v1, 31, v0
	v_lshl_add_u64 v[0:1], s[10:11], 0, v[0:1]
	v_lshl_add_u64 v[38:39], v[0:1], 0, v[34:35]
	v_sub_u32_e32 v41, 63, v2
	s_mov_b64 s[10:11], 0
	s_branch .LBB147_45
.LBB147_44:                             ;   in Loop: Header=BB147_45 Depth=2
	s_or_b64 exec, exec, s[12:13]
	v_lshl_or_b32 v43, v40, 12, v77
	;;#ASMSTART
	s_waitcnt vmcnt(3)
	;;#ASMEND
	ds_write2_b32 v43, v12, v13 offset1:32
	ds_write2_b32 v43, v14, v15 offset0:64 offset1:96
	v_add_u32_e32 v12, 0x400, v43
	;;#ASMSTART
	s_waitcnt vmcnt(2)
	;;#ASMEND
	ds_write2_b32 v12, v8, v9 offset1:32
	ds_write2_b32 v12, v10, v11 offset0:64 offset1:96
	v_add_u32_e32 v8, 0x800, v43
	;; [unrolled: 6-line block ×3, first 2 shown]
	v_add_u32_e32 v79, s41, v79
	;;#ASMSTART
	s_waitcnt vmcnt(0)
	;;#ASMEND
	ds_write2_b32 v4, v0, v1 offset1:32
	ds_write2_b32 v4, v2, v3 offset0:64 offset1:96
	v_add_u32_e32 v0, 1, v55
	v_add_u32_e32 v40, s41, v40
	v_cmp_le_i32_e32 vcc, s16, v79
	ds_write_b32 v42, v0
	v_add_u32_e32 v0, 2, v55
	s_or_b64 s[10:11], vcc, s[10:11]
	v_cmp_lt_i32_e32 vcc, 1, v40
	s_nop 1
	v_cndmask_b32_e32 v55, v55, v0, vcc
	s_andn2_b64 exec, exec, s[10:11]
	s_cbranch_execz .LBB147_4
.LBB147_45:                             ;   Parent Loop BB147_7 Depth=1
                                        ; =>  This Loop Header: Depth=2
                                        ;       Child Loop BB147_47 Depth 3
	v_cmp_gt_i32_e32 vcc, 2, v40
	s_nop 1
	v_cndmask_b32_e64 v0, -2, 0, vcc
	v_add_u32_e32 v40, v0, v40
	v_lshrrev_b32_e32 v0, 31, v79
	v_add_u32_e32 v0, v79, v0
	v_and_b32_e32 v1, 0x7fffffe, v0
	v_sub_u32_e32 v1, v79, v1
	v_lshlrev_b32_e32 v1, 5, v1
	v_cmp_le_i32_e32 vcc, v1, v41
	v_lshlrev_b32_e32 v0, 6, v0
	v_and_b32_e32 v0, 0xffffff80, v0
	v_cndmask_b32_e32 v2, 0, v1, vcc
	v_ashrrev_i32_e32 v1, 31, v0
	v_mul_lo_u32 v2, v2, s38
	v_lshl_add_u64 v[0:1], v[38:39], 0, v[0:1]
	v_ashrrev_i32_e32 v3, 31, v2
	v_lshl_add_u64 v[0:1], v[0:1], 0, v[2:3]
	v_lshlrev_b32_e32 v42, 2, v40
	;;#ASMSTART
	global_load_dwordx4 v[12:15], v[0:1], off offset:0   
	global_load_dwordx4 v[8:11], v[0:1], off offset:32  
	;; [unrolled: 1-line block ×4, first 2 shown]
	
	;;#ASMEND
	ds_read_b32 v43, v42 offset:12288
	v_add_u32_e32 v42, 0x3000, v42
	s_waitcnt lgkmcnt(0)
	v_cmp_ne_u32_e32 vcc, v43, v55
	s_and_saveexec_b64 s[12:13], vcc
	s_cbranch_execz .LBB147_44
; %bb.46:                               ;   in Loop: Header=BB147_45 Depth=2
	s_mov_b64 s[14:15], 0
.LBB147_47:                             ;   Parent Loop BB147_7 Depth=1
                                        ;     Parent Loop BB147_45 Depth=2
                                        ; =>    This Inner Loop Header: Depth=3
	;;#ASMSTART
	s_sleep 0
	;;#ASMEND
	ds_read_b32 v43, v42
	s_waitcnt lgkmcnt(0)
	v_cmp_eq_u32_e32 vcc, v43, v55
	s_or_b64 s[14:15], vcc, s[14:15]
	s_andn2_b64 exec, exec, s[14:15]
	s_cbranch_execnz .LBB147_47
	s_branch .LBB147_44
.LBB147_48:
	s_endpgm
	.section	.rodata,"a",@progbits
	.p2align	6, 0x0
	.amdhsa_kernel _Z19_skinny_gemm_kernelILi2ELi1ELi1ELi32ELi8EEvPKhS1_P6__halfPKfiiiiiiii
		.amdhsa_group_segment_fixed_size 12300
		.amdhsa_private_segment_fixed_size 0
		.amdhsa_kernarg_size 64
		.amdhsa_user_sgpr_count 2
		.amdhsa_user_sgpr_dispatch_ptr 0
		.amdhsa_user_sgpr_queue_ptr 0
		.amdhsa_user_sgpr_kernarg_segment_ptr 1
		.amdhsa_user_sgpr_dispatch_id 0
		.amdhsa_user_sgpr_kernarg_preload_length 0
		.amdhsa_user_sgpr_kernarg_preload_offset 0
		.amdhsa_user_sgpr_private_segment_size 0
		.amdhsa_uses_dynamic_stack 0
		.amdhsa_enable_private_segment 0
		.amdhsa_system_sgpr_workgroup_id_x 1
		.amdhsa_system_sgpr_workgroup_id_y 0
		.amdhsa_system_sgpr_workgroup_id_z 0
		.amdhsa_system_sgpr_workgroup_info 0
		.amdhsa_system_vgpr_workitem_id 0
		.amdhsa_next_free_vgpr 87
		.amdhsa_next_free_sgpr 76
		.amdhsa_accum_offset 88
		.amdhsa_reserve_vcc 1
		.amdhsa_float_round_mode_32 0
		.amdhsa_float_round_mode_16_64 0
		.amdhsa_float_denorm_mode_32 3
		.amdhsa_float_denorm_mode_16_64 3
		.amdhsa_dx10_clamp 1
		.amdhsa_ieee_mode 1
		.amdhsa_fp16_overflow 0
		.amdhsa_tg_split 0
		.amdhsa_exception_fp_ieee_invalid_op 0
		.amdhsa_exception_fp_denorm_src 0
		.amdhsa_exception_fp_ieee_div_zero 0
		.amdhsa_exception_fp_ieee_overflow 0
		.amdhsa_exception_fp_ieee_underflow 0
		.amdhsa_exception_fp_ieee_inexact 0
		.amdhsa_exception_int_div_zero 0
	.end_amdhsa_kernel
	.section	.text._Z19_skinny_gemm_kernelILi2ELi1ELi1ELi32ELi8EEvPKhS1_P6__halfPKfiiiiiiii,"axG",@progbits,_Z19_skinny_gemm_kernelILi2ELi1ELi1ELi32ELi8EEvPKhS1_P6__halfPKfiiiiiiii,comdat
.Lfunc_end147:
	.size	_Z19_skinny_gemm_kernelILi2ELi1ELi1ELi32ELi8EEvPKhS1_P6__halfPKfiiiiiiii, .Lfunc_end147-_Z19_skinny_gemm_kernelILi2ELi1ELi1ELi32ELi8EEvPKhS1_P6__halfPKfiiiiiiii
                                        ; -- End function
	.set _Z19_skinny_gemm_kernelILi2ELi1ELi1ELi32ELi8EEvPKhS1_P6__halfPKfiiiiiiii.num_vgpr, 87
	.set _Z19_skinny_gemm_kernelILi2ELi1ELi1ELi32ELi8EEvPKhS1_P6__halfPKfiiiiiiii.num_agpr, 0
	.set _Z19_skinny_gemm_kernelILi2ELi1ELi1ELi32ELi8EEvPKhS1_P6__halfPKfiiiiiiii.numbered_sgpr, 76
	.set _Z19_skinny_gemm_kernelILi2ELi1ELi1ELi32ELi8EEvPKhS1_P6__halfPKfiiiiiiii.num_named_barrier, 0
	.set _Z19_skinny_gemm_kernelILi2ELi1ELi1ELi32ELi8EEvPKhS1_P6__halfPKfiiiiiiii.private_seg_size, 0
	.set _Z19_skinny_gemm_kernelILi2ELi1ELi1ELi32ELi8EEvPKhS1_P6__halfPKfiiiiiiii.uses_vcc, 1
	.set _Z19_skinny_gemm_kernelILi2ELi1ELi1ELi32ELi8EEvPKhS1_P6__halfPKfiiiiiiii.uses_flat_scratch, 0
	.set _Z19_skinny_gemm_kernelILi2ELi1ELi1ELi32ELi8EEvPKhS1_P6__halfPKfiiiiiiii.has_dyn_sized_stack, 0
	.set _Z19_skinny_gemm_kernelILi2ELi1ELi1ELi32ELi8EEvPKhS1_P6__halfPKfiiiiiiii.has_recursion, 0
	.set _Z19_skinny_gemm_kernelILi2ELi1ELi1ELi32ELi8EEvPKhS1_P6__halfPKfiiiiiiii.has_indirect_call, 0
	.section	.AMDGPU.csdata,"",@progbits
; Kernel info:
; codeLenInByte = 6388
; TotalNumSgprs: 82
; NumVgprs: 87
; NumAgprs: 0
; TotalNumVgprs: 87
; ScratchSize: 0
; MemoryBound: 0
; FloatMode: 240
; IeeeMode: 1
; LDSByteSize: 12300 bytes/workgroup (compile time only)
; SGPRBlocks: 10
; VGPRBlocks: 10
; NumSGPRsForWavesPerEU: 82
; NumVGPRsForWavesPerEU: 87
; AccumOffset: 88
; Occupancy: 5
; WaveLimiterHint : 0
; COMPUTE_PGM_RSRC2:SCRATCH_EN: 0
; COMPUTE_PGM_RSRC2:USER_SGPR: 2
; COMPUTE_PGM_RSRC2:TRAP_HANDLER: 0
; COMPUTE_PGM_RSRC2:TGID_X_EN: 1
; COMPUTE_PGM_RSRC2:TGID_Y_EN: 0
; COMPUTE_PGM_RSRC2:TGID_Z_EN: 0
; COMPUTE_PGM_RSRC2:TIDIG_COMP_CNT: 0
; COMPUTE_PGM_RSRC3_GFX90A:ACCUM_OFFSET: 21
; COMPUTE_PGM_RSRC3_GFX90A:TG_SPLIT: 0
	.section	.text._Z19_skinny_gemm_kernelILi2ELi1ELi2ELi16ELi4EEvPKhS1_P6__halfPKfiiiiiiii,"axG",@progbits,_Z19_skinny_gemm_kernelILi2ELi1ELi2ELi16ELi4EEvPKhS1_P6__halfPKfiiiiiiii,comdat
	.protected	_Z19_skinny_gemm_kernelILi2ELi1ELi2ELi16ELi4EEvPKhS1_P6__halfPKfiiiiiiii ; -- Begin function _Z19_skinny_gemm_kernelILi2ELi1ELi2ELi16ELi4EEvPKhS1_P6__halfPKfiiiiiiii
	.globl	_Z19_skinny_gemm_kernelILi2ELi1ELi2ELi16ELi4EEvPKhS1_P6__halfPKfiiiiiiii
	.p2align	8
	.type	_Z19_skinny_gemm_kernelILi2ELi1ELi2ELi16ELi4EEvPKhS1_P6__halfPKfiiiiiiii,@function
_Z19_skinny_gemm_kernelILi2ELi1ELi2ELi16ELi4EEvPKhS1_P6__halfPKfiiiiiiii: ; @_Z19_skinny_gemm_kernelILi2ELi1ELi2ELi16ELi4EEvPKhS1_P6__halfPKfiiiiiiii
; %bb.0:
	v_cmp_gt_u32_e32 vcc, 6, v0
	v_lshlrev_b32_e32 v1, 2, v0
	s_and_saveexec_b64 s[4:5], vcc
; %bb.1:
	v_mov_b32_e32 v2, 0
	ds_write_b32 v1, v2 offset:12288
; %bb.2:
	s_or_b64 exec, exec, s[4:5]
	s_load_dwordx8 s[12:19], s[0:1], 0x20
	s_waitcnt lgkmcnt(0)
	s_barrier
	s_add_i32 s3, s12, 31
	s_ashr_i32 s5, s3, 31
	s_add_i32 s4, s13, 15
	s_lshr_b32 s5, s5, 27
	s_ashr_i32 s6, s4, 31
	s_add_i32 s3, s3, s5
	s_ashr_i32 s33, s3, 5
	s_lshr_b32 s3, s6, 28
	s_add_i32 s4, s4, s3
	s_ashr_i32 s42, s4, 4
	s_mul_i32 s3, s42, s33
	s_mul_i32 s3, s3, s16
	s_add_i32 s4, s3, 0x12f
	s_mul_hi_i32 s4, s4, 0x6bca1af3
	s_lshr_b32 s5, s4, 31
	s_ashr_i32 s4, s4, 7
	s_add_i32 s4, s4, s5
	s_add_i32 s5, s2, 1
	s_mul_i32 s5, s4, s5
	v_cvt_f64_i32_e32 v[2:3], s3
	v_cvt_f64_u32_e32 v[4:5], s5
	v_min_f64 v[2:3], v[2:3], v[4:5]
	v_cvt_i32_f64_e32 v9, v[2:3]
	s_mul_i32 s43, s4, s2
	v_cmp_ge_i32_e32 vcc, s43, v9
	s_cbranch_vccnz .LBB148_47
; %bb.3:
	v_lshrrev_b32_e32 v2, 6, v0
	s_add_i32 s4, s18, s17
	s_load_dwordx8 s[20:27], s[0:1], 0x0
	v_cmp_le_i32_e64 s[0:1], s4, v2
	v_mov_b32_e32 v3, s17
	v_cmp_le_i32_e64 s[2:3], s17, v2
	v_mov_b32_e32 v4, s18
	v_cndmask_b32_e64 v4, 0, v4, s[0:1]
	v_cndmask_b32_e64 v3, 0, v3, s[2:3]
	s_abs_i32 s5, s16
	v_add_u32_e32 v3, v3, v4
	v_cvt_f32_u32_e32 v4, s5
	v_sub_u32_e32 v22, v2, v3
	s_ashr_i32 s6, s14, 31
	s_lshr_b32 s6, s6, 25
	v_rcp_iflag_f32_e32 v3, v4
	s_sub_i32 s9, 0, s5
	s_add_i32 s6, s14, s6
	s_ashr_i32 s6, s6, 7
	v_mul_f32_e32 v3, 0x4f7ffffe, v3
	v_cvt_u32_f32_e32 v3, v3
	s_abs_i32 s8, s6
	s_xor_b32 s7, s6, s16
	s_ashr_i32 s7, s7, 31
	v_readfirstlane_b32 s10, v3
	s_mul_i32 s9, s9, s10
	s_mul_hi_u32 s9, s10, s9
	s_add_i32 s10, s10, s9
	s_mul_hi_u32 s9, s8, s10
	s_mul_i32 s10, s9, s5
	s_sub_i32 s8, s8, s10
	s_add_i32 s10, s9, 1
	s_sub_i32 s11, s8, s5
	s_cmp_ge_u32 s8, s5
	s_cselect_b32 s9, s10, s9
	s_cselect_b32 s8, s11, s8
	s_add_i32 s10, s9, 1
	s_cmp_ge_u32 s8, s5
	s_cselect_b32 s5, s10, s9
	s_xor_b32 s5, s5, s7
	s_sub_i32 s44, s5, s7
	s_add_i32 s16, s16, -1
	s_mul_i32 s5, s44, s16
	s_add_i32 s4, s4, s19
	s_sub_i32 s45, s6, s5
	v_cmp_gt_i32_e64 s[4:5], s4, v2
	v_lshlrev_b32_e32 v2, 1, v0
	v_lshlrev_b32_e32 v3, 4, v0
	v_and_b32_e32 v1, 60, v1
	v_and_b32_e32 v2, 64, v2
	;; [unrolled: 1-line block ×3, first 2 shown]
	v_or3_b32 v27, v1, v2, v4
	v_and_b32_e32 v1, 1, v0
	v_lshrrev_b32_e32 v4, 2, v0
	s_abs_i32 s46, s33
	v_and_or_b32 v31, v4, 12, v1
	v_cvt_f32_u32_e32 v4, s46
	v_lshlrev_b32_e32 v2, 1, v1
	v_and_b32_e32 v8, 14, v0
	v_sub_u32_e32 v2, v0, v2
	v_bitop3_b32 v29, v0, 1, v0 bitop3:0xc
	v_bitop3_b32 v30, v0, 3, 1 bitop3:0x6c
	v_and_b32_e32 v14, 48, v3
	v_bfe_u32 v33, v0, 2, 4
	v_and_b32_e32 v1, 60, v0
	v_lshlrev_b32_e32 v3, 8, v0
	v_lshlrev_b32_e32 v0, 6, v0
	v_and_b32_e32 v3, 0x200, v3
	v_and_b32_e32 v0, 64, v0
	v_rcp_iflag_f32_e32 v4, v4
	s_abs_i32 s47, s42
	v_or3_b32 v34, v1, v3, v0
	v_cvt_f32_u32_e32 v1, s47
	v_mul_f32_e32 v0, 0x4f7ffffe, v4
	v_cvt_u32_f32_e32 v0, v0
	v_mad_u64_u32 v[10:11], s[6:7], s13, v31, v[8:9]
	v_rcp_iflag_f32_e32 v1, v1
	v_readfirstlane_b32 s7, v0
	s_sub_i32 s6, 0, s46
	s_mul_i32 s6, s6, s7
	v_mul_f32_e32 v0, 0x4f7ffffe, v1
	v_cvt_u32_f32_e32 v0, v0
	s_mul_hi_u32 s6, s7, s6
	v_add_u32_e32 v2, 1, v2
	s_add_i32 s49, s7, s6
	s_sub_i32 s6, 0, s47
	v_readfirstlane_b32 s7, v0
	v_mbcnt_lo_u32_b32 v0, -1, 0
	v_and_b32_e32 v2, 63, v2
	s_mul_i32 s6, s6, s7
	v_mbcnt_hi_u32_b32 v0, -1, v0
	v_lshl_add_u32 v12, s13, 4, v10
	v_mul_lo_u32 v16, s15, v33
	s_mul_hi_u32 s6, s7, s6
	v_and_or_b32 v0, v0, 64, v2
	v_cndmask_b32_e64 v26, 0, 1, s[0:1]
	v_or_b32_e32 v28, 0x2000, v27
	s_ashr_i32 s11, s13, 31
	s_mov_b32 s10, s13
	v_ashrrev_i32_e32 v11, 31, v10
	v_or_b32_e32 v32, 16, v31
	v_ashrrev_i32_e32 v13, 31, v12
	v_ashrrev_i32_e32 v17, 31, v16
	v_mov_b32_e32 v15, 0
	v_or_b32_e32 v35, 0x2000, v34
	v_mul_lo_u32 v36, s14, v33
	s_ashr_i32 s48, s33, 31
	s_ashr_i32 s50, s42, 31
	s_add_i32 s51, s7, s6
	v_lshlrev_b32_e32 v37, 2, v0
	v_mov_b32_e32 v38, v22
	s_branch .LBB148_7
.LBB148_4:                              ;   in Loop: Header=BB148_7 Depth=1
	s_or_b64 exec, exec, s[28:29]
.LBB148_5:                              ;   in Loop: Header=BB148_7 Depth=1
	s_or_b64 exec, exec, s[8:9]
	v_subrev_u32_e32 v38, s36, v38
.LBB148_6:                              ;   in Loop: Header=BB148_7 Depth=1
	s_or_b64 exec, exec, s[6:7]
	s_add_i32 s43, s43, 1
	v_cmp_ge_i32_e32 vcc, s43, v9
	s_cbranch_vccnz .LBB148_47
.LBB148_7:                              ; =>This Loop Header: Depth=1
                                        ;     Child Loop BB148_13 Depth 2
                                        ;       Child Loop BB148_15 Depth 3
                                        ;       Child Loop BB148_18 Depth 3
	;; [unrolled: 1-line block ×3, first 2 shown]
                                        ;     Child Loop BB148_34 Depth 2
                                        ;       Child Loop BB148_36 Depth 3
                                        ;     Child Loop BB148_44 Depth 2
                                        ;       Child Loop BB148_46 Depth 3
	s_abs_i32 s7, s43
	s_mul_hi_u32 s8, s7, s49
	s_mul_i32 s9, s8, s46
	s_ashr_i32 s6, s43, 31
	s_sub_i32 s7, s7, s9
	s_xor_b32 s6, s6, s48
	s_add_i32 s9, s8, 1
	s_sub_i32 s28, s7, s46
	s_cmp_ge_u32 s7, s46
	s_cselect_b32 s8, s9, s8
	s_cselect_b32 s7, s28, s7
	s_add_i32 s9, s8, 1
	s_cmp_ge_u32 s7, s46
	s_cselect_b32 s7, s9, s8
	s_xor_b32 s7, s7, s6
	s_sub_i32 s6, s7, s6
	s_abs_i32 s8, s6
	s_mul_i32 s7, s6, s33
	s_mul_hi_u32 s9, s8, s51
	s_sub_i32 s7, s43, s7
	s_mul_i32 s28, s9, s47
	s_lshl_b32 s52, s7, 5
	s_ashr_i32 s7, s6, 31
	s_sub_i32 s8, s8, s28
	s_xor_b32 s7, s7, s50
	s_add_i32 s28, s9, 1
	s_sub_i32 s29, s8, s47
	s_cmp_ge_u32 s8, s47
	s_cselect_b32 s9, s28, s9
	s_cselect_b32 s8, s29, s8
	s_add_i32 s28, s9, 1
	s_cmp_ge_u32 s8, s47
	s_cselect_b32 s8, s28, s9
	s_xor_b32 s8, s8, s7
	s_sub_i32 s7, s8, s7
	s_mul_i32 s8, s7, s44
	s_lshl_b32 s53, s8, 7
	s_cmp_eq_u32 s7, s16
	s_cselect_b32 s55, s45, s44
	s_sub_i32 s8, s52, s12
	s_add_i32 s8, s8, 32
	s_max_i32 s54, s8, 0
	s_and_saveexec_b64 s[8:9], s[2:3]
	s_xor_b64 s[28:29], exec, s[8:9]
	s_cbranch_execz .LBB148_40
; %bb.8:                                ;   in Loop: Header=BB148_7 Depth=1
	s_mul_i32 s7, s7, s42
	s_sub_i32 s6, s6, s7
	s_lshl_b32 s6, s6, 4
	s_sub_i32 s31, s6, s13
	s_add_i32 s31, s31, 16
	s_max_i32 s7, s31, 0
	s_sub_i32 s30, s6, s7
	s_and_saveexec_b64 s[6:7], s[0:1]
	s_xor_b64 s[34:35], exec, s[6:7]
	s_cbranch_execz .LBB148_30
; %bb.9:                                ;   in Loop: Header=BB148_7 Depth=1
	s_and_saveexec_b64 s[36:37], s[4:5]
	s_cbranch_execz .LBB148_29
; %bb.10:                               ;   in Loop: Header=BB148_7 Depth=1
	s_waitcnt lgkmcnt(0)
	global_load_dword v39, v15, s[26:27]
	v_mov_b32_e32 v7, 0
	v_cmp_gt_i32_e32 vcc, s55, v38
	v_mov_b32_e32 v6, v7
	v_mov_b32_e32 v5, v7
	;; [unrolled: 1-line block ×7, first 2 shown]
	s_and_saveexec_b64 s[6:7], vcc
	s_cbranch_execz .LBB148_23
; %bb.11:                               ;   in Loop: Header=BB148_7 Depth=1
	v_mov_b32_e32 v0, 0
	s_mov_b64 s[8:9], 0
	v_mov_b32_e32 v1, v0
	v_mov_b32_e32 v2, v0
	;; [unrolled: 1-line block ×7, first 2 shown]
	s_branch .LBB148_13
.LBB148_12:                             ;   in Loop: Header=BB148_13 Depth=2
	s_or_b64 exec, exec, s[38:39]
	v_add_u32_e32 v43, v27, v43
	v_add_u32_e32 v46, 0x800, v43
	ds_read2_b32 v[44:45], v46 offset1:32
	ds_read2_b32 v[46:47], v46 offset0:128 offset1:160
	v_add_u32_e32 v43, 0xc00, v43
	v_add_u32_e32 v38, s19, v38
	v_cmp_le_i32_e32 vcc, s55, v38
	s_waitcnt lgkmcnt(1)
	v_mfma_f32_16x16x32_fp8_fp8 v[0:3], v[44:45], v[22:23], v[0:3]
	ds_read2_b32 v[44:45], v43 offset1:32
	v_add_u32_e32 v22, s19, v40
	v_add_u32_e32 v23, 2, v26
	s_waitcnt lgkmcnt(1)
	v_mfma_f32_16x16x32_fp8_fp8 v[0:3], v[46:47], v[24:25], v[0:3]
	ds_read2_b32 v[24:25], v43 offset0:128 offset1:160
	s_or_b64 s[8:9], vcc, s[8:9]
	v_cmp_lt_i32_e32 vcc, 1, v22
	;;#ASMSTART
	s_waitcnt lgkmcnt(0)
	;;#ASMEND
	s_waitcnt lgkmcnt(1)
	v_mfma_f32_16x16x32_fp8_fp8 v[0:3], v[44:45], v[20:21], v[0:3]
	v_cndmask_b32_e32 v26, v26, v23, vcc
	ds_write_b32 v42, v41 offset:12292
	s_waitcnt lgkmcnt(1)
	v_mfma_f32_16x16x32_fp8_fp8 v[0:3], v[24:25], v[18:19], v[0:3]
	s_andn2_b64 exec, exec, s[8:9]
	s_cbranch_execz .LBB148_22
.LBB148_13:                             ;   Parent Loop BB148_7 Depth=1
                                        ; =>  This Loop Header: Depth=2
                                        ;       Child Loop BB148_15 Depth 3
                                        ;       Child Loop BB148_18 Depth 3
	;; [unrolled: 1-line block ×3, first 2 shown]
	v_cmp_gt_i32_e32 vcc, 2, v22
	s_nop 1
	v_cndmask_b32_e64 v18, -2, 0, vcc
	v_add_u32_e32 v40, v18, v22
	v_lshlrev_b32_e32 v18, 2, v40
	ds_read_b32 v19, v18 offset:12304
	v_add_u32_e32 v42, 0x3000, v18
	s_waitcnt lgkmcnt(0)
	v_cmp_ne_u32_e32 vcc, v19, v26
	s_and_saveexec_b64 s[38:39], vcc
	s_cbranch_execz .LBB148_16
; %bb.14:                               ;   in Loop: Header=BB148_13 Depth=2
	s_mov_b64 s[40:41], 0
.LBB148_15:                             ;   Parent Loop BB148_7 Depth=1
                                        ;     Parent Loop BB148_13 Depth=2
                                        ; =>    This Inner Loop Header: Depth=3
	;;#ASMSTART
	s_sleep 0
	;;#ASMEND
	ds_read_b32 v18, v42 offset:16
	s_waitcnt lgkmcnt(0)
	v_cmp_eq_u32_e32 vcc, v18, v26
	s_or_b64 s[40:41], vcc, s[40:41]
	s_andn2_b64 exec, exec, s[40:41]
	s_cbranch_execnz .LBB148_15
.LBB148_16:                             ;   in Loop: Header=BB148_13 Depth=2
	s_or_b64 exec, exec, s[38:39]
	v_lshl_add_u32 v18, v40, 11, v28
	ds_read2_b32 v[22:23], v18 offset1:32
	ds_read2_b32 v[24:25], v18 offset0:128 offset1:160
	v_add_u32_e32 v18, 0x400, v18
	v_add_u32_e32 v41, 1, v26
	ds_read2_b32 v[20:21], v18 offset1:32
	ds_read2_b32 v[18:19], v18 offset0:128 offset1:160
	;;#ASMSTART
	s_waitcnt lgkmcnt(0)
	;;#ASMEND
	ds_write_b32 v42, v41 offset:16
	v_lshlrev_b32_e32 v42, 3, v40
	ds_read_b32 v43, v42 offset:12288
	s_waitcnt lgkmcnt(0)
	v_cmp_ne_u32_e32 vcc, v43, v26
	s_and_saveexec_b64 s[38:39], vcc
	s_cbranch_execz .LBB148_19
; %bb.17:                               ;   in Loop: Header=BB148_13 Depth=2
	s_mov_b64 s[40:41], 0
.LBB148_18:                             ;   Parent Loop BB148_7 Depth=1
                                        ;     Parent Loop BB148_13 Depth=2
                                        ; =>    This Inner Loop Header: Depth=3
	;;#ASMSTART
	s_sleep 0
	;;#ASMEND
	ds_read_b32 v43, v42 offset:12288
	s_waitcnt lgkmcnt(0)
	v_cmp_eq_u32_e32 vcc, v43, v26
	s_or_b64 s[40:41], vcc, s[40:41]
	s_andn2_b64 exec, exec, s[40:41]
	s_cbranch_execnz .LBB148_18
.LBB148_19:                             ;   in Loop: Header=BB148_13 Depth=2
	s_or_b64 exec, exec, s[38:39]
	v_lshlrev_b32_e32 v43, 12, v40
	v_or_b32_e32 v48, v27, v43
	ds_read2_b32 v[44:45], v48 offset1:32
	ds_read2_b32 v[46:47], v48 offset0:128 offset1:160
	v_add_u32_e32 v48, 0x400, v48
	s_waitcnt lgkmcnt(1)
	v_mfma_f32_16x16x32_fp8_fp8 v[4:7], v[44:45], v[22:23], v[4:7]
	ds_read2_b32 v[44:45], v48 offset1:32
	s_waitcnt lgkmcnt(1)
	v_mfma_f32_16x16x32_fp8_fp8 v[4:7], v[46:47], v[24:25], v[4:7]
	ds_read2_b32 v[46:47], v48 offset0:128 offset1:160
	;;#ASMSTART
	s_waitcnt lgkmcnt(0)
	;;#ASMEND
	ds_write_b32 v42, v41 offset:12288
	s_waitcnt lgkmcnt(2)
	v_mfma_f32_16x16x32_fp8_fp8 v[4:7], v[44:45], v[20:21], v[4:7]
	ds_read_b32 v44, v42 offset:12292
	s_waitcnt lgkmcnt(0)
	v_cmp_ne_u32_e32 vcc, v44, v26
	v_mfma_f32_16x16x32_fp8_fp8 v[4:7], v[46:47], v[18:19], v[4:7]
	s_and_saveexec_b64 s[38:39], vcc
	s_cbranch_execz .LBB148_12
; %bb.20:                               ;   in Loop: Header=BB148_13 Depth=2
	s_mov_b64 s[40:41], 0
.LBB148_21:                             ;   Parent Loop BB148_7 Depth=1
                                        ;     Parent Loop BB148_13 Depth=2
                                        ; =>    This Inner Loop Header: Depth=3
	;;#ASMSTART
	s_sleep 0
	;;#ASMEND
	ds_read_b32 v44, v42 offset:12292
	s_waitcnt lgkmcnt(0)
	v_cmp_eq_u32_e32 vcc, v44, v26
	s_or_b64 s[40:41], vcc, s[40:41]
	s_andn2_b64 exec, exec, s[40:41]
	s_cbranch_execnz .LBB148_21
	s_branch .LBB148_12
.LBB148_22:                             ;   in Loop: Header=BB148_7 Depth=1
	s_or_b64 exec, exec, s[8:9]
.LBB148_23:                             ;   in Loop: Header=BB148_7 Depth=1
	s_or_b64 exec, exec, s[6:7]
	v_cmp_le_i32_e32 vcc, s31, v8
	v_cmp_eq_u32_e64 s[6:7], 3, v29
	s_waitcnt vmcnt(0)
	v_cndmask_b32_e32 v18, 0, v39, vcc
	v_pk_mul_f32 v[24:25], v[18:19], v[4:5] op_sel_hi:[0,1]
	v_cmp_eq_u32_e32 vcc, 1, v29
	v_pk_mul_f32 v[6:7], v[18:19], v[6:7] op_sel_hi:[0,1]
	v_add_u32_e32 v19, s54, v31
	v_cndmask_b32_e32 v4, v24, v25, vcc
	v_cmp_eq_u32_e32 vcc, 2, v29
	s_nop 1
	v_cndmask_b32_e32 v4, v4, v6, vcc
	v_cndmask_b32_e64 v4, v4, v7, s[6:7]
	ds_bpermute_b32 v5, v37, v4
	s_waitcnt lgkmcnt(0)
	v_cndmask_b32_e32 v6, v6, v5, vcc
	v_cmp_ne_u32_e32 vcc, 0, v29
	v_cndmask_b32_e64 v20, v7, v5, s[6:7]
	s_nop 0
	v_cndmask_b32_e32 v4, v25, v5, vcc
	v_cmp_eq_u32_e32 vcc, 0, v29
	s_nop 1
	v_cndmask_b32_e32 v5, v24, v5, vcc
	v_cmp_eq_u32_e32 vcc, 1, v30
	;; [unrolled: 3-line block ×4, first 2 shown]
	s_nop 1
	v_cndmask_b32_e32 v7, v7, v20, vcc
	ds_bpermute_b32 v7, v37, v7
	v_cmp_gt_u32_e32 vcc, 32, v19
	s_and_saveexec_b64 s[38:39], vcc
	s_cbranch_execz .LBB148_28
; %bb.24:                               ;   in Loop: Header=BB148_7 Depth=1
	v_cmp_eq_u32_e64 s[8:9], 1, v30
	v_cmp_eq_u32_e64 s[6:7], 3, v30
	v_cmp_eq_u32_e32 vcc, 2, v30
	s_waitcnt lgkmcnt(0)
	v_cndmask_b32_e64 v4, v4, v7, s[8:9]
	v_cmp_eq_u32_e64 s[8:9], 0, v30
	v_cvt_f16_f32_sdwa v23, v4 dst_sel:WORD_1 dst_unused:UNUSED_PAD src0_sel:DWORD
	s_nop 0
	v_cndmask_b32_e64 v5, v5, v7, s[8:9]
	s_mul_i32 s8, s52, s13
	s_ashr_i32 s9, s8, 31
	s_lshl_b64 s[8:9], s[8:9], 1
	s_add_u32 s40, s24, s8
	s_addc_u32 s41, s25, s9
	s_ashr_i32 s31, s30, 31
	s_lshl_b64 s[8:9], s[30:31], 1
	v_cvt_f16_f32_e32 v21, v5
	s_add_u32 s40, s40, s8
	s_addc_u32 s41, s41, s9
	v_lshl_add_u64 v[4:5], v[10:11], 1, s[40:41]
	v_cmp_gt_u32_e64 s[8:9], 30, v19
	v_or_b32_e32 v21, v23, v21
	;;#ASMSTART
	global_atomic_pk_add_f16 v[4:5], v21, off
	
	;;#ASMEND
	s_and_b64 exec, exec, s[8:9]
	s_cbranch_execz .LBB148_28
; %bb.25:                               ;   in Loop: Header=BB148_7 Depth=1
	v_mov_b32_e32 v19, v18
	v_cndmask_b32_e64 v23, v20, v7, s[6:7]
	v_mov_b32_e32 v20, v18
	v_mov_b32_e32 v21, v18
	v_pk_mul_f32 v[18:19], v[18:19], v[0:1]
	v_cmp_eq_u32_e64 s[6:7], 1, v29
	v_pk_mul_f32 v[20:21], v[20:21], v[2:3]
	v_cmp_eq_u32_e64 s[8:9], 3, v29
	v_cndmask_b32_e64 v0, v18, v19, s[6:7]
	v_cmp_eq_u32_e64 s[6:7], 2, v29
	v_cvt_f16_f32_sdwa v23, v23 dst_sel:WORD_1 dst_unused:UNUSED_PAD src0_sel:DWORD
	s_nop 0
	v_cndmask_b32_e64 v0, v0, v20, s[6:7]
	v_cndmask_b32_e64 v0, v0, v21, s[8:9]
	ds_bpermute_b32 v1, v37, v0
	v_cndmask_b32_e32 v0, v6, v7, vcc
	v_cmp_ne_u32_e32 vcc, 0, v29
	v_lshl_add_u64 v[6:7], s[10:11], 2, v[4:5]
	v_cvt_f16_f32_e32 v5, v0
	s_waitcnt lgkmcnt(0)
	v_cndmask_b32_e32 v0, v19, v1, vcc
	v_cmp_eq_u32_e32 vcc, 0, v29
	v_cndmask_b32_e64 v2, v21, v1, s[8:9]
	v_cndmask_b32_e64 v3, v20, v1, s[6:7]
	v_cndmask_b32_e32 v1, v18, v1, vcc
	v_cmp_eq_u32_e32 vcc, 1, v30
	v_or_b32_e32 v5, v23, v5
	;;#ASMSTART
	global_atomic_pk_add_f16 v[6:7], v5, off
	
	;;#ASMEND
	v_add_u32_e32 v5, s54, v32
	v_cndmask_b32_e32 v4, v1, v0, vcc
	v_cmp_eq_u32_e32 vcc, 2, v30
	s_nop 1
	v_cndmask_b32_e32 v4, v4, v3, vcc
	v_cmp_eq_u32_e32 vcc, 3, v30
	s_nop 1
	v_cndmask_b32_e32 v4, v4, v2, vcc
	ds_bpermute_b32 v4, v37, v4
	v_cmp_gt_u32_e32 vcc, 32, v5
	s_and_b64 exec, exec, vcc
	s_cbranch_execz .LBB148_28
; %bb.26:                               ;   in Loop: Header=BB148_7 Depth=1
	v_cmp_eq_u32_e32 vcc, 1, v30
	v_cmp_eq_u32_e64 s[6:7], 2, v30
	v_cmp_gt_u32_e64 s[8:9], 30, v5
	s_waitcnt lgkmcnt(0)
	v_cndmask_b32_e32 v0, v0, v4, vcc
	v_cmp_eq_u32_e32 vcc, 0, v30
	v_cvt_f16_f32_sdwa v7, v0 dst_sel:WORD_1 dst_unused:UNUSED_PAD src0_sel:DWORD
	s_nop 0
	v_cndmask_b32_e32 v1, v1, v4, vcc
	v_cvt_f16_f32_e32 v6, v1
	v_cmp_eq_u32_e32 vcc, 3, v30
	v_lshl_add_u64 v[0:1], v[12:13], 1, s[40:41]
	v_or_b32_e32 v6, v7, v6
	;;#ASMSTART
	global_atomic_pk_add_f16 v[0:1], v6, off
	
	;;#ASMEND
	s_and_b64 exec, exec, s[8:9]
	s_cbranch_execz .LBB148_28
; %bb.27:                               ;   in Loop: Header=BB148_7 Depth=1
	v_cndmask_b32_e32 v2, v2, v4, vcc
	v_cndmask_b32_e64 v3, v3, v4, s[6:7]
	v_cvt_f16_f32_sdwa v2, v2 dst_sel:WORD_1 dst_unused:UNUSED_PAD src0_sel:DWORD
	v_cvt_f16_f32_e32 v3, v3
	v_lshl_add_u64 v[0:1], s[10:11], 2, v[0:1]
	v_or_b32_e32 v2, v2, v3
	;;#ASMSTART
	global_atomic_pk_add_f16 v[0:1], v2, off
	
	;;#ASMEND
.LBB148_28:                             ;   in Loop: Header=BB148_7 Depth=1
	s_or_b64 exec, exec, s[38:39]
	v_subrev_u32_e32 v38, s55, v38
.LBB148_29:                             ;   in Loop: Header=BB148_7 Depth=1
	s_or_b64 exec, exec, s[36:37]
.LBB148_30:                             ;   in Loop: Header=BB148_7 Depth=1
	s_andn2_saveexec_b64 s[6:7], s[34:35]
	s_cbranch_execz .LBB148_39
; %bb.31:                               ;   in Loop: Header=BB148_7 Depth=1
	v_cmp_gt_i32_e32 vcc, s55, v38
	s_and_saveexec_b64 s[8:9], vcc
	s_cbranch_execz .LBB148_38
; %bb.32:                               ;   in Loop: Header=BB148_7 Depth=1
	s_mul_i32 s30, s30, s15
	s_ashr_i32 s31, s30, 31
	s_waitcnt lgkmcnt(0)
	s_add_u32 s30, s22, s30
	s_addc_u32 s31, s23, s31
	s_ashr_i32 s34, s53, 31
	s_add_u32 s30, s30, s53
	s_addc_u32 s31, s31, s34
	v_lshl_add_u64 v[0:1], s[30:31], 0, v[16:17]
	v_lshl_add_u64 v[18:19], v[0:1], 0, v[14:15]
	s_mov_b64 s[30:31], 0
	s_branch .LBB148_34
.LBB148_33:                             ;   in Loop: Header=BB148_34 Depth=2
	s_or_b64 exec, exec, s[34:35]
	v_lshl_add_u32 v22, v20, 11, v35
	;;#ASMSTART
	s_waitcnt vmcnt(1)
	;;#ASMEND
	ds_write2_b32 v22, v4, v5 offset1:32
	ds_write2_b32 v22, v6, v7 offset0:64 offset1:96
	v_add_u32_e32 v4, 0x400, v22
	v_add_u32_e32 v38, s18, v38
	;;#ASMSTART
	s_waitcnt vmcnt(0)
	;;#ASMEND
	ds_write2_b32 v4, v0, v1 offset1:32
	ds_write2_b32 v4, v2, v3 offset0:64 offset1:96
	v_add_u32_e32 v0, 1, v26
	v_add_u32_e32 v22, s18, v20
	v_cmp_le_i32_e32 vcc, s55, v38
	ds_write_b32 v21, v0 offset:16
	v_add_u32_e32 v0, 2, v26
	s_or_b64 s[30:31], vcc, s[30:31]
	v_cmp_lt_i32_e32 vcc, 1, v22
	s_nop 1
	v_cndmask_b32_e32 v26, v26, v0, vcc
	s_andn2_b64 exec, exec, s[30:31]
	s_cbranch_execz .LBB148_37
.LBB148_34:                             ;   Parent Loop BB148_7 Depth=1
                                        ; =>  This Loop Header: Depth=2
                                        ;       Child Loop BB148_36 Depth 3
	v_cmp_gt_i32_e32 vcc, 2, v22
	s_nop 1
	v_cndmask_b32_e64 v0, -2, 0, vcc
	v_add_u32_e32 v20, v0, v22
	v_lshlrev_b32_e32 v0, 7, v38
	v_ashrrev_i32_e32 v1, 31, v0
	v_lshl_add_u64 v[0:1], v[18:19], 0, v[0:1]
	v_lshlrev_b32_e32 v21, 2, v20
	;;#ASMSTART
	global_load_dwordx4 v[4:7], v[0:1], off offset:0   sc0 sc1 nt  
	global_load_dwordx4 v[0:3], v[0:1], off offset:64  sc0 sc1 nt  
	
	;;#ASMEND
	ds_read_b32 v22, v21 offset:12304
	v_add_u32_e32 v21, 0x3000, v21
	s_waitcnt lgkmcnt(0)
	v_cmp_ne_u32_e32 vcc, v22, v26
	s_and_saveexec_b64 s[34:35], vcc
	s_cbranch_execz .LBB148_33
; %bb.35:                               ;   in Loop: Header=BB148_34 Depth=2
	s_mov_b64 s[36:37], 0
.LBB148_36:                             ;   Parent Loop BB148_7 Depth=1
                                        ;     Parent Loop BB148_34 Depth=2
                                        ; =>    This Inner Loop Header: Depth=3
	;;#ASMSTART
	s_sleep 0
	;;#ASMEND
	ds_read_b32 v22, v21 offset:16
	s_waitcnt lgkmcnt(0)
	v_cmp_eq_u32_e32 vcc, v22, v26
	s_or_b64 s[36:37], vcc, s[36:37]
	s_andn2_b64 exec, exec, s[36:37]
	s_cbranch_execnz .LBB148_36
	s_branch .LBB148_33
.LBB148_37:                             ;   in Loop: Header=BB148_7 Depth=1
	s_or_b64 exec, exec, s[30:31]
.LBB148_38:                             ;   in Loop: Header=BB148_7 Depth=1
	s_or_b64 exec, exec, s[8:9]
	v_subrev_u32_e32 v38, s55, v38
.LBB148_39:                             ;   in Loop: Header=BB148_7 Depth=1
	s_or_b64 exec, exec, s[6:7]
.LBB148_40:                             ;   in Loop: Header=BB148_7 Depth=1
	s_andn2_saveexec_b64 s[6:7], s[28:29]
	s_cbranch_execz .LBB148_6
; %bb.41:                               ;   in Loop: Header=BB148_7 Depth=1
	s_lshl_b32 s36, s55, 1
	v_cmp_gt_i32_e32 vcc, s36, v38
	s_and_saveexec_b64 s[8:9], vcc
	s_cbranch_execz .LBB148_5
; %bb.42:                               ;   in Loop: Header=BB148_7 Depth=1
	s_mul_i32 s52, s52, s14
	s_ashr_i32 s28, s52, 31
	s_waitcnt lgkmcnt(0)
	s_add_u32 s29, s20, s52
	v_add_u32_e32 v2, s54, v33
	s_addc_u32 s30, s21, s28
	s_ashr_i32 s31, s53, 31
	v_cmp_gt_u32_e32 vcc, 32, v2
	s_add_u32 s28, s29, s53
	s_addc_u32 s29, s30, s31
	v_cndmask_b32_e32 v0, 0, v36, vcc
	v_ashrrev_i32_e32 v1, 31, v0
	v_lshl_add_u64 v[0:1], s[28:29], 0, v[0:1]
	v_lshl_add_u64 v[18:19], v[0:1], 0, v[14:15]
	v_sub_u32_e32 v20, 31, v2
	s_mov_b64 s[28:29], 0
	s_branch .LBB148_44
.LBB148_43:                             ;   in Loop: Header=BB148_44 Depth=2
	s_or_b64 exec, exec, s[30:31]
	v_lshl_or_b32 v23, v21, 11, v34
	;;#ASMSTART
	s_waitcnt vmcnt(1)
	;;#ASMEND
	ds_write2_b32 v23, v4, v5 offset1:32
	ds_write2_b32 v23, v6, v7 offset0:64 offset1:96
	v_add_u32_e32 v4, 0x400, v23
	;;#ASMSTART
	s_waitcnt vmcnt(0)
	;;#ASMEND
	ds_write2_b32 v4, v0, v1 offset1:32
	ds_write2_b32 v4, v2, v3 offset0:64 offset1:96
	v_add_u32_e32 v0, 1, v26
	v_add_u32_e32 v38, s17, v38
	ds_write_b32 v22, v0
	v_add_u32_e32 v22, s17, v21
	v_cmp_le_i32_e32 vcc, s36, v38
	v_add_u32_e32 v0, 2, v26
	s_or_b64 s[28:29], vcc, s[28:29]
	v_cmp_lt_i32_e32 vcc, 3, v22
	s_nop 1
	v_cndmask_b32_e32 v26, v26, v0, vcc
	s_andn2_b64 exec, exec, s[28:29]
	s_cbranch_execz .LBB148_4
.LBB148_44:                             ;   Parent Loop BB148_7 Depth=1
                                        ; =>  This Loop Header: Depth=2
                                        ;       Child Loop BB148_46 Depth 3
	v_cmp_gt_i32_e32 vcc, 4, v22
	s_nop 1
	v_cndmask_b32_e64 v0, -4, 0, vcc
	v_add_u32_e32 v21, v0, v22
	v_lshrrev_b32_e32 v0, 31, v38
	v_add_u32_e32 v0, v38, v0
	v_and_b32_e32 v1, 0xffffffe, v0
	v_sub_u32_e32 v1, v38, v1
	v_lshlrev_b32_e32 v1, 4, v1
	v_cmp_le_i32_e32 vcc, v1, v20
	v_lshlrev_b32_e32 v0, 6, v0
	v_and_b32_e32 v0, 0xffffff80, v0
	v_cndmask_b32_e32 v2, 0, v1, vcc
	v_ashrrev_i32_e32 v1, 31, v0
	v_mul_lo_u32 v2, v2, s14
	v_lshl_add_u64 v[0:1], v[18:19], 0, v[0:1]
	v_ashrrev_i32_e32 v3, 31, v2
	v_lshl_add_u64 v[0:1], v[0:1], 0, v[2:3]
	v_lshlrev_b32_e32 v22, 2, v21
	;;#ASMSTART
	global_load_dwordx4 v[4:7], v[0:1], off offset:0   
	global_load_dwordx4 v[0:3], v[0:1], off offset:64  
	
	;;#ASMEND
	ds_read_b32 v23, v22 offset:12288
	v_add_u32_e32 v22, 0x3000, v22
	s_waitcnt lgkmcnt(0)
	v_cmp_ne_u32_e32 vcc, v23, v26
	s_and_saveexec_b64 s[30:31], vcc
	s_cbranch_execz .LBB148_43
; %bb.45:                               ;   in Loop: Header=BB148_44 Depth=2
	s_mov_b64 s[34:35], 0
.LBB148_46:                             ;   Parent Loop BB148_7 Depth=1
                                        ;     Parent Loop BB148_44 Depth=2
                                        ; =>    This Inner Loop Header: Depth=3
	;;#ASMSTART
	s_sleep 0
	;;#ASMEND
	ds_read_b32 v23, v22
	s_waitcnt lgkmcnt(0)
	v_cmp_eq_u32_e32 vcc, v23, v26
	s_or_b64 s[34:35], vcc, s[34:35]
	s_andn2_b64 exec, exec, s[34:35]
	s_cbranch_execnz .LBB148_46
	s_branch .LBB148_43
.LBB148_47:
	s_endpgm
	.section	.rodata,"a",@progbits
	.p2align	6, 0x0
	.amdhsa_kernel _Z19_skinny_gemm_kernelILi2ELi1ELi2ELi16ELi4EEvPKhS1_P6__halfPKfiiiiiiii
		.amdhsa_group_segment_fixed_size 12312
		.amdhsa_private_segment_fixed_size 0
		.amdhsa_kernarg_size 64
		.amdhsa_user_sgpr_count 2
		.amdhsa_user_sgpr_dispatch_ptr 0
		.amdhsa_user_sgpr_queue_ptr 0
		.amdhsa_user_sgpr_kernarg_segment_ptr 1
		.amdhsa_user_sgpr_dispatch_id 0
		.amdhsa_user_sgpr_kernarg_preload_length 0
		.amdhsa_user_sgpr_kernarg_preload_offset 0
		.amdhsa_user_sgpr_private_segment_size 0
		.amdhsa_uses_dynamic_stack 0
		.amdhsa_enable_private_segment 0
		.amdhsa_system_sgpr_workgroup_id_x 1
		.amdhsa_system_sgpr_workgroup_id_y 0
		.amdhsa_system_sgpr_workgroup_id_z 0
		.amdhsa_system_sgpr_workgroup_info 0
		.amdhsa_system_vgpr_workitem_id 0
		.amdhsa_next_free_vgpr 49
		.amdhsa_next_free_sgpr 56
		.amdhsa_accum_offset 52
		.amdhsa_reserve_vcc 1
		.amdhsa_float_round_mode_32 0
		.amdhsa_float_round_mode_16_64 0
		.amdhsa_float_denorm_mode_32 3
		.amdhsa_float_denorm_mode_16_64 3
		.amdhsa_dx10_clamp 1
		.amdhsa_ieee_mode 1
		.amdhsa_fp16_overflow 0
		.amdhsa_tg_split 0
		.amdhsa_exception_fp_ieee_invalid_op 0
		.amdhsa_exception_fp_denorm_src 0
		.amdhsa_exception_fp_ieee_div_zero 0
		.amdhsa_exception_fp_ieee_overflow 0
		.amdhsa_exception_fp_ieee_underflow 0
		.amdhsa_exception_fp_ieee_inexact 0
		.amdhsa_exception_int_div_zero 0
	.end_amdhsa_kernel
	.section	.text._Z19_skinny_gemm_kernelILi2ELi1ELi2ELi16ELi4EEvPKhS1_P6__halfPKfiiiiiiii,"axG",@progbits,_Z19_skinny_gemm_kernelILi2ELi1ELi2ELi16ELi4EEvPKhS1_P6__halfPKfiiiiiiii,comdat
.Lfunc_end148:
	.size	_Z19_skinny_gemm_kernelILi2ELi1ELi2ELi16ELi4EEvPKhS1_P6__halfPKfiiiiiiii, .Lfunc_end148-_Z19_skinny_gemm_kernelILi2ELi1ELi2ELi16ELi4EEvPKhS1_P6__halfPKfiiiiiiii
                                        ; -- End function
	.set _Z19_skinny_gemm_kernelILi2ELi1ELi2ELi16ELi4EEvPKhS1_P6__halfPKfiiiiiiii.num_vgpr, 49
	.set _Z19_skinny_gemm_kernelILi2ELi1ELi2ELi16ELi4EEvPKhS1_P6__halfPKfiiiiiiii.num_agpr, 0
	.set _Z19_skinny_gemm_kernelILi2ELi1ELi2ELi16ELi4EEvPKhS1_P6__halfPKfiiiiiiii.numbered_sgpr, 56
	.set _Z19_skinny_gemm_kernelILi2ELi1ELi2ELi16ELi4EEvPKhS1_P6__halfPKfiiiiiiii.num_named_barrier, 0
	.set _Z19_skinny_gemm_kernelILi2ELi1ELi2ELi16ELi4EEvPKhS1_P6__halfPKfiiiiiiii.private_seg_size, 0
	.set _Z19_skinny_gemm_kernelILi2ELi1ELi2ELi16ELi4EEvPKhS1_P6__halfPKfiiiiiiii.uses_vcc, 1
	.set _Z19_skinny_gemm_kernelILi2ELi1ELi2ELi16ELi4EEvPKhS1_P6__halfPKfiiiiiiii.uses_flat_scratch, 0
	.set _Z19_skinny_gemm_kernelILi2ELi1ELi2ELi16ELi4EEvPKhS1_P6__halfPKfiiiiiiii.has_dyn_sized_stack, 0
	.set _Z19_skinny_gemm_kernelILi2ELi1ELi2ELi16ELi4EEvPKhS1_P6__halfPKfiiiiiiii.has_recursion, 0
	.set _Z19_skinny_gemm_kernelILi2ELi1ELi2ELi16ELi4EEvPKhS1_P6__halfPKfiiiiiiii.has_indirect_call, 0
	.section	.AMDGPU.csdata,"",@progbits
; Kernel info:
; codeLenInByte = 3240
; TotalNumSgprs: 62
; NumVgprs: 49
; NumAgprs: 0
; TotalNumVgprs: 49
; ScratchSize: 0
; MemoryBound: 0
; FloatMode: 240
; IeeeMode: 1
; LDSByteSize: 12312 bytes/workgroup (compile time only)
; SGPRBlocks: 7
; VGPRBlocks: 6
; NumSGPRsForWavesPerEU: 62
; NumVGPRsForWavesPerEU: 49
; AccumOffset: 52
; Occupancy: 8
; WaveLimiterHint : 0
; COMPUTE_PGM_RSRC2:SCRATCH_EN: 0
; COMPUTE_PGM_RSRC2:USER_SGPR: 2
; COMPUTE_PGM_RSRC2:TRAP_HANDLER: 0
; COMPUTE_PGM_RSRC2:TGID_X_EN: 1
; COMPUTE_PGM_RSRC2:TGID_Y_EN: 0
; COMPUTE_PGM_RSRC2:TGID_Z_EN: 0
; COMPUTE_PGM_RSRC2:TIDIG_COMP_CNT: 0
; COMPUTE_PGM_RSRC3_GFX90A:ACCUM_OFFSET: 12
; COMPUTE_PGM_RSRC3_GFX90A:TG_SPLIT: 0
	.section	.text._Z19_skinny_gemm_kernelILi2ELi1ELi2ELi16ELi8EEvPKhS1_P6__halfPKfiiiiiiii,"axG",@progbits,_Z19_skinny_gemm_kernelILi2ELi1ELi2ELi16ELi8EEvPKhS1_P6__halfPKfiiiiiiii,comdat
	.protected	_Z19_skinny_gemm_kernelILi2ELi1ELi2ELi16ELi8EEvPKhS1_P6__halfPKfiiiiiiii ; -- Begin function _Z19_skinny_gemm_kernelILi2ELi1ELi2ELi16ELi8EEvPKhS1_P6__halfPKfiiiiiiii
	.globl	_Z19_skinny_gemm_kernelILi2ELi1ELi2ELi16ELi8EEvPKhS1_P6__halfPKfiiiiiiii
	.p2align	8
	.type	_Z19_skinny_gemm_kernelILi2ELi1ELi2ELi16ELi8EEvPKhS1_P6__halfPKfiiiiiiii,@function
_Z19_skinny_gemm_kernelILi2ELi1ELi2ELi16ELi8EEvPKhS1_P6__halfPKfiiiiiiii: ; @_Z19_skinny_gemm_kernelILi2ELi1ELi2ELi16ELi8EEvPKhS1_P6__halfPKfiiiiiiii
; %bb.0:
	v_cmp_gt_u32_e32 vcc, 6, v0
	v_lshlrev_b32_e32 v1, 2, v0
	s_and_saveexec_b64 s[4:5], vcc
; %bb.1:
	v_mov_b32_e32 v2, 0
	ds_write_b32 v1, v2 offset:24576
; %bb.2:
	s_or_b64 exec, exec, s[4:5]
	s_load_dwordx8 s[12:19], s[0:1], 0x20
	s_waitcnt lgkmcnt(0)
	s_barrier
	s_add_i32 s3, s12, 31
	s_ashr_i32 s5, s3, 31
	s_add_i32 s4, s13, 15
	s_lshr_b32 s5, s5, 27
	s_ashr_i32 s6, s4, 31
	s_add_i32 s3, s3, s5
	s_ashr_i32 s33, s3, 5
	s_lshr_b32 s3, s6, 28
	s_add_i32 s4, s4, s3
	s_ashr_i32 s42, s4, 4
	s_mul_i32 s3, s42, s33
	s_mul_i32 s3, s3, s16
	s_add_i32 s4, s3, 0x12f
	s_mul_hi_i32 s4, s4, 0x6bca1af3
	s_lshr_b32 s5, s4, 31
	s_ashr_i32 s4, s4, 7
	s_add_i32 s4, s4, s5
	s_add_i32 s5, s2, 1
	s_mul_i32 s5, s4, s5
	v_cvt_f64_i32_e32 v[2:3], s3
	v_cvt_f64_u32_e32 v[4:5], s5
	v_min_f64 v[2:3], v[2:3], v[4:5]
	v_cvt_i32_f64_e32 v17, v[2:3]
	s_mul_i32 s43, s4, s2
	v_cmp_ge_i32_e32 vcc, s43, v17
	s_cbranch_vccnz .LBB149_47
; %bb.3:
	v_lshrrev_b32_e32 v2, 6, v0
	s_add_i32 s4, s18, s17
	s_load_dwordx8 s[20:27], s[0:1], 0x0
	v_cmp_le_i32_e64 s[0:1], s4, v2
	v_mov_b32_e32 v3, s17
	v_cmp_le_i32_e64 s[2:3], s17, v2
	v_mov_b32_e32 v4, s18
	v_cndmask_b32_e64 v4, 0, v4, s[0:1]
	v_cndmask_b32_e64 v3, 0, v3, s[2:3]
	s_abs_i32 s5, s16
	v_add_u32_e32 v3, v3, v4
	v_cvt_f32_u32_e32 v4, s5
	v_sub_u32_e32 v10, v2, v3
	s_ashr_i32 s6, s14, 31
	s_lshr_b32 s6, s6, 24
	v_rcp_iflag_f32_e32 v3, v4
	s_sub_i32 s9, 0, s5
	s_add_i32 s6, s14, s6
	s_ashr_i32 s6, s6, 8
	v_mul_f32_e32 v3, 0x4f7ffffe, v3
	v_cvt_u32_f32_e32 v3, v3
	s_abs_i32 s8, s6
	s_xor_b32 s7, s6, s16
	s_ashr_i32 s7, s7, 31
	v_readfirstlane_b32 s10, v3
	s_mul_i32 s9, s9, s10
	s_mul_hi_u32 s9, s10, s9
	s_add_i32 s10, s10, s9
	s_mul_hi_u32 s9, s8, s10
	s_mul_i32 s10, s9, s5
	s_sub_i32 s8, s8, s10
	s_add_i32 s10, s9, 1
	s_sub_i32 s11, s8, s5
	s_cmp_ge_u32 s8, s5
	s_cselect_b32 s9, s10, s9
	s_cselect_b32 s8, s11, s8
	s_add_i32 s10, s9, 1
	s_cmp_ge_u32 s8, s5
	s_cselect_b32 s5, s10, s9
	s_xor_b32 s5, s5, s7
	s_sub_i32 s44, s5, s7
	s_add_i32 s16, s16, -1
	s_mul_i32 s5, s44, s16
	s_add_i32 s4, s4, s19
	s_sub_i32 s45, s6, s5
	v_cmp_gt_i32_e64 s[4:5], s4, v2
	v_lshlrev_b32_e32 v2, 1, v0
	v_lshlrev_b32_e32 v3, 4, v0
	v_and_b32_e32 v1, 60, v1
	v_and_b32_e32 v2, 64, v2
	v_and_b32_e32 v4, 0x100, v3
	v_or3_b32 v35, v1, v2, v4
	v_and_b32_e32 v1, 1, v0
	v_lshrrev_b32_e32 v4, 2, v0
	s_abs_i32 s46, s33
	v_and_or_b32 v39, v4, 12, v1
	v_cvt_f32_u32_e32 v4, s46
	v_lshlrev_b32_e32 v2, 1, v1
	v_and_b32_e32 v16, 14, v0
	v_sub_u32_e32 v2, v0, v2
	v_bitop3_b32 v37, v0, 1, v0 bitop3:0xc
	v_bitop3_b32 v38, v0, 3, 1 bitop3:0x6c
	v_and_b32_e32 v22, 48, v3
	v_bfe_u32 v41, v0, 2, 4
	v_and_b32_e32 v1, 60, v0
	v_lshlrev_b32_e32 v3, 8, v0
	v_lshlrev_b32_e32 v0, 6, v0
	v_and_b32_e32 v3, 0x200, v3
	v_and_b32_e32 v0, 64, v0
	v_rcp_iflag_f32_e32 v4, v4
	s_abs_i32 s47, s42
	v_or3_b32 v42, v1, v3, v0
	v_cvt_f32_u32_e32 v1, s47
	v_mul_f32_e32 v0, 0x4f7ffffe, v4
	v_cvt_u32_f32_e32 v0, v0
	v_mad_u64_u32 v[18:19], s[6:7], s13, v39, v[16:17]
	v_rcp_iflag_f32_e32 v1, v1
	v_readfirstlane_b32 s7, v0
	s_sub_i32 s6, 0, s46
	s_mul_i32 s6, s6, s7
	v_mul_f32_e32 v0, 0x4f7ffffe, v1
	v_cvt_u32_f32_e32 v0, v0
	s_mul_hi_u32 s6, s7, s6
	v_add_u32_e32 v2, 1, v2
	s_add_i32 s49, s7, s6
	s_sub_i32 s6, 0, s47
	v_readfirstlane_b32 s7, v0
	v_mbcnt_lo_u32_b32 v0, -1, 0
	v_and_b32_e32 v2, 63, v2
	s_mul_i32 s6, s6, s7
	v_mbcnt_hi_u32_b32 v0, -1, v0
	v_lshl_add_u32 v20, s13, 4, v18
	v_mul_lo_u32 v24, s15, v41
	s_mul_hi_u32 s6, s7, s6
	v_and_or_b32 v0, v0, 64, v2
	v_cndmask_b32_e64 v34, 0, 1, s[0:1]
	v_or_b32_e32 v36, 0x4000, v35
	s_ashr_i32 s11, s13, 31
	s_mov_b32 s10, s13
	v_ashrrev_i32_e32 v19, 31, v18
	v_or_b32_e32 v40, 16, v39
	v_ashrrev_i32_e32 v21, 31, v20
	v_ashrrev_i32_e32 v25, 31, v24
	v_mov_b32_e32 v23, 0
	v_or_b32_e32 v43, 0x4000, v42
	v_mul_lo_u32 v44, s14, v41
	s_ashr_i32 s48, s33, 31
	s_ashr_i32 s50, s42, 31
	s_add_i32 s51, s7, s6
	v_lshlrev_b32_e32 v45, 2, v0
	v_mov_b32_e32 v46, v10
	s_branch .LBB149_7
.LBB149_4:                              ;   in Loop: Header=BB149_7 Depth=1
	s_or_b64 exec, exec, s[28:29]
.LBB149_5:                              ;   in Loop: Header=BB149_7 Depth=1
	s_or_b64 exec, exec, s[8:9]
	v_subrev_u32_e32 v46, s36, v46
.LBB149_6:                              ;   in Loop: Header=BB149_7 Depth=1
	s_or_b64 exec, exec, s[6:7]
	s_add_i32 s43, s43, 1
	v_cmp_ge_i32_e32 vcc, s43, v17
	s_cbranch_vccnz .LBB149_47
.LBB149_7:                              ; =>This Loop Header: Depth=1
                                        ;     Child Loop BB149_13 Depth 2
                                        ;       Child Loop BB149_15 Depth 3
                                        ;       Child Loop BB149_18 Depth 3
	;; [unrolled: 1-line block ×3, first 2 shown]
                                        ;     Child Loop BB149_34 Depth 2
                                        ;       Child Loop BB149_36 Depth 3
                                        ;     Child Loop BB149_44 Depth 2
                                        ;       Child Loop BB149_46 Depth 3
	s_abs_i32 s7, s43
	s_mul_hi_u32 s8, s7, s49
	s_mul_i32 s9, s8, s46
	s_ashr_i32 s6, s43, 31
	s_sub_i32 s7, s7, s9
	s_xor_b32 s6, s6, s48
	s_add_i32 s9, s8, 1
	s_sub_i32 s28, s7, s46
	s_cmp_ge_u32 s7, s46
	s_cselect_b32 s8, s9, s8
	s_cselect_b32 s7, s28, s7
	s_add_i32 s9, s8, 1
	s_cmp_ge_u32 s7, s46
	s_cselect_b32 s7, s9, s8
	s_xor_b32 s7, s7, s6
	s_sub_i32 s6, s7, s6
	s_abs_i32 s8, s6
	s_mul_i32 s7, s6, s33
	s_mul_hi_u32 s9, s8, s51
	s_sub_i32 s7, s43, s7
	s_mul_i32 s28, s9, s47
	s_lshl_b32 s52, s7, 5
	s_ashr_i32 s7, s6, 31
	s_sub_i32 s8, s8, s28
	s_xor_b32 s7, s7, s50
	s_add_i32 s28, s9, 1
	s_sub_i32 s29, s8, s47
	s_cmp_ge_u32 s8, s47
	s_cselect_b32 s9, s28, s9
	s_cselect_b32 s8, s29, s8
	s_add_i32 s28, s9, 1
	s_cmp_ge_u32 s8, s47
	s_cselect_b32 s8, s28, s9
	s_xor_b32 s8, s8, s7
	s_sub_i32 s7, s8, s7
	s_mul_i32 s8, s7, s44
	s_lshl_b32 s53, s8, 8
	s_cmp_eq_u32 s7, s16
	s_cselect_b32 s55, s45, s44
	s_sub_i32 s8, s52, s12
	s_add_i32 s8, s8, 32
	s_max_i32 s54, s8, 0
	s_and_saveexec_b64 s[8:9], s[2:3]
	s_xor_b64 s[28:29], exec, s[8:9]
	s_cbranch_execz .LBB149_40
; %bb.8:                                ;   in Loop: Header=BB149_7 Depth=1
	s_mul_i32 s7, s7, s42
	s_sub_i32 s6, s6, s7
	s_lshl_b32 s6, s6, 4
	s_sub_i32 s31, s6, s13
	s_add_i32 s31, s31, 16
	s_max_i32 s7, s31, 0
	s_sub_i32 s30, s6, s7
	s_and_saveexec_b64 s[6:7], s[0:1]
	s_xor_b64 s[34:35], exec, s[6:7]
	s_cbranch_execz .LBB149_30
; %bb.9:                                ;   in Loop: Header=BB149_7 Depth=1
	s_and_saveexec_b64 s[36:37], s[4:5]
	s_cbranch_execz .LBB149_29
; %bb.10:                               ;   in Loop: Header=BB149_7 Depth=1
	s_waitcnt lgkmcnt(0)
	global_load_dword v47, v23, s[26:27]
	v_mov_b32_e32 v7, 0
	v_cmp_gt_i32_e32 vcc, s55, v46
	v_mov_b32_e32 v6, v7
	v_mov_b32_e32 v5, v7
	;; [unrolled: 1-line block ×7, first 2 shown]
	s_and_saveexec_b64 s[6:7], vcc
	s_cbranch_execz .LBB149_23
; %bb.11:                               ;   in Loop: Header=BB149_7 Depth=1
	v_mov_b32_e32 v0, 0
	s_mov_b64 s[8:9], 0
	v_mov_b32_e32 v1, v0
	v_mov_b32_e32 v2, v0
	;; [unrolled: 1-line block ×7, first 2 shown]
	s_branch .LBB149_13
.LBB149_12:                             ;   in Loop: Header=BB149_13 Depth=2
	s_or_b64 exec, exec, s[38:39]
	v_add_u32_e32 v51, v35, v51
	v_add_u32_e32 v54, 0x1000, v51
	ds_read2_b32 v[52:53], v54 offset1:32
	ds_read2_b32 v[54:55], v54 offset0:128 offset1:160
	v_add_u32_e32 v56, 0x1400, v51
	v_add_u32_e32 v46, s19, v46
	v_cmp_le_i32_e32 vcc, s55, v46
	s_waitcnt lgkmcnt(1)
	v_mfma_f32_16x16x32_fp8_fp8 v[0:3], v[52:53], v[10:11], v[0:3]
	ds_read2_b32 v[10:11], v56 offset1:32
	v_add_u32_e32 v52, 0x1800, v51
	s_or_b64 s[8:9], vcc, s[8:9]
	s_waitcnt lgkmcnt(1)
	v_mfma_f32_16x16x32_fp8_fp8 v[0:3], v[54:55], v[12:13], v[0:3]
	ds_read2_b32 v[12:13], v56 offset0:128 offset1:160
	s_waitcnt lgkmcnt(1)
	v_mfma_f32_16x16x32_fp8_fp8 v[0:3], v[10:11], v[26:27], v[0:3]
	ds_read2_b32 v[10:11], v52 offset1:32
	s_waitcnt lgkmcnt(1)
	v_mfma_f32_16x16x32_fp8_fp8 v[0:3], v[12:13], v[28:29], v[0:3]
	ds_read2_b32 v[12:13], v52 offset0:128 offset1:160
	v_add_u32_e32 v28, 0x1c00, v51
	ds_read2_b32 v[26:27], v28 offset1:32
	s_waitcnt lgkmcnt(2)
	v_mfma_f32_16x16x32_fp8_fp8 v[0:3], v[10:11], v[30:31], v[0:3]
	v_add_u32_e32 v10, s19, v48
	v_add_u32_e32 v11, 2, v34
	v_cmp_lt_i32_e32 vcc, 1, v10
	s_waitcnt lgkmcnt(1)
	v_mfma_f32_16x16x32_fp8_fp8 v[0:3], v[12:13], v[32:33], v[0:3]
	ds_read2_b32 v[12:13], v28 offset0:128 offset1:160
	v_cndmask_b32_e32 v34, v34, v11, vcc
	;;#ASMSTART
	s_waitcnt lgkmcnt(0)
	;;#ASMEND
	s_waitcnt lgkmcnt(1)
	v_mfma_f32_16x16x32_fp8_fp8 v[0:3], v[26:27], v[14:15], v[0:3]
	ds_write_b32 v50, v49 offset:24580
	s_waitcnt lgkmcnt(1)
	v_mfma_f32_16x16x32_fp8_fp8 v[0:3], v[12:13], v[8:9], v[0:3]
	s_andn2_b64 exec, exec, s[8:9]
	s_cbranch_execz .LBB149_22
.LBB149_13:                             ;   Parent Loop BB149_7 Depth=1
                                        ; =>  This Loop Header: Depth=2
                                        ;       Child Loop BB149_15 Depth 3
                                        ;       Child Loop BB149_18 Depth 3
	;; [unrolled: 1-line block ×3, first 2 shown]
	v_cmp_gt_i32_e32 vcc, 2, v10
	s_nop 1
	v_cndmask_b32_e64 v8, -2, 0, vcc
	v_add_u32_e32 v48, v8, v10
	v_lshlrev_b32_e32 v8, 2, v48
	ds_read_b32 v9, v8 offset:24592
	v_add_u32_e32 v50, 0x6000, v8
	s_waitcnt lgkmcnt(0)
	v_cmp_ne_u32_e32 vcc, v9, v34
	s_and_saveexec_b64 s[38:39], vcc
	s_cbranch_execz .LBB149_16
; %bb.14:                               ;   in Loop: Header=BB149_13 Depth=2
	s_mov_b64 s[40:41], 0
.LBB149_15:                             ;   Parent Loop BB149_7 Depth=1
                                        ;     Parent Loop BB149_13 Depth=2
                                        ; =>    This Inner Loop Header: Depth=3
	;;#ASMSTART
	s_sleep 0
	;;#ASMEND
	ds_read_b32 v8, v50 offset:16
	s_waitcnt lgkmcnt(0)
	v_cmp_eq_u32_e32 vcc, v8, v34
	s_or_b64 s[40:41], vcc, s[40:41]
	s_andn2_b64 exec, exec, s[40:41]
	s_cbranch_execnz .LBB149_15
.LBB149_16:                             ;   in Loop: Header=BB149_13 Depth=2
	s_or_b64 exec, exec, s[38:39]
	v_lshl_add_u32 v8, v48, 12, v36
	v_add_u32_e32 v9, 0x400, v8
	ds_read2_b32 v[10:11], v8 offset1:32
	ds_read2_b32 v[12:13], v8 offset0:128 offset1:160
	ds_read2_b32 v[26:27], v9 offset1:32
	ds_read2_b32 v[28:29], v9 offset0:128 offset1:160
	v_add_u32_e32 v9, 0x800, v8
	v_add_u32_e32 v8, 0xc00, v8
	;; [unrolled: 1-line block ×3, first 2 shown]
	ds_read2_b32 v[30:31], v9 offset1:32
	ds_read2_b32 v[32:33], v9 offset0:128 offset1:160
	ds_read2_b32 v[14:15], v8 offset1:32
	ds_read2_b32 v[8:9], v8 offset0:128 offset1:160
	;;#ASMSTART
	s_waitcnt lgkmcnt(0)
	;;#ASMEND
	ds_write_b32 v50, v49 offset:16
	v_lshlrev_b32_e32 v50, 3, v48
	ds_read_b32 v51, v50 offset:24576
	s_waitcnt lgkmcnt(0)
	v_cmp_ne_u32_e32 vcc, v51, v34
	s_and_saveexec_b64 s[38:39], vcc
	s_cbranch_execz .LBB149_19
; %bb.17:                               ;   in Loop: Header=BB149_13 Depth=2
	s_mov_b64 s[40:41], 0
.LBB149_18:                             ;   Parent Loop BB149_7 Depth=1
                                        ;     Parent Loop BB149_13 Depth=2
                                        ; =>    This Inner Loop Header: Depth=3
	;;#ASMSTART
	s_sleep 0
	;;#ASMEND
	ds_read_b32 v51, v50 offset:24576
	s_waitcnt lgkmcnt(0)
	v_cmp_eq_u32_e32 vcc, v51, v34
	s_or_b64 s[40:41], vcc, s[40:41]
	s_andn2_b64 exec, exec, s[40:41]
	s_cbranch_execnz .LBB149_18
.LBB149_19:                             ;   in Loop: Header=BB149_13 Depth=2
	s_or_b64 exec, exec, s[38:39]
	v_lshlrev_b32_e32 v51, 13, v48
	v_or_b32_e32 v56, v35, v51
	ds_read2_b32 v[52:53], v56 offset1:32
	ds_read2_b32 v[54:55], v56 offset0:128 offset1:160
	v_add_u32_e32 v57, 0x400, v56
	s_waitcnt lgkmcnt(1)
	v_mfma_f32_16x16x32_fp8_fp8 v[4:7], v[52:53], v[10:11], v[4:7]
	ds_read2_b32 v[52:53], v57 offset1:32
	s_waitcnt lgkmcnt(1)
	v_mfma_f32_16x16x32_fp8_fp8 v[4:7], v[54:55], v[12:13], v[4:7]
	ds_read2_b32 v[54:55], v57 offset0:128 offset1:160
	v_add_u32_e32 v57, 0x800, v56
	v_add_u32_e32 v56, 0xc00, v56
	s_waitcnt lgkmcnt(1)
	v_mfma_f32_16x16x32_fp8_fp8 v[4:7], v[52:53], v[26:27], v[4:7]
	ds_read2_b32 v[52:53], v57 offset1:32
	s_waitcnt lgkmcnt(1)
	v_mfma_f32_16x16x32_fp8_fp8 v[4:7], v[54:55], v[28:29], v[4:7]
	ds_read2_b32 v[54:55], v57 offset0:128 offset1:160
	s_waitcnt lgkmcnt(1)
	v_mfma_f32_16x16x32_fp8_fp8 v[4:7], v[52:53], v[30:31], v[4:7]
	ds_read2_b32 v[52:53], v56 offset1:32
	s_waitcnt lgkmcnt(1)
	v_mfma_f32_16x16x32_fp8_fp8 v[4:7], v[54:55], v[32:33], v[4:7]
	ds_read2_b32 v[54:55], v56 offset0:128 offset1:160
	;;#ASMSTART
	s_waitcnt lgkmcnt(0)
	;;#ASMEND
	ds_write_b32 v50, v49 offset:24576
	s_waitcnt lgkmcnt(2)
	v_mfma_f32_16x16x32_fp8_fp8 v[4:7], v[52:53], v[14:15], v[4:7]
	ds_read_b32 v52, v50 offset:24580
	s_waitcnt lgkmcnt(0)
	v_cmp_ne_u32_e32 vcc, v52, v34
	v_mfma_f32_16x16x32_fp8_fp8 v[4:7], v[54:55], v[8:9], v[4:7]
	s_and_saveexec_b64 s[38:39], vcc
	s_cbranch_execz .LBB149_12
; %bb.20:                               ;   in Loop: Header=BB149_13 Depth=2
	s_mov_b64 s[40:41], 0
.LBB149_21:                             ;   Parent Loop BB149_7 Depth=1
                                        ;     Parent Loop BB149_13 Depth=2
                                        ; =>    This Inner Loop Header: Depth=3
	;;#ASMSTART
	s_sleep 0
	;;#ASMEND
	ds_read_b32 v52, v50 offset:24580
	s_waitcnt lgkmcnt(0)
	v_cmp_eq_u32_e32 vcc, v52, v34
	s_or_b64 s[40:41], vcc, s[40:41]
	s_andn2_b64 exec, exec, s[40:41]
	s_cbranch_execnz .LBB149_21
	s_branch .LBB149_12
.LBB149_22:                             ;   in Loop: Header=BB149_7 Depth=1
	s_or_b64 exec, exec, s[8:9]
.LBB149_23:                             ;   in Loop: Header=BB149_7 Depth=1
	s_or_b64 exec, exec, s[6:7]
	v_cmp_le_i32_e32 vcc, s31, v16
	v_cmp_eq_u32_e64 s[6:7], 3, v37
	s_waitcnt vmcnt(0)
	v_cndmask_b32_e32 v8, 0, v47, vcc
	v_pk_mul_f32 v[12:13], v[8:9], v[4:5] op_sel_hi:[0,1]
	v_cmp_eq_u32_e32 vcc, 1, v37
	v_pk_mul_f32 v[6:7], v[8:9], v[6:7] op_sel_hi:[0,1]
	v_add_u32_e32 v9, s54, v39
	v_cndmask_b32_e32 v4, v12, v13, vcc
	v_cmp_eq_u32_e32 vcc, 2, v37
	s_nop 1
	v_cndmask_b32_e32 v4, v4, v6, vcc
	v_cndmask_b32_e64 v4, v4, v7, s[6:7]
	ds_bpermute_b32 v5, v45, v4
	s_waitcnt lgkmcnt(0)
	v_cndmask_b32_e32 v6, v6, v5, vcc
	v_cmp_ne_u32_e32 vcc, 0, v37
	v_cndmask_b32_e64 v11, v7, v5, s[6:7]
	s_nop 0
	v_cndmask_b32_e32 v4, v13, v5, vcc
	v_cmp_eq_u32_e32 vcc, 0, v37
	s_nop 1
	v_cndmask_b32_e32 v5, v12, v5, vcc
	v_cmp_eq_u32_e32 vcc, 1, v38
	;; [unrolled: 3-line block ×4, first 2 shown]
	s_nop 1
	v_cndmask_b32_e32 v7, v7, v11, vcc
	ds_bpermute_b32 v7, v45, v7
	v_cmp_gt_u32_e32 vcc, 32, v9
	s_and_saveexec_b64 s[38:39], vcc
	s_cbranch_execz .LBB149_28
; %bb.24:                               ;   in Loop: Header=BB149_7 Depth=1
	v_cmp_eq_u32_e64 s[8:9], 1, v38
	v_cmp_eq_u32_e64 s[6:7], 3, v38
	v_cmp_eq_u32_e32 vcc, 2, v38
	s_waitcnt lgkmcnt(0)
	v_cndmask_b32_e64 v4, v4, v7, s[8:9]
	v_cmp_eq_u32_e64 s[8:9], 0, v38
	v_cvt_f16_f32_sdwa v13, v4 dst_sel:WORD_1 dst_unused:UNUSED_PAD src0_sel:DWORD
	s_nop 0
	v_cndmask_b32_e64 v5, v5, v7, s[8:9]
	s_mul_i32 s8, s52, s13
	s_ashr_i32 s9, s8, 31
	s_lshl_b64 s[8:9], s[8:9], 1
	s_add_u32 s40, s24, s8
	s_addc_u32 s41, s25, s9
	s_ashr_i32 s31, s30, 31
	s_lshl_b64 s[8:9], s[30:31], 1
	v_cvt_f16_f32_e32 v12, v5
	s_add_u32 s40, s40, s8
	s_addc_u32 s41, s41, s9
	v_lshl_add_u64 v[4:5], v[18:19], 1, s[40:41]
	v_cmp_gt_u32_e64 s[8:9], 30, v9
	v_or_b32_e32 v12, v13, v12
	;;#ASMSTART
	global_atomic_pk_add_f16 v[4:5], v12, off
	
	;;#ASMEND
	s_and_b64 exec, exec, s[8:9]
	s_cbranch_execz .LBB149_28
; %bb.25:                               ;   in Loop: Header=BB149_7 Depth=1
	v_mov_b32_e32 v9, v8
	v_cndmask_b32_e64 v11, v11, v7, s[6:7]
	v_mov_b32_e32 v12, v8
	v_mov_b32_e32 v13, v8
	v_pk_mul_f32 v[8:9], v[8:9], v[0:1]
	v_cmp_eq_u32_e64 s[6:7], 1, v37
	v_pk_mul_f32 v[12:13], v[12:13], v[2:3]
	v_cmp_eq_u32_e64 s[8:9], 3, v37
	v_cndmask_b32_e64 v0, v8, v9, s[6:7]
	v_cmp_eq_u32_e64 s[6:7], 2, v37
	v_cvt_f16_f32_sdwa v11, v11 dst_sel:WORD_1 dst_unused:UNUSED_PAD src0_sel:DWORD
	s_nop 0
	v_cndmask_b32_e64 v0, v0, v12, s[6:7]
	v_cndmask_b32_e64 v0, v0, v13, s[8:9]
	ds_bpermute_b32 v1, v45, v0
	v_cndmask_b32_e32 v0, v6, v7, vcc
	v_cmp_ne_u32_e32 vcc, 0, v37
	v_lshl_add_u64 v[6:7], s[10:11], 2, v[4:5]
	v_cvt_f16_f32_e32 v5, v0
	s_waitcnt lgkmcnt(0)
	v_cndmask_b32_e32 v0, v9, v1, vcc
	v_cmp_eq_u32_e32 vcc, 0, v37
	v_cndmask_b32_e64 v2, v13, v1, s[8:9]
	v_cndmask_b32_e64 v3, v12, v1, s[6:7]
	v_cndmask_b32_e32 v1, v8, v1, vcc
	v_cmp_eq_u32_e32 vcc, 1, v38
	v_or_b32_e32 v5, v11, v5
	;;#ASMSTART
	global_atomic_pk_add_f16 v[6:7], v5, off
	
	;;#ASMEND
	v_add_u32_e32 v5, s54, v40
	v_cndmask_b32_e32 v4, v1, v0, vcc
	v_cmp_eq_u32_e32 vcc, 2, v38
	s_nop 1
	v_cndmask_b32_e32 v4, v4, v3, vcc
	v_cmp_eq_u32_e32 vcc, 3, v38
	s_nop 1
	v_cndmask_b32_e32 v4, v4, v2, vcc
	ds_bpermute_b32 v4, v45, v4
	v_cmp_gt_u32_e32 vcc, 32, v5
	s_and_b64 exec, exec, vcc
	s_cbranch_execz .LBB149_28
; %bb.26:                               ;   in Loop: Header=BB149_7 Depth=1
	v_cmp_eq_u32_e32 vcc, 1, v38
	v_cmp_eq_u32_e64 s[6:7], 2, v38
	v_cmp_gt_u32_e64 s[8:9], 30, v5
	s_waitcnt lgkmcnt(0)
	v_cndmask_b32_e32 v0, v0, v4, vcc
	v_cmp_eq_u32_e32 vcc, 0, v38
	v_cvt_f16_f32_sdwa v7, v0 dst_sel:WORD_1 dst_unused:UNUSED_PAD src0_sel:DWORD
	s_nop 0
	v_cndmask_b32_e32 v1, v1, v4, vcc
	v_cvt_f16_f32_e32 v6, v1
	v_cmp_eq_u32_e32 vcc, 3, v38
	v_lshl_add_u64 v[0:1], v[20:21], 1, s[40:41]
	v_or_b32_e32 v6, v7, v6
	;;#ASMSTART
	global_atomic_pk_add_f16 v[0:1], v6, off
	
	;;#ASMEND
	s_and_b64 exec, exec, s[8:9]
	s_cbranch_execz .LBB149_28
; %bb.27:                               ;   in Loop: Header=BB149_7 Depth=1
	v_cndmask_b32_e32 v2, v2, v4, vcc
	v_cndmask_b32_e64 v3, v3, v4, s[6:7]
	v_cvt_f16_f32_sdwa v2, v2 dst_sel:WORD_1 dst_unused:UNUSED_PAD src0_sel:DWORD
	v_cvt_f16_f32_e32 v3, v3
	v_lshl_add_u64 v[0:1], s[10:11], 2, v[0:1]
	v_or_b32_e32 v2, v2, v3
	;;#ASMSTART
	global_atomic_pk_add_f16 v[0:1], v2, off
	
	;;#ASMEND
.LBB149_28:                             ;   in Loop: Header=BB149_7 Depth=1
	s_or_b64 exec, exec, s[38:39]
	v_subrev_u32_e32 v46, s55, v46
.LBB149_29:                             ;   in Loop: Header=BB149_7 Depth=1
	s_or_b64 exec, exec, s[36:37]
.LBB149_30:                             ;   in Loop: Header=BB149_7 Depth=1
	s_andn2_saveexec_b64 s[6:7], s[34:35]
	s_cbranch_execz .LBB149_39
; %bb.31:                               ;   in Loop: Header=BB149_7 Depth=1
	v_cmp_gt_i32_e32 vcc, s55, v46
	s_and_saveexec_b64 s[8:9], vcc
	s_cbranch_execz .LBB149_38
; %bb.32:                               ;   in Loop: Header=BB149_7 Depth=1
	s_mul_i32 s30, s30, s15
	s_ashr_i32 s31, s30, 31
	s_waitcnt lgkmcnt(0)
	s_add_u32 s30, s22, s30
	s_addc_u32 s31, s23, s31
	s_ashr_i32 s34, s53, 31
	s_add_u32 s30, s30, s53
	s_addc_u32 s31, s31, s34
	v_lshl_add_u64 v[0:1], s[30:31], 0, v[24:25]
	v_lshl_add_u64 v[26:27], v[0:1], 0, v[22:23]
	s_mov_b64 s[30:31], 0
	s_branch .LBB149_34
.LBB149_33:                             ;   in Loop: Header=BB149_34 Depth=2
	s_or_b64 exec, exec, s[34:35]
	v_lshl_add_u32 v30, v28, 12, v43
	;;#ASMSTART
	s_waitcnt vmcnt(3)
	;;#ASMEND
	ds_write2_b32 v30, v12, v13 offset1:32
	ds_write2_b32 v30, v14, v15 offset0:64 offset1:96
	v_add_u32_e32 v12, 0x400, v30
	;;#ASMSTART
	s_waitcnt vmcnt(2)
	;;#ASMEND
	ds_write2_b32 v12, v8, v9 offset1:32
	ds_write2_b32 v12, v10, v11 offset0:64 offset1:96
	v_add_u32_e32 v8, 0x800, v30
	;; [unrolled: 6-line block ×3, first 2 shown]
	v_add_u32_e32 v46, s18, v46
	;;#ASMSTART
	s_waitcnt vmcnt(0)
	;;#ASMEND
	ds_write2_b32 v4, v0, v1 offset1:32
	ds_write2_b32 v4, v2, v3 offset0:64 offset1:96
	v_add_u32_e32 v0, 1, v34
	v_add_u32_e32 v10, s18, v28
	v_cmp_le_i32_e32 vcc, s55, v46
	ds_write_b32 v29, v0 offset:16
	v_add_u32_e32 v0, 2, v34
	s_or_b64 s[30:31], vcc, s[30:31]
	v_cmp_lt_i32_e32 vcc, 1, v10
	s_nop 1
	v_cndmask_b32_e32 v34, v34, v0, vcc
	s_andn2_b64 exec, exec, s[30:31]
	s_cbranch_execz .LBB149_37
.LBB149_34:                             ;   Parent Loop BB149_7 Depth=1
                                        ; =>  This Loop Header: Depth=2
                                        ;       Child Loop BB149_36 Depth 3
	v_cmp_gt_i32_e32 vcc, 2, v10
	s_nop 1
	v_cndmask_b32_e64 v0, -2, 0, vcc
	v_add_u32_e32 v28, v0, v10
	v_lshlrev_b32_e32 v0, 8, v46
	v_ashrrev_i32_e32 v1, 31, v0
	v_lshl_add_u64 v[0:1], v[26:27], 0, v[0:1]
	v_lshlrev_b32_e32 v29, 2, v28
	;;#ASMSTART
	global_load_dwordx4 v[12:15], v[0:1], off offset:0    sc0 sc1 nt  
	global_load_dwordx4 v[8:11], v[0:1], off offset:64   sc0 sc1 nt  
	global_load_dwordx4 v[4:7], v[0:1], off offset:128  sc0 sc1 nt  
	global_load_dwordx4 v[0:3], v[0:1], off offset:192  sc0 sc1 nt  
	
	;;#ASMEND
	ds_read_b32 v30, v29 offset:24592
	v_add_u32_e32 v29, 0x6000, v29
	s_waitcnt lgkmcnt(0)
	v_cmp_ne_u32_e32 vcc, v30, v34
	s_and_saveexec_b64 s[34:35], vcc
	s_cbranch_execz .LBB149_33
; %bb.35:                               ;   in Loop: Header=BB149_34 Depth=2
	s_mov_b64 s[36:37], 0
.LBB149_36:                             ;   Parent Loop BB149_7 Depth=1
                                        ;     Parent Loop BB149_34 Depth=2
                                        ; =>    This Inner Loop Header: Depth=3
	;;#ASMSTART
	s_sleep 0
	;;#ASMEND
	ds_read_b32 v30, v29 offset:16
	s_waitcnt lgkmcnt(0)
	v_cmp_eq_u32_e32 vcc, v30, v34
	s_or_b64 s[36:37], vcc, s[36:37]
	s_andn2_b64 exec, exec, s[36:37]
	s_cbranch_execnz .LBB149_36
	s_branch .LBB149_33
.LBB149_37:                             ;   in Loop: Header=BB149_7 Depth=1
	s_or_b64 exec, exec, s[30:31]
.LBB149_38:                             ;   in Loop: Header=BB149_7 Depth=1
	s_or_b64 exec, exec, s[8:9]
	v_subrev_u32_e32 v46, s55, v46
.LBB149_39:                             ;   in Loop: Header=BB149_7 Depth=1
	s_or_b64 exec, exec, s[6:7]
.LBB149_40:                             ;   in Loop: Header=BB149_7 Depth=1
	s_andn2_saveexec_b64 s[6:7], s[28:29]
	s_cbranch_execz .LBB149_6
; %bb.41:                               ;   in Loop: Header=BB149_7 Depth=1
	s_lshl_b32 s36, s55, 1
	v_cmp_gt_i32_e32 vcc, s36, v46
	s_and_saveexec_b64 s[8:9], vcc
	s_cbranch_execz .LBB149_5
; %bb.42:                               ;   in Loop: Header=BB149_7 Depth=1
	s_mul_i32 s52, s52, s14
	s_ashr_i32 s28, s52, 31
	s_waitcnt lgkmcnt(0)
	s_add_u32 s29, s20, s52
	v_add_u32_e32 v2, s54, v41
	s_addc_u32 s30, s21, s28
	s_ashr_i32 s31, s53, 31
	v_cmp_gt_u32_e32 vcc, 32, v2
	s_add_u32 s28, s29, s53
	s_addc_u32 s29, s30, s31
	v_cndmask_b32_e32 v0, 0, v44, vcc
	v_ashrrev_i32_e32 v1, 31, v0
	v_lshl_add_u64 v[0:1], s[28:29], 0, v[0:1]
	v_lshl_add_u64 v[26:27], v[0:1], 0, v[22:23]
	v_sub_u32_e32 v28, 31, v2
	s_mov_b64 s[28:29], 0
	s_branch .LBB149_44
.LBB149_43:                             ;   in Loop: Header=BB149_44 Depth=2
	s_or_b64 exec, exec, s[30:31]
	v_lshl_or_b32 v31, v29, 12, v42
	;;#ASMSTART
	s_waitcnt vmcnt(3)
	;;#ASMEND
	ds_write2_b32 v31, v12, v13 offset1:32
	ds_write2_b32 v31, v14, v15 offset0:64 offset1:96
	v_add_u32_e32 v12, 0x400, v31
	;;#ASMSTART
	s_waitcnt vmcnt(2)
	;;#ASMEND
	ds_write2_b32 v12, v8, v9 offset1:32
	ds_write2_b32 v12, v10, v11 offset0:64 offset1:96
	v_add_u32_e32 v8, 0x800, v31
	;; [unrolled: 6-line block ×3, first 2 shown]
	v_add_u32_e32 v46, s17, v46
	;;#ASMSTART
	s_waitcnt vmcnt(0)
	;;#ASMEND
	ds_write2_b32 v4, v0, v1 offset1:32
	ds_write2_b32 v4, v2, v3 offset0:64 offset1:96
	v_add_u32_e32 v0, 1, v34
	v_add_u32_e32 v10, s17, v29
	v_cmp_le_i32_e32 vcc, s36, v46
	ds_write_b32 v30, v0
	v_add_u32_e32 v0, 2, v34
	s_or_b64 s[28:29], vcc, s[28:29]
	v_cmp_lt_i32_e32 vcc, 3, v10
	s_nop 1
	v_cndmask_b32_e32 v34, v34, v0, vcc
	s_andn2_b64 exec, exec, s[28:29]
	s_cbranch_execz .LBB149_4
.LBB149_44:                             ;   Parent Loop BB149_7 Depth=1
                                        ; =>  This Loop Header: Depth=2
                                        ;       Child Loop BB149_46 Depth 3
	v_cmp_gt_i32_e32 vcc, 4, v10
	s_nop 1
	v_cndmask_b32_e64 v0, -4, 0, vcc
	v_add_u32_e32 v29, v0, v10
	v_lshrrev_b32_e32 v0, 31, v46
	v_add_u32_e32 v0, v46, v0
	v_and_b32_e32 v1, 0xffffffe, v0
	v_sub_u32_e32 v1, v46, v1
	v_lshlrev_b32_e32 v1, 4, v1
	v_cmp_le_i32_e32 vcc, v1, v28
	v_lshlrev_b32_e32 v0, 7, v0
	v_and_b32_e32 v0, 0xffffff00, v0
	v_cndmask_b32_e32 v2, 0, v1, vcc
	v_ashrrev_i32_e32 v1, 31, v0
	v_mul_lo_u32 v2, v2, s14
	v_lshl_add_u64 v[0:1], v[26:27], 0, v[0:1]
	v_ashrrev_i32_e32 v3, 31, v2
	v_lshl_add_u64 v[0:1], v[0:1], 0, v[2:3]
	v_lshlrev_b32_e32 v30, 2, v29
	;;#ASMSTART
	global_load_dwordx4 v[12:15], v[0:1], off offset:0    
	global_load_dwordx4 v[8:11], v[0:1], off offset:64   
	;; [unrolled: 1-line block ×4, first 2 shown]
	
	;;#ASMEND
	ds_read_b32 v31, v30 offset:24576
	v_add_u32_e32 v30, 0x6000, v30
	s_waitcnt lgkmcnt(0)
	v_cmp_ne_u32_e32 vcc, v31, v34
	s_and_saveexec_b64 s[30:31], vcc
	s_cbranch_execz .LBB149_43
; %bb.45:                               ;   in Loop: Header=BB149_44 Depth=2
	s_mov_b64 s[34:35], 0
.LBB149_46:                             ;   Parent Loop BB149_7 Depth=1
                                        ;     Parent Loop BB149_44 Depth=2
                                        ; =>    This Inner Loop Header: Depth=3
	;;#ASMSTART
	s_sleep 0
	;;#ASMEND
	ds_read_b32 v31, v30
	s_waitcnt lgkmcnt(0)
	v_cmp_eq_u32_e32 vcc, v31, v34
	s_or_b64 s[34:35], vcc, s[34:35]
	s_andn2_b64 exec, exec, s[34:35]
	s_cbranch_execnz .LBB149_46
	s_branch .LBB149_43
.LBB149_47:
	s_endpgm
	.section	.rodata,"a",@progbits
	.p2align	6, 0x0
	.amdhsa_kernel _Z19_skinny_gemm_kernelILi2ELi1ELi2ELi16ELi8EEvPKhS1_P6__halfPKfiiiiiiii
		.amdhsa_group_segment_fixed_size 24600
		.amdhsa_private_segment_fixed_size 0
		.amdhsa_kernarg_size 64
		.amdhsa_user_sgpr_count 2
		.amdhsa_user_sgpr_dispatch_ptr 0
		.amdhsa_user_sgpr_queue_ptr 0
		.amdhsa_user_sgpr_kernarg_segment_ptr 1
		.amdhsa_user_sgpr_dispatch_id 0
		.amdhsa_user_sgpr_kernarg_preload_length 0
		.amdhsa_user_sgpr_kernarg_preload_offset 0
		.amdhsa_user_sgpr_private_segment_size 0
		.amdhsa_uses_dynamic_stack 0
		.amdhsa_enable_private_segment 0
		.amdhsa_system_sgpr_workgroup_id_x 1
		.amdhsa_system_sgpr_workgroup_id_y 0
		.amdhsa_system_sgpr_workgroup_id_z 0
		.amdhsa_system_sgpr_workgroup_info 0
		.amdhsa_system_vgpr_workitem_id 0
		.amdhsa_next_free_vgpr 58
		.amdhsa_next_free_sgpr 56
		.amdhsa_accum_offset 60
		.amdhsa_reserve_vcc 1
		.amdhsa_float_round_mode_32 0
		.amdhsa_float_round_mode_16_64 0
		.amdhsa_float_denorm_mode_32 3
		.amdhsa_float_denorm_mode_16_64 3
		.amdhsa_dx10_clamp 1
		.amdhsa_ieee_mode 1
		.amdhsa_fp16_overflow 0
		.amdhsa_tg_split 0
		.amdhsa_exception_fp_ieee_invalid_op 0
		.amdhsa_exception_fp_denorm_src 0
		.amdhsa_exception_fp_ieee_div_zero 0
		.amdhsa_exception_fp_ieee_overflow 0
		.amdhsa_exception_fp_ieee_underflow 0
		.amdhsa_exception_fp_ieee_inexact 0
		.amdhsa_exception_int_div_zero 0
	.end_amdhsa_kernel
	.section	.text._Z19_skinny_gemm_kernelILi2ELi1ELi2ELi16ELi8EEvPKhS1_P6__halfPKfiiiiiiii,"axG",@progbits,_Z19_skinny_gemm_kernelILi2ELi1ELi2ELi16ELi8EEvPKhS1_P6__halfPKfiiiiiiii,comdat
.Lfunc_end149:
	.size	_Z19_skinny_gemm_kernelILi2ELi1ELi2ELi16ELi8EEvPKhS1_P6__halfPKfiiiiiiii, .Lfunc_end149-_Z19_skinny_gemm_kernelILi2ELi1ELi2ELi16ELi8EEvPKhS1_P6__halfPKfiiiiiiii
                                        ; -- End function
	.set _Z19_skinny_gemm_kernelILi2ELi1ELi2ELi16ELi8EEvPKhS1_P6__halfPKfiiiiiiii.num_vgpr, 58
	.set _Z19_skinny_gemm_kernelILi2ELi1ELi2ELi16ELi8EEvPKhS1_P6__halfPKfiiiiiiii.num_agpr, 0
	.set _Z19_skinny_gemm_kernelILi2ELi1ELi2ELi16ELi8EEvPKhS1_P6__halfPKfiiiiiiii.numbered_sgpr, 56
	.set _Z19_skinny_gemm_kernelILi2ELi1ELi2ELi16ELi8EEvPKhS1_P6__halfPKfiiiiiiii.num_named_barrier, 0
	.set _Z19_skinny_gemm_kernelILi2ELi1ELi2ELi16ELi8EEvPKhS1_P6__halfPKfiiiiiiii.private_seg_size, 0
	.set _Z19_skinny_gemm_kernelILi2ELi1ELi2ELi16ELi8EEvPKhS1_P6__halfPKfiiiiiiii.uses_vcc, 1
	.set _Z19_skinny_gemm_kernelILi2ELi1ELi2ELi16ELi8EEvPKhS1_P6__halfPKfiiiiiiii.uses_flat_scratch, 0
	.set _Z19_skinny_gemm_kernelILi2ELi1ELi2ELi16ELi8EEvPKhS1_P6__halfPKfiiiiiiii.has_dyn_sized_stack, 0
	.set _Z19_skinny_gemm_kernelILi2ELi1ELi2ELi16ELi8EEvPKhS1_P6__halfPKfiiiiiiii.has_recursion, 0
	.set _Z19_skinny_gemm_kernelILi2ELi1ELi2ELi16ELi8EEvPKhS1_P6__halfPKfiiiiiiii.has_indirect_call, 0
	.section	.AMDGPU.csdata,"",@progbits
; Kernel info:
; codeLenInByte = 3704
; TotalNumSgprs: 62
; NumVgprs: 58
; NumAgprs: 0
; TotalNumVgprs: 58
; ScratchSize: 0
; MemoryBound: 0
; FloatMode: 240
; IeeeMode: 1
; LDSByteSize: 24600 bytes/workgroup (compile time only)
; SGPRBlocks: 7
; VGPRBlocks: 7
; NumSGPRsForWavesPerEU: 62
; NumVGPRsForWavesPerEU: 58
; AccumOffset: 60
; Occupancy: 8
; WaveLimiterHint : 0
; COMPUTE_PGM_RSRC2:SCRATCH_EN: 0
; COMPUTE_PGM_RSRC2:USER_SGPR: 2
; COMPUTE_PGM_RSRC2:TRAP_HANDLER: 0
; COMPUTE_PGM_RSRC2:TGID_X_EN: 1
; COMPUTE_PGM_RSRC2:TGID_Y_EN: 0
; COMPUTE_PGM_RSRC2:TGID_Z_EN: 0
; COMPUTE_PGM_RSRC2:TIDIG_COMP_CNT: 0
; COMPUTE_PGM_RSRC3_GFX90A:ACCUM_OFFSET: 14
; COMPUTE_PGM_RSRC3_GFX90A:TG_SPLIT: 0
	.section	.text._Z19_skinny_gemm_kernelILi2ELi1ELi2ELi32ELi4EEvPKhS1_P6__halfPKfiiiiiiii,"axG",@progbits,_Z19_skinny_gemm_kernelILi2ELi1ELi2ELi32ELi4EEvPKhS1_P6__halfPKfiiiiiiii,comdat
	.protected	_Z19_skinny_gemm_kernelILi2ELi1ELi2ELi32ELi4EEvPKhS1_P6__halfPKfiiiiiiii ; -- Begin function _Z19_skinny_gemm_kernelILi2ELi1ELi2ELi32ELi4EEvPKhS1_P6__halfPKfiiiiiiii
	.globl	_Z19_skinny_gemm_kernelILi2ELi1ELi2ELi32ELi4EEvPKhS1_P6__halfPKfiiiiiiii
	.p2align	8
	.type	_Z19_skinny_gemm_kernelILi2ELi1ELi2ELi32ELi4EEvPKhS1_P6__halfPKfiiiiiiii,@function
_Z19_skinny_gemm_kernelILi2ELi1ELi2ELi32ELi4EEvPKhS1_P6__halfPKfiiiiiiii: ; @_Z19_skinny_gemm_kernelILi2ELi1ELi2ELi32ELi4EEvPKhS1_P6__halfPKfiiiiiiii
; %bb.0:
	v_cmp_gt_u32_e32 vcc, 6, v0
	s_and_saveexec_b64 s[4:5], vcc
; %bb.1:
	v_lshlrev_b32_e32 v1, 2, v0
	v_mov_b32_e32 v2, 0
	ds_write_b32 v1, v2 offset:12288
; %bb.2:
	s_or_b64 exec, exec, s[4:5]
	s_load_dwordx8 s[36:43], s[0:1], 0x20
	s_waitcnt lgkmcnt(0)
	s_barrier
	s_add_i32 s3, s36, 63
	s_ashr_i32 s5, s3, 31
	s_add_i32 s4, s37, 31
	s_lshr_b32 s5, s5, 26
	s_ashr_i32 s6, s4, 31
	s_add_i32 s3, s3, s5
	s_ashr_i32 s33, s3, 6
	s_lshr_b32 s3, s6, 27
	s_add_i32 s4, s4, s3
	s_ashr_i32 s62, s4, 5
	s_mul_i32 s3, s62, s33
	s_mul_i32 s3, s3, s40
	s_add_i32 s4, s3, 0x12f
	s_mul_hi_i32 s4, s4, 0x6bca1af3
	s_lshr_b32 s5, s4, 31
	s_ashr_i32 s4, s4, 7
	s_add_i32 s4, s4, s5
	s_add_i32 s5, s2, 1
	s_mul_i32 s5, s4, s5
	v_cvt_f64_i32_e32 v[2:3], s3
	v_cvt_f64_u32_e32 v[4:5], s5
	v_min_f64 v[2:3], v[2:3], v[4:5]
	v_cvt_i32_f64_e32 v46, v[2:3]
	s_mul_i32 s63, s4, s2
	v_cmp_ge_i32_e32 vcc, s63, v46
	s_cbranch_vccnz .LBB150_48
; %bb.3:
	v_lshrrev_b32_e32 v1, 6, v0
	s_add_i32 s4, s42, s41
	s_load_dwordx8 s[44:51], s[0:1], 0x0
	v_cmp_le_i32_e64 s[0:1], s4, v1
	v_mov_b32_e32 v2, s41
	v_cmp_le_i32_e64 s[2:3], s41, v1
	v_mov_b32_e32 v3, s42
	v_cndmask_b32_e64 v3, 0, v3, s[0:1]
	v_cndmask_b32_e64 v2, 0, v2, s[2:3]
	s_abs_i32 s5, s40
	v_add_u32_e32 v2, v2, v3
	v_cvt_f32_u32_e32 v3, s5
	v_sub_u32_e32 v40, v1, v2
	s_ashr_i32 s6, s38, 31
	s_lshr_b32 s6, s6, 26
	v_rcp_iflag_f32_e32 v2, v3
	s_sub_i32 s9, 0, s5
	s_add_i32 s6, s38, s6
	s_ashr_i32 s6, s6, 6
	v_mul_f32_e32 v2, 0x4f7ffffe, v2
	v_cvt_u32_f32_e32 v2, v2
	s_abs_i32 s8, s6
	s_xor_b32 s7, s6, s40
	s_ashr_i32 s7, s7, 31
	v_readfirstlane_b32 s10, v2
	s_mul_i32 s9, s9, s10
	s_mul_hi_u32 s9, s10, s9
	s_add_i32 s10, s10, s9
	s_mul_hi_u32 s9, s8, s10
	s_mul_i32 s10, s9, s5
	s_sub_i32 s8, s8, s10
	s_add_i32 s10, s9, 1
	s_sub_i32 s11, s8, s5
	s_cmp_ge_u32 s8, s5
	s_cselect_b32 s9, s10, s9
	s_cselect_b32 s8, s11, s8
	s_add_i32 s10, s9, 1
	s_cmp_ge_u32 s8, s5
	s_cselect_b32 s5, s10, s9
	s_xor_b32 s5, s5, s7
	s_sub_i32 s64, s5, s7
	s_add_i32 s40, s40, -1
	s_mul_i32 s5, s64, s40
	s_add_i32 s4, s4, s43
	v_and_b32_e32 v48, 31, v0
	v_lshrrev_b32_e32 v2, 3, v0
	s_sub_i32 s65, s6, s5
	v_cmp_gt_i32_e64 s[4:5], s4, v1
	v_lshlrev_b32_e32 v1, 2, v48
	v_and_b32_e32 v3, 4, v2
	v_and_b32_e32 v5, 1, v0
	v_lshlrev_b32_e32 v2, 6, v3
	v_or_b32_e32 v4, 0x2000, v1
	v_or_b32_e32 v3, v3, v5
	;; [unrolled: 1-line block ×4, first 2 shown]
	v_lshlrev_b32_e32 v2, 1, v5
	v_or_b32_e32 v5, 2, v3
	v_sub_u32_e32 v60, 32, v5
	v_or_b32_e32 v5, 8, v3
	v_sub_u32_e32 v61, 32, v5
	;; [unrolled: 2-line block ×5, first 2 shown]
	v_mul_lo_u32 v18, s37, v3
	v_sub_u32_e32 v64, 32, v5
	v_or_b32_e32 v5, 24, v3
	v_or_b32_e32 v3, 26, v3
	v_sub_u32_e32 v66, 32, v3
	v_lshrrev_b32_e32 v3, 1, v0
	s_abs_i32 s66, s33
	v_and_b32_e32 v34, 16, v3
	v_cvt_f32_u32_e32 v3, s66
	v_sub_u32_e32 v2, v0, v2
	v_add_u32_e32 v2, 1, v2
	v_and_b32_e32 v6, 63, v2
	v_bitop3_b32 v51, v0, 1, v0 bitop3:0xc
	v_bitop3_b32 v52, v0, 3, 1 bitop3:0x6c
	;; [unrolled: 1-line block ×8, first 2 shown]
	v_and_b32_e32 v2, 30, v0
	v_lshlrev_b32_e32 v0, 4, v0
	v_and_b32_e32 v0, 0x200, v0
	v_rcp_iflag_f32_e32 v3, v3
	s_abs_i32 s67, s62
	v_or_b32_e32 v69, v1, v0
	v_cvt_f32_u32_e32 v1, s67
	s_lshl_b32 s6, s37, 1
	v_add_u32_e32 v20, s6, v18
	s_mul_i32 s7, s37, 6
	v_or_b32_e32 v67, v4, v0
	v_mul_f32_e32 v0, 0x4f7ffffe, v3
	v_add_u32_e32 v22, s7, v20
	v_cvt_u32_f32_e32 v0, v0
	v_rcp_iflag_f32_e32 v1, v1
	v_add_u32_e32 v24, s6, v22
	v_add_u32_e32 v26, s7, v24
	;; [unrolled: 1-line block ×4, first 2 shown]
	v_readfirstlane_b32 s7, v0
	v_mul_f32_e32 v0, 0x4f7ffffe, v1
	v_cvt_u32_f32_e32 v0, v0
	v_add_u32_e32 v32, s6, v30
	s_sub_i32 s6, 0, s66
	s_mul_i32 s6, s6, s7
	s_mul_hi_u32 s6, s7, s6
	s_add_i32 s69, s7, s6
	s_sub_i32 s6, 0, s67
	v_readfirstlane_b32 s7, v0
	v_mbcnt_lo_u32_b32 v0, -1, 0
	s_mul_i32 s6, s6, s7
	v_mbcnt_hi_u32_b32 v0, -1, v0
	v_mov_b32_e32 v17, 0
	v_mul_lo_u32 v36, s39, v48
	s_mul_hi_u32 s6, s7, s6
	v_and_or_b32 v0, v0, 64, v6
	v_cndmask_b32_e64 v47, 0, 1, s[0:1]
	v_ashrrev_i32_e32 v19, 31, v18
	v_ashrrev_i32_e32 v21, 31, v20
	;; [unrolled: 1-line block ×6, first 2 shown]
	v_sub_u32_e32 v65, 32, v5
	v_ashrrev_i32_e32 v31, 31, v30
	v_ashrrev_i32_e32 v33, 31, v32
	;; [unrolled: 1-line block ×3, first 2 shown]
	v_mov_b32_e32 v35, v17
	v_mul_lo_u32 v68, s38, v48
	s_ashr_i32 s68, s33, 31
	s_ashr_i32 s70, s62, 31
	s_add_i32 s71, s7, s6
	v_lshlrev_b32_e32 v16, 1, v2
	v_lshlrev_b32_e32 v70, 2, v0
	v_mov_b32_e32 v71, v40
	s_branch .LBB150_7
.LBB150_4:                              ;   in Loop: Header=BB150_7 Depth=1
	s_or_b64 exec, exec, s[10:11]
.LBB150_5:                              ;   in Loop: Header=BB150_7 Depth=1
	s_or_b64 exec, exec, s[8:9]
	v_subrev_u32_e32 v71, s16, v71
.LBB150_6:                              ;   in Loop: Header=BB150_7 Depth=1
	s_or_b64 exec, exec, s[6:7]
	s_add_i32 s63, s63, 1
	v_cmp_ge_i32_e32 vcc, s63, v46
	s_cbranch_vccnz .LBB150_48
.LBB150_7:                              ; =>This Loop Header: Depth=1
                                        ;     Child Loop BB150_13 Depth 2
                                        ;       Child Loop BB150_15 Depth 3
                                        ;       Child Loop BB150_18 Depth 3
                                        ;     Child Loop BB150_35 Depth 2
                                        ;       Child Loop BB150_37 Depth 3
                                        ;     Child Loop BB150_45 Depth 2
                                        ;       Child Loop BB150_47 Depth 3
	s_abs_i32 s7, s63
	s_mul_hi_u32 s8, s7, s69
	s_mul_i32 s9, s8, s66
	s_ashr_i32 s6, s63, 31
	s_sub_i32 s7, s7, s9
	s_xor_b32 s6, s6, s68
	s_add_i32 s9, s8, 1
	s_sub_i32 s10, s7, s66
	s_cmp_ge_u32 s7, s66
	s_cselect_b32 s8, s9, s8
	s_cselect_b32 s7, s10, s7
	s_add_i32 s9, s8, 1
	s_cmp_ge_u32 s7, s66
	s_cselect_b32 s7, s9, s8
	s_xor_b32 s7, s7, s6
	s_sub_i32 s6, s7, s6
	s_abs_i32 s8, s6
	s_mul_i32 s7, s6, s33
	s_mul_hi_u32 s9, s8, s71
	s_sub_i32 s7, s63, s7
	s_mul_i32 s10, s9, s67
	s_lshl_b32 s72, s7, 6
	s_ashr_i32 s7, s6, 31
	s_sub_i32 s8, s8, s10
	s_xor_b32 s7, s7, s70
	s_add_i32 s10, s9, 1
	s_sub_i32 s11, s8, s67
	s_cmp_ge_u32 s8, s67
	s_cselect_b32 s9, s10, s9
	s_cselect_b32 s8, s11, s8
	s_add_i32 s10, s9, 1
	s_cmp_ge_u32 s8, s67
	s_cselect_b32 s8, s10, s9
	s_xor_b32 s8, s8, s7
	s_sub_i32 s7, s8, s7
	s_mul_i32 s8, s7, s64
	s_lshl_b32 s73, s8, 6
	s_cmp_eq_u32 s7, s40
	s_cselect_b32 s75, s65, s64
	s_sub_i32 s74, s72, s36
	s_add_i32 s74, s74, 64
	s_and_saveexec_b64 s[8:9], s[2:3]
	s_xor_b64 s[52:53], exec, s[8:9]
	s_cbranch_execz .LBB150_41
; %bb.8:                                ;   in Loop: Header=BB150_7 Depth=1
	s_mul_i32 s7, s7, s62
	s_sub_i32 s6, s6, s7
	s_lshl_b32 s6, s6, 5
	s_sub_i32 s14, s6, s37
	s_add_i32 s14, s14, 32
	s_max_i32 s7, s14, 0
	s_sub_i32 s54, s6, s7
	s_and_saveexec_b64 s[6:7], s[0:1]
	s_xor_b64 s[56:57], exec, s[6:7]
	s_cbranch_execz .LBB150_31
; %bb.9:                                ;   in Loop: Header=BB150_7 Depth=1
	s_and_saveexec_b64 s[58:59], s[4:5]
	s_cbranch_execz .LBB150_30
; %bb.10:                               ;   in Loop: Header=BB150_7 Depth=1
	s_waitcnt lgkmcnt(0)
	global_load_dword v72, v17, s[50:51]
	v_mov_b32_e32 v15, 0
	v_cmp_gt_i32_e32 vcc, s75, v71
	v_mov_b32_e32 v14, v15
	v_mov_b32_e32 v13, v15
	;; [unrolled: 1-line block ×15, first 2 shown]
	s_and_saveexec_b64 s[6:7], vcc
	s_cbranch_execz .LBB150_20
; %bb.11:                               ;   in Loop: Header=BB150_7 Depth=1
	v_mov_b32_e32 v0, 0
	s_mov_b64 s[8:9], 0
	v_mov_b32_e32 v1, v0
	v_mov_b32_e32 v2, v0
	v_mov_b32_e32 v3, v0
	v_mov_b32_e32 v4, v0
	v_mov_b32_e32 v5, v0
	v_mov_b32_e32 v6, v0
	v_mov_b32_e32 v7, v0
	v_mov_b32_e32 v8, v0
	v_mov_b32_e32 v9, v0
	v_mov_b32_e32 v10, v0
	v_mov_b32_e32 v11, v0
	v_mov_b32_e32 v12, v0
	v_mov_b32_e32 v13, v0
	v_mov_b32_e32 v14, v0
	v_mov_b32_e32 v15, v0
	s_branch .LBB150_13
.LBB150_12:                             ;   in Loop: Header=BB150_13 Depth=2
	s_or_b64 exec, exec, s[10:11]
	v_add_u32_e32 v78, v50, v76
	ds_read2_b32 v[76:77], v78 offset1:32
	v_add_u32_e32 v71, s43, v71
	s_waitcnt lgkmcnt(0)
	v_mfma_f32_32x32x16_fp8_fp8 v[0:15], v[44:45], v[76:77], v[0:15]
	ds_read2_b32 v[44:45], v78 offset0:128 offset1:160
	s_waitcnt lgkmcnt(0)
	v_mfma_f32_32x32x16_fp8_fp8 v[0:15], v[42:43], v[44:45], v[0:15]
	v_add_u32_e32 v44, 0x400, v78
	ds_read2_b32 v[42:43], v44 offset1:32
	ds_read2_b32 v[44:45], v44 offset0:128 offset1:160
	ds_write_b32 v74, v75 offset:12292
	s_waitcnt lgkmcnt(2)
	v_mfma_f32_32x32x16_fp8_fp8 v[0:15], v[40:41], v[42:43], v[0:15]
	v_add_u32_e32 v40, s43, v73
	v_add_u32_e32 v41, 2, v47
	v_cmp_lt_i32_e32 vcc, 1, v40
	s_nop 1
	v_cndmask_b32_e32 v47, v47, v41, vcc
	v_cmp_le_i32_e32 vcc, s75, v71
	s_waitcnt lgkmcnt(1)
	v_mfma_f32_32x32x16_fp8_fp8 v[0:15], v[38:39], v[44:45], v[0:15]
	s_or_b64 s[8:9], vcc, s[8:9]
	s_andn2_b64 exec, exec, s[8:9]
	s_cbranch_execz .LBB150_19
.LBB150_13:                             ;   Parent Loop BB150_7 Depth=1
                                        ; =>  This Loop Header: Depth=2
                                        ;       Child Loop BB150_15 Depth 3
                                        ;       Child Loop BB150_18 Depth 3
	v_cmp_gt_i32_e32 vcc, 2, v40
	s_nop 1
	v_cndmask_b32_e64 v38, -2, 0, vcc
	v_add_u32_e32 v73, v38, v40
	v_lshlrev_b32_e32 v74, 3, v73
	ds_read_b32 v38, v74 offset:12288
	s_waitcnt lgkmcnt(0)
	v_cmp_ne_u32_e32 vcc, v38, v47
	s_and_saveexec_b64 s[10:11], vcc
	s_cbranch_execz .LBB150_16
; %bb.14:                               ;   in Loop: Header=BB150_13 Depth=2
	s_mov_b64 s[12:13], 0
.LBB150_15:                             ;   Parent Loop BB150_7 Depth=1
                                        ;     Parent Loop BB150_13 Depth=2
                                        ; =>    This Inner Loop Header: Depth=3
	;;#ASMSTART
	s_sleep 0
	;;#ASMEND
	ds_read_b32 v38, v74 offset:12288
	s_waitcnt lgkmcnt(0)
	v_cmp_eq_u32_e32 vcc, v38, v47
	s_or_b64 s[12:13], vcc, s[12:13]
	s_andn2_b64 exec, exec, s[12:13]
	s_cbranch_execnz .LBB150_15
.LBB150_16:                             ;   in Loop: Header=BB150_13 Depth=2
	s_or_b64 exec, exec, s[10:11]
	v_lshlrev_b32_e32 v76, 11, v73
	v_or_b32_e32 v38, v49, v76
	ds_read2_b32 v[44:45], v38 offset1:32
	ds_read2_b32 v[42:43], v38 offset0:128 offset1:160
	v_add_u32_e32 v38, 0x400, v38
	ds_read2_b32 v[40:41], v38 offset1:32
	ds_read_b32 v77, v74 offset:12292
	ds_read2_b32 v[38:39], v38 offset0:128 offset1:160
	v_add_u32_e32 v75, 1, v47
	ds_write_b32 v74, v75 offset:12288
	s_waitcnt lgkmcnt(2)
	v_cmp_ne_u32_e32 vcc, v77, v47
	s_and_saveexec_b64 s[10:11], vcc
	s_cbranch_execz .LBB150_12
; %bb.17:                               ;   in Loop: Header=BB150_13 Depth=2
	s_mov_b64 s[12:13], 0
.LBB150_18:                             ;   Parent Loop BB150_7 Depth=1
                                        ;     Parent Loop BB150_13 Depth=2
                                        ; =>    This Inner Loop Header: Depth=3
	;;#ASMSTART
	s_sleep 0
	;;#ASMEND
	ds_read_b32 v77, v74 offset:12292
	s_waitcnt lgkmcnt(0)
	v_cmp_eq_u32_e32 vcc, v77, v47
	s_or_b64 s[12:13], vcc, s[12:13]
	s_andn2_b64 exec, exec, s[12:13]
	s_cbranch_execnz .LBB150_18
	s_branch .LBB150_12
.LBB150_19:                             ;   in Loop: Header=BB150_7 Depth=1
	s_or_b64 exec, exec, s[8:9]
.LBB150_20:                             ;   in Loop: Header=BB150_7 Depth=1
	s_or_b64 exec, exec, s[6:7]
	v_cmp_le_i32_e32 vcc, s14, v48
	v_cmp_eq_u32_e64 s[6:7], 3, v51
	v_cmp_eq_u32_e64 s[8:9], 4, v51
	s_waitcnt vmcnt(0)
	v_cndmask_b32_e32 v38, 0, v72, vcc
	s_nop 1
	v_pk_mul_f32 v[0:1], v[38:39], v[0:1] op_sel_hi:[0,1]
	v_cmp_eq_u32_e32 vcc, 1, v51
	v_pk_mul_f32 v[14:15], v[38:39], v[14:15] op_sel_hi:[0,1]
	v_pk_mul_f32 v[12:13], v[38:39], v[12:13] op_sel_hi:[0,1]
	;; [unrolled: 1-line block ×7, first 2 shown]
	v_cndmask_b32_e32 v38, v0, v1, vcc
	v_cmp_eq_u32_e32 vcc, 2, v51
	v_cmp_eq_u32_e64 s[10:11], 5, v51
	v_cmp_eq_u32_e64 s[12:13], 6, v51
	v_cndmask_b32_e32 v38, v38, v2, vcc
	v_cndmask_b32_e64 v38, v38, v3, s[6:7]
	v_cndmask_b32_e64 v38, v38, v4, s[8:9]
	;; [unrolled: 1-line block ×4, first 2 shown]
	v_cmp_eq_u32_e64 s[14:15], 7, v51
	v_cmp_eq_u32_e64 s[16:17], 8, v51
	v_cmp_eq_u32_e64 s[18:19], 9, v51
	v_cndmask_b32_e64 v38, v38, v7, s[14:15]
	v_cndmask_b32_e64 v38, v38, v8, s[16:17]
	v_cndmask_b32_e64 v38, v38, v9, s[18:19]
	v_cmp_eq_u32_e64 s[20:21], 10, v51
	v_cmp_eq_u32_e64 s[22:23], 11, v51
	v_cmp_eq_u32_e64 s[24:25], 12, v51
	v_cndmask_b32_e64 v38, v38, v10, s[20:21]
	v_cndmask_b32_e64 v38, v38, v11, s[22:23]
	v_cndmask_b32_e64 v38, v38, v12, s[24:25]
	;; [unrolled: 6-line block ×3, first 2 shown]
	ds_bpermute_b32 v38, v70, v38
	v_cmp_eq_u32_e64 s[34:35], 15, v52
	s_waitcnt lgkmcnt(0)
	v_cndmask_b32_e32 v2, v2, v38, vcc
	v_cmp_ne_u32_e32 vcc, 0, v51
	v_cndmask_b32_e64 v15, v15, v38, s[30:31]
	v_cndmask_b32_e64 v14, v14, v38, s[28:29]
	v_cndmask_b32_e32 v1, v1, v38, vcc
	v_cmp_eq_u32_e32 vcc, 0, v51
	v_cndmask_b32_e64 v13, v13, v38, s[26:27]
	v_cndmask_b32_e64 v12, v12, v38, s[24:25]
	v_cndmask_b32_e32 v0, v0, v38, vcc
	v_cmp_eq_u32_e32 vcc, 1, v52
	v_cndmask_b32_e64 v11, v11, v38, s[22:23]
	v_cndmask_b32_e64 v10, v10, v38, s[20:21]
	v_cndmask_b32_e64 v9, v9, v38, s[18:19]
	v_cndmask_b32_e64 v8, v8, v38, s[16:17]
	v_cndmask_b32_e64 v7, v7, v38, s[14:15]
	v_cndmask_b32_e64 v6, v6, v38, s[12:13]
	v_cndmask_b32_e64 v5, v5, v38, s[10:11]
	v_cndmask_b32_e64 v4, v4, v38, s[8:9]
	v_cndmask_b32_e64 v3, v3, v38, s[6:7]
	v_cndmask_b32_e32 v38, v0, v1, vcc
	v_cmp_eq_u32_e64 s[6:7], 2, v52
	v_cmp_eq_u32_e64 s[8:9], 3, v52
	v_cmp_eq_u32_e64 s[10:11], 4, v52
	v_cndmask_b32_e64 v38, v38, v2, s[6:7]
	v_cndmask_b32_e64 v38, v38, v3, s[8:9]
	v_cndmask_b32_e64 v38, v38, v4, s[10:11]
	v_cmp_eq_u32_e64 s[12:13], 5, v52
	v_cmp_eq_u32_e64 s[14:15], 6, v52
	v_cmp_eq_u32_e64 s[16:17], 7, v52
	v_cndmask_b32_e64 v38, v38, v5, s[12:13]
	v_cndmask_b32_e64 v38, v38, v6, s[14:15]
	v_cndmask_b32_e64 v38, v38, v7, s[16:17]
	;; [unrolled: 6-line block ×4, first 2 shown]
	v_cmp_eq_u32_e64 s[30:31], 14, v52
	s_nop 1
	v_cndmask_b32_e64 v38, v38, v14, s[30:31]
	v_cndmask_b32_e64 v38, v38, v15, s[34:35]
	ds_bpermute_b32 v38, v70, v38
	s_waitcnt lgkmcnt(0)
	v_cndmask_b32_e32 v1, v1, v38, vcc
	v_cmp_eq_u32_e32 vcc, 0, v52
	v_cndmask_b32_e64 v15, v15, v38, s[34:35]
	v_cndmask_b32_e64 v14, v14, v38, s[30:31]
	v_cndmask_b32_e32 v0, v0, v38, vcc
	v_cmp_eq_u32_e32 vcc, 1, v53
	v_cndmask_b32_e64 v13, v13, v38, s[28:29]
	v_cndmask_b32_e64 v12, v12, v38, s[26:27]
	v_cndmask_b32_e64 v11, v11, v38, s[24:25]
	v_cndmask_b32_e64 v10, v10, v38, s[22:23]
	v_cndmask_b32_e64 v9, v9, v38, s[20:21]
	v_cndmask_b32_e64 v8, v8, v38, s[18:19]
	v_cndmask_b32_e64 v7, v7, v38, s[16:17]
	v_cndmask_b32_e64 v6, v6, v38, s[14:15]
	v_cndmask_b32_e64 v5, v5, v38, s[12:13]
	v_cndmask_b32_e64 v4, v4, v38, s[10:11]
	v_cndmask_b32_e64 v3, v3, v38, s[8:9]
	v_cndmask_b32_e64 v2, v2, v38, s[6:7]
	v_cndmask_b32_e32 v38, v0, v1, vcc
	v_cmp_eq_u32_e64 s[6:7], 2, v53
	v_cmp_eq_u32_e64 s[8:9], 3, v53
	v_cmp_eq_u32_e64 s[10:11], 4, v53
	v_cndmask_b32_e64 v38, v38, v2, s[6:7]
	v_cndmask_b32_e64 v38, v38, v3, s[8:9]
	v_cndmask_b32_e64 v38, v38, v4, s[10:11]
	v_cmp_eq_u32_e64 s[12:13], 5, v53
	v_cmp_eq_u32_e64 s[14:15], 6, v53
	v_cmp_eq_u32_e64 s[16:17], 7, v53
	v_cndmask_b32_e64 v38, v38, v5, s[12:13]
	v_cndmask_b32_e64 v38, v38, v6, s[14:15]
	v_cndmask_b32_e64 v38, v38, v7, s[16:17]
	v_cmp_eq_u32_e64 s[18:19], 8, v53
	v_cmp_eq_u32_e64 s[20:21], 9, v53
	v_cmp_eq_u32_e64 s[22:23], 10, v53
	v_cndmask_b32_e64 v38, v38, v8, s[18:19]
	v_cndmask_b32_e64 v38, v38, v9, s[20:21]
	v_cndmask_b32_e64 v38, v38, v10, s[22:23]
	v_cmp_eq_u32_e64 s[24:25], 11, v53
	v_cmp_eq_u32_e64 s[26:27], 12, v53
	v_cmp_eq_u32_e64 s[28:29], 13, v53
	v_cndmask_b32_e64 v38, v38, v11, s[24:25]
	v_cndmask_b32_e64 v38, v38, v12, s[26:27]
	v_cndmask_b32_e64 v38, v38, v13, s[28:29]
	v_cmp_eq_u32_e64 s[30:31], 14, v53
	v_cmp_eq_u32_e64 s[34:35], 15, v53
	s_nop 0
	v_cndmask_b32_e64 v38, v38, v14, s[30:31]
	v_cndmask_b32_e64 v38, v38, v15, s[34:35]
	ds_bpermute_b32 v38, v70, v38
	s_waitcnt lgkmcnt(0)
	v_cndmask_b32_e32 v1, v1, v38, vcc
	v_cmp_eq_u32_e32 vcc, 0, v53
	v_cndmask_b32_e64 v15, v15, v38, s[34:35]
	v_cndmask_b32_e64 v14, v14, v38, s[30:31]
	v_cndmask_b32_e32 v0, v0, v38, vcc
	v_cmp_eq_u32_e32 vcc, 1, v54
	v_cndmask_b32_e64 v13, v13, v38, s[28:29]
	v_cndmask_b32_e64 v12, v12, v38, s[26:27]
	v_cndmask_b32_e64 v11, v11, v38, s[24:25]
	v_cndmask_b32_e64 v10, v10, v38, s[22:23]
	v_cndmask_b32_e64 v9, v9, v38, s[20:21]
	v_cndmask_b32_e64 v8, v8, v38, s[18:19]
	v_cndmask_b32_e64 v7, v7, v38, s[16:17]
	v_cndmask_b32_e64 v6, v6, v38, s[14:15]
	v_cndmask_b32_e64 v5, v5, v38, s[12:13]
	v_cndmask_b32_e64 v4, v4, v38, s[10:11]
	v_cndmask_b32_e64 v3, v3, v38, s[8:9]
	v_cndmask_b32_e64 v2, v2, v38, s[6:7]
	v_cndmask_b32_e32 v38, v0, v1, vcc
	v_cmp_eq_u32_e64 s[6:7], 2, v54
	v_cmp_eq_u32_e64 s[8:9], 3, v54
	v_cmp_eq_u32_e64 s[10:11], 4, v54
	v_cndmask_b32_e64 v38, v38, v2, s[6:7]
	v_cndmask_b32_e64 v38, v38, v3, s[8:9]
	v_cndmask_b32_e64 v38, v38, v4, s[10:11]
	v_cmp_eq_u32_e64 s[12:13], 5, v54
	v_cmp_eq_u32_e64 s[14:15], 6, v54
	v_cmp_eq_u32_e64 s[16:17], 7, v54
	v_cndmask_b32_e64 v38, v38, v5, s[12:13]
	v_cndmask_b32_e64 v38, v38, v6, s[14:15]
	v_cndmask_b32_e64 v38, v38, v7, s[16:17]
	v_cmp_eq_u32_e64 s[18:19], 8, v54
	v_cmp_eq_u32_e64 s[20:21], 9, v54
	v_cmp_eq_u32_e64 s[22:23], 10, v54
	v_cndmask_b32_e64 v38, v38, v8, s[18:19]
	v_cndmask_b32_e64 v38, v38, v9, s[20:21]
	v_cndmask_b32_e64 v38, v38, v10, s[22:23]
	v_cmp_eq_u32_e64 s[24:25], 11, v54
	v_cmp_eq_u32_e64 s[26:27], 12, v54
	v_cmp_eq_u32_e64 s[28:29], 13, v54
	v_cndmask_b32_e64 v38, v38, v11, s[24:25]
	v_cndmask_b32_e64 v38, v38, v12, s[26:27]
	v_cndmask_b32_e64 v38, v38, v13, s[28:29]
	v_cmp_eq_u32_e64 s[30:31], 14, v54
	;; [unrolled: 50-line block ×4, first 2 shown]
	v_cmp_eq_u32_e64 s[34:35], 15, v56
	s_nop 0
	v_cndmask_b32_e64 v38, v38, v14, s[30:31]
	v_cndmask_b32_e64 v38, v38, v15, s[34:35]
	ds_bpermute_b32 v38, v70, v38
	s_waitcnt lgkmcnt(0)
	v_cndmask_b32_e32 v1, v1, v38, vcc
	v_cmp_eq_u32_e32 vcc, 0, v56
	v_cndmask_b32_e64 v15, v15, v38, s[34:35]
	v_cndmask_b32_e64 v14, v14, v38, s[30:31]
	;; [unrolled: 1-line block ×14, first 2 shown]
	v_cndmask_b32_e32 v38, v0, v38, vcc
	v_cmp_eq_u32_e32 vcc, 1, v57
	v_cmp_eq_u32_e64 s[6:7], 2, v57
	v_cmp_eq_u32_e64 s[8:9], 3, v57
	v_cndmask_b32_e32 v0, v38, v1, vcc
	v_cndmask_b32_e64 v0, v0, v73, s[6:7]
	v_cndmask_b32_e64 v0, v0, v72, s[8:9]
	v_cmp_eq_u32_e64 s[10:11], 4, v57
	v_cmp_eq_u32_e64 s[12:13], 5, v57
	v_cmp_eq_u32_e64 s[14:15], 6, v57
	v_cndmask_b32_e64 v0, v0, v45, s[10:11]
	v_cndmask_b32_e64 v0, v0, v44, s[12:13]
	v_cndmask_b32_e64 v0, v0, v43, s[14:15]
	v_cmp_eq_u32_e64 s[16:17], 7, v57
	v_cmp_eq_u32_e64 s[18:19], 8, v57
	v_cmp_eq_u32_e64 s[20:21], 9, v57
	v_cndmask_b32_e64 v0, v0, v42, s[16:17]
	;; [unrolled: 6-line block ×4, first 2 shown]
	v_cndmask_b32_e64 v0, v0, v14, s[30:31]
	v_cndmask_b32_e64 v0, v0, v15, s[34:35]
	ds_bpermute_b32 v74, v70, v0
	s_waitcnt lgkmcnt(0)
	v_cndmask_b32_e32 v0, v1, v74, vcc
	v_cmp_eq_u32_e32 vcc, 0, v57
	v_cndmask_b32_e64 v4, v15, v74, s[34:35]
	v_cndmask_b32_e64 v15, v73, v74, s[6:7]
	v_cndmask_b32_e32 v1, v38, v74, vcc
	v_cmp_eq_u32_e32 vcc, 1, v58
	v_cndmask_b32_e64 v5, v14, v74, s[30:31]
	v_cndmask_b32_e64 v14, v72, v74, s[8:9]
	;; [unrolled: 4-line block ×7, first 2 shown]
	v_cndmask_b32_e32 v38, v38, v13, vcc
	v_cmp_eq_u32_e32 vcc, 7, v58
	s_nop 1
	v_cndmask_b32_e32 v38, v38, v12, vcc
	v_cmp_eq_u32_e32 vcc, 8, v58
	s_nop 1
	v_cndmask_b32_e32 v38, v38, v11, vcc
	v_cmp_eq_u32_e32 vcc, 9, v58
	s_nop 1
	v_cndmask_b32_e32 v38, v38, v10, vcc
	v_cmp_eq_u32_e32 vcc, 10, v58
	s_nop 1
	v_cndmask_b32_e32 v38, v38, v9, vcc
	v_cmp_eq_u32_e32 vcc, 11, v58
	s_nop 1
	v_cndmask_b32_e32 v38, v38, v8, vcc
	v_cmp_eq_u32_e32 vcc, 12, v58
	s_nop 1
	v_cndmask_b32_e32 v38, v38, v7, vcc
	v_cmp_eq_u32_e32 vcc, 13, v58
	s_nop 1
	v_cndmask_b32_e32 v38, v38, v6, vcc
	v_cmp_eq_u32_e32 vcc, 14, v58
	s_nop 1
	v_cndmask_b32_e32 v38, v38, v5, vcc
	v_cmp_eq_u32_e32 vcc, 15, v58
	s_nop 1
	v_cndmask_b32_e32 v38, v38, v4, vcc
	ds_bpermute_b32 v38, v70, v38
	v_cmp_lt_i32_e32 vcc, s74, v59
	s_and_saveexec_b64 s[60:61], vcc
	s_cbranch_execz .LBB150_29
; %bb.21:                               ;   in Loop: Header=BB150_7 Depth=1
	s_mul_i32 s6, s72, s37
	s_ashr_i32 s7, s6, 31
	s_lshl_b64 s[6:7], s[6:7], 1
	v_cmp_eq_u32_e64 s[30:31], 1, v58
	s_add_u32 s8, s48, s6
	s_addc_u32 s9, s49, s7
	s_waitcnt lgkmcnt(0)
	v_cndmask_b32_e64 v0, v0, v38, s[30:31]
	v_cmp_eq_u32_e64 s[30:31], 0, v58
	s_ashr_i32 s55, s54, 31
	s_lshl_b64 s[6:7], s[54:55], 1
	v_cndmask_b32_e64 v1, v1, v38, s[30:31]
	v_cvt_f16_f32_e32 v39, v1
	v_cvt_f16_f32_sdwa v41, v0 dst_sel:WORD_1 dst_unused:UNUSED_PAD src0_sel:DWORD
	s_add_u32 s34, s8, s6
	s_addc_u32 s35, s9, s7
	v_cmp_eq_u32_e64 s[8:9], 15, v58
	v_cmp_eq_u32_e64 s[10:11], 14, v58
	;; [unrolled: 1-line block ×10, first 2 shown]
	v_cmp_eq_u32_e32 vcc, 5, v58
	v_cmp_eq_u32_e64 s[6:7], 4, v58
	v_cmp_eq_u32_e64 s[28:29], 3, v58
	;; [unrolled: 1-line block ×3, first 2 shown]
	v_lshl_add_u64 v[0:1], s[34:35], 0, v[16:17]
	v_cmp_lt_i32_e64 s[34:35], s74, v60
	v_lshl_add_u64 v[42:43], v[18:19], 1, v[0:1]
	v_or_b32_e32 v39, v41, v39
	;;#ASMSTART
	global_atomic_pk_add_f16 v[42:43], v39, off
	
	;;#ASMEND
	s_and_b64 exec, exec, s[34:35]
	s_cbranch_execz .LBB150_29
; %bb.22:                               ;   in Loop: Header=BB150_7 Depth=1
	v_cndmask_b32_e64 v14, v14, v38, s[28:29]
	v_cndmask_b32_e64 v15, v15, v38, s[30:31]
	v_cvt_f16_f32_e32 v39, v15
	v_cvt_f16_f32_sdwa v41, v14 dst_sel:WORD_1 dst_unused:UNUSED_PAD src0_sel:DWORD
	v_cndmask_b32_e64 v4, v4, v38, s[8:9]
	v_cndmask_b32_e64 v5, v5, v38, s[10:11]
	;; [unrolled: 1-line block ×10, first 2 shown]
	v_cndmask_b32_e32 v2, v2, v38, vcc
	v_cndmask_b32_e64 v3, v3, v38, s[6:7]
	v_cmp_lt_i32_e32 vcc, s74, v61
	v_lshl_add_u64 v[14:15], v[20:21], 1, v[0:1]
	v_or_b32_e32 v38, v41, v39
	;;#ASMSTART
	global_atomic_pk_add_f16 v[14:15], v38, off
	
	;;#ASMEND
	s_and_b64 exec, exec, vcc
	s_cbranch_execz .LBB150_29
; %bb.23:                               ;   in Loop: Header=BB150_7 Depth=1
	v_cvt_f16_f32_e32 v14, v3
	v_cvt_f16_f32_sdwa v15, v2 dst_sel:WORD_1 dst_unused:UNUSED_PAD src0_sel:DWORD
	v_cmp_lt_i32_e32 vcc, s74, v62
	v_lshl_add_u64 v[2:3], v[22:23], 1, v[0:1]
	v_or_b32_e32 v14, v15, v14
	;;#ASMSTART
	global_atomic_pk_add_f16 v[2:3], v14, off
	
	;;#ASMEND
	s_and_b64 exec, exec, vcc
	s_cbranch_execz .LBB150_29
; %bb.24:                               ;   in Loop: Header=BB150_7 Depth=1
	v_cvt_f16_f32_e32 v13, v13
	v_cvt_f16_f32_sdwa v12, v12 dst_sel:WORD_1 dst_unused:UNUSED_PAD src0_sel:DWORD
	;; [unrolled: 12-line block ×6, first 2 shown]
	v_lshl_add_u64 v[0:1], v[32:33], 1, v[0:1]
	v_or_b32_e32 v2, v3, v2
	;;#ASMSTART
	global_atomic_pk_add_f16 v[0:1], v2, off
	
	;;#ASMEND
.LBB150_29:                             ;   in Loop: Header=BB150_7 Depth=1
	s_or_b64 exec, exec, s[60:61]
	v_subrev_u32_e32 v71, s75, v71
.LBB150_30:                             ;   in Loop: Header=BB150_7 Depth=1
	s_or_b64 exec, exec, s[58:59]
.LBB150_31:                             ;   in Loop: Header=BB150_7 Depth=1
	s_andn2_saveexec_b64 s[6:7], s[56:57]
	s_cbranch_execz .LBB150_40
; %bb.32:                               ;   in Loop: Header=BB150_7 Depth=1
	v_cmp_gt_i32_e32 vcc, s75, v71
	s_and_saveexec_b64 s[8:9], vcc
	s_cbranch_execz .LBB150_39
; %bb.33:                               ;   in Loop: Header=BB150_7 Depth=1
	s_mul_i32 s10, s54, s39
	s_ashr_i32 s11, s10, 31
	s_waitcnt lgkmcnt(0)
	s_add_u32 s10, s46, s10
	s_addc_u32 s11, s47, s11
	s_ashr_i32 s12, s73, 31
	s_add_u32 s10, s10, s73
	s_addc_u32 s11, s11, s12
	v_lshl_add_u64 v[0:1], s[10:11], 0, v[36:37]
	v_lshl_add_u64 v[8:9], v[0:1], 0, v[34:35]
	s_mov_b64 s[10:11], 0
	s_branch .LBB150_35
.LBB150_34:                             ;   in Loop: Header=BB150_35 Depth=2
	s_or_b64 exec, exec, s[12:13]
	v_lshl_add_u32 v12, v10, 11, v67
	;;#ASMSTART
	s_waitcnt vmcnt(1)
	;;#ASMEND
	ds_write2_b32 v12, v4, v5 offset1:32
	ds_write2_b32 v12, v6, v7 offset0:64 offset1:96
	v_add_u32_e32 v4, 0x400, v12
	v_add_u32_e32 v71, s42, v71
	;;#ASMSTART
	s_waitcnt vmcnt(0)
	;;#ASMEND
	ds_write2_b32 v4, v0, v1 offset1:32
	ds_write2_b32 v4, v2, v3 offset0:64 offset1:96
	v_add_u32_e32 v0, 1, v47
	v_add_u32_e32 v40, s42, v10
	v_cmp_le_i32_e32 vcc, s75, v71
	ds_write_b32 v11, v0 offset:16
	v_add_u32_e32 v0, 2, v47
	s_or_b64 s[10:11], vcc, s[10:11]
	v_cmp_lt_i32_e32 vcc, 1, v40
	s_nop 1
	v_cndmask_b32_e32 v47, v47, v0, vcc
	s_andn2_b64 exec, exec, s[10:11]
	s_cbranch_execz .LBB150_38
.LBB150_35:                             ;   Parent Loop BB150_7 Depth=1
                                        ; =>  This Loop Header: Depth=2
                                        ;       Child Loop BB150_37 Depth 3
	v_cmp_gt_i32_e32 vcc, 2, v40
	s_nop 1
	v_cndmask_b32_e64 v0, -2, 0, vcc
	v_add_u32_e32 v10, v0, v40
	v_lshlrev_b32_e32 v0, 6, v71
	v_ashrrev_i32_e32 v1, 31, v0
	v_lshl_add_u64 v[0:1], v[8:9], 0, v[0:1]
	v_lshlrev_b32_e32 v11, 2, v10
	;;#ASMSTART
	global_load_dwordx4 v[4:7], v[0:1], off offset:0   sc0 sc1 nt  
	global_load_dwordx4 v[0:3], v[0:1], off offset:32  sc0 sc1 nt  
	
	;;#ASMEND
	ds_read_b32 v12, v11 offset:12304
	v_add_u32_e32 v11, 0x3000, v11
	s_waitcnt lgkmcnt(0)
	v_cmp_ne_u32_e32 vcc, v12, v47
	s_and_saveexec_b64 s[12:13], vcc
	s_cbranch_execz .LBB150_34
; %bb.36:                               ;   in Loop: Header=BB150_35 Depth=2
	s_mov_b64 s[14:15], 0
.LBB150_37:                             ;   Parent Loop BB150_7 Depth=1
                                        ;     Parent Loop BB150_35 Depth=2
                                        ; =>    This Inner Loop Header: Depth=3
	;;#ASMSTART
	s_sleep 0
	;;#ASMEND
	ds_read_b32 v12, v11 offset:16
	s_waitcnt lgkmcnt(0)
	v_cmp_eq_u32_e32 vcc, v12, v47
	s_or_b64 s[14:15], vcc, s[14:15]
	s_andn2_b64 exec, exec, s[14:15]
	s_cbranch_execnz .LBB150_37
	s_branch .LBB150_34
.LBB150_38:                             ;   in Loop: Header=BB150_7 Depth=1
	s_or_b64 exec, exec, s[10:11]
.LBB150_39:                             ;   in Loop: Header=BB150_7 Depth=1
	s_or_b64 exec, exec, s[8:9]
	v_subrev_u32_e32 v71, s75, v71
.LBB150_40:                             ;   in Loop: Header=BB150_7 Depth=1
	s_or_b64 exec, exec, s[6:7]
.LBB150_41:                             ;   in Loop: Header=BB150_7 Depth=1
	s_andn2_saveexec_b64 s[6:7], s[52:53]
	s_cbranch_execz .LBB150_6
; %bb.42:                               ;   in Loop: Header=BB150_7 Depth=1
	s_lshl_b32 s16, s75, 1
	v_cmp_gt_i32_e32 vcc, s16, v71
	s_and_saveexec_b64 s[8:9], vcc
	s_cbranch_execz .LBB150_5
; %bb.43:                               ;   in Loop: Header=BB150_7 Depth=1
	s_mul_i32 s72, s72, s38
	s_max_i32 s12, s74, 0
	s_ashr_i32 s10, s72, 31
	s_waitcnt lgkmcnt(0)
	s_add_u32 s11, s44, s72
	v_add_u32_e32 v2, s12, v48
	s_addc_u32 s13, s45, s10
	s_ashr_i32 s14, s73, 31
	v_cmp_gt_u32_e32 vcc, 64, v2
	s_add_u32 s10, s11, s73
	s_addc_u32 s11, s13, s14
	v_cndmask_b32_e32 v0, 0, v68, vcc
	v_ashrrev_i32_e32 v1, 31, v0
	v_lshl_add_u64 v[0:1], s[10:11], 0, v[0:1]
	v_lshl_add_u64 v[8:9], v[0:1], 0, v[34:35]
	v_sub_u32_e32 v10, 63, v2
	s_mov_b64 s[10:11], 0
	s_branch .LBB150_45
.LBB150_44:                             ;   in Loop: Header=BB150_45 Depth=2
	s_or_b64 exec, exec, s[12:13]
	v_lshl_or_b32 v13, v11, 11, v69
	;;#ASMSTART
	s_waitcnt vmcnt(1)
	;;#ASMEND
	ds_write2_b32 v13, v4, v5 offset1:32
	ds_write2_b32 v13, v6, v7 offset0:64 offset1:96
	v_add_u32_e32 v4, 0x400, v13
	v_add_u32_e32 v71, s41, v71
	;;#ASMSTART
	s_waitcnt vmcnt(0)
	;;#ASMEND
	ds_write2_b32 v4, v0, v1 offset1:32
	ds_write2_b32 v4, v2, v3 offset0:64 offset1:96
	v_add_u32_e32 v0, 1, v47
	v_add_u32_e32 v40, s41, v11
	v_cmp_le_i32_e32 vcc, s16, v71
	ds_write_b32 v12, v0
	v_add_u32_e32 v0, 2, v47
	s_or_b64 s[10:11], vcc, s[10:11]
	v_cmp_lt_i32_e32 vcc, 3, v40
	s_nop 1
	v_cndmask_b32_e32 v47, v47, v0, vcc
	s_andn2_b64 exec, exec, s[10:11]
	s_cbranch_execz .LBB150_4
.LBB150_45:                             ;   Parent Loop BB150_7 Depth=1
                                        ; =>  This Loop Header: Depth=2
                                        ;       Child Loop BB150_47 Depth 3
	v_cmp_gt_i32_e32 vcc, 4, v40
	s_nop 1
	v_cndmask_b32_e64 v0, -4, 0, vcc
	v_add_u32_e32 v11, v0, v40
	v_lshrrev_b32_e32 v0, 31, v71
	v_add_u32_e32 v0, v71, v0
	v_and_b32_e32 v1, 0x7fffffe, v0
	v_sub_u32_e32 v1, v71, v1
	v_lshlrev_b32_e32 v1, 5, v1
	v_cmp_le_i32_e32 vcc, v1, v10
	v_lshlrev_b32_e32 v0, 5, v0
	v_and_b32_e32 v0, 0xffffffc0, v0
	v_cndmask_b32_e32 v2, 0, v1, vcc
	v_ashrrev_i32_e32 v1, 31, v0
	v_mul_lo_u32 v2, v2, s38
	v_lshl_add_u64 v[0:1], v[8:9], 0, v[0:1]
	v_ashrrev_i32_e32 v3, 31, v2
	v_lshl_add_u64 v[0:1], v[0:1], 0, v[2:3]
	v_lshlrev_b32_e32 v12, 2, v11
	;;#ASMSTART
	global_load_dwordx4 v[4:7], v[0:1], off offset:0   
	global_load_dwordx4 v[0:3], v[0:1], off offset:32  
	
	;;#ASMEND
	ds_read_b32 v13, v12 offset:12288
	v_add_u32_e32 v12, 0x3000, v12
	s_waitcnt lgkmcnt(0)
	v_cmp_ne_u32_e32 vcc, v13, v47
	s_and_saveexec_b64 s[12:13], vcc
	s_cbranch_execz .LBB150_44
; %bb.46:                               ;   in Loop: Header=BB150_45 Depth=2
	s_mov_b64 s[14:15], 0
.LBB150_47:                             ;   Parent Loop BB150_7 Depth=1
                                        ;     Parent Loop BB150_45 Depth=2
                                        ; =>    This Inner Loop Header: Depth=3
	;;#ASMSTART
	s_sleep 0
	;;#ASMEND
	ds_read_b32 v13, v12
	s_waitcnt lgkmcnt(0)
	v_cmp_eq_u32_e32 vcc, v13, v47
	s_or_b64 s[14:15], vcc, s[14:15]
	s_andn2_b64 exec, exec, s[14:15]
	s_cbranch_execnz .LBB150_47
	s_branch .LBB150_44
.LBB150_48:
	s_endpgm
	.section	.rodata,"a",@progbits
	.p2align	6, 0x0
	.amdhsa_kernel _Z19_skinny_gemm_kernelILi2ELi1ELi2ELi32ELi4EEvPKhS1_P6__halfPKfiiiiiiii
		.amdhsa_group_segment_fixed_size 12312
		.amdhsa_private_segment_fixed_size 0
		.amdhsa_kernarg_size 64
		.amdhsa_user_sgpr_count 2
		.amdhsa_user_sgpr_dispatch_ptr 0
		.amdhsa_user_sgpr_queue_ptr 0
		.amdhsa_user_sgpr_kernarg_segment_ptr 1
		.amdhsa_user_sgpr_dispatch_id 0
		.amdhsa_user_sgpr_kernarg_preload_length 0
		.amdhsa_user_sgpr_kernarg_preload_offset 0
		.amdhsa_user_sgpr_private_segment_size 0
		.amdhsa_uses_dynamic_stack 0
		.amdhsa_enable_private_segment 0
		.amdhsa_system_sgpr_workgroup_id_x 1
		.amdhsa_system_sgpr_workgroup_id_y 0
		.amdhsa_system_sgpr_workgroup_id_z 0
		.amdhsa_system_sgpr_workgroup_info 0
		.amdhsa_system_vgpr_workitem_id 0
		.amdhsa_next_free_vgpr 79
		.amdhsa_next_free_sgpr 76
		.amdhsa_accum_offset 80
		.amdhsa_reserve_vcc 1
		.amdhsa_float_round_mode_32 0
		.amdhsa_float_round_mode_16_64 0
		.amdhsa_float_denorm_mode_32 3
		.amdhsa_float_denorm_mode_16_64 3
		.amdhsa_dx10_clamp 1
		.amdhsa_ieee_mode 1
		.amdhsa_fp16_overflow 0
		.amdhsa_tg_split 0
		.amdhsa_exception_fp_ieee_invalid_op 0
		.amdhsa_exception_fp_denorm_src 0
		.amdhsa_exception_fp_ieee_div_zero 0
		.amdhsa_exception_fp_ieee_overflow 0
		.amdhsa_exception_fp_ieee_underflow 0
		.amdhsa_exception_fp_ieee_inexact 0
		.amdhsa_exception_int_div_zero 0
	.end_amdhsa_kernel
	.section	.text._Z19_skinny_gemm_kernelILi2ELi1ELi2ELi32ELi4EEvPKhS1_P6__halfPKfiiiiiiii,"axG",@progbits,_Z19_skinny_gemm_kernelILi2ELi1ELi2ELi32ELi4EEvPKhS1_P6__halfPKfiiiiiiii,comdat
.Lfunc_end150:
	.size	_Z19_skinny_gemm_kernelILi2ELi1ELi2ELi32ELi4EEvPKhS1_P6__halfPKfiiiiiiii, .Lfunc_end150-_Z19_skinny_gemm_kernelILi2ELi1ELi2ELi32ELi4EEvPKhS1_P6__halfPKfiiiiiiii
                                        ; -- End function
	.set _Z19_skinny_gemm_kernelILi2ELi1ELi2ELi32ELi4EEvPKhS1_P6__halfPKfiiiiiiii.num_vgpr, 79
	.set _Z19_skinny_gemm_kernelILi2ELi1ELi2ELi32ELi4EEvPKhS1_P6__halfPKfiiiiiiii.num_agpr, 0
	.set _Z19_skinny_gemm_kernelILi2ELi1ELi2ELi32ELi4EEvPKhS1_P6__halfPKfiiiiiiii.numbered_sgpr, 76
	.set _Z19_skinny_gemm_kernelILi2ELi1ELi2ELi32ELi4EEvPKhS1_P6__halfPKfiiiiiiii.num_named_barrier, 0
	.set _Z19_skinny_gemm_kernelILi2ELi1ELi2ELi32ELi4EEvPKhS1_P6__halfPKfiiiiiiii.private_seg_size, 0
	.set _Z19_skinny_gemm_kernelILi2ELi1ELi2ELi32ELi4EEvPKhS1_P6__halfPKfiiiiiiii.uses_vcc, 1
	.set _Z19_skinny_gemm_kernelILi2ELi1ELi2ELi32ELi4EEvPKhS1_P6__halfPKfiiiiiiii.uses_flat_scratch, 0
	.set _Z19_skinny_gemm_kernelILi2ELi1ELi2ELi32ELi4EEvPKhS1_P6__halfPKfiiiiiiii.has_dyn_sized_stack, 0
	.set _Z19_skinny_gemm_kernelILi2ELi1ELi2ELi32ELi4EEvPKhS1_P6__halfPKfiiiiiiii.has_recursion, 0
	.set _Z19_skinny_gemm_kernelILi2ELi1ELi2ELi32ELi4EEvPKhS1_P6__halfPKfiiiiiiii.has_indirect_call, 0
	.section	.AMDGPU.csdata,"",@progbits
; Kernel info:
; codeLenInByte = 6040
; TotalNumSgprs: 82
; NumVgprs: 79
; NumAgprs: 0
; TotalNumVgprs: 79
; ScratchSize: 0
; MemoryBound: 0
; FloatMode: 240
; IeeeMode: 1
; LDSByteSize: 12312 bytes/workgroup (compile time only)
; SGPRBlocks: 10
; VGPRBlocks: 9
; NumSGPRsForWavesPerEU: 82
; NumVGPRsForWavesPerEU: 79
; AccumOffset: 80
; Occupancy: 6
; WaveLimiterHint : 0
; COMPUTE_PGM_RSRC2:SCRATCH_EN: 0
; COMPUTE_PGM_RSRC2:USER_SGPR: 2
; COMPUTE_PGM_RSRC2:TRAP_HANDLER: 0
; COMPUTE_PGM_RSRC2:TGID_X_EN: 1
; COMPUTE_PGM_RSRC2:TGID_Y_EN: 0
; COMPUTE_PGM_RSRC2:TGID_Z_EN: 0
; COMPUTE_PGM_RSRC2:TIDIG_COMP_CNT: 0
; COMPUTE_PGM_RSRC3_GFX90A:ACCUM_OFFSET: 19
; COMPUTE_PGM_RSRC3_GFX90A:TG_SPLIT: 0
	.section	.text._Z19_skinny_gemm_kernelILi2ELi1ELi2ELi32ELi8EEvPKhS1_P6__halfPKfiiiiiiii,"axG",@progbits,_Z19_skinny_gemm_kernelILi2ELi1ELi2ELi32ELi8EEvPKhS1_P6__halfPKfiiiiiiii,comdat
	.protected	_Z19_skinny_gemm_kernelILi2ELi1ELi2ELi32ELi8EEvPKhS1_P6__halfPKfiiiiiiii ; -- Begin function _Z19_skinny_gemm_kernelILi2ELi1ELi2ELi32ELi8EEvPKhS1_P6__halfPKfiiiiiiii
	.globl	_Z19_skinny_gemm_kernelILi2ELi1ELi2ELi32ELi8EEvPKhS1_P6__halfPKfiiiiiiii
	.p2align	8
	.type	_Z19_skinny_gemm_kernelILi2ELi1ELi2ELi32ELi8EEvPKhS1_P6__halfPKfiiiiiiii,@function
_Z19_skinny_gemm_kernelILi2ELi1ELi2ELi32ELi8EEvPKhS1_P6__halfPKfiiiiiiii: ; @_Z19_skinny_gemm_kernelILi2ELi1ELi2ELi32ELi8EEvPKhS1_P6__halfPKfiiiiiiii
; %bb.0:
	v_cmp_gt_u32_e32 vcc, 6, v0
	s_and_saveexec_b64 s[4:5], vcc
; %bb.1:
	v_lshlrev_b32_e32 v1, 2, v0
	v_mov_b32_e32 v2, 0
	ds_write_b32 v1, v2 offset:24576
; %bb.2:
	s_or_b64 exec, exec, s[4:5]
	s_load_dwordx8 s[36:43], s[0:1], 0x20
	s_waitcnt lgkmcnt(0)
	s_barrier
	s_add_i32 s3, s36, 63
	s_ashr_i32 s5, s3, 31
	s_add_i32 s4, s37, 31
	s_lshr_b32 s5, s5, 26
	s_ashr_i32 s6, s4, 31
	s_add_i32 s3, s3, s5
	s_ashr_i32 s33, s3, 6
	s_lshr_b32 s3, s6, 27
	s_add_i32 s4, s4, s3
	s_ashr_i32 s62, s4, 5
	s_mul_i32 s3, s62, s33
	s_mul_i32 s3, s3, s40
	s_add_i32 s4, s3, 0x12f
	s_mul_hi_i32 s4, s4, 0x6bca1af3
	s_lshr_b32 s5, s4, 31
	s_ashr_i32 s4, s4, 7
	s_add_i32 s4, s4, s5
	s_add_i32 s5, s2, 1
	s_mul_i32 s5, s4, s5
	v_cvt_f64_i32_e32 v[2:3], s3
	v_cvt_f64_u32_e32 v[4:5], s5
	v_min_f64 v[2:3], v[2:3], v[4:5]
	v_cvt_i32_f64_e32 v54, v[2:3]
	s_mul_i32 s63, s4, s2
	v_cmp_ge_i32_e32 vcc, s63, v54
	s_cbranch_vccnz .LBB151_48
; %bb.3:
	v_lshrrev_b32_e32 v1, 6, v0
	s_add_i32 s4, s42, s41
	s_load_dwordx8 s[44:51], s[0:1], 0x0
	v_cmp_le_i32_e64 s[0:1], s4, v1
	v_mov_b32_e32 v2, s41
	v_cmp_le_i32_e64 s[2:3], s41, v1
	v_mov_b32_e32 v3, s42
	v_cndmask_b32_e64 v3, 0, v3, s[0:1]
	v_cndmask_b32_e64 v2, 0, v2, s[2:3]
	s_abs_i32 s5, s40
	v_add_u32_e32 v2, v2, v3
	v_cvt_f32_u32_e32 v3, s5
	v_sub_u32_e32 v40, v1, v2
	s_ashr_i32 s6, s38, 31
	s_lshr_b32 s6, s6, 25
	v_rcp_iflag_f32_e32 v2, v3
	s_sub_i32 s9, 0, s5
	s_add_i32 s6, s38, s6
	s_ashr_i32 s6, s6, 7
	v_mul_f32_e32 v2, 0x4f7ffffe, v2
	v_cvt_u32_f32_e32 v2, v2
	s_abs_i32 s8, s6
	s_xor_b32 s7, s6, s40
	s_ashr_i32 s7, s7, 31
	v_readfirstlane_b32 s10, v2
	s_mul_i32 s9, s9, s10
	s_mul_hi_u32 s9, s10, s9
	s_add_i32 s10, s10, s9
	s_mul_hi_u32 s9, s8, s10
	s_mul_i32 s10, s9, s5
	s_sub_i32 s8, s8, s10
	s_add_i32 s10, s9, 1
	s_sub_i32 s11, s8, s5
	s_cmp_ge_u32 s8, s5
	s_cselect_b32 s9, s10, s9
	s_cselect_b32 s8, s11, s8
	s_add_i32 s10, s9, 1
	s_cmp_ge_u32 s8, s5
	s_cselect_b32 s5, s10, s9
	s_xor_b32 s5, s5, s7
	s_sub_i32 s64, s5, s7
	s_add_i32 s40, s40, -1
	s_mul_i32 s5, s64, s40
	s_add_i32 s4, s4, s43
	v_and_b32_e32 v56, 31, v0
	v_lshrrev_b32_e32 v2, 3, v0
	s_sub_i32 s65, s6, s5
	v_cmp_gt_i32_e64 s[4:5], s4, v1
	v_lshlrev_b32_e32 v1, 2, v56
	v_and_b32_e32 v3, 4, v2
	v_and_b32_e32 v5, 1, v0
	v_lshlrev_b32_e32 v2, 6, v3
	v_or_b32_e32 v4, 0x4000, v1
	v_or_b32_e32 v3, v3, v5
	;; [unrolled: 1-line block ×4, first 2 shown]
	v_lshlrev_b32_e32 v2, 1, v5
	v_or_b32_e32 v5, 2, v3
	v_sub_u32_e32 v68, 32, v5
	v_or_b32_e32 v5, 8, v3
	v_sub_u32_e32 v69, 32, v5
	;; [unrolled: 2-line block ×5, first 2 shown]
	v_mul_lo_u32 v18, s37, v3
	v_sub_u32_e32 v72, 32, v5
	v_or_b32_e32 v5, 24, v3
	v_or_b32_e32 v3, 26, v3
	v_sub_u32_e32 v74, 32, v3
	v_lshrrev_b32_e32 v3, 1, v0
	s_abs_i32 s66, s33
	v_and_b32_e32 v34, 16, v3
	v_cvt_f32_u32_e32 v3, s66
	v_sub_u32_e32 v2, v0, v2
	v_add_u32_e32 v2, 1, v2
	v_and_b32_e32 v6, 63, v2
	v_bitop3_b32 v59, v0, 1, v0 bitop3:0xc
	v_bitop3_b32 v60, v0, 3, 1 bitop3:0x6c
	;; [unrolled: 1-line block ×8, first 2 shown]
	v_and_b32_e32 v2, 30, v0
	v_lshlrev_b32_e32 v0, 4, v0
	v_and_b32_e32 v0, 0x200, v0
	v_rcp_iflag_f32_e32 v3, v3
	s_abs_i32 s67, s62
	v_or_b32_e32 v77, v1, v0
	v_cvt_f32_u32_e32 v1, s67
	s_lshl_b32 s6, s37, 1
	v_add_u32_e32 v20, s6, v18
	s_mul_i32 s7, s37, 6
	v_or_b32_e32 v75, v4, v0
	v_mul_f32_e32 v0, 0x4f7ffffe, v3
	v_add_u32_e32 v22, s7, v20
	v_cvt_u32_f32_e32 v0, v0
	v_rcp_iflag_f32_e32 v1, v1
	v_add_u32_e32 v24, s6, v22
	v_add_u32_e32 v26, s7, v24
	;; [unrolled: 1-line block ×4, first 2 shown]
	v_readfirstlane_b32 s7, v0
	v_mul_f32_e32 v0, 0x4f7ffffe, v1
	v_cvt_u32_f32_e32 v0, v0
	v_add_u32_e32 v32, s6, v30
	s_sub_i32 s6, 0, s66
	s_mul_i32 s6, s6, s7
	s_mul_hi_u32 s6, s7, s6
	s_add_i32 s69, s7, s6
	s_sub_i32 s6, 0, s67
	v_readfirstlane_b32 s7, v0
	v_mbcnt_lo_u32_b32 v0, -1, 0
	s_mul_i32 s6, s6, s7
	v_mbcnt_hi_u32_b32 v0, -1, v0
	v_mov_b32_e32 v17, 0
	v_mul_lo_u32 v36, s39, v56
	s_mul_hi_u32 s6, s7, s6
	v_and_or_b32 v0, v0, 64, v6
	v_cndmask_b32_e64 v55, 0, 1, s[0:1]
	v_ashrrev_i32_e32 v19, 31, v18
	v_ashrrev_i32_e32 v21, 31, v20
	v_ashrrev_i32_e32 v23, 31, v22
	v_ashrrev_i32_e32 v25, 31, v24
	v_ashrrev_i32_e32 v27, 31, v26
	v_ashrrev_i32_e32 v29, 31, v28
	v_sub_u32_e32 v73, 32, v5
	v_ashrrev_i32_e32 v31, 31, v30
	v_ashrrev_i32_e32 v33, 31, v32
	;; [unrolled: 1-line block ×3, first 2 shown]
	v_mov_b32_e32 v35, v17
	v_mul_lo_u32 v76, s38, v56
	s_ashr_i32 s68, s33, 31
	s_ashr_i32 s70, s62, 31
	s_add_i32 s71, s7, s6
	v_lshlrev_b32_e32 v16, 1, v2
	v_lshlrev_b32_e32 v78, 2, v0
	v_mov_b32_e32 v79, v40
	s_branch .LBB151_7
.LBB151_4:                              ;   in Loop: Header=BB151_7 Depth=1
	s_or_b64 exec, exec, s[10:11]
.LBB151_5:                              ;   in Loop: Header=BB151_7 Depth=1
	s_or_b64 exec, exec, s[8:9]
	v_subrev_u32_e32 v79, s16, v79
.LBB151_6:                              ;   in Loop: Header=BB151_7 Depth=1
	s_or_b64 exec, exec, s[6:7]
	s_add_i32 s63, s63, 1
	v_cmp_ge_i32_e32 vcc, s63, v54
	s_cbranch_vccnz .LBB151_48
.LBB151_7:                              ; =>This Loop Header: Depth=1
                                        ;     Child Loop BB151_13 Depth 2
                                        ;       Child Loop BB151_15 Depth 3
                                        ;       Child Loop BB151_18 Depth 3
                                        ;     Child Loop BB151_35 Depth 2
                                        ;       Child Loop BB151_37 Depth 3
                                        ;     Child Loop BB151_45 Depth 2
                                        ;       Child Loop BB151_47 Depth 3
	s_abs_i32 s7, s63
	s_mul_hi_u32 s8, s7, s69
	s_mul_i32 s9, s8, s66
	s_ashr_i32 s6, s63, 31
	s_sub_i32 s7, s7, s9
	s_xor_b32 s6, s6, s68
	s_add_i32 s9, s8, 1
	s_sub_i32 s10, s7, s66
	s_cmp_ge_u32 s7, s66
	s_cselect_b32 s8, s9, s8
	s_cselect_b32 s7, s10, s7
	s_add_i32 s9, s8, 1
	s_cmp_ge_u32 s7, s66
	s_cselect_b32 s7, s9, s8
	s_xor_b32 s7, s7, s6
	s_sub_i32 s6, s7, s6
	s_abs_i32 s8, s6
	s_mul_i32 s7, s6, s33
	s_mul_hi_u32 s9, s8, s71
	s_sub_i32 s7, s63, s7
	s_mul_i32 s10, s9, s67
	s_lshl_b32 s72, s7, 6
	s_ashr_i32 s7, s6, 31
	s_sub_i32 s8, s8, s10
	s_xor_b32 s7, s7, s70
	s_add_i32 s10, s9, 1
	s_sub_i32 s11, s8, s67
	s_cmp_ge_u32 s8, s67
	s_cselect_b32 s9, s10, s9
	s_cselect_b32 s8, s11, s8
	s_add_i32 s10, s9, 1
	s_cmp_ge_u32 s8, s67
	s_cselect_b32 s8, s10, s9
	s_xor_b32 s8, s8, s7
	s_sub_i32 s7, s8, s7
	s_mul_i32 s8, s7, s64
	s_lshl_b32 s73, s8, 7
	s_cmp_eq_u32 s7, s40
	s_cselect_b32 s75, s65, s64
	s_sub_i32 s74, s72, s36
	s_add_i32 s74, s74, 64
	s_and_saveexec_b64 s[8:9], s[2:3]
	s_xor_b64 s[52:53], exec, s[8:9]
	s_cbranch_execz .LBB151_41
; %bb.8:                                ;   in Loop: Header=BB151_7 Depth=1
	s_mul_i32 s7, s7, s62
	s_sub_i32 s6, s6, s7
	s_lshl_b32 s6, s6, 5
	s_sub_i32 s14, s6, s37
	s_add_i32 s14, s14, 32
	s_max_i32 s7, s14, 0
	s_sub_i32 s54, s6, s7
	s_and_saveexec_b64 s[6:7], s[0:1]
	s_xor_b64 s[56:57], exec, s[6:7]
	s_cbranch_execz .LBB151_31
; %bb.9:                                ;   in Loop: Header=BB151_7 Depth=1
	s_and_saveexec_b64 s[58:59], s[4:5]
	s_cbranch_execz .LBB151_30
; %bb.10:                               ;   in Loop: Header=BB151_7 Depth=1
	s_waitcnt lgkmcnt(0)
	global_load_dword v80, v17, s[50:51]
	v_mov_b32_e32 v15, 0
	v_cmp_gt_i32_e32 vcc, s75, v79
	v_mov_b32_e32 v14, v15
	v_mov_b32_e32 v13, v15
	;; [unrolled: 1-line block ×15, first 2 shown]
	s_and_saveexec_b64 s[6:7], vcc
	s_cbranch_execz .LBB151_20
; %bb.11:                               ;   in Loop: Header=BB151_7 Depth=1
	v_mov_b32_e32 v0, 0
	s_mov_b64 s[8:9], 0
	v_mov_b32_e32 v1, v0
	v_mov_b32_e32 v2, v0
	;; [unrolled: 1-line block ×15, first 2 shown]
	s_branch .LBB151_13
.LBB151_12:                             ;   in Loop: Header=BB151_13 Depth=2
	s_or_b64 exec, exec, s[10:11]
	v_add_u32_e32 v86, v58, v84
	ds_read2_b32 v[84:85], v86 offset1:32
	v_add_u32_e32 v79, s43, v79
	s_waitcnt lgkmcnt(0)
	v_mfma_f32_32x32x16_fp8_fp8 v[0:15], v[52:53], v[84:85], v[0:15]
	ds_read2_b32 v[52:53], v86 offset0:128 offset1:160
	s_waitcnt lgkmcnt(0)
	v_mfma_f32_32x32x16_fp8_fp8 v[0:15], v[50:51], v[52:53], v[0:15]
	v_add_u32_e32 v52, 0x400, v86
	ds_read2_b32 v[50:51], v52 offset1:32
	s_waitcnt lgkmcnt(0)
	v_mfma_f32_32x32x16_fp8_fp8 v[0:15], v[48:49], v[50:51], v[0:15]
	ds_read2_b32 v[48:49], v52 offset0:128 offset1:160
	s_waitcnt lgkmcnt(0)
	v_mfma_f32_32x32x16_fp8_fp8 v[0:15], v[46:47], v[48:49], v[0:15]
	v_add_u32_e32 v48, 0x800, v86
	ds_read2_b32 v[46:47], v48 offset1:32
	;; [unrolled: 7-line block ×3, first 2 shown]
	ds_read2_b32 v[44:45], v44 offset0:128 offset1:160
	ds_write_b32 v82, v83 offset:24580
	s_waitcnt lgkmcnt(2)
	v_mfma_f32_32x32x16_fp8_fp8 v[0:15], v[40:41], v[42:43], v[0:15]
	v_add_u32_e32 v40, s43, v81
	v_add_u32_e32 v41, 2, v55
	v_cmp_lt_i32_e32 vcc, 1, v40
	s_nop 1
	v_cndmask_b32_e32 v55, v55, v41, vcc
	v_cmp_le_i32_e32 vcc, s75, v79
	s_waitcnt lgkmcnt(1)
	v_mfma_f32_32x32x16_fp8_fp8 v[0:15], v[38:39], v[44:45], v[0:15]
	s_or_b64 s[8:9], vcc, s[8:9]
	s_andn2_b64 exec, exec, s[8:9]
	s_cbranch_execz .LBB151_19
.LBB151_13:                             ;   Parent Loop BB151_7 Depth=1
                                        ; =>  This Loop Header: Depth=2
                                        ;       Child Loop BB151_15 Depth 3
                                        ;       Child Loop BB151_18 Depth 3
	v_cmp_gt_i32_e32 vcc, 2, v40
	s_nop 1
	v_cndmask_b32_e64 v38, -2, 0, vcc
	v_add_u32_e32 v81, v38, v40
	v_lshlrev_b32_e32 v82, 3, v81
	ds_read_b32 v38, v82 offset:24576
	s_waitcnt lgkmcnt(0)
	v_cmp_ne_u32_e32 vcc, v38, v55
	s_and_saveexec_b64 s[10:11], vcc
	s_cbranch_execz .LBB151_16
; %bb.14:                               ;   in Loop: Header=BB151_13 Depth=2
	s_mov_b64 s[12:13], 0
.LBB151_15:                             ;   Parent Loop BB151_7 Depth=1
                                        ;     Parent Loop BB151_13 Depth=2
                                        ; =>    This Inner Loop Header: Depth=3
	;;#ASMSTART
	s_sleep 0
	;;#ASMEND
	ds_read_b32 v38, v82 offset:24576
	s_waitcnt lgkmcnt(0)
	v_cmp_eq_u32_e32 vcc, v38, v55
	s_or_b64 s[12:13], vcc, s[12:13]
	s_andn2_b64 exec, exec, s[12:13]
	s_cbranch_execnz .LBB151_15
.LBB151_16:                             ;   in Loop: Header=BB151_13 Depth=2
	s_or_b64 exec, exec, s[10:11]
	v_lshlrev_b32_e32 v84, 12, v81
	v_or_b32_e32 v38, v57, v84
	v_add_u32_e32 v39, 0x400, v38
	ds_read2_b32 v[52:53], v38 offset1:32
	ds_read2_b32 v[50:51], v38 offset0:128 offset1:160
	ds_read2_b32 v[48:49], v39 offset1:32
	ds_read2_b32 v[46:47], v39 offset0:128 offset1:160
	v_add_u32_e32 v39, 0x800, v38
	v_add_u32_e32 v38, 0xc00, v38
	ds_read2_b32 v[44:45], v39 offset1:32
	ds_read2_b32 v[42:43], v39 offset0:128 offset1:160
	ds_read2_b32 v[40:41], v38 offset1:32
	ds_read_b32 v85, v82 offset:24580
	ds_read2_b32 v[38:39], v38 offset0:128 offset1:160
	v_add_u32_e32 v83, 1, v55
	ds_write_b32 v82, v83 offset:24576
	s_waitcnt lgkmcnt(2)
	v_cmp_ne_u32_e32 vcc, v85, v55
	s_and_saveexec_b64 s[10:11], vcc
	s_cbranch_execz .LBB151_12
; %bb.17:                               ;   in Loop: Header=BB151_13 Depth=2
	s_mov_b64 s[12:13], 0
.LBB151_18:                             ;   Parent Loop BB151_7 Depth=1
                                        ;     Parent Loop BB151_13 Depth=2
                                        ; =>    This Inner Loop Header: Depth=3
	;;#ASMSTART
	s_sleep 0
	;;#ASMEND
	ds_read_b32 v85, v82 offset:24580
	s_waitcnt lgkmcnt(0)
	v_cmp_eq_u32_e32 vcc, v85, v55
	s_or_b64 s[12:13], vcc, s[12:13]
	s_andn2_b64 exec, exec, s[12:13]
	s_cbranch_execnz .LBB151_18
	s_branch .LBB151_12
.LBB151_19:                             ;   in Loop: Header=BB151_7 Depth=1
	s_or_b64 exec, exec, s[8:9]
.LBB151_20:                             ;   in Loop: Header=BB151_7 Depth=1
	s_or_b64 exec, exec, s[6:7]
	v_cmp_le_i32_e32 vcc, s14, v56
	v_cmp_eq_u32_e64 s[6:7], 3, v59
	v_cmp_eq_u32_e64 s[8:9], 4, v59
	s_waitcnt vmcnt(0)
	v_cndmask_b32_e32 v38, 0, v80, vcc
	s_nop 1
	v_pk_mul_f32 v[0:1], v[38:39], v[0:1] op_sel_hi:[0,1]
	v_cmp_eq_u32_e32 vcc, 1, v59
	v_pk_mul_f32 v[14:15], v[38:39], v[14:15] op_sel_hi:[0,1]
	v_pk_mul_f32 v[12:13], v[38:39], v[12:13] op_sel_hi:[0,1]
	;; [unrolled: 1-line block ×7, first 2 shown]
	v_cndmask_b32_e32 v38, v0, v1, vcc
	v_cmp_eq_u32_e32 vcc, 2, v59
	v_cmp_eq_u32_e64 s[10:11], 5, v59
	v_cmp_eq_u32_e64 s[12:13], 6, v59
	v_cndmask_b32_e32 v38, v38, v2, vcc
	v_cndmask_b32_e64 v38, v38, v3, s[6:7]
	v_cndmask_b32_e64 v38, v38, v4, s[8:9]
	;; [unrolled: 1-line block ×4, first 2 shown]
	v_cmp_eq_u32_e64 s[14:15], 7, v59
	v_cmp_eq_u32_e64 s[16:17], 8, v59
	v_cmp_eq_u32_e64 s[18:19], 9, v59
	v_cndmask_b32_e64 v38, v38, v7, s[14:15]
	v_cndmask_b32_e64 v38, v38, v8, s[16:17]
	v_cndmask_b32_e64 v38, v38, v9, s[18:19]
	v_cmp_eq_u32_e64 s[20:21], 10, v59
	v_cmp_eq_u32_e64 s[22:23], 11, v59
	v_cmp_eq_u32_e64 s[24:25], 12, v59
	v_cndmask_b32_e64 v38, v38, v10, s[20:21]
	v_cndmask_b32_e64 v38, v38, v11, s[22:23]
	v_cndmask_b32_e64 v38, v38, v12, s[24:25]
	;; [unrolled: 6-line block ×3, first 2 shown]
	ds_bpermute_b32 v38, v78, v38
	v_cmp_eq_u32_e64 s[34:35], 15, v60
	s_waitcnt lgkmcnt(0)
	v_cndmask_b32_e32 v2, v2, v38, vcc
	v_cmp_ne_u32_e32 vcc, 0, v59
	v_cndmask_b32_e64 v15, v15, v38, s[30:31]
	v_cndmask_b32_e64 v14, v14, v38, s[28:29]
	v_cndmask_b32_e32 v1, v1, v38, vcc
	v_cmp_eq_u32_e32 vcc, 0, v59
	v_cndmask_b32_e64 v13, v13, v38, s[26:27]
	v_cndmask_b32_e64 v12, v12, v38, s[24:25]
	v_cndmask_b32_e32 v0, v0, v38, vcc
	v_cmp_eq_u32_e32 vcc, 1, v60
	v_cndmask_b32_e64 v11, v11, v38, s[22:23]
	v_cndmask_b32_e64 v10, v10, v38, s[20:21]
	v_cndmask_b32_e64 v9, v9, v38, s[18:19]
	v_cndmask_b32_e64 v8, v8, v38, s[16:17]
	v_cndmask_b32_e64 v7, v7, v38, s[14:15]
	v_cndmask_b32_e64 v6, v6, v38, s[12:13]
	v_cndmask_b32_e64 v5, v5, v38, s[10:11]
	v_cndmask_b32_e64 v4, v4, v38, s[8:9]
	v_cndmask_b32_e64 v3, v3, v38, s[6:7]
	v_cndmask_b32_e32 v38, v0, v1, vcc
	v_cmp_eq_u32_e64 s[6:7], 2, v60
	v_cmp_eq_u32_e64 s[8:9], 3, v60
	v_cmp_eq_u32_e64 s[10:11], 4, v60
	v_cndmask_b32_e64 v38, v38, v2, s[6:7]
	v_cndmask_b32_e64 v38, v38, v3, s[8:9]
	v_cndmask_b32_e64 v38, v38, v4, s[10:11]
	v_cmp_eq_u32_e64 s[12:13], 5, v60
	v_cmp_eq_u32_e64 s[14:15], 6, v60
	v_cmp_eq_u32_e64 s[16:17], 7, v60
	v_cndmask_b32_e64 v38, v38, v5, s[12:13]
	v_cndmask_b32_e64 v38, v38, v6, s[14:15]
	v_cndmask_b32_e64 v38, v38, v7, s[16:17]
	v_cmp_eq_u32_e64 s[18:19], 8, v60
	v_cmp_eq_u32_e64 s[20:21], 9, v60
	v_cmp_eq_u32_e64 s[22:23], 10, v60
	v_cndmask_b32_e64 v38, v38, v8, s[18:19]
	v_cndmask_b32_e64 v38, v38, v9, s[20:21]
	v_cndmask_b32_e64 v38, v38, v10, s[22:23]
	v_cmp_eq_u32_e64 s[24:25], 11, v60
	v_cmp_eq_u32_e64 s[26:27], 12, v60
	v_cmp_eq_u32_e64 s[28:29], 13, v60
	v_cndmask_b32_e64 v38, v38, v11, s[24:25]
	v_cndmask_b32_e64 v38, v38, v12, s[26:27]
	v_cndmask_b32_e64 v38, v38, v13, s[28:29]
	v_cmp_eq_u32_e64 s[30:31], 14, v60
	s_nop 1
	v_cndmask_b32_e64 v38, v38, v14, s[30:31]
	v_cndmask_b32_e64 v38, v38, v15, s[34:35]
	ds_bpermute_b32 v38, v78, v38
	s_waitcnt lgkmcnt(0)
	v_cndmask_b32_e32 v1, v1, v38, vcc
	v_cmp_eq_u32_e32 vcc, 0, v60
	v_cndmask_b32_e64 v15, v15, v38, s[34:35]
	v_cndmask_b32_e64 v14, v14, v38, s[30:31]
	v_cndmask_b32_e32 v0, v0, v38, vcc
	v_cmp_eq_u32_e32 vcc, 1, v61
	v_cndmask_b32_e64 v13, v13, v38, s[28:29]
	v_cndmask_b32_e64 v12, v12, v38, s[26:27]
	v_cndmask_b32_e64 v11, v11, v38, s[24:25]
	v_cndmask_b32_e64 v10, v10, v38, s[22:23]
	v_cndmask_b32_e64 v9, v9, v38, s[20:21]
	v_cndmask_b32_e64 v8, v8, v38, s[18:19]
	v_cndmask_b32_e64 v7, v7, v38, s[16:17]
	v_cndmask_b32_e64 v6, v6, v38, s[14:15]
	v_cndmask_b32_e64 v5, v5, v38, s[12:13]
	v_cndmask_b32_e64 v4, v4, v38, s[10:11]
	v_cndmask_b32_e64 v3, v3, v38, s[8:9]
	v_cndmask_b32_e64 v2, v2, v38, s[6:7]
	v_cndmask_b32_e32 v38, v0, v1, vcc
	v_cmp_eq_u32_e64 s[6:7], 2, v61
	v_cmp_eq_u32_e64 s[8:9], 3, v61
	v_cmp_eq_u32_e64 s[10:11], 4, v61
	v_cndmask_b32_e64 v38, v38, v2, s[6:7]
	v_cndmask_b32_e64 v38, v38, v3, s[8:9]
	v_cndmask_b32_e64 v38, v38, v4, s[10:11]
	v_cmp_eq_u32_e64 s[12:13], 5, v61
	v_cmp_eq_u32_e64 s[14:15], 6, v61
	v_cmp_eq_u32_e64 s[16:17], 7, v61
	v_cndmask_b32_e64 v38, v38, v5, s[12:13]
	v_cndmask_b32_e64 v38, v38, v6, s[14:15]
	v_cndmask_b32_e64 v38, v38, v7, s[16:17]
	v_cmp_eq_u32_e64 s[18:19], 8, v61
	v_cmp_eq_u32_e64 s[20:21], 9, v61
	v_cmp_eq_u32_e64 s[22:23], 10, v61
	v_cndmask_b32_e64 v38, v38, v8, s[18:19]
	v_cndmask_b32_e64 v38, v38, v9, s[20:21]
	v_cndmask_b32_e64 v38, v38, v10, s[22:23]
	v_cmp_eq_u32_e64 s[24:25], 11, v61
	v_cmp_eq_u32_e64 s[26:27], 12, v61
	v_cmp_eq_u32_e64 s[28:29], 13, v61
	v_cndmask_b32_e64 v38, v38, v11, s[24:25]
	v_cndmask_b32_e64 v38, v38, v12, s[26:27]
	v_cndmask_b32_e64 v38, v38, v13, s[28:29]
	v_cmp_eq_u32_e64 s[30:31], 14, v61
	v_cmp_eq_u32_e64 s[34:35], 15, v61
	s_nop 0
	v_cndmask_b32_e64 v38, v38, v14, s[30:31]
	v_cndmask_b32_e64 v38, v38, v15, s[34:35]
	ds_bpermute_b32 v38, v78, v38
	s_waitcnt lgkmcnt(0)
	v_cndmask_b32_e32 v1, v1, v38, vcc
	v_cmp_eq_u32_e32 vcc, 0, v61
	v_cndmask_b32_e64 v15, v15, v38, s[34:35]
	v_cndmask_b32_e64 v14, v14, v38, s[30:31]
	v_cndmask_b32_e32 v0, v0, v38, vcc
	v_cmp_eq_u32_e32 vcc, 1, v62
	v_cndmask_b32_e64 v13, v13, v38, s[28:29]
	v_cndmask_b32_e64 v12, v12, v38, s[26:27]
	v_cndmask_b32_e64 v11, v11, v38, s[24:25]
	v_cndmask_b32_e64 v10, v10, v38, s[22:23]
	v_cndmask_b32_e64 v9, v9, v38, s[20:21]
	v_cndmask_b32_e64 v8, v8, v38, s[18:19]
	v_cndmask_b32_e64 v7, v7, v38, s[16:17]
	v_cndmask_b32_e64 v6, v6, v38, s[14:15]
	v_cndmask_b32_e64 v5, v5, v38, s[12:13]
	v_cndmask_b32_e64 v4, v4, v38, s[10:11]
	v_cndmask_b32_e64 v3, v3, v38, s[8:9]
	v_cndmask_b32_e64 v2, v2, v38, s[6:7]
	v_cndmask_b32_e32 v38, v0, v1, vcc
	v_cmp_eq_u32_e64 s[6:7], 2, v62
	v_cmp_eq_u32_e64 s[8:9], 3, v62
	v_cmp_eq_u32_e64 s[10:11], 4, v62
	v_cndmask_b32_e64 v38, v38, v2, s[6:7]
	v_cndmask_b32_e64 v38, v38, v3, s[8:9]
	v_cndmask_b32_e64 v38, v38, v4, s[10:11]
	v_cmp_eq_u32_e64 s[12:13], 5, v62
	v_cmp_eq_u32_e64 s[14:15], 6, v62
	v_cmp_eq_u32_e64 s[16:17], 7, v62
	v_cndmask_b32_e64 v38, v38, v5, s[12:13]
	v_cndmask_b32_e64 v38, v38, v6, s[14:15]
	v_cndmask_b32_e64 v38, v38, v7, s[16:17]
	v_cmp_eq_u32_e64 s[18:19], 8, v62
	v_cmp_eq_u32_e64 s[20:21], 9, v62
	v_cmp_eq_u32_e64 s[22:23], 10, v62
	v_cndmask_b32_e64 v38, v38, v8, s[18:19]
	v_cndmask_b32_e64 v38, v38, v9, s[20:21]
	v_cndmask_b32_e64 v38, v38, v10, s[22:23]
	v_cmp_eq_u32_e64 s[24:25], 11, v62
	v_cmp_eq_u32_e64 s[26:27], 12, v62
	v_cmp_eq_u32_e64 s[28:29], 13, v62
	v_cndmask_b32_e64 v38, v38, v11, s[24:25]
	v_cndmask_b32_e64 v38, v38, v12, s[26:27]
	v_cndmask_b32_e64 v38, v38, v13, s[28:29]
	v_cmp_eq_u32_e64 s[30:31], 14, v62
	;; [unrolled: 50-line block ×4, first 2 shown]
	v_cmp_eq_u32_e64 s[34:35], 15, v64
	s_nop 0
	v_cndmask_b32_e64 v38, v38, v14, s[30:31]
	v_cndmask_b32_e64 v38, v38, v15, s[34:35]
	ds_bpermute_b32 v38, v78, v38
	s_waitcnt lgkmcnt(0)
	v_cndmask_b32_e32 v1, v1, v38, vcc
	v_cmp_eq_u32_e32 vcc, 0, v64
	v_cndmask_b32_e64 v15, v15, v38, s[34:35]
	v_cndmask_b32_e64 v14, v14, v38, s[30:31]
	;; [unrolled: 1-line block ×14, first 2 shown]
	v_cndmask_b32_e32 v38, v0, v38, vcc
	v_cmp_eq_u32_e32 vcc, 1, v65
	v_cmp_eq_u32_e64 s[6:7], 2, v65
	v_cmp_eq_u32_e64 s[8:9], 3, v65
	v_cndmask_b32_e32 v0, v38, v1, vcc
	v_cndmask_b32_e64 v0, v0, v47, s[6:7]
	v_cndmask_b32_e64 v0, v0, v46, s[8:9]
	v_cmp_eq_u32_e64 s[10:11], 4, v65
	v_cmp_eq_u32_e64 s[12:13], 5, v65
	v_cmp_eq_u32_e64 s[14:15], 6, v65
	v_cndmask_b32_e64 v0, v0, v45, s[10:11]
	v_cndmask_b32_e64 v0, v0, v44, s[12:13]
	v_cndmask_b32_e64 v0, v0, v43, s[14:15]
	v_cmp_eq_u32_e64 s[16:17], 7, v65
	v_cmp_eq_u32_e64 s[18:19], 8, v65
	v_cmp_eq_u32_e64 s[20:21], 9, v65
	v_cndmask_b32_e64 v0, v0, v42, s[16:17]
	;; [unrolled: 6-line block ×4, first 2 shown]
	v_cndmask_b32_e64 v0, v0, v14, s[30:31]
	v_cndmask_b32_e64 v0, v0, v15, s[34:35]
	ds_bpermute_b32 v48, v78, v0
	s_waitcnt lgkmcnt(0)
	v_cndmask_b32_e32 v0, v1, v48, vcc
	v_cmp_eq_u32_e32 vcc, 0, v65
	v_cndmask_b32_e64 v4, v15, v48, s[34:35]
	v_cndmask_b32_e64 v15, v47, v48, s[6:7]
	v_cndmask_b32_e32 v1, v38, v48, vcc
	v_cmp_eq_u32_e32 vcc, 1, v66
	v_cndmask_b32_e64 v5, v14, v48, s[30:31]
	v_cndmask_b32_e64 v14, v46, v48, s[8:9]
	;; [unrolled: 4-line block ×7, first 2 shown]
	v_cndmask_b32_e32 v38, v38, v13, vcc
	v_cmp_eq_u32_e32 vcc, 7, v66
	s_nop 1
	v_cndmask_b32_e32 v38, v38, v12, vcc
	v_cmp_eq_u32_e32 vcc, 8, v66
	s_nop 1
	;; [unrolled: 3-line block ×9, first 2 shown]
	v_cndmask_b32_e32 v38, v38, v4, vcc
	ds_bpermute_b32 v38, v78, v38
	v_cmp_lt_i32_e32 vcc, s74, v67
	s_and_saveexec_b64 s[60:61], vcc
	s_cbranch_execz .LBB151_29
; %bb.21:                               ;   in Loop: Header=BB151_7 Depth=1
	s_mul_i32 s6, s72, s37
	s_ashr_i32 s7, s6, 31
	s_lshl_b64 s[6:7], s[6:7], 1
	v_cmp_eq_u32_e64 s[30:31], 1, v66
	s_add_u32 s8, s48, s6
	s_addc_u32 s9, s49, s7
	s_waitcnt lgkmcnt(0)
	v_cndmask_b32_e64 v0, v0, v38, s[30:31]
	v_cmp_eq_u32_e64 s[30:31], 0, v66
	s_ashr_i32 s55, s54, 31
	s_lshl_b64 s[6:7], s[54:55], 1
	v_cndmask_b32_e64 v1, v1, v38, s[30:31]
	v_cvt_f16_f32_e32 v39, v1
	v_cvt_f16_f32_sdwa v41, v0 dst_sel:WORD_1 dst_unused:UNUSED_PAD src0_sel:DWORD
	s_add_u32 s34, s8, s6
	s_addc_u32 s35, s9, s7
	v_cmp_eq_u32_e64 s[8:9], 15, v66
	v_cmp_eq_u32_e64 s[10:11], 14, v66
	;; [unrolled: 1-line block ×10, first 2 shown]
	v_cmp_eq_u32_e32 vcc, 5, v66
	v_cmp_eq_u32_e64 s[6:7], 4, v66
	v_cmp_eq_u32_e64 s[28:29], 3, v66
	;; [unrolled: 1-line block ×3, first 2 shown]
	v_lshl_add_u64 v[0:1], s[34:35], 0, v[16:17]
	v_cmp_lt_i32_e64 s[34:35], s74, v68
	v_lshl_add_u64 v[42:43], v[18:19], 1, v[0:1]
	v_or_b32_e32 v39, v41, v39
	;;#ASMSTART
	global_atomic_pk_add_f16 v[42:43], v39, off
	
	;;#ASMEND
	s_and_b64 exec, exec, s[34:35]
	s_cbranch_execz .LBB151_29
; %bb.22:                               ;   in Loop: Header=BB151_7 Depth=1
	v_cndmask_b32_e64 v14, v14, v38, s[28:29]
	v_cndmask_b32_e64 v15, v15, v38, s[30:31]
	v_cvt_f16_f32_e32 v39, v15
	v_cvt_f16_f32_sdwa v41, v14 dst_sel:WORD_1 dst_unused:UNUSED_PAD src0_sel:DWORD
	v_cndmask_b32_e64 v4, v4, v38, s[8:9]
	v_cndmask_b32_e64 v5, v5, v38, s[10:11]
	v_cndmask_b32_e64 v6, v6, v38, s[12:13]
	v_cndmask_b32_e64 v7, v7, v38, s[14:15]
	v_cndmask_b32_e64 v8, v8, v38, s[16:17]
	v_cndmask_b32_e64 v9, v9, v38, s[18:19]
	v_cndmask_b32_e64 v10, v10, v38, s[20:21]
	v_cndmask_b32_e64 v11, v11, v38, s[22:23]
	v_cndmask_b32_e64 v12, v12, v38, s[24:25]
	v_cndmask_b32_e64 v13, v13, v38, s[26:27]
	v_cndmask_b32_e32 v2, v2, v38, vcc
	v_cndmask_b32_e64 v3, v3, v38, s[6:7]
	v_cmp_lt_i32_e32 vcc, s74, v69
	v_lshl_add_u64 v[14:15], v[20:21], 1, v[0:1]
	v_or_b32_e32 v38, v41, v39
	;;#ASMSTART
	global_atomic_pk_add_f16 v[14:15], v38, off
	
	;;#ASMEND
	s_and_b64 exec, exec, vcc
	s_cbranch_execz .LBB151_29
; %bb.23:                               ;   in Loop: Header=BB151_7 Depth=1
	v_cvt_f16_f32_e32 v14, v3
	v_cvt_f16_f32_sdwa v15, v2 dst_sel:WORD_1 dst_unused:UNUSED_PAD src0_sel:DWORD
	v_cmp_lt_i32_e32 vcc, s74, v70
	v_lshl_add_u64 v[2:3], v[22:23], 1, v[0:1]
	v_or_b32_e32 v14, v15, v14
	;;#ASMSTART
	global_atomic_pk_add_f16 v[2:3], v14, off
	
	;;#ASMEND
	s_and_b64 exec, exec, vcc
	s_cbranch_execz .LBB151_29
; %bb.24:                               ;   in Loop: Header=BB151_7 Depth=1
	v_cvt_f16_f32_e32 v13, v13
	v_cvt_f16_f32_sdwa v12, v12 dst_sel:WORD_1 dst_unused:UNUSED_PAD src0_sel:DWORD
	;; [unrolled: 12-line block ×6, first 2 shown]
	v_lshl_add_u64 v[0:1], v[32:33], 1, v[0:1]
	v_or_b32_e32 v2, v3, v2
	;;#ASMSTART
	global_atomic_pk_add_f16 v[0:1], v2, off
	
	;;#ASMEND
.LBB151_29:                             ;   in Loop: Header=BB151_7 Depth=1
	s_or_b64 exec, exec, s[60:61]
	v_subrev_u32_e32 v79, s75, v79
.LBB151_30:                             ;   in Loop: Header=BB151_7 Depth=1
	s_or_b64 exec, exec, s[58:59]
.LBB151_31:                             ;   in Loop: Header=BB151_7 Depth=1
	s_andn2_saveexec_b64 s[6:7], s[56:57]
	s_cbranch_execz .LBB151_40
; %bb.32:                               ;   in Loop: Header=BB151_7 Depth=1
	v_cmp_gt_i32_e32 vcc, s75, v79
	s_and_saveexec_b64 s[8:9], vcc
	s_cbranch_execz .LBB151_39
; %bb.33:                               ;   in Loop: Header=BB151_7 Depth=1
	s_mul_i32 s10, s54, s39
	s_ashr_i32 s11, s10, 31
	s_waitcnt lgkmcnt(0)
	s_add_u32 s10, s46, s10
	s_addc_u32 s11, s47, s11
	s_ashr_i32 s12, s73, 31
	s_add_u32 s10, s10, s73
	s_addc_u32 s11, s11, s12
	v_lshl_add_u64 v[0:1], s[10:11], 0, v[36:37]
	v_lshl_add_u64 v[38:39], v[0:1], 0, v[34:35]
	s_mov_b64 s[10:11], 0
	s_branch .LBB151_35
.LBB151_34:                             ;   in Loop: Header=BB151_35 Depth=2
	s_or_b64 exec, exec, s[12:13]
	v_lshl_add_u32 v42, v40, 12, v75
	;;#ASMSTART
	s_waitcnt vmcnt(3)
	;;#ASMEND
	ds_write2_b32 v42, v12, v13 offset1:32
	ds_write2_b32 v42, v14, v15 offset0:64 offset1:96
	v_add_u32_e32 v12, 0x400, v42
	;;#ASMSTART
	s_waitcnt vmcnt(2)
	;;#ASMEND
	ds_write2_b32 v12, v8, v9 offset1:32
	ds_write2_b32 v12, v10, v11 offset0:64 offset1:96
	v_add_u32_e32 v8, 0x800, v42
	;; [unrolled: 6-line block ×3, first 2 shown]
	v_add_u32_e32 v79, s42, v79
	;;#ASMSTART
	s_waitcnt vmcnt(0)
	;;#ASMEND
	ds_write2_b32 v4, v0, v1 offset1:32
	ds_write2_b32 v4, v2, v3 offset0:64 offset1:96
	v_add_u32_e32 v0, 1, v55
	v_add_u32_e32 v40, s42, v40
	v_cmp_le_i32_e32 vcc, s75, v79
	ds_write_b32 v41, v0 offset:16
	v_add_u32_e32 v0, 2, v55
	s_or_b64 s[10:11], vcc, s[10:11]
	v_cmp_lt_i32_e32 vcc, 1, v40
	s_nop 1
	v_cndmask_b32_e32 v55, v55, v0, vcc
	s_andn2_b64 exec, exec, s[10:11]
	s_cbranch_execz .LBB151_38
.LBB151_35:                             ;   Parent Loop BB151_7 Depth=1
                                        ; =>  This Loop Header: Depth=2
                                        ;       Child Loop BB151_37 Depth 3
	v_cmp_gt_i32_e32 vcc, 2, v40
	s_nop 1
	v_cndmask_b32_e64 v0, -2, 0, vcc
	v_add_u32_e32 v40, v0, v40
	v_lshlrev_b32_e32 v0, 7, v79
	v_ashrrev_i32_e32 v1, 31, v0
	v_lshl_add_u64 v[0:1], v[38:39], 0, v[0:1]
	v_lshlrev_b32_e32 v41, 2, v40
	;;#ASMSTART
	global_load_dwordx4 v[12:15], v[0:1], off offset:0   sc0 sc1 nt  
	global_load_dwordx4 v[8:11], v[0:1], off offset:32  sc0 sc1 nt  
	global_load_dwordx4 v[4:7], v[0:1], off offset:64  sc0 sc1 nt  
	;; [unrolled: 1-line block ×3, first 2 shown]
	
	;;#ASMEND
	ds_read_b32 v42, v41 offset:24592
	v_add_u32_e32 v41, 0x6000, v41
	s_waitcnt lgkmcnt(0)
	v_cmp_ne_u32_e32 vcc, v42, v55
	s_and_saveexec_b64 s[12:13], vcc
	s_cbranch_execz .LBB151_34
; %bb.36:                               ;   in Loop: Header=BB151_35 Depth=2
	s_mov_b64 s[14:15], 0
.LBB151_37:                             ;   Parent Loop BB151_7 Depth=1
                                        ;     Parent Loop BB151_35 Depth=2
                                        ; =>    This Inner Loop Header: Depth=3
	;;#ASMSTART
	s_sleep 0
	;;#ASMEND
	ds_read_b32 v42, v41 offset:16
	s_waitcnt lgkmcnt(0)
	v_cmp_eq_u32_e32 vcc, v42, v55
	s_or_b64 s[14:15], vcc, s[14:15]
	s_andn2_b64 exec, exec, s[14:15]
	s_cbranch_execnz .LBB151_37
	s_branch .LBB151_34
.LBB151_38:                             ;   in Loop: Header=BB151_7 Depth=1
	s_or_b64 exec, exec, s[10:11]
.LBB151_39:                             ;   in Loop: Header=BB151_7 Depth=1
	s_or_b64 exec, exec, s[8:9]
	v_subrev_u32_e32 v79, s75, v79
.LBB151_40:                             ;   in Loop: Header=BB151_7 Depth=1
	s_or_b64 exec, exec, s[6:7]
.LBB151_41:                             ;   in Loop: Header=BB151_7 Depth=1
	s_andn2_saveexec_b64 s[6:7], s[52:53]
	s_cbranch_execz .LBB151_6
; %bb.42:                               ;   in Loop: Header=BB151_7 Depth=1
	s_lshl_b32 s16, s75, 1
	v_cmp_gt_i32_e32 vcc, s16, v79
	s_and_saveexec_b64 s[8:9], vcc
	s_cbranch_execz .LBB151_5
; %bb.43:                               ;   in Loop: Header=BB151_7 Depth=1
	s_mul_i32 s72, s72, s38
	s_max_i32 s12, s74, 0
	s_ashr_i32 s10, s72, 31
	s_waitcnt lgkmcnt(0)
	s_add_u32 s11, s44, s72
	v_add_u32_e32 v2, s12, v56
	s_addc_u32 s13, s45, s10
	s_ashr_i32 s14, s73, 31
	v_cmp_gt_u32_e32 vcc, 64, v2
	s_add_u32 s10, s11, s73
	s_addc_u32 s11, s13, s14
	v_cndmask_b32_e32 v0, 0, v76, vcc
	v_ashrrev_i32_e32 v1, 31, v0
	v_lshl_add_u64 v[0:1], s[10:11], 0, v[0:1]
	v_lshl_add_u64 v[38:39], v[0:1], 0, v[34:35]
	v_sub_u32_e32 v41, 63, v2
	s_mov_b64 s[10:11], 0
	s_branch .LBB151_45
.LBB151_44:                             ;   in Loop: Header=BB151_45 Depth=2
	s_or_b64 exec, exec, s[12:13]
	v_lshl_or_b32 v43, v40, 12, v77
	;;#ASMSTART
	s_waitcnt vmcnt(3)
	;;#ASMEND
	ds_write2_b32 v43, v12, v13 offset1:32
	ds_write2_b32 v43, v14, v15 offset0:64 offset1:96
	v_add_u32_e32 v12, 0x400, v43
	;;#ASMSTART
	s_waitcnt vmcnt(2)
	;;#ASMEND
	ds_write2_b32 v12, v8, v9 offset1:32
	ds_write2_b32 v12, v10, v11 offset0:64 offset1:96
	v_add_u32_e32 v8, 0x800, v43
	;; [unrolled: 6-line block ×3, first 2 shown]
	v_add_u32_e32 v79, s41, v79
	;;#ASMSTART
	s_waitcnt vmcnt(0)
	;;#ASMEND
	ds_write2_b32 v4, v0, v1 offset1:32
	ds_write2_b32 v4, v2, v3 offset0:64 offset1:96
	v_add_u32_e32 v0, 1, v55
	v_add_u32_e32 v40, s41, v40
	v_cmp_le_i32_e32 vcc, s16, v79
	ds_write_b32 v42, v0
	v_add_u32_e32 v0, 2, v55
	s_or_b64 s[10:11], vcc, s[10:11]
	v_cmp_lt_i32_e32 vcc, 3, v40
	s_nop 1
	v_cndmask_b32_e32 v55, v55, v0, vcc
	s_andn2_b64 exec, exec, s[10:11]
	s_cbranch_execz .LBB151_4
.LBB151_45:                             ;   Parent Loop BB151_7 Depth=1
                                        ; =>  This Loop Header: Depth=2
                                        ;       Child Loop BB151_47 Depth 3
	v_cmp_gt_i32_e32 vcc, 4, v40
	s_nop 1
	v_cndmask_b32_e64 v0, -4, 0, vcc
	v_add_u32_e32 v40, v0, v40
	v_lshrrev_b32_e32 v0, 31, v79
	v_add_u32_e32 v0, v79, v0
	v_and_b32_e32 v1, 0x7fffffe, v0
	v_sub_u32_e32 v1, v79, v1
	v_lshlrev_b32_e32 v1, 5, v1
	v_cmp_le_i32_e32 vcc, v1, v41
	v_lshlrev_b32_e32 v0, 6, v0
	v_and_b32_e32 v0, 0xffffff80, v0
	v_cndmask_b32_e32 v2, 0, v1, vcc
	v_ashrrev_i32_e32 v1, 31, v0
	v_mul_lo_u32 v2, v2, s38
	v_lshl_add_u64 v[0:1], v[38:39], 0, v[0:1]
	v_ashrrev_i32_e32 v3, 31, v2
	v_lshl_add_u64 v[0:1], v[0:1], 0, v[2:3]
	v_lshlrev_b32_e32 v42, 2, v40
	;;#ASMSTART
	global_load_dwordx4 v[12:15], v[0:1], off offset:0   
	global_load_dwordx4 v[8:11], v[0:1], off offset:32  
	global_load_dwordx4 v[4:7], v[0:1], off offset:64  
	global_load_dwordx4 v[0:3], v[0:1], off offset:96  
	
	;;#ASMEND
	ds_read_b32 v43, v42 offset:24576
	v_add_u32_e32 v42, 0x6000, v42
	s_waitcnt lgkmcnt(0)
	v_cmp_ne_u32_e32 vcc, v43, v55
	s_and_saveexec_b64 s[12:13], vcc
	s_cbranch_execz .LBB151_44
; %bb.46:                               ;   in Loop: Header=BB151_45 Depth=2
	s_mov_b64 s[14:15], 0
.LBB151_47:                             ;   Parent Loop BB151_7 Depth=1
                                        ;     Parent Loop BB151_45 Depth=2
                                        ; =>    This Inner Loop Header: Depth=3
	;;#ASMSTART
	s_sleep 0
	;;#ASMEND
	ds_read_b32 v43, v42
	s_waitcnt lgkmcnt(0)
	v_cmp_eq_u32_e32 vcc, v43, v55
	s_or_b64 s[14:15], vcc, s[14:15]
	s_andn2_b64 exec, exec, s[14:15]
	s_cbranch_execnz .LBB151_47
	s_branch .LBB151_44
.LBB151_48:
	s_endpgm
	.section	.rodata,"a",@progbits
	.p2align	6, 0x0
	.amdhsa_kernel _Z19_skinny_gemm_kernelILi2ELi1ELi2ELi32ELi8EEvPKhS1_P6__halfPKfiiiiiiii
		.amdhsa_group_segment_fixed_size 24600
		.amdhsa_private_segment_fixed_size 0
		.amdhsa_kernarg_size 64
		.amdhsa_user_sgpr_count 2
		.amdhsa_user_sgpr_dispatch_ptr 0
		.amdhsa_user_sgpr_queue_ptr 0
		.amdhsa_user_sgpr_kernarg_segment_ptr 1
		.amdhsa_user_sgpr_dispatch_id 0
		.amdhsa_user_sgpr_kernarg_preload_length 0
		.amdhsa_user_sgpr_kernarg_preload_offset 0
		.amdhsa_user_sgpr_private_segment_size 0
		.amdhsa_uses_dynamic_stack 0
		.amdhsa_enable_private_segment 0
		.amdhsa_system_sgpr_workgroup_id_x 1
		.amdhsa_system_sgpr_workgroup_id_y 0
		.amdhsa_system_sgpr_workgroup_id_z 0
		.amdhsa_system_sgpr_workgroup_info 0
		.amdhsa_system_vgpr_workitem_id 0
		.amdhsa_next_free_vgpr 87
		.amdhsa_next_free_sgpr 76
		.amdhsa_accum_offset 88
		.amdhsa_reserve_vcc 1
		.amdhsa_float_round_mode_32 0
		.amdhsa_float_round_mode_16_64 0
		.amdhsa_float_denorm_mode_32 3
		.amdhsa_float_denorm_mode_16_64 3
		.amdhsa_dx10_clamp 1
		.amdhsa_ieee_mode 1
		.amdhsa_fp16_overflow 0
		.amdhsa_tg_split 0
		.amdhsa_exception_fp_ieee_invalid_op 0
		.amdhsa_exception_fp_denorm_src 0
		.amdhsa_exception_fp_ieee_div_zero 0
		.amdhsa_exception_fp_ieee_overflow 0
		.amdhsa_exception_fp_ieee_underflow 0
		.amdhsa_exception_fp_ieee_inexact 0
		.amdhsa_exception_int_div_zero 0
	.end_amdhsa_kernel
	.section	.text._Z19_skinny_gemm_kernelILi2ELi1ELi2ELi32ELi8EEvPKhS1_P6__halfPKfiiiiiiii,"axG",@progbits,_Z19_skinny_gemm_kernelILi2ELi1ELi2ELi32ELi8EEvPKhS1_P6__halfPKfiiiiiiii,comdat
.Lfunc_end151:
	.size	_Z19_skinny_gemm_kernelILi2ELi1ELi2ELi32ELi8EEvPKhS1_P6__halfPKfiiiiiiii, .Lfunc_end151-_Z19_skinny_gemm_kernelILi2ELi1ELi2ELi32ELi8EEvPKhS1_P6__halfPKfiiiiiiii
                                        ; -- End function
	.set _Z19_skinny_gemm_kernelILi2ELi1ELi2ELi32ELi8EEvPKhS1_P6__halfPKfiiiiiiii.num_vgpr, 87
	.set _Z19_skinny_gemm_kernelILi2ELi1ELi2ELi32ELi8EEvPKhS1_P6__halfPKfiiiiiiii.num_agpr, 0
	.set _Z19_skinny_gemm_kernelILi2ELi1ELi2ELi32ELi8EEvPKhS1_P6__halfPKfiiiiiiii.numbered_sgpr, 76
	.set _Z19_skinny_gemm_kernelILi2ELi1ELi2ELi32ELi8EEvPKhS1_P6__halfPKfiiiiiiii.num_named_barrier, 0
	.set _Z19_skinny_gemm_kernelILi2ELi1ELi2ELi32ELi8EEvPKhS1_P6__halfPKfiiiiiiii.private_seg_size, 0
	.set _Z19_skinny_gemm_kernelILi2ELi1ELi2ELi32ELi8EEvPKhS1_P6__halfPKfiiiiiiii.uses_vcc, 1
	.set _Z19_skinny_gemm_kernelILi2ELi1ELi2ELi32ELi8EEvPKhS1_P6__halfPKfiiiiiiii.uses_flat_scratch, 0
	.set _Z19_skinny_gemm_kernelILi2ELi1ELi2ELi32ELi8EEvPKhS1_P6__halfPKfiiiiiiii.has_dyn_sized_stack, 0
	.set _Z19_skinny_gemm_kernelILi2ELi1ELi2ELi32ELi8EEvPKhS1_P6__halfPKfiiiiiiii.has_recursion, 0
	.set _Z19_skinny_gemm_kernelILi2ELi1ELi2ELi32ELi8EEvPKhS1_P6__halfPKfiiiiiiii.has_indirect_call, 0
	.section	.AMDGPU.csdata,"",@progbits
; Kernel info:
; codeLenInByte = 6408
; TotalNumSgprs: 82
; NumVgprs: 87
; NumAgprs: 0
; TotalNumVgprs: 87
; ScratchSize: 0
; MemoryBound: 0
; FloatMode: 240
; IeeeMode: 1
; LDSByteSize: 24600 bytes/workgroup (compile time only)
; SGPRBlocks: 10
; VGPRBlocks: 10
; NumSGPRsForWavesPerEU: 82
; NumVGPRsForWavesPerEU: 87
; AccumOffset: 88
; Occupancy: 5
; WaveLimiterHint : 0
; COMPUTE_PGM_RSRC2:SCRATCH_EN: 0
; COMPUTE_PGM_RSRC2:USER_SGPR: 2
; COMPUTE_PGM_RSRC2:TRAP_HANDLER: 0
; COMPUTE_PGM_RSRC2:TGID_X_EN: 1
; COMPUTE_PGM_RSRC2:TGID_Y_EN: 0
; COMPUTE_PGM_RSRC2:TGID_Z_EN: 0
; COMPUTE_PGM_RSRC2:TIDIG_COMP_CNT: 0
; COMPUTE_PGM_RSRC3_GFX90A:ACCUM_OFFSET: 21
; COMPUTE_PGM_RSRC3_GFX90A:TG_SPLIT: 0
	.section	.text._Z19_skinny_gemm_kernelILi2ELi1ELi3ELi16ELi4EEvPKhS1_P6__halfPKfiiiiiiii,"axG",@progbits,_Z19_skinny_gemm_kernelILi2ELi1ELi3ELi16ELi4EEvPKhS1_P6__halfPKfiiiiiiii,comdat
	.protected	_Z19_skinny_gemm_kernelILi2ELi1ELi3ELi16ELi4EEvPKhS1_P6__halfPKfiiiiiiii ; -- Begin function _Z19_skinny_gemm_kernelILi2ELi1ELi3ELi16ELi4EEvPKhS1_P6__halfPKfiiiiiiii
	.globl	_Z19_skinny_gemm_kernelILi2ELi1ELi3ELi16ELi4EEvPKhS1_P6__halfPKfiiiiiiii
	.p2align	8
	.type	_Z19_skinny_gemm_kernelILi2ELi1ELi3ELi16ELi4EEvPKhS1_P6__halfPKfiiiiiiii,@function
_Z19_skinny_gemm_kernelILi2ELi1ELi3ELi16ELi4EEvPKhS1_P6__halfPKfiiiiiiii: ; @_Z19_skinny_gemm_kernelILi2ELi1ELi3ELi16ELi4EEvPKhS1_P6__halfPKfiiiiiiii
; %bb.0:
	v_cmp_gt_u32_e32 vcc, 9, v0
	v_lshlrev_b32_e32 v1, 2, v0
	s_and_saveexec_b64 s[4:5], vcc
; %bb.1:
	v_mov_b32_e32 v2, 0
	ds_write_b32 v1, v2 offset:18432
; %bb.2:
	s_or_b64 exec, exec, s[4:5]
	s_load_dwordx8 s[12:19], s[0:1], 0x20
	s_waitcnt lgkmcnt(0)
	s_barrier
	s_add_i32 s3, s12, 31
	s_ashr_i32 s5, s3, 31
	s_add_i32 s4, s13, 15
	s_lshr_b32 s5, s5, 27
	s_ashr_i32 s6, s4, 31
	s_add_i32 s3, s3, s5
	s_ashr_i32 s33, s3, 5
	s_lshr_b32 s3, s6, 28
	s_add_i32 s4, s4, s3
	s_ashr_i32 s42, s4, 4
	s_mul_i32 s3, s42, s33
	s_mul_i32 s3, s3, s16
	s_add_i32 s4, s3, 0x12f
	s_mul_hi_i32 s4, s4, 0x6bca1af3
	s_lshr_b32 s5, s4, 31
	s_ashr_i32 s4, s4, 7
	s_add_i32 s4, s4, s5
	s_add_i32 s5, s2, 1
	s_mul_i32 s5, s4, s5
	v_cvt_f64_i32_e32 v[2:3], s3
	v_cvt_f64_u32_e32 v[4:5], s5
	v_min_f64 v[2:3], v[2:3], v[4:5]
	v_cvt_i32_f64_e32 v9, v[2:3]
	s_mul_i32 s43, s4, s2
	v_cmp_ge_i32_e32 vcc, s43, v9
	s_cbranch_vccnz .LBB152_47
; %bb.3:
	v_lshrrev_b32_e32 v2, 6, v0
	s_add_i32 s4, s18, s17
	s_load_dwordx8 s[20:27], s[0:1], 0x0
	v_cmp_le_i32_e64 s[0:1], s4, v2
	v_mov_b32_e32 v3, s17
	v_cmp_le_i32_e64 s[2:3], s17, v2
	v_mov_b32_e32 v4, s18
	v_cndmask_b32_e64 v4, 0, v4, s[0:1]
	v_cndmask_b32_e64 v3, 0, v3, s[2:3]
	s_abs_i32 s5, s16
	v_add_u32_e32 v3, v3, v4
	v_cvt_f32_u32_e32 v4, s5
	v_sub_u32_e32 v22, v2, v3
	s_ashr_i32 s6, s14, 31
	s_lshr_b32 s6, s6, 25
	v_rcp_iflag_f32_e32 v3, v4
	s_sub_i32 s9, 0, s5
	s_add_i32 s6, s14, s6
	s_ashr_i32 s6, s6, 7
	v_mul_f32_e32 v3, 0x4f7ffffe, v3
	v_cvt_u32_f32_e32 v3, v3
	s_abs_i32 s8, s6
	s_xor_b32 s7, s6, s16
	s_ashr_i32 s7, s7, 31
	v_readfirstlane_b32 s10, v3
	s_mul_i32 s9, s9, s10
	s_mul_hi_u32 s9, s10, s9
	s_add_i32 s10, s10, s9
	s_mul_hi_u32 s9, s8, s10
	s_mul_i32 s10, s9, s5
	s_sub_i32 s8, s8, s10
	s_add_i32 s10, s9, 1
	s_sub_i32 s11, s8, s5
	s_cmp_ge_u32 s8, s5
	s_cselect_b32 s9, s10, s9
	s_cselect_b32 s8, s11, s8
	s_add_i32 s10, s9, 1
	s_cmp_ge_u32 s8, s5
	s_cselect_b32 s5, s10, s9
	s_xor_b32 s5, s5, s7
	s_sub_i32 s44, s5, s7
	s_add_i32 s16, s16, -1
	s_mul_i32 s5, s44, s16
	s_add_i32 s4, s4, s19
	s_sub_i32 s45, s6, s5
	v_cmp_gt_i32_e64 s[4:5], s4, v2
	v_lshlrev_b32_e32 v2, 1, v0
	v_lshlrev_b32_e32 v3, 4, v0
	v_and_b32_e32 v1, 60, v1
	v_and_b32_e32 v2, 64, v2
	;; [unrolled: 1-line block ×3, first 2 shown]
	v_or3_b32 v27, v1, v2, v4
	v_and_b32_e32 v1, 1, v0
	v_lshrrev_b32_e32 v4, 2, v0
	s_abs_i32 s46, s33
	v_and_or_b32 v31, v4, 12, v1
	v_cvt_f32_u32_e32 v4, s46
	v_lshlrev_b32_e32 v2, 1, v1
	v_and_b32_e32 v8, 14, v0
	v_sub_u32_e32 v2, v0, v2
	v_bitop3_b32 v29, v0, 1, v0 bitop3:0xc
	v_bitop3_b32 v30, v0, 3, 1 bitop3:0x6c
	v_and_b32_e32 v14, 48, v3
	v_bfe_u32 v33, v0, 2, 4
	v_and_b32_e32 v1, 60, v0
	v_lshlrev_b32_e32 v3, 8, v0
	v_lshlrev_b32_e32 v0, 6, v0
	v_and_b32_e32 v3, 0x200, v3
	v_and_b32_e32 v0, 64, v0
	v_rcp_iflag_f32_e32 v4, v4
	s_abs_i32 s47, s42
	v_or3_b32 v34, v1, v3, v0
	v_cvt_f32_u32_e32 v1, s47
	v_mul_f32_e32 v0, 0x4f7ffffe, v4
	v_cvt_u32_f32_e32 v0, v0
	v_mad_u64_u32 v[10:11], s[6:7], s13, v31, v[8:9]
	v_rcp_iflag_f32_e32 v1, v1
	v_readfirstlane_b32 s7, v0
	s_sub_i32 s6, 0, s46
	s_mul_i32 s6, s6, s7
	v_mul_f32_e32 v0, 0x4f7ffffe, v1
	v_cvt_u32_f32_e32 v0, v0
	s_mul_hi_u32 s6, s7, s6
	v_add_u32_e32 v2, 1, v2
	s_add_i32 s49, s7, s6
	s_sub_i32 s6, 0, s47
	v_readfirstlane_b32 s7, v0
	v_mbcnt_lo_u32_b32 v0, -1, 0
	v_and_b32_e32 v2, 63, v2
	s_mul_i32 s6, s6, s7
	v_mbcnt_hi_u32_b32 v0, -1, v0
	v_lshl_add_u32 v12, s13, 4, v10
	v_mul_lo_u32 v16, s15, v33
	s_mul_hi_u32 s6, s7, s6
	v_and_or_b32 v0, v0, 64, v2
	v_cndmask_b32_e64 v26, 0, 1, s[0:1]
	v_or_b32_e32 v28, 0x3000, v27
	s_ashr_i32 s11, s13, 31
	s_mov_b32 s10, s13
	v_ashrrev_i32_e32 v11, 31, v10
	v_or_b32_e32 v32, 16, v31
	v_ashrrev_i32_e32 v13, 31, v12
	v_ashrrev_i32_e32 v17, 31, v16
	v_mov_b32_e32 v15, 0
	v_or_b32_e32 v35, 0x3000, v34
	v_mul_lo_u32 v36, s14, v33
	s_ashr_i32 s48, s33, 31
	s_ashr_i32 s50, s42, 31
	s_add_i32 s51, s7, s6
	v_lshlrev_b32_e32 v37, 2, v0
	v_mov_b32_e32 v38, v22
	s_branch .LBB152_7
.LBB152_4:                              ;   in Loop: Header=BB152_7 Depth=1
	s_or_b64 exec, exec, s[28:29]
.LBB152_5:                              ;   in Loop: Header=BB152_7 Depth=1
	s_or_b64 exec, exec, s[8:9]
	v_subrev_u32_e32 v38, s36, v38
.LBB152_6:                              ;   in Loop: Header=BB152_7 Depth=1
	s_or_b64 exec, exec, s[6:7]
	s_add_i32 s43, s43, 1
	v_cmp_ge_i32_e32 vcc, s43, v9
	s_cbranch_vccnz .LBB152_47
.LBB152_7:                              ; =>This Loop Header: Depth=1
                                        ;     Child Loop BB152_13 Depth 2
                                        ;       Child Loop BB152_15 Depth 3
                                        ;       Child Loop BB152_18 Depth 3
                                        ;       Child Loop BB152_21 Depth 3
                                        ;     Child Loop BB152_34 Depth 2
                                        ;       Child Loop BB152_36 Depth 3
                                        ;     Child Loop BB152_44 Depth 2
                                        ;       Child Loop BB152_46 Depth 3
	s_abs_i32 s7, s43
	s_mul_hi_u32 s8, s7, s49
	s_mul_i32 s9, s8, s46
	s_ashr_i32 s6, s43, 31
	s_sub_i32 s7, s7, s9
	s_xor_b32 s6, s6, s48
	s_add_i32 s9, s8, 1
	s_sub_i32 s28, s7, s46
	s_cmp_ge_u32 s7, s46
	s_cselect_b32 s8, s9, s8
	s_cselect_b32 s7, s28, s7
	s_add_i32 s9, s8, 1
	s_cmp_ge_u32 s7, s46
	s_cselect_b32 s7, s9, s8
	s_xor_b32 s7, s7, s6
	s_sub_i32 s6, s7, s6
	s_abs_i32 s8, s6
	s_mul_i32 s7, s6, s33
	s_mul_hi_u32 s9, s8, s51
	s_sub_i32 s7, s43, s7
	s_mul_i32 s28, s9, s47
	s_lshl_b32 s52, s7, 5
	s_ashr_i32 s7, s6, 31
	s_sub_i32 s8, s8, s28
	s_xor_b32 s7, s7, s50
	s_add_i32 s28, s9, 1
	s_sub_i32 s29, s8, s47
	s_cmp_ge_u32 s8, s47
	s_cselect_b32 s9, s28, s9
	s_cselect_b32 s8, s29, s8
	s_add_i32 s28, s9, 1
	s_cmp_ge_u32 s8, s47
	s_cselect_b32 s8, s28, s9
	s_xor_b32 s8, s8, s7
	s_sub_i32 s7, s8, s7
	s_mul_i32 s8, s7, s44
	s_lshl_b32 s53, s8, 7
	s_cmp_eq_u32 s7, s16
	s_cselect_b32 s55, s45, s44
	s_sub_i32 s8, s52, s12
	s_add_i32 s8, s8, 32
	s_max_i32 s54, s8, 0
	s_and_saveexec_b64 s[8:9], s[2:3]
	s_xor_b64 s[28:29], exec, s[8:9]
	s_cbranch_execz .LBB152_40
; %bb.8:                                ;   in Loop: Header=BB152_7 Depth=1
	s_mul_i32 s7, s7, s42
	s_sub_i32 s6, s6, s7
	s_lshl_b32 s6, s6, 4
	s_sub_i32 s31, s6, s13
	s_add_i32 s31, s31, 16
	s_max_i32 s7, s31, 0
	s_sub_i32 s30, s6, s7
	s_and_saveexec_b64 s[6:7], s[0:1]
	s_xor_b64 s[34:35], exec, s[6:7]
	s_cbranch_execz .LBB152_30
; %bb.9:                                ;   in Loop: Header=BB152_7 Depth=1
	s_and_saveexec_b64 s[36:37], s[4:5]
	s_cbranch_execz .LBB152_29
; %bb.10:                               ;   in Loop: Header=BB152_7 Depth=1
	s_waitcnt lgkmcnt(0)
	global_load_dword v39, v15, s[26:27]
	v_mov_b32_e32 v7, 0
	v_cmp_gt_i32_e32 vcc, s55, v38
	v_mov_b32_e32 v6, v7
	v_mov_b32_e32 v5, v7
	;; [unrolled: 1-line block ×7, first 2 shown]
	s_and_saveexec_b64 s[6:7], vcc
	s_cbranch_execz .LBB152_23
; %bb.11:                               ;   in Loop: Header=BB152_7 Depth=1
	v_mov_b32_e32 v0, 0
	s_mov_b64 s[8:9], 0
	v_mov_b32_e32 v1, v0
	v_mov_b32_e32 v2, v0
	;; [unrolled: 1-line block ×7, first 2 shown]
	s_branch .LBB152_13
.LBB152_12:                             ;   in Loop: Header=BB152_13 Depth=2
	s_or_b64 exec, exec, s[38:39]
	v_add_u32_e32 v43, v27, v43
	v_add_u32_e32 v46, 0x800, v43
	ds_read2_b32 v[44:45], v46 offset1:32
	ds_read2_b32 v[46:47], v46 offset0:128 offset1:160
	v_add_u32_e32 v43, 0xc00, v43
	v_add_u32_e32 v38, s19, v38
	v_cmp_le_i32_e32 vcc, s55, v38
	s_waitcnt lgkmcnt(1)
	v_mfma_f32_16x16x32_fp8_fp8 v[0:3], v[44:45], v[22:23], v[0:3]
	ds_read2_b32 v[44:45], v43 offset1:32
	v_add_u32_e32 v22, s19, v40
	v_add_u32_e32 v23, 2, v26
	s_waitcnt lgkmcnt(1)
	v_mfma_f32_16x16x32_fp8_fp8 v[0:3], v[46:47], v[24:25], v[0:3]
	ds_read2_b32 v[24:25], v43 offset0:128 offset1:160
	s_or_b64 s[8:9], vcc, s[8:9]
	v_cmp_lt_i32_e32 vcc, 2, v22
	;;#ASMSTART
	s_waitcnt lgkmcnt(0)
	;;#ASMEND
	s_waitcnt lgkmcnt(1)
	v_mfma_f32_16x16x32_fp8_fp8 v[0:3], v[44:45], v[20:21], v[0:3]
	v_cndmask_b32_e32 v26, v26, v23, vcc
	ds_write_b32 v42, v41 offset:18436
	s_waitcnt lgkmcnt(1)
	v_mfma_f32_16x16x32_fp8_fp8 v[0:3], v[24:25], v[18:19], v[0:3]
	s_andn2_b64 exec, exec, s[8:9]
	s_cbranch_execz .LBB152_22
.LBB152_13:                             ;   Parent Loop BB152_7 Depth=1
                                        ; =>  This Loop Header: Depth=2
                                        ;       Child Loop BB152_15 Depth 3
                                        ;       Child Loop BB152_18 Depth 3
	;; [unrolled: 1-line block ×3, first 2 shown]
	v_cmp_gt_i32_e32 vcc, 3, v22
	s_nop 1
	v_cndmask_b32_e64 v18, -3, 0, vcc
	v_add_u32_e32 v40, v18, v22
	v_lshlrev_b32_e32 v18, 2, v40
	ds_read_b32 v19, v18 offset:18456
	v_add_u32_e32 v42, 0x4800, v18
	s_waitcnt lgkmcnt(0)
	v_cmp_ne_u32_e32 vcc, v19, v26
	s_and_saveexec_b64 s[38:39], vcc
	s_cbranch_execz .LBB152_16
; %bb.14:                               ;   in Loop: Header=BB152_13 Depth=2
	s_mov_b64 s[40:41], 0
.LBB152_15:                             ;   Parent Loop BB152_7 Depth=1
                                        ;     Parent Loop BB152_13 Depth=2
                                        ; =>    This Inner Loop Header: Depth=3
	;;#ASMSTART
	s_sleep 0
	;;#ASMEND
	ds_read_b32 v18, v42 offset:24
	s_waitcnt lgkmcnt(0)
	v_cmp_eq_u32_e32 vcc, v18, v26
	s_or_b64 s[40:41], vcc, s[40:41]
	s_andn2_b64 exec, exec, s[40:41]
	s_cbranch_execnz .LBB152_15
.LBB152_16:                             ;   in Loop: Header=BB152_13 Depth=2
	s_or_b64 exec, exec, s[38:39]
	v_lshl_add_u32 v18, v40, 11, v28
	ds_read2_b32 v[22:23], v18 offset1:32
	ds_read2_b32 v[24:25], v18 offset0:128 offset1:160
	v_add_u32_e32 v18, 0x400, v18
	v_add_u32_e32 v41, 1, v26
	ds_read2_b32 v[20:21], v18 offset1:32
	ds_read2_b32 v[18:19], v18 offset0:128 offset1:160
	;;#ASMSTART
	s_waitcnt lgkmcnt(0)
	;;#ASMEND
	ds_write_b32 v42, v41 offset:24
	v_lshlrev_b32_e32 v42, 3, v40
	ds_read_b32 v43, v42 offset:18432
	s_waitcnt lgkmcnt(0)
	v_cmp_ne_u32_e32 vcc, v43, v26
	s_and_saveexec_b64 s[38:39], vcc
	s_cbranch_execz .LBB152_19
; %bb.17:                               ;   in Loop: Header=BB152_13 Depth=2
	s_mov_b64 s[40:41], 0
.LBB152_18:                             ;   Parent Loop BB152_7 Depth=1
                                        ;     Parent Loop BB152_13 Depth=2
                                        ; =>    This Inner Loop Header: Depth=3
	;;#ASMSTART
	s_sleep 0
	;;#ASMEND
	ds_read_b32 v43, v42 offset:18432
	s_waitcnt lgkmcnt(0)
	v_cmp_eq_u32_e32 vcc, v43, v26
	s_or_b64 s[40:41], vcc, s[40:41]
	s_andn2_b64 exec, exec, s[40:41]
	s_cbranch_execnz .LBB152_18
.LBB152_19:                             ;   in Loop: Header=BB152_13 Depth=2
	s_or_b64 exec, exec, s[38:39]
	v_lshlrev_b32_e32 v43, 12, v40
	v_or_b32_e32 v48, v27, v43
	ds_read2_b32 v[44:45], v48 offset1:32
	ds_read2_b32 v[46:47], v48 offset0:128 offset1:160
	v_add_u32_e32 v48, 0x400, v48
	s_waitcnt lgkmcnt(1)
	v_mfma_f32_16x16x32_fp8_fp8 v[4:7], v[44:45], v[22:23], v[4:7]
	ds_read2_b32 v[44:45], v48 offset1:32
	s_waitcnt lgkmcnt(1)
	v_mfma_f32_16x16x32_fp8_fp8 v[4:7], v[46:47], v[24:25], v[4:7]
	ds_read2_b32 v[46:47], v48 offset0:128 offset1:160
	;;#ASMSTART
	s_waitcnt lgkmcnt(0)
	;;#ASMEND
	ds_write_b32 v42, v41 offset:18432
	s_waitcnt lgkmcnt(2)
	v_mfma_f32_16x16x32_fp8_fp8 v[4:7], v[44:45], v[20:21], v[4:7]
	ds_read_b32 v44, v42 offset:18436
	s_waitcnt lgkmcnt(0)
	v_cmp_ne_u32_e32 vcc, v44, v26
	v_mfma_f32_16x16x32_fp8_fp8 v[4:7], v[46:47], v[18:19], v[4:7]
	s_and_saveexec_b64 s[38:39], vcc
	s_cbranch_execz .LBB152_12
; %bb.20:                               ;   in Loop: Header=BB152_13 Depth=2
	s_mov_b64 s[40:41], 0
.LBB152_21:                             ;   Parent Loop BB152_7 Depth=1
                                        ;     Parent Loop BB152_13 Depth=2
                                        ; =>    This Inner Loop Header: Depth=3
	;;#ASMSTART
	s_sleep 0
	;;#ASMEND
	ds_read_b32 v44, v42 offset:18436
	s_waitcnt lgkmcnt(0)
	v_cmp_eq_u32_e32 vcc, v44, v26
	s_or_b64 s[40:41], vcc, s[40:41]
	s_andn2_b64 exec, exec, s[40:41]
	s_cbranch_execnz .LBB152_21
	s_branch .LBB152_12
.LBB152_22:                             ;   in Loop: Header=BB152_7 Depth=1
	s_or_b64 exec, exec, s[8:9]
.LBB152_23:                             ;   in Loop: Header=BB152_7 Depth=1
	s_or_b64 exec, exec, s[6:7]
	v_cmp_le_i32_e32 vcc, s31, v8
	v_cmp_eq_u32_e64 s[6:7], 3, v29
	s_waitcnt vmcnt(0)
	v_cndmask_b32_e32 v18, 0, v39, vcc
	v_pk_mul_f32 v[24:25], v[18:19], v[4:5] op_sel_hi:[0,1]
	v_cmp_eq_u32_e32 vcc, 1, v29
	v_pk_mul_f32 v[6:7], v[18:19], v[6:7] op_sel_hi:[0,1]
	v_add_u32_e32 v19, s54, v31
	v_cndmask_b32_e32 v4, v24, v25, vcc
	v_cmp_eq_u32_e32 vcc, 2, v29
	s_nop 1
	v_cndmask_b32_e32 v4, v4, v6, vcc
	v_cndmask_b32_e64 v4, v4, v7, s[6:7]
	ds_bpermute_b32 v5, v37, v4
	s_waitcnt lgkmcnt(0)
	v_cndmask_b32_e32 v6, v6, v5, vcc
	v_cmp_ne_u32_e32 vcc, 0, v29
	v_cndmask_b32_e64 v20, v7, v5, s[6:7]
	s_nop 0
	v_cndmask_b32_e32 v4, v25, v5, vcc
	v_cmp_eq_u32_e32 vcc, 0, v29
	s_nop 1
	v_cndmask_b32_e32 v5, v24, v5, vcc
	v_cmp_eq_u32_e32 vcc, 1, v30
	;; [unrolled: 3-line block ×4, first 2 shown]
	s_nop 1
	v_cndmask_b32_e32 v7, v7, v20, vcc
	ds_bpermute_b32 v7, v37, v7
	v_cmp_gt_u32_e32 vcc, 32, v19
	s_and_saveexec_b64 s[38:39], vcc
	s_cbranch_execz .LBB152_28
; %bb.24:                               ;   in Loop: Header=BB152_7 Depth=1
	v_cmp_eq_u32_e64 s[8:9], 1, v30
	v_cmp_eq_u32_e64 s[6:7], 3, v30
	v_cmp_eq_u32_e32 vcc, 2, v30
	s_waitcnt lgkmcnt(0)
	v_cndmask_b32_e64 v4, v4, v7, s[8:9]
	v_cmp_eq_u32_e64 s[8:9], 0, v30
	v_cvt_f16_f32_sdwa v23, v4 dst_sel:WORD_1 dst_unused:UNUSED_PAD src0_sel:DWORD
	s_nop 0
	v_cndmask_b32_e64 v5, v5, v7, s[8:9]
	s_mul_i32 s8, s52, s13
	s_ashr_i32 s9, s8, 31
	s_lshl_b64 s[8:9], s[8:9], 1
	s_add_u32 s40, s24, s8
	s_addc_u32 s41, s25, s9
	s_ashr_i32 s31, s30, 31
	s_lshl_b64 s[8:9], s[30:31], 1
	v_cvt_f16_f32_e32 v21, v5
	s_add_u32 s40, s40, s8
	s_addc_u32 s41, s41, s9
	v_lshl_add_u64 v[4:5], v[10:11], 1, s[40:41]
	v_cmp_gt_u32_e64 s[8:9], 30, v19
	v_or_b32_e32 v21, v23, v21
	;;#ASMSTART
	global_atomic_pk_add_f16 v[4:5], v21, off
	
	;;#ASMEND
	s_and_b64 exec, exec, s[8:9]
	s_cbranch_execz .LBB152_28
; %bb.25:                               ;   in Loop: Header=BB152_7 Depth=1
	v_mov_b32_e32 v19, v18
	v_cndmask_b32_e64 v23, v20, v7, s[6:7]
	v_mov_b32_e32 v20, v18
	v_mov_b32_e32 v21, v18
	v_pk_mul_f32 v[18:19], v[18:19], v[0:1]
	v_cmp_eq_u32_e64 s[6:7], 1, v29
	v_pk_mul_f32 v[20:21], v[20:21], v[2:3]
	v_cmp_eq_u32_e64 s[8:9], 3, v29
	v_cndmask_b32_e64 v0, v18, v19, s[6:7]
	v_cmp_eq_u32_e64 s[6:7], 2, v29
	v_cvt_f16_f32_sdwa v23, v23 dst_sel:WORD_1 dst_unused:UNUSED_PAD src0_sel:DWORD
	s_nop 0
	v_cndmask_b32_e64 v0, v0, v20, s[6:7]
	v_cndmask_b32_e64 v0, v0, v21, s[8:9]
	ds_bpermute_b32 v1, v37, v0
	v_cndmask_b32_e32 v0, v6, v7, vcc
	v_cmp_ne_u32_e32 vcc, 0, v29
	v_lshl_add_u64 v[6:7], s[10:11], 2, v[4:5]
	v_cvt_f16_f32_e32 v5, v0
	s_waitcnt lgkmcnt(0)
	v_cndmask_b32_e32 v0, v19, v1, vcc
	v_cmp_eq_u32_e32 vcc, 0, v29
	v_cndmask_b32_e64 v2, v21, v1, s[8:9]
	v_cndmask_b32_e64 v3, v20, v1, s[6:7]
	v_cndmask_b32_e32 v1, v18, v1, vcc
	v_cmp_eq_u32_e32 vcc, 1, v30
	v_or_b32_e32 v5, v23, v5
	;;#ASMSTART
	global_atomic_pk_add_f16 v[6:7], v5, off
	
	;;#ASMEND
	v_add_u32_e32 v5, s54, v32
	v_cndmask_b32_e32 v4, v1, v0, vcc
	v_cmp_eq_u32_e32 vcc, 2, v30
	s_nop 1
	v_cndmask_b32_e32 v4, v4, v3, vcc
	v_cmp_eq_u32_e32 vcc, 3, v30
	s_nop 1
	v_cndmask_b32_e32 v4, v4, v2, vcc
	ds_bpermute_b32 v4, v37, v4
	v_cmp_gt_u32_e32 vcc, 32, v5
	s_and_b64 exec, exec, vcc
	s_cbranch_execz .LBB152_28
; %bb.26:                               ;   in Loop: Header=BB152_7 Depth=1
	v_cmp_eq_u32_e32 vcc, 1, v30
	v_cmp_eq_u32_e64 s[6:7], 2, v30
	v_cmp_gt_u32_e64 s[8:9], 30, v5
	s_waitcnt lgkmcnt(0)
	v_cndmask_b32_e32 v0, v0, v4, vcc
	v_cmp_eq_u32_e32 vcc, 0, v30
	v_cvt_f16_f32_sdwa v7, v0 dst_sel:WORD_1 dst_unused:UNUSED_PAD src0_sel:DWORD
	s_nop 0
	v_cndmask_b32_e32 v1, v1, v4, vcc
	v_cvt_f16_f32_e32 v6, v1
	v_cmp_eq_u32_e32 vcc, 3, v30
	v_lshl_add_u64 v[0:1], v[12:13], 1, s[40:41]
	v_or_b32_e32 v6, v7, v6
	;;#ASMSTART
	global_atomic_pk_add_f16 v[0:1], v6, off
	
	;;#ASMEND
	s_and_b64 exec, exec, s[8:9]
	s_cbranch_execz .LBB152_28
; %bb.27:                               ;   in Loop: Header=BB152_7 Depth=1
	v_cndmask_b32_e32 v2, v2, v4, vcc
	v_cndmask_b32_e64 v3, v3, v4, s[6:7]
	v_cvt_f16_f32_sdwa v2, v2 dst_sel:WORD_1 dst_unused:UNUSED_PAD src0_sel:DWORD
	v_cvt_f16_f32_e32 v3, v3
	v_lshl_add_u64 v[0:1], s[10:11], 2, v[0:1]
	v_or_b32_e32 v2, v2, v3
	;;#ASMSTART
	global_atomic_pk_add_f16 v[0:1], v2, off
	
	;;#ASMEND
.LBB152_28:                             ;   in Loop: Header=BB152_7 Depth=1
	s_or_b64 exec, exec, s[38:39]
	v_subrev_u32_e32 v38, s55, v38
.LBB152_29:                             ;   in Loop: Header=BB152_7 Depth=1
	s_or_b64 exec, exec, s[36:37]
.LBB152_30:                             ;   in Loop: Header=BB152_7 Depth=1
	s_andn2_saveexec_b64 s[6:7], s[34:35]
	s_cbranch_execz .LBB152_39
; %bb.31:                               ;   in Loop: Header=BB152_7 Depth=1
	v_cmp_gt_i32_e32 vcc, s55, v38
	s_and_saveexec_b64 s[8:9], vcc
	s_cbranch_execz .LBB152_38
; %bb.32:                               ;   in Loop: Header=BB152_7 Depth=1
	s_mul_i32 s30, s30, s15
	s_ashr_i32 s31, s30, 31
	s_waitcnt lgkmcnt(0)
	s_add_u32 s30, s22, s30
	s_addc_u32 s31, s23, s31
	s_ashr_i32 s34, s53, 31
	s_add_u32 s30, s30, s53
	s_addc_u32 s31, s31, s34
	v_lshl_add_u64 v[0:1], s[30:31], 0, v[16:17]
	v_lshl_add_u64 v[18:19], v[0:1], 0, v[14:15]
	s_mov_b64 s[30:31], 0
	s_branch .LBB152_34
.LBB152_33:                             ;   in Loop: Header=BB152_34 Depth=2
	s_or_b64 exec, exec, s[34:35]
	v_lshl_add_u32 v22, v20, 11, v35
	;;#ASMSTART
	s_waitcnt vmcnt(1)
	;;#ASMEND
	ds_write2_b32 v22, v4, v5 offset1:32
	ds_write2_b32 v22, v6, v7 offset0:64 offset1:96
	v_add_u32_e32 v4, 0x400, v22
	v_add_u32_e32 v38, s18, v38
	;;#ASMSTART
	s_waitcnt vmcnt(0)
	;;#ASMEND
	ds_write2_b32 v4, v0, v1 offset1:32
	ds_write2_b32 v4, v2, v3 offset0:64 offset1:96
	v_add_u32_e32 v0, 1, v26
	v_add_u32_e32 v22, s18, v20
	v_cmp_le_i32_e32 vcc, s55, v38
	ds_write_b32 v21, v0 offset:24
	v_add_u32_e32 v0, 2, v26
	s_or_b64 s[30:31], vcc, s[30:31]
	v_cmp_lt_i32_e32 vcc, 2, v22
	s_nop 1
	v_cndmask_b32_e32 v26, v26, v0, vcc
	s_andn2_b64 exec, exec, s[30:31]
	s_cbranch_execz .LBB152_37
.LBB152_34:                             ;   Parent Loop BB152_7 Depth=1
                                        ; =>  This Loop Header: Depth=2
                                        ;       Child Loop BB152_36 Depth 3
	v_cmp_gt_i32_e32 vcc, 3, v22
	s_nop 1
	v_cndmask_b32_e64 v0, -3, 0, vcc
	v_add_u32_e32 v20, v0, v22
	v_lshlrev_b32_e32 v0, 7, v38
	v_ashrrev_i32_e32 v1, 31, v0
	v_lshl_add_u64 v[0:1], v[18:19], 0, v[0:1]
	v_lshlrev_b32_e32 v21, 2, v20
	;;#ASMSTART
	global_load_dwordx4 v[4:7], v[0:1], off offset:0   sc0 sc1 nt  
	global_load_dwordx4 v[0:3], v[0:1], off offset:64  sc0 sc1 nt  
	
	;;#ASMEND
	ds_read_b32 v22, v21 offset:18456
	v_add_u32_e32 v21, 0x4800, v21
	s_waitcnt lgkmcnt(0)
	v_cmp_ne_u32_e32 vcc, v22, v26
	s_and_saveexec_b64 s[34:35], vcc
	s_cbranch_execz .LBB152_33
; %bb.35:                               ;   in Loop: Header=BB152_34 Depth=2
	s_mov_b64 s[36:37], 0
.LBB152_36:                             ;   Parent Loop BB152_7 Depth=1
                                        ;     Parent Loop BB152_34 Depth=2
                                        ; =>    This Inner Loop Header: Depth=3
	;;#ASMSTART
	s_sleep 0
	;;#ASMEND
	ds_read_b32 v22, v21 offset:24
	s_waitcnt lgkmcnt(0)
	v_cmp_eq_u32_e32 vcc, v22, v26
	s_or_b64 s[36:37], vcc, s[36:37]
	s_andn2_b64 exec, exec, s[36:37]
	s_cbranch_execnz .LBB152_36
	s_branch .LBB152_33
.LBB152_37:                             ;   in Loop: Header=BB152_7 Depth=1
	s_or_b64 exec, exec, s[30:31]
.LBB152_38:                             ;   in Loop: Header=BB152_7 Depth=1
	s_or_b64 exec, exec, s[8:9]
	v_subrev_u32_e32 v38, s55, v38
.LBB152_39:                             ;   in Loop: Header=BB152_7 Depth=1
	s_or_b64 exec, exec, s[6:7]
.LBB152_40:                             ;   in Loop: Header=BB152_7 Depth=1
	s_andn2_saveexec_b64 s[6:7], s[28:29]
	s_cbranch_execz .LBB152_6
; %bb.41:                               ;   in Loop: Header=BB152_7 Depth=1
	s_lshl_b32 s36, s55, 1
	v_cmp_gt_i32_e32 vcc, s36, v38
	s_and_saveexec_b64 s[8:9], vcc
	s_cbranch_execz .LBB152_5
; %bb.42:                               ;   in Loop: Header=BB152_7 Depth=1
	s_mul_i32 s52, s52, s14
	s_ashr_i32 s28, s52, 31
	s_waitcnt lgkmcnt(0)
	s_add_u32 s29, s20, s52
	v_add_u32_e32 v2, s54, v33
	s_addc_u32 s30, s21, s28
	s_ashr_i32 s31, s53, 31
	v_cmp_gt_u32_e32 vcc, 32, v2
	s_add_u32 s28, s29, s53
	s_addc_u32 s29, s30, s31
	v_cndmask_b32_e32 v0, 0, v36, vcc
	v_ashrrev_i32_e32 v1, 31, v0
	v_lshl_add_u64 v[0:1], s[28:29], 0, v[0:1]
	v_lshl_add_u64 v[18:19], v[0:1], 0, v[14:15]
	v_sub_u32_e32 v20, 31, v2
	s_mov_b64 s[28:29], 0
	s_branch .LBB152_44
.LBB152_43:                             ;   in Loop: Header=BB152_44 Depth=2
	s_or_b64 exec, exec, s[30:31]
	v_lshl_or_b32 v23, v21, 11, v34
	;;#ASMSTART
	s_waitcnt vmcnt(1)
	;;#ASMEND
	ds_write2_b32 v23, v4, v5 offset1:32
	ds_write2_b32 v23, v6, v7 offset0:64 offset1:96
	v_add_u32_e32 v4, 0x400, v23
	;;#ASMSTART
	s_waitcnt vmcnt(0)
	;;#ASMEND
	ds_write2_b32 v4, v0, v1 offset1:32
	ds_write2_b32 v4, v2, v3 offset0:64 offset1:96
	v_add_u32_e32 v0, 1, v26
	v_add_u32_e32 v38, s17, v38
	ds_write_b32 v22, v0
	v_add_u32_e32 v22, s17, v21
	v_cmp_le_i32_e32 vcc, s36, v38
	v_add_u32_e32 v0, 2, v26
	s_or_b64 s[28:29], vcc, s[28:29]
	v_cmp_lt_i32_e32 vcc, 5, v22
	s_nop 1
	v_cndmask_b32_e32 v26, v26, v0, vcc
	s_andn2_b64 exec, exec, s[28:29]
	s_cbranch_execz .LBB152_4
.LBB152_44:                             ;   Parent Loop BB152_7 Depth=1
                                        ; =>  This Loop Header: Depth=2
                                        ;       Child Loop BB152_46 Depth 3
	v_cmp_gt_i32_e32 vcc, 6, v22
	s_nop 1
	v_cndmask_b32_e64 v0, -6, 0, vcc
	v_add_u32_e32 v21, v0, v22
	v_lshrrev_b32_e32 v0, 31, v38
	v_add_u32_e32 v0, v38, v0
	v_and_b32_e32 v1, 0xffffffe, v0
	v_sub_u32_e32 v1, v38, v1
	v_lshlrev_b32_e32 v1, 4, v1
	v_cmp_le_i32_e32 vcc, v1, v20
	v_lshlrev_b32_e32 v0, 6, v0
	v_and_b32_e32 v0, 0xffffff80, v0
	v_cndmask_b32_e32 v2, 0, v1, vcc
	v_ashrrev_i32_e32 v1, 31, v0
	v_mul_lo_u32 v2, v2, s14
	v_lshl_add_u64 v[0:1], v[18:19], 0, v[0:1]
	v_ashrrev_i32_e32 v3, 31, v2
	v_lshl_add_u64 v[0:1], v[0:1], 0, v[2:3]
	v_lshlrev_b32_e32 v22, 2, v21
	;;#ASMSTART
	global_load_dwordx4 v[4:7], v[0:1], off offset:0   
	global_load_dwordx4 v[0:3], v[0:1], off offset:64  
	
	;;#ASMEND
	ds_read_b32 v23, v22 offset:18432
	v_add_u32_e32 v22, 0x4800, v22
	s_waitcnt lgkmcnt(0)
	v_cmp_ne_u32_e32 vcc, v23, v26
	s_and_saveexec_b64 s[30:31], vcc
	s_cbranch_execz .LBB152_43
; %bb.45:                               ;   in Loop: Header=BB152_44 Depth=2
	s_mov_b64 s[34:35], 0
.LBB152_46:                             ;   Parent Loop BB152_7 Depth=1
                                        ;     Parent Loop BB152_44 Depth=2
                                        ; =>    This Inner Loop Header: Depth=3
	;;#ASMSTART
	s_sleep 0
	;;#ASMEND
	ds_read_b32 v23, v22
	s_waitcnt lgkmcnt(0)
	v_cmp_eq_u32_e32 vcc, v23, v26
	s_or_b64 s[34:35], vcc, s[34:35]
	s_andn2_b64 exec, exec, s[34:35]
	s_cbranch_execnz .LBB152_46
	s_branch .LBB152_43
.LBB152_47:
	s_endpgm
	.section	.rodata,"a",@progbits
	.p2align	6, 0x0
	.amdhsa_kernel _Z19_skinny_gemm_kernelILi2ELi1ELi3ELi16ELi4EEvPKhS1_P6__halfPKfiiiiiiii
		.amdhsa_group_segment_fixed_size 18468
		.amdhsa_private_segment_fixed_size 0
		.amdhsa_kernarg_size 64
		.amdhsa_user_sgpr_count 2
		.amdhsa_user_sgpr_dispatch_ptr 0
		.amdhsa_user_sgpr_queue_ptr 0
		.amdhsa_user_sgpr_kernarg_segment_ptr 1
		.amdhsa_user_sgpr_dispatch_id 0
		.amdhsa_user_sgpr_kernarg_preload_length 0
		.amdhsa_user_sgpr_kernarg_preload_offset 0
		.amdhsa_user_sgpr_private_segment_size 0
		.amdhsa_uses_dynamic_stack 0
		.amdhsa_enable_private_segment 0
		.amdhsa_system_sgpr_workgroup_id_x 1
		.amdhsa_system_sgpr_workgroup_id_y 0
		.amdhsa_system_sgpr_workgroup_id_z 0
		.amdhsa_system_sgpr_workgroup_info 0
		.amdhsa_system_vgpr_workitem_id 0
		.amdhsa_next_free_vgpr 49
		.amdhsa_next_free_sgpr 56
		.amdhsa_accum_offset 52
		.amdhsa_reserve_vcc 1
		.amdhsa_float_round_mode_32 0
		.amdhsa_float_round_mode_16_64 0
		.amdhsa_float_denorm_mode_32 3
		.amdhsa_float_denorm_mode_16_64 3
		.amdhsa_dx10_clamp 1
		.amdhsa_ieee_mode 1
		.amdhsa_fp16_overflow 0
		.amdhsa_tg_split 0
		.amdhsa_exception_fp_ieee_invalid_op 0
		.amdhsa_exception_fp_denorm_src 0
		.amdhsa_exception_fp_ieee_div_zero 0
		.amdhsa_exception_fp_ieee_overflow 0
		.amdhsa_exception_fp_ieee_underflow 0
		.amdhsa_exception_fp_ieee_inexact 0
		.amdhsa_exception_int_div_zero 0
	.end_amdhsa_kernel
	.section	.text._Z19_skinny_gemm_kernelILi2ELi1ELi3ELi16ELi4EEvPKhS1_P6__halfPKfiiiiiiii,"axG",@progbits,_Z19_skinny_gemm_kernelILi2ELi1ELi3ELi16ELi4EEvPKhS1_P6__halfPKfiiiiiiii,comdat
.Lfunc_end152:
	.size	_Z19_skinny_gemm_kernelILi2ELi1ELi3ELi16ELi4EEvPKhS1_P6__halfPKfiiiiiiii, .Lfunc_end152-_Z19_skinny_gemm_kernelILi2ELi1ELi3ELi16ELi4EEvPKhS1_P6__halfPKfiiiiiiii
                                        ; -- End function
	.set _Z19_skinny_gemm_kernelILi2ELi1ELi3ELi16ELi4EEvPKhS1_P6__halfPKfiiiiiiii.num_vgpr, 49
	.set _Z19_skinny_gemm_kernelILi2ELi1ELi3ELi16ELi4EEvPKhS1_P6__halfPKfiiiiiiii.num_agpr, 0
	.set _Z19_skinny_gemm_kernelILi2ELi1ELi3ELi16ELi4EEvPKhS1_P6__halfPKfiiiiiiii.numbered_sgpr, 56
	.set _Z19_skinny_gemm_kernelILi2ELi1ELi3ELi16ELi4EEvPKhS1_P6__halfPKfiiiiiiii.num_named_barrier, 0
	.set _Z19_skinny_gemm_kernelILi2ELi1ELi3ELi16ELi4EEvPKhS1_P6__halfPKfiiiiiiii.private_seg_size, 0
	.set _Z19_skinny_gemm_kernelILi2ELi1ELi3ELi16ELi4EEvPKhS1_P6__halfPKfiiiiiiii.uses_vcc, 1
	.set _Z19_skinny_gemm_kernelILi2ELi1ELi3ELi16ELi4EEvPKhS1_P6__halfPKfiiiiiiii.uses_flat_scratch, 0
	.set _Z19_skinny_gemm_kernelILi2ELi1ELi3ELi16ELi4EEvPKhS1_P6__halfPKfiiiiiiii.has_dyn_sized_stack, 0
	.set _Z19_skinny_gemm_kernelILi2ELi1ELi3ELi16ELi4EEvPKhS1_P6__halfPKfiiiiiiii.has_recursion, 0
	.set _Z19_skinny_gemm_kernelILi2ELi1ELi3ELi16ELi4EEvPKhS1_P6__halfPKfiiiiiiii.has_indirect_call, 0
	.section	.AMDGPU.csdata,"",@progbits
; Kernel info:
; codeLenInByte = 3240
; TotalNumSgprs: 62
; NumVgprs: 49
; NumAgprs: 0
; TotalNumVgprs: 49
; ScratchSize: 0
; MemoryBound: 0
; FloatMode: 240
; IeeeMode: 1
; LDSByteSize: 18468 bytes/workgroup (compile time only)
; SGPRBlocks: 7
; VGPRBlocks: 6
; NumSGPRsForWavesPerEU: 62
; NumVGPRsForWavesPerEU: 49
; AccumOffset: 52
; Occupancy: 8
; WaveLimiterHint : 0
; COMPUTE_PGM_RSRC2:SCRATCH_EN: 0
; COMPUTE_PGM_RSRC2:USER_SGPR: 2
; COMPUTE_PGM_RSRC2:TRAP_HANDLER: 0
; COMPUTE_PGM_RSRC2:TGID_X_EN: 1
; COMPUTE_PGM_RSRC2:TGID_Y_EN: 0
; COMPUTE_PGM_RSRC2:TGID_Z_EN: 0
; COMPUTE_PGM_RSRC2:TIDIG_COMP_CNT: 0
; COMPUTE_PGM_RSRC3_GFX90A:ACCUM_OFFSET: 12
; COMPUTE_PGM_RSRC3_GFX90A:TG_SPLIT: 0
	.section	.text._Z19_skinny_gemm_kernelILi2ELi1ELi3ELi16ELi8EEvPKhS1_P6__halfPKfiiiiiiii,"axG",@progbits,_Z19_skinny_gemm_kernelILi2ELi1ELi3ELi16ELi8EEvPKhS1_P6__halfPKfiiiiiiii,comdat
	.protected	_Z19_skinny_gemm_kernelILi2ELi1ELi3ELi16ELi8EEvPKhS1_P6__halfPKfiiiiiiii ; -- Begin function _Z19_skinny_gemm_kernelILi2ELi1ELi3ELi16ELi8EEvPKhS1_P6__halfPKfiiiiiiii
	.globl	_Z19_skinny_gemm_kernelILi2ELi1ELi3ELi16ELi8EEvPKhS1_P6__halfPKfiiiiiiii
	.p2align	8
	.type	_Z19_skinny_gemm_kernelILi2ELi1ELi3ELi16ELi8EEvPKhS1_P6__halfPKfiiiiiiii,@function
_Z19_skinny_gemm_kernelILi2ELi1ELi3ELi16ELi8EEvPKhS1_P6__halfPKfiiiiiiii: ; @_Z19_skinny_gemm_kernelILi2ELi1ELi3ELi16ELi8EEvPKhS1_P6__halfPKfiiiiiiii
; %bb.0:
	v_cmp_gt_u32_e32 vcc, 9, v0
	v_lshlrev_b32_e32 v1, 2, v0
	s_and_saveexec_b64 s[4:5], vcc
; %bb.1:
	v_mov_b32_e32 v2, 0
	ds_write_b32 v1, v2 offset:36864
; %bb.2:
	s_or_b64 exec, exec, s[4:5]
	s_load_dwordx8 s[12:19], s[0:1], 0x20
	s_waitcnt lgkmcnt(0)
	s_barrier
	s_add_i32 s3, s12, 31
	s_ashr_i32 s5, s3, 31
	s_add_i32 s4, s13, 15
	s_lshr_b32 s5, s5, 27
	s_ashr_i32 s6, s4, 31
	s_add_i32 s3, s3, s5
	s_ashr_i32 s33, s3, 5
	s_lshr_b32 s3, s6, 28
	s_add_i32 s4, s4, s3
	s_ashr_i32 s42, s4, 4
	s_mul_i32 s3, s42, s33
	s_mul_i32 s3, s3, s16
	s_add_i32 s4, s3, 0x12f
	s_mul_hi_i32 s4, s4, 0x6bca1af3
	s_lshr_b32 s5, s4, 31
	s_ashr_i32 s4, s4, 7
	s_add_i32 s4, s4, s5
	s_add_i32 s5, s2, 1
	s_mul_i32 s5, s4, s5
	v_cvt_f64_i32_e32 v[2:3], s3
	v_cvt_f64_u32_e32 v[4:5], s5
	v_min_f64 v[2:3], v[2:3], v[4:5]
	v_cvt_i32_f64_e32 v17, v[2:3]
	s_mul_i32 s43, s4, s2
	v_cmp_ge_i32_e32 vcc, s43, v17
	s_cbranch_vccnz .LBB153_47
; %bb.3:
	v_lshrrev_b32_e32 v2, 6, v0
	s_add_i32 s4, s18, s17
	s_load_dwordx8 s[20:27], s[0:1], 0x0
	v_cmp_le_i32_e64 s[0:1], s4, v2
	v_mov_b32_e32 v3, s17
	v_cmp_le_i32_e64 s[2:3], s17, v2
	v_mov_b32_e32 v4, s18
	v_cndmask_b32_e64 v4, 0, v4, s[0:1]
	v_cndmask_b32_e64 v3, 0, v3, s[2:3]
	s_abs_i32 s5, s16
	v_add_u32_e32 v3, v3, v4
	v_cvt_f32_u32_e32 v4, s5
	v_sub_u32_e32 v10, v2, v3
	s_ashr_i32 s6, s14, 31
	s_lshr_b32 s6, s6, 24
	v_rcp_iflag_f32_e32 v3, v4
	s_sub_i32 s9, 0, s5
	s_add_i32 s6, s14, s6
	s_ashr_i32 s6, s6, 8
	v_mul_f32_e32 v3, 0x4f7ffffe, v3
	v_cvt_u32_f32_e32 v3, v3
	s_abs_i32 s8, s6
	s_xor_b32 s7, s6, s16
	s_ashr_i32 s7, s7, 31
	v_readfirstlane_b32 s10, v3
	s_mul_i32 s9, s9, s10
	s_mul_hi_u32 s9, s10, s9
	s_add_i32 s10, s10, s9
	s_mul_hi_u32 s9, s8, s10
	s_mul_i32 s10, s9, s5
	s_sub_i32 s8, s8, s10
	s_add_i32 s10, s9, 1
	s_sub_i32 s11, s8, s5
	s_cmp_ge_u32 s8, s5
	s_cselect_b32 s9, s10, s9
	s_cselect_b32 s8, s11, s8
	s_add_i32 s10, s9, 1
	s_cmp_ge_u32 s8, s5
	s_cselect_b32 s5, s10, s9
	s_xor_b32 s5, s5, s7
	s_sub_i32 s44, s5, s7
	s_add_i32 s16, s16, -1
	s_mul_i32 s5, s44, s16
	s_add_i32 s4, s4, s19
	s_sub_i32 s45, s6, s5
	v_cmp_gt_i32_e64 s[4:5], s4, v2
	v_lshlrev_b32_e32 v2, 1, v0
	v_lshlrev_b32_e32 v3, 4, v0
	v_and_b32_e32 v1, 60, v1
	v_and_b32_e32 v2, 64, v2
	;; [unrolled: 1-line block ×3, first 2 shown]
	v_or3_b32 v35, v1, v2, v4
	v_and_b32_e32 v1, 1, v0
	v_lshrrev_b32_e32 v4, 2, v0
	s_abs_i32 s46, s33
	v_and_or_b32 v39, v4, 12, v1
	v_cvt_f32_u32_e32 v4, s46
	v_lshlrev_b32_e32 v2, 1, v1
	v_and_b32_e32 v16, 14, v0
	v_sub_u32_e32 v2, v0, v2
	v_bitop3_b32 v37, v0, 1, v0 bitop3:0xc
	v_bitop3_b32 v38, v0, 3, 1 bitop3:0x6c
	v_and_b32_e32 v22, 48, v3
	v_bfe_u32 v41, v0, 2, 4
	v_and_b32_e32 v1, 60, v0
	v_lshlrev_b32_e32 v3, 8, v0
	v_lshlrev_b32_e32 v0, 6, v0
	v_and_b32_e32 v3, 0x200, v3
	v_and_b32_e32 v0, 64, v0
	v_rcp_iflag_f32_e32 v4, v4
	s_abs_i32 s47, s42
	v_or3_b32 v42, v1, v3, v0
	v_cvt_f32_u32_e32 v1, s47
	v_mul_f32_e32 v0, 0x4f7ffffe, v4
	v_cvt_u32_f32_e32 v0, v0
	v_mad_u64_u32 v[18:19], s[6:7], s13, v39, v[16:17]
	v_rcp_iflag_f32_e32 v1, v1
	v_readfirstlane_b32 s7, v0
	s_sub_i32 s6, 0, s46
	s_mul_i32 s6, s6, s7
	v_mul_f32_e32 v0, 0x4f7ffffe, v1
	v_cvt_u32_f32_e32 v0, v0
	s_mul_hi_u32 s6, s7, s6
	v_add_u32_e32 v2, 1, v2
	s_add_i32 s49, s7, s6
	s_sub_i32 s6, 0, s47
	v_readfirstlane_b32 s7, v0
	v_mbcnt_lo_u32_b32 v0, -1, 0
	v_and_b32_e32 v2, 63, v2
	s_mul_i32 s6, s6, s7
	v_mbcnt_hi_u32_b32 v0, -1, v0
	v_lshl_add_u32 v20, s13, 4, v18
	v_mul_lo_u32 v24, s15, v41
	s_mul_hi_u32 s6, s7, s6
	v_and_or_b32 v0, v0, 64, v2
	v_cndmask_b32_e64 v34, 0, 1, s[0:1]
	v_or_b32_e32 v36, 0x6000, v35
	s_ashr_i32 s11, s13, 31
	s_mov_b32 s10, s13
	v_ashrrev_i32_e32 v19, 31, v18
	v_or_b32_e32 v40, 16, v39
	v_ashrrev_i32_e32 v21, 31, v20
	v_ashrrev_i32_e32 v25, 31, v24
	v_mov_b32_e32 v23, 0
	v_or_b32_e32 v43, 0x6000, v42
	v_mul_lo_u32 v44, s14, v41
	s_ashr_i32 s48, s33, 31
	s_ashr_i32 s50, s42, 31
	s_add_i32 s51, s7, s6
	v_lshlrev_b32_e32 v45, 2, v0
	v_mov_b32_e32 v46, v10
	s_branch .LBB153_7
.LBB153_4:                              ;   in Loop: Header=BB153_7 Depth=1
	s_or_b64 exec, exec, s[28:29]
.LBB153_5:                              ;   in Loop: Header=BB153_7 Depth=1
	s_or_b64 exec, exec, s[8:9]
	v_subrev_u32_e32 v46, s36, v46
.LBB153_6:                              ;   in Loop: Header=BB153_7 Depth=1
	s_or_b64 exec, exec, s[6:7]
	s_add_i32 s43, s43, 1
	v_cmp_ge_i32_e32 vcc, s43, v17
	s_cbranch_vccnz .LBB153_47
.LBB153_7:                              ; =>This Loop Header: Depth=1
                                        ;     Child Loop BB153_13 Depth 2
                                        ;       Child Loop BB153_15 Depth 3
                                        ;       Child Loop BB153_18 Depth 3
	;; [unrolled: 1-line block ×3, first 2 shown]
                                        ;     Child Loop BB153_34 Depth 2
                                        ;       Child Loop BB153_36 Depth 3
                                        ;     Child Loop BB153_44 Depth 2
                                        ;       Child Loop BB153_46 Depth 3
	s_abs_i32 s7, s43
	s_mul_hi_u32 s8, s7, s49
	s_mul_i32 s9, s8, s46
	s_ashr_i32 s6, s43, 31
	s_sub_i32 s7, s7, s9
	s_xor_b32 s6, s6, s48
	s_add_i32 s9, s8, 1
	s_sub_i32 s28, s7, s46
	s_cmp_ge_u32 s7, s46
	s_cselect_b32 s8, s9, s8
	s_cselect_b32 s7, s28, s7
	s_add_i32 s9, s8, 1
	s_cmp_ge_u32 s7, s46
	s_cselect_b32 s7, s9, s8
	s_xor_b32 s7, s7, s6
	s_sub_i32 s6, s7, s6
	s_abs_i32 s8, s6
	s_mul_i32 s7, s6, s33
	s_mul_hi_u32 s9, s8, s51
	s_sub_i32 s7, s43, s7
	s_mul_i32 s28, s9, s47
	s_lshl_b32 s52, s7, 5
	s_ashr_i32 s7, s6, 31
	s_sub_i32 s8, s8, s28
	s_xor_b32 s7, s7, s50
	s_add_i32 s28, s9, 1
	s_sub_i32 s29, s8, s47
	s_cmp_ge_u32 s8, s47
	s_cselect_b32 s9, s28, s9
	s_cselect_b32 s8, s29, s8
	s_add_i32 s28, s9, 1
	s_cmp_ge_u32 s8, s47
	s_cselect_b32 s8, s28, s9
	s_xor_b32 s8, s8, s7
	s_sub_i32 s7, s8, s7
	s_mul_i32 s8, s7, s44
	s_lshl_b32 s53, s8, 8
	s_cmp_eq_u32 s7, s16
	s_cselect_b32 s55, s45, s44
	s_sub_i32 s8, s52, s12
	s_add_i32 s8, s8, 32
	s_max_i32 s54, s8, 0
	s_and_saveexec_b64 s[8:9], s[2:3]
	s_xor_b64 s[28:29], exec, s[8:9]
	s_cbranch_execz .LBB153_40
; %bb.8:                                ;   in Loop: Header=BB153_7 Depth=1
	s_mul_i32 s7, s7, s42
	s_sub_i32 s6, s6, s7
	s_lshl_b32 s6, s6, 4
	s_sub_i32 s31, s6, s13
	s_add_i32 s31, s31, 16
	s_max_i32 s7, s31, 0
	s_sub_i32 s30, s6, s7
	s_and_saveexec_b64 s[6:7], s[0:1]
	s_xor_b64 s[34:35], exec, s[6:7]
	s_cbranch_execz .LBB153_30
; %bb.9:                                ;   in Loop: Header=BB153_7 Depth=1
	s_and_saveexec_b64 s[36:37], s[4:5]
	s_cbranch_execz .LBB153_29
; %bb.10:                               ;   in Loop: Header=BB153_7 Depth=1
	s_waitcnt lgkmcnt(0)
	global_load_dword v47, v23, s[26:27]
	v_mov_b32_e32 v7, 0
	v_cmp_gt_i32_e32 vcc, s55, v46
	v_mov_b32_e32 v6, v7
	v_mov_b32_e32 v5, v7
	;; [unrolled: 1-line block ×7, first 2 shown]
	s_and_saveexec_b64 s[6:7], vcc
	s_cbranch_execz .LBB153_23
; %bb.11:                               ;   in Loop: Header=BB153_7 Depth=1
	v_mov_b32_e32 v0, 0
	s_mov_b64 s[8:9], 0
	v_mov_b32_e32 v1, v0
	v_mov_b32_e32 v2, v0
	;; [unrolled: 1-line block ×7, first 2 shown]
	s_branch .LBB153_13
.LBB153_12:                             ;   in Loop: Header=BB153_13 Depth=2
	s_or_b64 exec, exec, s[38:39]
	v_add_u32_e32 v51, v35, v51
	v_add_u32_e32 v54, 0x1000, v51
	ds_read2_b32 v[52:53], v54 offset1:32
	ds_read2_b32 v[54:55], v54 offset0:128 offset1:160
	v_add_u32_e32 v56, 0x1400, v51
	v_add_u32_e32 v46, s19, v46
	v_cmp_le_i32_e32 vcc, s55, v46
	s_waitcnt lgkmcnt(1)
	v_mfma_f32_16x16x32_fp8_fp8 v[0:3], v[52:53], v[10:11], v[0:3]
	ds_read2_b32 v[10:11], v56 offset1:32
	v_add_u32_e32 v52, 0x1800, v51
	s_or_b64 s[8:9], vcc, s[8:9]
	s_waitcnt lgkmcnt(1)
	v_mfma_f32_16x16x32_fp8_fp8 v[0:3], v[54:55], v[12:13], v[0:3]
	ds_read2_b32 v[12:13], v56 offset0:128 offset1:160
	s_waitcnt lgkmcnt(1)
	v_mfma_f32_16x16x32_fp8_fp8 v[0:3], v[10:11], v[26:27], v[0:3]
	ds_read2_b32 v[10:11], v52 offset1:32
	s_waitcnt lgkmcnt(1)
	v_mfma_f32_16x16x32_fp8_fp8 v[0:3], v[12:13], v[28:29], v[0:3]
	ds_read2_b32 v[12:13], v52 offset0:128 offset1:160
	v_add_u32_e32 v28, 0x1c00, v51
	ds_read2_b32 v[26:27], v28 offset1:32
	s_waitcnt lgkmcnt(2)
	v_mfma_f32_16x16x32_fp8_fp8 v[0:3], v[10:11], v[30:31], v[0:3]
	v_add_u32_e32 v10, s19, v48
	v_add_u32_e32 v11, 2, v34
	v_cmp_lt_i32_e32 vcc, 2, v10
	s_waitcnt lgkmcnt(1)
	v_mfma_f32_16x16x32_fp8_fp8 v[0:3], v[12:13], v[32:33], v[0:3]
	ds_read2_b32 v[12:13], v28 offset0:128 offset1:160
	v_cndmask_b32_e32 v34, v34, v11, vcc
	;;#ASMSTART
	s_waitcnt lgkmcnt(0)
	;;#ASMEND
	s_waitcnt lgkmcnt(1)
	v_mfma_f32_16x16x32_fp8_fp8 v[0:3], v[26:27], v[14:15], v[0:3]
	ds_write_b32 v50, v49 offset:36868
	s_waitcnt lgkmcnt(1)
	v_mfma_f32_16x16x32_fp8_fp8 v[0:3], v[12:13], v[8:9], v[0:3]
	s_andn2_b64 exec, exec, s[8:9]
	s_cbranch_execz .LBB153_22
.LBB153_13:                             ;   Parent Loop BB153_7 Depth=1
                                        ; =>  This Loop Header: Depth=2
                                        ;       Child Loop BB153_15 Depth 3
                                        ;       Child Loop BB153_18 Depth 3
	;; [unrolled: 1-line block ×3, first 2 shown]
	v_cmp_gt_i32_e32 vcc, 3, v10
	s_nop 1
	v_cndmask_b32_e64 v8, -3, 0, vcc
	v_add_u32_e32 v48, v8, v10
	v_lshlrev_b32_e32 v8, 2, v48
	ds_read_b32 v9, v8 offset:36888
	v_add_u32_e32 v50, 0x9000, v8
	s_waitcnt lgkmcnt(0)
	v_cmp_ne_u32_e32 vcc, v9, v34
	s_and_saveexec_b64 s[38:39], vcc
	s_cbranch_execz .LBB153_16
; %bb.14:                               ;   in Loop: Header=BB153_13 Depth=2
	s_mov_b64 s[40:41], 0
.LBB153_15:                             ;   Parent Loop BB153_7 Depth=1
                                        ;     Parent Loop BB153_13 Depth=2
                                        ; =>    This Inner Loop Header: Depth=3
	;;#ASMSTART
	s_sleep 0
	;;#ASMEND
	ds_read_b32 v8, v50 offset:24
	s_waitcnt lgkmcnt(0)
	v_cmp_eq_u32_e32 vcc, v8, v34
	s_or_b64 s[40:41], vcc, s[40:41]
	s_andn2_b64 exec, exec, s[40:41]
	s_cbranch_execnz .LBB153_15
.LBB153_16:                             ;   in Loop: Header=BB153_13 Depth=2
	s_or_b64 exec, exec, s[38:39]
	v_lshl_add_u32 v8, v48, 12, v36
	v_add_u32_e32 v9, 0x400, v8
	ds_read2_b32 v[10:11], v8 offset1:32
	ds_read2_b32 v[12:13], v8 offset0:128 offset1:160
	ds_read2_b32 v[26:27], v9 offset1:32
	ds_read2_b32 v[28:29], v9 offset0:128 offset1:160
	v_add_u32_e32 v9, 0x800, v8
	v_add_u32_e32 v8, 0xc00, v8
	;; [unrolled: 1-line block ×3, first 2 shown]
	ds_read2_b32 v[30:31], v9 offset1:32
	ds_read2_b32 v[32:33], v9 offset0:128 offset1:160
	ds_read2_b32 v[14:15], v8 offset1:32
	ds_read2_b32 v[8:9], v8 offset0:128 offset1:160
	;;#ASMSTART
	s_waitcnt lgkmcnt(0)
	;;#ASMEND
	ds_write_b32 v50, v49 offset:24
	v_lshlrev_b32_e32 v50, 3, v48
	ds_read_b32 v51, v50 offset:36864
	s_waitcnt lgkmcnt(0)
	v_cmp_ne_u32_e32 vcc, v51, v34
	s_and_saveexec_b64 s[38:39], vcc
	s_cbranch_execz .LBB153_19
; %bb.17:                               ;   in Loop: Header=BB153_13 Depth=2
	s_mov_b64 s[40:41], 0
.LBB153_18:                             ;   Parent Loop BB153_7 Depth=1
                                        ;     Parent Loop BB153_13 Depth=2
                                        ; =>    This Inner Loop Header: Depth=3
	;;#ASMSTART
	s_sleep 0
	;;#ASMEND
	ds_read_b32 v51, v50 offset:36864
	s_waitcnt lgkmcnt(0)
	v_cmp_eq_u32_e32 vcc, v51, v34
	s_or_b64 s[40:41], vcc, s[40:41]
	s_andn2_b64 exec, exec, s[40:41]
	s_cbranch_execnz .LBB153_18
.LBB153_19:                             ;   in Loop: Header=BB153_13 Depth=2
	s_or_b64 exec, exec, s[38:39]
	v_lshlrev_b32_e32 v51, 13, v48
	v_or_b32_e32 v56, v35, v51
	ds_read2_b32 v[52:53], v56 offset1:32
	ds_read2_b32 v[54:55], v56 offset0:128 offset1:160
	v_add_u32_e32 v57, 0x400, v56
	s_waitcnt lgkmcnt(1)
	v_mfma_f32_16x16x32_fp8_fp8 v[4:7], v[52:53], v[10:11], v[4:7]
	ds_read2_b32 v[52:53], v57 offset1:32
	s_waitcnt lgkmcnt(1)
	v_mfma_f32_16x16x32_fp8_fp8 v[4:7], v[54:55], v[12:13], v[4:7]
	ds_read2_b32 v[54:55], v57 offset0:128 offset1:160
	v_add_u32_e32 v57, 0x800, v56
	v_add_u32_e32 v56, 0xc00, v56
	s_waitcnt lgkmcnt(1)
	v_mfma_f32_16x16x32_fp8_fp8 v[4:7], v[52:53], v[26:27], v[4:7]
	ds_read2_b32 v[52:53], v57 offset1:32
	s_waitcnt lgkmcnt(1)
	v_mfma_f32_16x16x32_fp8_fp8 v[4:7], v[54:55], v[28:29], v[4:7]
	ds_read2_b32 v[54:55], v57 offset0:128 offset1:160
	s_waitcnt lgkmcnt(1)
	v_mfma_f32_16x16x32_fp8_fp8 v[4:7], v[52:53], v[30:31], v[4:7]
	ds_read2_b32 v[52:53], v56 offset1:32
	s_waitcnt lgkmcnt(1)
	v_mfma_f32_16x16x32_fp8_fp8 v[4:7], v[54:55], v[32:33], v[4:7]
	ds_read2_b32 v[54:55], v56 offset0:128 offset1:160
	;;#ASMSTART
	s_waitcnt lgkmcnt(0)
	;;#ASMEND
	ds_write_b32 v50, v49 offset:36864
	s_waitcnt lgkmcnt(2)
	v_mfma_f32_16x16x32_fp8_fp8 v[4:7], v[52:53], v[14:15], v[4:7]
	ds_read_b32 v52, v50 offset:36868
	s_waitcnt lgkmcnt(0)
	v_cmp_ne_u32_e32 vcc, v52, v34
	v_mfma_f32_16x16x32_fp8_fp8 v[4:7], v[54:55], v[8:9], v[4:7]
	s_and_saveexec_b64 s[38:39], vcc
	s_cbranch_execz .LBB153_12
; %bb.20:                               ;   in Loop: Header=BB153_13 Depth=2
	s_mov_b64 s[40:41], 0
.LBB153_21:                             ;   Parent Loop BB153_7 Depth=1
                                        ;     Parent Loop BB153_13 Depth=2
                                        ; =>    This Inner Loop Header: Depth=3
	;;#ASMSTART
	s_sleep 0
	;;#ASMEND
	ds_read_b32 v52, v50 offset:36868
	s_waitcnt lgkmcnt(0)
	v_cmp_eq_u32_e32 vcc, v52, v34
	s_or_b64 s[40:41], vcc, s[40:41]
	s_andn2_b64 exec, exec, s[40:41]
	s_cbranch_execnz .LBB153_21
	s_branch .LBB153_12
.LBB153_22:                             ;   in Loop: Header=BB153_7 Depth=1
	s_or_b64 exec, exec, s[8:9]
.LBB153_23:                             ;   in Loop: Header=BB153_7 Depth=1
	s_or_b64 exec, exec, s[6:7]
	v_cmp_le_i32_e32 vcc, s31, v16
	v_cmp_eq_u32_e64 s[6:7], 3, v37
	s_waitcnt vmcnt(0)
	v_cndmask_b32_e32 v8, 0, v47, vcc
	v_pk_mul_f32 v[12:13], v[8:9], v[4:5] op_sel_hi:[0,1]
	v_cmp_eq_u32_e32 vcc, 1, v37
	v_pk_mul_f32 v[6:7], v[8:9], v[6:7] op_sel_hi:[0,1]
	v_add_u32_e32 v9, s54, v39
	v_cndmask_b32_e32 v4, v12, v13, vcc
	v_cmp_eq_u32_e32 vcc, 2, v37
	s_nop 1
	v_cndmask_b32_e32 v4, v4, v6, vcc
	v_cndmask_b32_e64 v4, v4, v7, s[6:7]
	ds_bpermute_b32 v5, v45, v4
	s_waitcnt lgkmcnt(0)
	v_cndmask_b32_e32 v6, v6, v5, vcc
	v_cmp_ne_u32_e32 vcc, 0, v37
	v_cndmask_b32_e64 v11, v7, v5, s[6:7]
	s_nop 0
	v_cndmask_b32_e32 v4, v13, v5, vcc
	v_cmp_eq_u32_e32 vcc, 0, v37
	s_nop 1
	v_cndmask_b32_e32 v5, v12, v5, vcc
	v_cmp_eq_u32_e32 vcc, 1, v38
	;; [unrolled: 3-line block ×4, first 2 shown]
	s_nop 1
	v_cndmask_b32_e32 v7, v7, v11, vcc
	ds_bpermute_b32 v7, v45, v7
	v_cmp_gt_u32_e32 vcc, 32, v9
	s_and_saveexec_b64 s[38:39], vcc
	s_cbranch_execz .LBB153_28
; %bb.24:                               ;   in Loop: Header=BB153_7 Depth=1
	v_cmp_eq_u32_e64 s[8:9], 1, v38
	v_cmp_eq_u32_e64 s[6:7], 3, v38
	v_cmp_eq_u32_e32 vcc, 2, v38
	s_waitcnt lgkmcnt(0)
	v_cndmask_b32_e64 v4, v4, v7, s[8:9]
	v_cmp_eq_u32_e64 s[8:9], 0, v38
	v_cvt_f16_f32_sdwa v13, v4 dst_sel:WORD_1 dst_unused:UNUSED_PAD src0_sel:DWORD
	s_nop 0
	v_cndmask_b32_e64 v5, v5, v7, s[8:9]
	s_mul_i32 s8, s52, s13
	s_ashr_i32 s9, s8, 31
	s_lshl_b64 s[8:9], s[8:9], 1
	s_add_u32 s40, s24, s8
	s_addc_u32 s41, s25, s9
	s_ashr_i32 s31, s30, 31
	s_lshl_b64 s[8:9], s[30:31], 1
	v_cvt_f16_f32_e32 v12, v5
	s_add_u32 s40, s40, s8
	s_addc_u32 s41, s41, s9
	v_lshl_add_u64 v[4:5], v[18:19], 1, s[40:41]
	v_cmp_gt_u32_e64 s[8:9], 30, v9
	v_or_b32_e32 v12, v13, v12
	;;#ASMSTART
	global_atomic_pk_add_f16 v[4:5], v12, off
	
	;;#ASMEND
	s_and_b64 exec, exec, s[8:9]
	s_cbranch_execz .LBB153_28
; %bb.25:                               ;   in Loop: Header=BB153_7 Depth=1
	v_mov_b32_e32 v9, v8
	v_cndmask_b32_e64 v11, v11, v7, s[6:7]
	v_mov_b32_e32 v12, v8
	v_mov_b32_e32 v13, v8
	v_pk_mul_f32 v[8:9], v[8:9], v[0:1]
	v_cmp_eq_u32_e64 s[6:7], 1, v37
	v_pk_mul_f32 v[12:13], v[12:13], v[2:3]
	v_cmp_eq_u32_e64 s[8:9], 3, v37
	v_cndmask_b32_e64 v0, v8, v9, s[6:7]
	v_cmp_eq_u32_e64 s[6:7], 2, v37
	v_cvt_f16_f32_sdwa v11, v11 dst_sel:WORD_1 dst_unused:UNUSED_PAD src0_sel:DWORD
	s_nop 0
	v_cndmask_b32_e64 v0, v0, v12, s[6:7]
	v_cndmask_b32_e64 v0, v0, v13, s[8:9]
	ds_bpermute_b32 v1, v45, v0
	v_cndmask_b32_e32 v0, v6, v7, vcc
	v_cmp_ne_u32_e32 vcc, 0, v37
	v_lshl_add_u64 v[6:7], s[10:11], 2, v[4:5]
	v_cvt_f16_f32_e32 v5, v0
	s_waitcnt lgkmcnt(0)
	v_cndmask_b32_e32 v0, v9, v1, vcc
	v_cmp_eq_u32_e32 vcc, 0, v37
	v_cndmask_b32_e64 v2, v13, v1, s[8:9]
	v_cndmask_b32_e64 v3, v12, v1, s[6:7]
	v_cndmask_b32_e32 v1, v8, v1, vcc
	v_cmp_eq_u32_e32 vcc, 1, v38
	v_or_b32_e32 v5, v11, v5
	;;#ASMSTART
	global_atomic_pk_add_f16 v[6:7], v5, off
	
	;;#ASMEND
	v_add_u32_e32 v5, s54, v40
	v_cndmask_b32_e32 v4, v1, v0, vcc
	v_cmp_eq_u32_e32 vcc, 2, v38
	s_nop 1
	v_cndmask_b32_e32 v4, v4, v3, vcc
	v_cmp_eq_u32_e32 vcc, 3, v38
	s_nop 1
	v_cndmask_b32_e32 v4, v4, v2, vcc
	ds_bpermute_b32 v4, v45, v4
	v_cmp_gt_u32_e32 vcc, 32, v5
	s_and_b64 exec, exec, vcc
	s_cbranch_execz .LBB153_28
; %bb.26:                               ;   in Loop: Header=BB153_7 Depth=1
	v_cmp_eq_u32_e32 vcc, 1, v38
	v_cmp_eq_u32_e64 s[6:7], 2, v38
	v_cmp_gt_u32_e64 s[8:9], 30, v5
	s_waitcnt lgkmcnt(0)
	v_cndmask_b32_e32 v0, v0, v4, vcc
	v_cmp_eq_u32_e32 vcc, 0, v38
	v_cvt_f16_f32_sdwa v7, v0 dst_sel:WORD_1 dst_unused:UNUSED_PAD src0_sel:DWORD
	s_nop 0
	v_cndmask_b32_e32 v1, v1, v4, vcc
	v_cvt_f16_f32_e32 v6, v1
	v_cmp_eq_u32_e32 vcc, 3, v38
	v_lshl_add_u64 v[0:1], v[20:21], 1, s[40:41]
	v_or_b32_e32 v6, v7, v6
	;;#ASMSTART
	global_atomic_pk_add_f16 v[0:1], v6, off
	
	;;#ASMEND
	s_and_b64 exec, exec, s[8:9]
	s_cbranch_execz .LBB153_28
; %bb.27:                               ;   in Loop: Header=BB153_7 Depth=1
	v_cndmask_b32_e32 v2, v2, v4, vcc
	v_cndmask_b32_e64 v3, v3, v4, s[6:7]
	v_cvt_f16_f32_sdwa v2, v2 dst_sel:WORD_1 dst_unused:UNUSED_PAD src0_sel:DWORD
	v_cvt_f16_f32_e32 v3, v3
	v_lshl_add_u64 v[0:1], s[10:11], 2, v[0:1]
	v_or_b32_e32 v2, v2, v3
	;;#ASMSTART
	global_atomic_pk_add_f16 v[0:1], v2, off
	
	;;#ASMEND
.LBB153_28:                             ;   in Loop: Header=BB153_7 Depth=1
	s_or_b64 exec, exec, s[38:39]
	v_subrev_u32_e32 v46, s55, v46
.LBB153_29:                             ;   in Loop: Header=BB153_7 Depth=1
	s_or_b64 exec, exec, s[36:37]
.LBB153_30:                             ;   in Loop: Header=BB153_7 Depth=1
	s_andn2_saveexec_b64 s[6:7], s[34:35]
	s_cbranch_execz .LBB153_39
; %bb.31:                               ;   in Loop: Header=BB153_7 Depth=1
	v_cmp_gt_i32_e32 vcc, s55, v46
	s_and_saveexec_b64 s[8:9], vcc
	s_cbranch_execz .LBB153_38
; %bb.32:                               ;   in Loop: Header=BB153_7 Depth=1
	s_mul_i32 s30, s30, s15
	s_ashr_i32 s31, s30, 31
	s_waitcnt lgkmcnt(0)
	s_add_u32 s30, s22, s30
	s_addc_u32 s31, s23, s31
	s_ashr_i32 s34, s53, 31
	s_add_u32 s30, s30, s53
	s_addc_u32 s31, s31, s34
	v_lshl_add_u64 v[0:1], s[30:31], 0, v[24:25]
	v_lshl_add_u64 v[26:27], v[0:1], 0, v[22:23]
	s_mov_b64 s[30:31], 0
	s_branch .LBB153_34
.LBB153_33:                             ;   in Loop: Header=BB153_34 Depth=2
	s_or_b64 exec, exec, s[34:35]
	v_lshl_add_u32 v30, v28, 12, v43
	;;#ASMSTART
	s_waitcnt vmcnt(3)
	;;#ASMEND
	ds_write2_b32 v30, v12, v13 offset1:32
	ds_write2_b32 v30, v14, v15 offset0:64 offset1:96
	v_add_u32_e32 v12, 0x400, v30
	;;#ASMSTART
	s_waitcnt vmcnt(2)
	;;#ASMEND
	ds_write2_b32 v12, v8, v9 offset1:32
	ds_write2_b32 v12, v10, v11 offset0:64 offset1:96
	v_add_u32_e32 v8, 0x800, v30
	;; [unrolled: 6-line block ×3, first 2 shown]
	v_add_u32_e32 v46, s18, v46
	;;#ASMSTART
	s_waitcnt vmcnt(0)
	;;#ASMEND
	ds_write2_b32 v4, v0, v1 offset1:32
	ds_write2_b32 v4, v2, v3 offset0:64 offset1:96
	v_add_u32_e32 v0, 1, v34
	v_add_u32_e32 v10, s18, v28
	v_cmp_le_i32_e32 vcc, s55, v46
	ds_write_b32 v29, v0 offset:24
	v_add_u32_e32 v0, 2, v34
	s_or_b64 s[30:31], vcc, s[30:31]
	v_cmp_lt_i32_e32 vcc, 2, v10
	s_nop 1
	v_cndmask_b32_e32 v34, v34, v0, vcc
	s_andn2_b64 exec, exec, s[30:31]
	s_cbranch_execz .LBB153_37
.LBB153_34:                             ;   Parent Loop BB153_7 Depth=1
                                        ; =>  This Loop Header: Depth=2
                                        ;       Child Loop BB153_36 Depth 3
	v_cmp_gt_i32_e32 vcc, 3, v10
	s_nop 1
	v_cndmask_b32_e64 v0, -3, 0, vcc
	v_add_u32_e32 v28, v0, v10
	v_lshlrev_b32_e32 v0, 8, v46
	v_ashrrev_i32_e32 v1, 31, v0
	v_lshl_add_u64 v[0:1], v[26:27], 0, v[0:1]
	v_lshlrev_b32_e32 v29, 2, v28
	;;#ASMSTART
	global_load_dwordx4 v[12:15], v[0:1], off offset:0    sc0 sc1 nt  
	global_load_dwordx4 v[8:11], v[0:1], off offset:64   sc0 sc1 nt  
	global_load_dwordx4 v[4:7], v[0:1], off offset:128  sc0 sc1 nt  
	global_load_dwordx4 v[0:3], v[0:1], off offset:192  sc0 sc1 nt  
	
	;;#ASMEND
	ds_read_b32 v30, v29 offset:36888
	v_add_u32_e32 v29, 0x9000, v29
	s_waitcnt lgkmcnt(0)
	v_cmp_ne_u32_e32 vcc, v30, v34
	s_and_saveexec_b64 s[34:35], vcc
	s_cbranch_execz .LBB153_33
; %bb.35:                               ;   in Loop: Header=BB153_34 Depth=2
	s_mov_b64 s[36:37], 0
.LBB153_36:                             ;   Parent Loop BB153_7 Depth=1
                                        ;     Parent Loop BB153_34 Depth=2
                                        ; =>    This Inner Loop Header: Depth=3
	;;#ASMSTART
	s_sleep 0
	;;#ASMEND
	ds_read_b32 v30, v29 offset:24
	s_waitcnt lgkmcnt(0)
	v_cmp_eq_u32_e32 vcc, v30, v34
	s_or_b64 s[36:37], vcc, s[36:37]
	s_andn2_b64 exec, exec, s[36:37]
	s_cbranch_execnz .LBB153_36
	s_branch .LBB153_33
.LBB153_37:                             ;   in Loop: Header=BB153_7 Depth=1
	s_or_b64 exec, exec, s[30:31]
.LBB153_38:                             ;   in Loop: Header=BB153_7 Depth=1
	s_or_b64 exec, exec, s[8:9]
	v_subrev_u32_e32 v46, s55, v46
.LBB153_39:                             ;   in Loop: Header=BB153_7 Depth=1
	s_or_b64 exec, exec, s[6:7]
.LBB153_40:                             ;   in Loop: Header=BB153_7 Depth=1
	s_andn2_saveexec_b64 s[6:7], s[28:29]
	s_cbranch_execz .LBB153_6
; %bb.41:                               ;   in Loop: Header=BB153_7 Depth=1
	s_lshl_b32 s36, s55, 1
	v_cmp_gt_i32_e32 vcc, s36, v46
	s_and_saveexec_b64 s[8:9], vcc
	s_cbranch_execz .LBB153_5
; %bb.42:                               ;   in Loop: Header=BB153_7 Depth=1
	s_mul_i32 s52, s52, s14
	s_ashr_i32 s28, s52, 31
	s_waitcnt lgkmcnt(0)
	s_add_u32 s29, s20, s52
	v_add_u32_e32 v2, s54, v41
	s_addc_u32 s30, s21, s28
	s_ashr_i32 s31, s53, 31
	v_cmp_gt_u32_e32 vcc, 32, v2
	s_add_u32 s28, s29, s53
	s_addc_u32 s29, s30, s31
	v_cndmask_b32_e32 v0, 0, v44, vcc
	v_ashrrev_i32_e32 v1, 31, v0
	v_lshl_add_u64 v[0:1], s[28:29], 0, v[0:1]
	v_lshl_add_u64 v[26:27], v[0:1], 0, v[22:23]
	v_sub_u32_e32 v28, 31, v2
	s_mov_b64 s[28:29], 0
	s_branch .LBB153_44
.LBB153_43:                             ;   in Loop: Header=BB153_44 Depth=2
	s_or_b64 exec, exec, s[30:31]
	v_lshl_or_b32 v31, v29, 12, v42
	;;#ASMSTART
	s_waitcnt vmcnt(3)
	;;#ASMEND
	ds_write2_b32 v31, v12, v13 offset1:32
	ds_write2_b32 v31, v14, v15 offset0:64 offset1:96
	v_add_u32_e32 v12, 0x400, v31
	;;#ASMSTART
	s_waitcnt vmcnt(2)
	;;#ASMEND
	ds_write2_b32 v12, v8, v9 offset1:32
	ds_write2_b32 v12, v10, v11 offset0:64 offset1:96
	v_add_u32_e32 v8, 0x800, v31
	;; [unrolled: 6-line block ×3, first 2 shown]
	v_add_u32_e32 v46, s17, v46
	;;#ASMSTART
	s_waitcnt vmcnt(0)
	;;#ASMEND
	ds_write2_b32 v4, v0, v1 offset1:32
	ds_write2_b32 v4, v2, v3 offset0:64 offset1:96
	v_add_u32_e32 v0, 1, v34
	v_add_u32_e32 v10, s17, v29
	v_cmp_le_i32_e32 vcc, s36, v46
	ds_write_b32 v30, v0
	v_add_u32_e32 v0, 2, v34
	s_or_b64 s[28:29], vcc, s[28:29]
	v_cmp_lt_i32_e32 vcc, 5, v10
	s_nop 1
	v_cndmask_b32_e32 v34, v34, v0, vcc
	s_andn2_b64 exec, exec, s[28:29]
	s_cbranch_execz .LBB153_4
.LBB153_44:                             ;   Parent Loop BB153_7 Depth=1
                                        ; =>  This Loop Header: Depth=2
                                        ;       Child Loop BB153_46 Depth 3
	v_cmp_gt_i32_e32 vcc, 6, v10
	s_nop 1
	v_cndmask_b32_e64 v0, -6, 0, vcc
	v_add_u32_e32 v29, v0, v10
	v_lshrrev_b32_e32 v0, 31, v46
	v_add_u32_e32 v0, v46, v0
	v_and_b32_e32 v1, 0xffffffe, v0
	v_sub_u32_e32 v1, v46, v1
	v_lshlrev_b32_e32 v1, 4, v1
	v_cmp_le_i32_e32 vcc, v1, v28
	v_lshlrev_b32_e32 v0, 7, v0
	v_and_b32_e32 v0, 0xffffff00, v0
	v_cndmask_b32_e32 v2, 0, v1, vcc
	v_ashrrev_i32_e32 v1, 31, v0
	v_mul_lo_u32 v2, v2, s14
	v_lshl_add_u64 v[0:1], v[26:27], 0, v[0:1]
	v_ashrrev_i32_e32 v3, 31, v2
	v_lshl_add_u64 v[0:1], v[0:1], 0, v[2:3]
	v_lshlrev_b32_e32 v30, 2, v29
	;;#ASMSTART
	global_load_dwordx4 v[12:15], v[0:1], off offset:0    
	global_load_dwordx4 v[8:11], v[0:1], off offset:64   
	;; [unrolled: 1-line block ×4, first 2 shown]
	
	;;#ASMEND
	ds_read_b32 v31, v30 offset:36864
	v_add_u32_e32 v30, 0x9000, v30
	s_waitcnt lgkmcnt(0)
	v_cmp_ne_u32_e32 vcc, v31, v34
	s_and_saveexec_b64 s[30:31], vcc
	s_cbranch_execz .LBB153_43
; %bb.45:                               ;   in Loop: Header=BB153_44 Depth=2
	s_mov_b64 s[34:35], 0
.LBB153_46:                             ;   Parent Loop BB153_7 Depth=1
                                        ;     Parent Loop BB153_44 Depth=2
                                        ; =>    This Inner Loop Header: Depth=3
	;;#ASMSTART
	s_sleep 0
	;;#ASMEND
	ds_read_b32 v31, v30
	s_waitcnt lgkmcnt(0)
	v_cmp_eq_u32_e32 vcc, v31, v34
	s_or_b64 s[34:35], vcc, s[34:35]
	s_andn2_b64 exec, exec, s[34:35]
	s_cbranch_execnz .LBB153_46
	s_branch .LBB153_43
.LBB153_47:
	s_endpgm
	.section	.rodata,"a",@progbits
	.p2align	6, 0x0
	.amdhsa_kernel _Z19_skinny_gemm_kernelILi2ELi1ELi3ELi16ELi8EEvPKhS1_P6__halfPKfiiiiiiii
		.amdhsa_group_segment_fixed_size 36900
		.amdhsa_private_segment_fixed_size 0
		.amdhsa_kernarg_size 64
		.amdhsa_user_sgpr_count 2
		.amdhsa_user_sgpr_dispatch_ptr 0
		.amdhsa_user_sgpr_queue_ptr 0
		.amdhsa_user_sgpr_kernarg_segment_ptr 1
		.amdhsa_user_sgpr_dispatch_id 0
		.amdhsa_user_sgpr_kernarg_preload_length 0
		.amdhsa_user_sgpr_kernarg_preload_offset 0
		.amdhsa_user_sgpr_private_segment_size 0
		.amdhsa_uses_dynamic_stack 0
		.amdhsa_enable_private_segment 0
		.amdhsa_system_sgpr_workgroup_id_x 1
		.amdhsa_system_sgpr_workgroup_id_y 0
		.amdhsa_system_sgpr_workgroup_id_z 0
		.amdhsa_system_sgpr_workgroup_info 0
		.amdhsa_system_vgpr_workitem_id 0
		.amdhsa_next_free_vgpr 58
		.amdhsa_next_free_sgpr 56
		.amdhsa_accum_offset 60
		.amdhsa_reserve_vcc 1
		.amdhsa_float_round_mode_32 0
		.amdhsa_float_round_mode_16_64 0
		.amdhsa_float_denorm_mode_32 3
		.amdhsa_float_denorm_mode_16_64 3
		.amdhsa_dx10_clamp 1
		.amdhsa_ieee_mode 1
		.amdhsa_fp16_overflow 0
		.amdhsa_tg_split 0
		.amdhsa_exception_fp_ieee_invalid_op 0
		.amdhsa_exception_fp_denorm_src 0
		.amdhsa_exception_fp_ieee_div_zero 0
		.amdhsa_exception_fp_ieee_overflow 0
		.amdhsa_exception_fp_ieee_underflow 0
		.amdhsa_exception_fp_ieee_inexact 0
		.amdhsa_exception_int_div_zero 0
	.end_amdhsa_kernel
	.section	.text._Z19_skinny_gemm_kernelILi2ELi1ELi3ELi16ELi8EEvPKhS1_P6__halfPKfiiiiiiii,"axG",@progbits,_Z19_skinny_gemm_kernelILi2ELi1ELi3ELi16ELi8EEvPKhS1_P6__halfPKfiiiiiiii,comdat
.Lfunc_end153:
	.size	_Z19_skinny_gemm_kernelILi2ELi1ELi3ELi16ELi8EEvPKhS1_P6__halfPKfiiiiiiii, .Lfunc_end153-_Z19_skinny_gemm_kernelILi2ELi1ELi3ELi16ELi8EEvPKhS1_P6__halfPKfiiiiiiii
                                        ; -- End function
	.set _Z19_skinny_gemm_kernelILi2ELi1ELi3ELi16ELi8EEvPKhS1_P6__halfPKfiiiiiiii.num_vgpr, 58
	.set _Z19_skinny_gemm_kernelILi2ELi1ELi3ELi16ELi8EEvPKhS1_P6__halfPKfiiiiiiii.num_agpr, 0
	.set _Z19_skinny_gemm_kernelILi2ELi1ELi3ELi16ELi8EEvPKhS1_P6__halfPKfiiiiiiii.numbered_sgpr, 56
	.set _Z19_skinny_gemm_kernelILi2ELi1ELi3ELi16ELi8EEvPKhS1_P6__halfPKfiiiiiiii.num_named_barrier, 0
	.set _Z19_skinny_gemm_kernelILi2ELi1ELi3ELi16ELi8EEvPKhS1_P6__halfPKfiiiiiiii.private_seg_size, 0
	.set _Z19_skinny_gemm_kernelILi2ELi1ELi3ELi16ELi8EEvPKhS1_P6__halfPKfiiiiiiii.uses_vcc, 1
	.set _Z19_skinny_gemm_kernelILi2ELi1ELi3ELi16ELi8EEvPKhS1_P6__halfPKfiiiiiiii.uses_flat_scratch, 0
	.set _Z19_skinny_gemm_kernelILi2ELi1ELi3ELi16ELi8EEvPKhS1_P6__halfPKfiiiiiiii.has_dyn_sized_stack, 0
	.set _Z19_skinny_gemm_kernelILi2ELi1ELi3ELi16ELi8EEvPKhS1_P6__halfPKfiiiiiiii.has_recursion, 0
	.set _Z19_skinny_gemm_kernelILi2ELi1ELi3ELi16ELi8EEvPKhS1_P6__halfPKfiiiiiiii.has_indirect_call, 0
	.section	.AMDGPU.csdata,"",@progbits
; Kernel info:
; codeLenInByte = 3704
; TotalNumSgprs: 62
; NumVgprs: 58
; NumAgprs: 0
; TotalNumVgprs: 58
; ScratchSize: 0
; MemoryBound: 0
; FloatMode: 240
; IeeeMode: 1
; LDSByteSize: 36900 bytes/workgroup (compile time only)
; SGPRBlocks: 7
; VGPRBlocks: 7
; NumSGPRsForWavesPerEU: 62
; NumVGPRsForWavesPerEU: 58
; AccumOffset: 60
; Occupancy: 8
; WaveLimiterHint : 0
; COMPUTE_PGM_RSRC2:SCRATCH_EN: 0
; COMPUTE_PGM_RSRC2:USER_SGPR: 2
; COMPUTE_PGM_RSRC2:TRAP_HANDLER: 0
; COMPUTE_PGM_RSRC2:TGID_X_EN: 1
; COMPUTE_PGM_RSRC2:TGID_Y_EN: 0
; COMPUTE_PGM_RSRC2:TGID_Z_EN: 0
; COMPUTE_PGM_RSRC2:TIDIG_COMP_CNT: 0
; COMPUTE_PGM_RSRC3_GFX90A:ACCUM_OFFSET: 14
; COMPUTE_PGM_RSRC3_GFX90A:TG_SPLIT: 0
	.section	.text._Z19_skinny_gemm_kernelILi2ELi1ELi3ELi32ELi4EEvPKhS1_P6__halfPKfiiiiiiii,"axG",@progbits,_Z19_skinny_gemm_kernelILi2ELi1ELi3ELi32ELi4EEvPKhS1_P6__halfPKfiiiiiiii,comdat
	.protected	_Z19_skinny_gemm_kernelILi2ELi1ELi3ELi32ELi4EEvPKhS1_P6__halfPKfiiiiiiii ; -- Begin function _Z19_skinny_gemm_kernelILi2ELi1ELi3ELi32ELi4EEvPKhS1_P6__halfPKfiiiiiiii
	.globl	_Z19_skinny_gemm_kernelILi2ELi1ELi3ELi32ELi4EEvPKhS1_P6__halfPKfiiiiiiii
	.p2align	8
	.type	_Z19_skinny_gemm_kernelILi2ELi1ELi3ELi32ELi4EEvPKhS1_P6__halfPKfiiiiiiii,@function
_Z19_skinny_gemm_kernelILi2ELi1ELi3ELi32ELi4EEvPKhS1_P6__halfPKfiiiiiiii: ; @_Z19_skinny_gemm_kernelILi2ELi1ELi3ELi32ELi4EEvPKhS1_P6__halfPKfiiiiiiii
; %bb.0:
	v_cmp_gt_u32_e32 vcc, 9, v0
	s_and_saveexec_b64 s[4:5], vcc
; %bb.1:
	v_lshlrev_b32_e32 v1, 2, v0
	v_mov_b32_e32 v2, 0
	ds_write_b32 v1, v2 offset:18432
; %bb.2:
	s_or_b64 exec, exec, s[4:5]
	s_load_dwordx8 s[36:43], s[0:1], 0x20
	s_waitcnt lgkmcnt(0)
	s_barrier
	s_add_i32 s3, s36, 63
	s_ashr_i32 s5, s3, 31
	s_add_i32 s4, s37, 31
	s_lshr_b32 s5, s5, 26
	s_ashr_i32 s6, s4, 31
	s_add_i32 s3, s3, s5
	s_ashr_i32 s33, s3, 6
	s_lshr_b32 s3, s6, 27
	s_add_i32 s4, s4, s3
	s_ashr_i32 s62, s4, 5
	s_mul_i32 s3, s62, s33
	s_mul_i32 s3, s3, s40
	s_add_i32 s4, s3, 0x12f
	s_mul_hi_i32 s4, s4, 0x6bca1af3
	s_lshr_b32 s5, s4, 31
	s_ashr_i32 s4, s4, 7
	s_add_i32 s4, s4, s5
	s_add_i32 s5, s2, 1
	s_mul_i32 s5, s4, s5
	v_cvt_f64_i32_e32 v[2:3], s3
	v_cvt_f64_u32_e32 v[4:5], s5
	v_min_f64 v[2:3], v[2:3], v[4:5]
	v_cvt_i32_f64_e32 v46, v[2:3]
	s_mul_i32 s63, s4, s2
	v_cmp_ge_i32_e32 vcc, s63, v46
	s_cbranch_vccnz .LBB154_48
; %bb.3:
	v_lshrrev_b32_e32 v1, 6, v0
	s_add_i32 s4, s42, s41
	s_load_dwordx8 s[44:51], s[0:1], 0x0
	v_cmp_le_i32_e64 s[0:1], s4, v1
	v_mov_b32_e32 v2, s41
	v_cmp_le_i32_e64 s[2:3], s41, v1
	v_mov_b32_e32 v3, s42
	v_cndmask_b32_e64 v3, 0, v3, s[0:1]
	v_cndmask_b32_e64 v2, 0, v2, s[2:3]
	s_abs_i32 s5, s40
	v_add_u32_e32 v2, v2, v3
	v_cvt_f32_u32_e32 v3, s5
	v_sub_u32_e32 v40, v1, v2
	s_ashr_i32 s6, s38, 31
	s_lshr_b32 s6, s6, 26
	v_rcp_iflag_f32_e32 v2, v3
	s_sub_i32 s9, 0, s5
	s_add_i32 s6, s38, s6
	s_ashr_i32 s6, s6, 6
	v_mul_f32_e32 v2, 0x4f7ffffe, v2
	v_cvt_u32_f32_e32 v2, v2
	s_abs_i32 s8, s6
	s_xor_b32 s7, s6, s40
	s_ashr_i32 s7, s7, 31
	v_readfirstlane_b32 s10, v2
	s_mul_i32 s9, s9, s10
	s_mul_hi_u32 s9, s10, s9
	s_add_i32 s10, s10, s9
	s_mul_hi_u32 s9, s8, s10
	s_mul_i32 s10, s9, s5
	s_sub_i32 s8, s8, s10
	s_add_i32 s10, s9, 1
	s_sub_i32 s11, s8, s5
	s_cmp_ge_u32 s8, s5
	s_cselect_b32 s9, s10, s9
	s_cselect_b32 s8, s11, s8
	s_add_i32 s10, s9, 1
	s_cmp_ge_u32 s8, s5
	s_cselect_b32 s5, s10, s9
	s_xor_b32 s5, s5, s7
	s_sub_i32 s64, s5, s7
	s_add_i32 s40, s40, -1
	s_mul_i32 s5, s64, s40
	s_add_i32 s4, s4, s43
	v_and_b32_e32 v48, 31, v0
	v_lshrrev_b32_e32 v2, 3, v0
	s_sub_i32 s65, s6, s5
	v_cmp_gt_i32_e64 s[4:5], s4, v1
	v_lshlrev_b32_e32 v1, 2, v48
	v_and_b32_e32 v3, 4, v2
	v_and_b32_e32 v5, 1, v0
	v_lshlrev_b32_e32 v2, 6, v3
	v_or_b32_e32 v4, 0x3000, v1
	v_or_b32_e32 v3, v3, v5
	;; [unrolled: 1-line block ×4, first 2 shown]
	v_lshlrev_b32_e32 v2, 1, v5
	v_or_b32_e32 v5, 2, v3
	v_sub_u32_e32 v60, 32, v5
	v_or_b32_e32 v5, 8, v3
	v_sub_u32_e32 v61, 32, v5
	;; [unrolled: 2-line block ×5, first 2 shown]
	v_mul_lo_u32 v18, s37, v3
	v_sub_u32_e32 v64, 32, v5
	v_or_b32_e32 v5, 24, v3
	v_or_b32_e32 v3, 26, v3
	v_sub_u32_e32 v66, 32, v3
	v_lshrrev_b32_e32 v3, 1, v0
	s_abs_i32 s66, s33
	v_and_b32_e32 v34, 16, v3
	v_cvt_f32_u32_e32 v3, s66
	v_sub_u32_e32 v2, v0, v2
	v_add_u32_e32 v2, 1, v2
	v_and_b32_e32 v6, 63, v2
	v_bitop3_b32 v51, v0, 1, v0 bitop3:0xc
	v_bitop3_b32 v52, v0, 3, 1 bitop3:0x6c
	;; [unrolled: 1-line block ×8, first 2 shown]
	v_and_b32_e32 v2, 30, v0
	v_lshlrev_b32_e32 v0, 4, v0
	v_and_b32_e32 v0, 0x200, v0
	v_rcp_iflag_f32_e32 v3, v3
	s_abs_i32 s67, s62
	v_or_b32_e32 v69, v1, v0
	v_cvt_f32_u32_e32 v1, s67
	s_lshl_b32 s6, s37, 1
	v_add_u32_e32 v20, s6, v18
	s_mul_i32 s7, s37, 6
	v_or_b32_e32 v67, v4, v0
	v_mul_f32_e32 v0, 0x4f7ffffe, v3
	v_add_u32_e32 v22, s7, v20
	v_cvt_u32_f32_e32 v0, v0
	v_rcp_iflag_f32_e32 v1, v1
	v_add_u32_e32 v24, s6, v22
	v_add_u32_e32 v26, s7, v24
	v_add_u32_e32 v28, s6, v26
	v_add_u32_e32 v30, s7, v28
	v_readfirstlane_b32 s7, v0
	v_mul_f32_e32 v0, 0x4f7ffffe, v1
	v_cvt_u32_f32_e32 v0, v0
	v_add_u32_e32 v32, s6, v30
	s_sub_i32 s6, 0, s66
	s_mul_i32 s6, s6, s7
	s_mul_hi_u32 s6, s7, s6
	s_add_i32 s69, s7, s6
	s_sub_i32 s6, 0, s67
	v_readfirstlane_b32 s7, v0
	v_mbcnt_lo_u32_b32 v0, -1, 0
	s_mul_i32 s6, s6, s7
	v_mbcnt_hi_u32_b32 v0, -1, v0
	v_mov_b32_e32 v17, 0
	v_mul_lo_u32 v36, s39, v48
	s_mul_hi_u32 s6, s7, s6
	v_and_or_b32 v0, v0, 64, v6
	v_cndmask_b32_e64 v47, 0, 1, s[0:1]
	v_ashrrev_i32_e32 v19, 31, v18
	v_ashrrev_i32_e32 v21, 31, v20
	;; [unrolled: 1-line block ×6, first 2 shown]
	v_sub_u32_e32 v65, 32, v5
	v_ashrrev_i32_e32 v31, 31, v30
	v_ashrrev_i32_e32 v33, 31, v32
	;; [unrolled: 1-line block ×3, first 2 shown]
	v_mov_b32_e32 v35, v17
	v_mul_lo_u32 v68, s38, v48
	s_ashr_i32 s68, s33, 31
	s_ashr_i32 s70, s62, 31
	s_add_i32 s71, s7, s6
	v_lshlrev_b32_e32 v16, 1, v2
	v_lshlrev_b32_e32 v70, 2, v0
	v_mov_b32_e32 v71, v40
	s_branch .LBB154_7
.LBB154_4:                              ;   in Loop: Header=BB154_7 Depth=1
	s_or_b64 exec, exec, s[10:11]
.LBB154_5:                              ;   in Loop: Header=BB154_7 Depth=1
	s_or_b64 exec, exec, s[8:9]
	v_subrev_u32_e32 v71, s16, v71
.LBB154_6:                              ;   in Loop: Header=BB154_7 Depth=1
	s_or_b64 exec, exec, s[6:7]
	s_add_i32 s63, s63, 1
	v_cmp_ge_i32_e32 vcc, s63, v46
	s_cbranch_vccnz .LBB154_48
.LBB154_7:                              ; =>This Loop Header: Depth=1
                                        ;     Child Loop BB154_13 Depth 2
                                        ;       Child Loop BB154_15 Depth 3
                                        ;       Child Loop BB154_18 Depth 3
                                        ;     Child Loop BB154_35 Depth 2
                                        ;       Child Loop BB154_37 Depth 3
                                        ;     Child Loop BB154_45 Depth 2
                                        ;       Child Loop BB154_47 Depth 3
	s_abs_i32 s7, s63
	s_mul_hi_u32 s8, s7, s69
	s_mul_i32 s9, s8, s66
	s_ashr_i32 s6, s63, 31
	s_sub_i32 s7, s7, s9
	s_xor_b32 s6, s6, s68
	s_add_i32 s9, s8, 1
	s_sub_i32 s10, s7, s66
	s_cmp_ge_u32 s7, s66
	s_cselect_b32 s8, s9, s8
	s_cselect_b32 s7, s10, s7
	s_add_i32 s9, s8, 1
	s_cmp_ge_u32 s7, s66
	s_cselect_b32 s7, s9, s8
	s_xor_b32 s7, s7, s6
	s_sub_i32 s6, s7, s6
	s_abs_i32 s8, s6
	s_mul_i32 s7, s6, s33
	s_mul_hi_u32 s9, s8, s71
	s_sub_i32 s7, s63, s7
	s_mul_i32 s10, s9, s67
	s_lshl_b32 s72, s7, 6
	s_ashr_i32 s7, s6, 31
	s_sub_i32 s8, s8, s10
	s_xor_b32 s7, s7, s70
	s_add_i32 s10, s9, 1
	s_sub_i32 s11, s8, s67
	s_cmp_ge_u32 s8, s67
	s_cselect_b32 s9, s10, s9
	s_cselect_b32 s8, s11, s8
	s_add_i32 s10, s9, 1
	s_cmp_ge_u32 s8, s67
	s_cselect_b32 s8, s10, s9
	s_xor_b32 s8, s8, s7
	s_sub_i32 s7, s8, s7
	s_mul_i32 s8, s7, s64
	s_lshl_b32 s73, s8, 6
	s_cmp_eq_u32 s7, s40
	s_cselect_b32 s75, s65, s64
	s_sub_i32 s74, s72, s36
	s_add_i32 s74, s74, 64
	s_and_saveexec_b64 s[8:9], s[2:3]
	s_xor_b64 s[52:53], exec, s[8:9]
	s_cbranch_execz .LBB154_41
; %bb.8:                                ;   in Loop: Header=BB154_7 Depth=1
	s_mul_i32 s7, s7, s62
	s_sub_i32 s6, s6, s7
	s_lshl_b32 s6, s6, 5
	s_sub_i32 s14, s6, s37
	s_add_i32 s14, s14, 32
	s_max_i32 s7, s14, 0
	s_sub_i32 s54, s6, s7
	s_and_saveexec_b64 s[6:7], s[0:1]
	s_xor_b64 s[56:57], exec, s[6:7]
	s_cbranch_execz .LBB154_31
; %bb.9:                                ;   in Loop: Header=BB154_7 Depth=1
	s_and_saveexec_b64 s[58:59], s[4:5]
	s_cbranch_execz .LBB154_30
; %bb.10:                               ;   in Loop: Header=BB154_7 Depth=1
	s_waitcnt lgkmcnt(0)
	global_load_dword v72, v17, s[50:51]
	v_mov_b32_e32 v15, 0
	v_cmp_gt_i32_e32 vcc, s75, v71
	v_mov_b32_e32 v14, v15
	v_mov_b32_e32 v13, v15
	;; [unrolled: 1-line block ×15, first 2 shown]
	s_and_saveexec_b64 s[6:7], vcc
	s_cbranch_execz .LBB154_20
; %bb.11:                               ;   in Loop: Header=BB154_7 Depth=1
	v_mov_b32_e32 v0, 0
	s_mov_b64 s[8:9], 0
	v_mov_b32_e32 v1, v0
	v_mov_b32_e32 v2, v0
	;; [unrolled: 1-line block ×15, first 2 shown]
	s_branch .LBB154_13
.LBB154_12:                             ;   in Loop: Header=BB154_13 Depth=2
	s_or_b64 exec, exec, s[10:11]
	v_add_u32_e32 v78, v50, v76
	ds_read2_b32 v[76:77], v78 offset1:32
	v_add_u32_e32 v71, s43, v71
	s_waitcnt lgkmcnt(0)
	v_mfma_f32_32x32x16_fp8_fp8 v[0:15], v[44:45], v[76:77], v[0:15]
	ds_read2_b32 v[44:45], v78 offset0:128 offset1:160
	s_waitcnt lgkmcnt(0)
	v_mfma_f32_32x32x16_fp8_fp8 v[0:15], v[42:43], v[44:45], v[0:15]
	v_add_u32_e32 v44, 0x400, v78
	ds_read2_b32 v[42:43], v44 offset1:32
	ds_read2_b32 v[44:45], v44 offset0:128 offset1:160
	ds_write_b32 v74, v75 offset:18436
	s_waitcnt lgkmcnt(2)
	v_mfma_f32_32x32x16_fp8_fp8 v[0:15], v[40:41], v[42:43], v[0:15]
	v_add_u32_e32 v40, s43, v73
	v_add_u32_e32 v41, 2, v47
	v_cmp_lt_i32_e32 vcc, 2, v40
	s_nop 1
	v_cndmask_b32_e32 v47, v47, v41, vcc
	v_cmp_le_i32_e32 vcc, s75, v71
	s_waitcnt lgkmcnt(1)
	v_mfma_f32_32x32x16_fp8_fp8 v[0:15], v[38:39], v[44:45], v[0:15]
	s_or_b64 s[8:9], vcc, s[8:9]
	s_andn2_b64 exec, exec, s[8:9]
	s_cbranch_execz .LBB154_19
.LBB154_13:                             ;   Parent Loop BB154_7 Depth=1
                                        ; =>  This Loop Header: Depth=2
                                        ;       Child Loop BB154_15 Depth 3
                                        ;       Child Loop BB154_18 Depth 3
	v_cmp_gt_i32_e32 vcc, 3, v40
	s_nop 1
	v_cndmask_b32_e64 v38, -3, 0, vcc
	v_add_u32_e32 v73, v38, v40
	v_lshlrev_b32_e32 v74, 3, v73
	ds_read_b32 v38, v74 offset:18432
	s_waitcnt lgkmcnt(0)
	v_cmp_ne_u32_e32 vcc, v38, v47
	s_and_saveexec_b64 s[10:11], vcc
	s_cbranch_execz .LBB154_16
; %bb.14:                               ;   in Loop: Header=BB154_13 Depth=2
	s_mov_b64 s[12:13], 0
.LBB154_15:                             ;   Parent Loop BB154_7 Depth=1
                                        ;     Parent Loop BB154_13 Depth=2
                                        ; =>    This Inner Loop Header: Depth=3
	;;#ASMSTART
	s_sleep 0
	;;#ASMEND
	ds_read_b32 v38, v74 offset:18432
	s_waitcnt lgkmcnt(0)
	v_cmp_eq_u32_e32 vcc, v38, v47
	s_or_b64 s[12:13], vcc, s[12:13]
	s_andn2_b64 exec, exec, s[12:13]
	s_cbranch_execnz .LBB154_15
.LBB154_16:                             ;   in Loop: Header=BB154_13 Depth=2
	s_or_b64 exec, exec, s[10:11]
	v_lshlrev_b32_e32 v76, 11, v73
	v_or_b32_e32 v38, v49, v76
	ds_read2_b32 v[44:45], v38 offset1:32
	ds_read2_b32 v[42:43], v38 offset0:128 offset1:160
	v_add_u32_e32 v38, 0x400, v38
	ds_read2_b32 v[40:41], v38 offset1:32
	ds_read_b32 v77, v74 offset:18436
	ds_read2_b32 v[38:39], v38 offset0:128 offset1:160
	v_add_u32_e32 v75, 1, v47
	ds_write_b32 v74, v75 offset:18432
	s_waitcnt lgkmcnt(2)
	v_cmp_ne_u32_e32 vcc, v77, v47
	s_and_saveexec_b64 s[10:11], vcc
	s_cbranch_execz .LBB154_12
; %bb.17:                               ;   in Loop: Header=BB154_13 Depth=2
	s_mov_b64 s[12:13], 0
.LBB154_18:                             ;   Parent Loop BB154_7 Depth=1
                                        ;     Parent Loop BB154_13 Depth=2
                                        ; =>    This Inner Loop Header: Depth=3
	;;#ASMSTART
	s_sleep 0
	;;#ASMEND
	ds_read_b32 v77, v74 offset:18436
	s_waitcnt lgkmcnt(0)
	v_cmp_eq_u32_e32 vcc, v77, v47
	s_or_b64 s[12:13], vcc, s[12:13]
	s_andn2_b64 exec, exec, s[12:13]
	s_cbranch_execnz .LBB154_18
	s_branch .LBB154_12
.LBB154_19:                             ;   in Loop: Header=BB154_7 Depth=1
	s_or_b64 exec, exec, s[8:9]
.LBB154_20:                             ;   in Loop: Header=BB154_7 Depth=1
	s_or_b64 exec, exec, s[6:7]
	v_cmp_le_i32_e32 vcc, s14, v48
	v_cmp_eq_u32_e64 s[6:7], 3, v51
	v_cmp_eq_u32_e64 s[8:9], 4, v51
	s_waitcnt vmcnt(0)
	v_cndmask_b32_e32 v38, 0, v72, vcc
	s_nop 1
	v_pk_mul_f32 v[0:1], v[38:39], v[0:1] op_sel_hi:[0,1]
	v_cmp_eq_u32_e32 vcc, 1, v51
	v_pk_mul_f32 v[14:15], v[38:39], v[14:15] op_sel_hi:[0,1]
	v_pk_mul_f32 v[12:13], v[38:39], v[12:13] op_sel_hi:[0,1]
	v_pk_mul_f32 v[10:11], v[38:39], v[10:11] op_sel_hi:[0,1]
	v_pk_mul_f32 v[8:9], v[38:39], v[8:9] op_sel_hi:[0,1]
	v_pk_mul_f32 v[6:7], v[38:39], v[6:7] op_sel_hi:[0,1]
	v_pk_mul_f32 v[4:5], v[38:39], v[4:5] op_sel_hi:[0,1]
	v_pk_mul_f32 v[2:3], v[38:39], v[2:3] op_sel_hi:[0,1]
	v_cndmask_b32_e32 v38, v0, v1, vcc
	v_cmp_eq_u32_e32 vcc, 2, v51
	v_cmp_eq_u32_e64 s[10:11], 5, v51
	v_cmp_eq_u32_e64 s[12:13], 6, v51
	v_cndmask_b32_e32 v38, v38, v2, vcc
	v_cndmask_b32_e64 v38, v38, v3, s[6:7]
	v_cndmask_b32_e64 v38, v38, v4, s[8:9]
	;; [unrolled: 1-line block ×4, first 2 shown]
	v_cmp_eq_u32_e64 s[14:15], 7, v51
	v_cmp_eq_u32_e64 s[16:17], 8, v51
	v_cmp_eq_u32_e64 s[18:19], 9, v51
	v_cndmask_b32_e64 v38, v38, v7, s[14:15]
	v_cndmask_b32_e64 v38, v38, v8, s[16:17]
	v_cndmask_b32_e64 v38, v38, v9, s[18:19]
	v_cmp_eq_u32_e64 s[20:21], 10, v51
	v_cmp_eq_u32_e64 s[22:23], 11, v51
	v_cmp_eq_u32_e64 s[24:25], 12, v51
	v_cndmask_b32_e64 v38, v38, v10, s[20:21]
	v_cndmask_b32_e64 v38, v38, v11, s[22:23]
	v_cndmask_b32_e64 v38, v38, v12, s[24:25]
	;; [unrolled: 6-line block ×3, first 2 shown]
	ds_bpermute_b32 v38, v70, v38
	v_cmp_eq_u32_e64 s[34:35], 15, v52
	s_waitcnt lgkmcnt(0)
	v_cndmask_b32_e32 v2, v2, v38, vcc
	v_cmp_ne_u32_e32 vcc, 0, v51
	v_cndmask_b32_e64 v15, v15, v38, s[30:31]
	v_cndmask_b32_e64 v14, v14, v38, s[28:29]
	v_cndmask_b32_e32 v1, v1, v38, vcc
	v_cmp_eq_u32_e32 vcc, 0, v51
	v_cndmask_b32_e64 v13, v13, v38, s[26:27]
	v_cndmask_b32_e64 v12, v12, v38, s[24:25]
	v_cndmask_b32_e32 v0, v0, v38, vcc
	v_cmp_eq_u32_e32 vcc, 1, v52
	v_cndmask_b32_e64 v11, v11, v38, s[22:23]
	v_cndmask_b32_e64 v10, v10, v38, s[20:21]
	;; [unrolled: 1-line block ×9, first 2 shown]
	v_cndmask_b32_e32 v38, v0, v1, vcc
	v_cmp_eq_u32_e64 s[6:7], 2, v52
	v_cmp_eq_u32_e64 s[8:9], 3, v52
	v_cmp_eq_u32_e64 s[10:11], 4, v52
	v_cndmask_b32_e64 v38, v38, v2, s[6:7]
	v_cndmask_b32_e64 v38, v38, v3, s[8:9]
	v_cndmask_b32_e64 v38, v38, v4, s[10:11]
	v_cmp_eq_u32_e64 s[12:13], 5, v52
	v_cmp_eq_u32_e64 s[14:15], 6, v52
	v_cmp_eq_u32_e64 s[16:17], 7, v52
	v_cndmask_b32_e64 v38, v38, v5, s[12:13]
	v_cndmask_b32_e64 v38, v38, v6, s[14:15]
	v_cndmask_b32_e64 v38, v38, v7, s[16:17]
	;; [unrolled: 6-line block ×4, first 2 shown]
	v_cmp_eq_u32_e64 s[30:31], 14, v52
	s_nop 1
	v_cndmask_b32_e64 v38, v38, v14, s[30:31]
	v_cndmask_b32_e64 v38, v38, v15, s[34:35]
	ds_bpermute_b32 v38, v70, v38
	s_waitcnt lgkmcnt(0)
	v_cndmask_b32_e32 v1, v1, v38, vcc
	v_cmp_eq_u32_e32 vcc, 0, v52
	v_cndmask_b32_e64 v15, v15, v38, s[34:35]
	v_cndmask_b32_e64 v14, v14, v38, s[30:31]
	v_cndmask_b32_e32 v0, v0, v38, vcc
	v_cmp_eq_u32_e32 vcc, 1, v53
	v_cndmask_b32_e64 v13, v13, v38, s[28:29]
	v_cndmask_b32_e64 v12, v12, v38, s[26:27]
	v_cndmask_b32_e64 v11, v11, v38, s[24:25]
	v_cndmask_b32_e64 v10, v10, v38, s[22:23]
	v_cndmask_b32_e64 v9, v9, v38, s[20:21]
	v_cndmask_b32_e64 v8, v8, v38, s[18:19]
	v_cndmask_b32_e64 v7, v7, v38, s[16:17]
	v_cndmask_b32_e64 v6, v6, v38, s[14:15]
	v_cndmask_b32_e64 v5, v5, v38, s[12:13]
	v_cndmask_b32_e64 v4, v4, v38, s[10:11]
	v_cndmask_b32_e64 v3, v3, v38, s[8:9]
	v_cndmask_b32_e64 v2, v2, v38, s[6:7]
	v_cndmask_b32_e32 v38, v0, v1, vcc
	v_cmp_eq_u32_e64 s[6:7], 2, v53
	v_cmp_eq_u32_e64 s[8:9], 3, v53
	v_cmp_eq_u32_e64 s[10:11], 4, v53
	v_cndmask_b32_e64 v38, v38, v2, s[6:7]
	v_cndmask_b32_e64 v38, v38, v3, s[8:9]
	v_cndmask_b32_e64 v38, v38, v4, s[10:11]
	v_cmp_eq_u32_e64 s[12:13], 5, v53
	v_cmp_eq_u32_e64 s[14:15], 6, v53
	v_cmp_eq_u32_e64 s[16:17], 7, v53
	v_cndmask_b32_e64 v38, v38, v5, s[12:13]
	v_cndmask_b32_e64 v38, v38, v6, s[14:15]
	v_cndmask_b32_e64 v38, v38, v7, s[16:17]
	v_cmp_eq_u32_e64 s[18:19], 8, v53
	v_cmp_eq_u32_e64 s[20:21], 9, v53
	v_cmp_eq_u32_e64 s[22:23], 10, v53
	v_cndmask_b32_e64 v38, v38, v8, s[18:19]
	v_cndmask_b32_e64 v38, v38, v9, s[20:21]
	v_cndmask_b32_e64 v38, v38, v10, s[22:23]
	v_cmp_eq_u32_e64 s[24:25], 11, v53
	v_cmp_eq_u32_e64 s[26:27], 12, v53
	v_cmp_eq_u32_e64 s[28:29], 13, v53
	v_cndmask_b32_e64 v38, v38, v11, s[24:25]
	v_cndmask_b32_e64 v38, v38, v12, s[26:27]
	v_cndmask_b32_e64 v38, v38, v13, s[28:29]
	v_cmp_eq_u32_e64 s[30:31], 14, v53
	v_cmp_eq_u32_e64 s[34:35], 15, v53
	s_nop 0
	v_cndmask_b32_e64 v38, v38, v14, s[30:31]
	v_cndmask_b32_e64 v38, v38, v15, s[34:35]
	ds_bpermute_b32 v38, v70, v38
	s_waitcnt lgkmcnt(0)
	v_cndmask_b32_e32 v1, v1, v38, vcc
	v_cmp_eq_u32_e32 vcc, 0, v53
	v_cndmask_b32_e64 v15, v15, v38, s[34:35]
	v_cndmask_b32_e64 v14, v14, v38, s[30:31]
	v_cndmask_b32_e32 v0, v0, v38, vcc
	v_cmp_eq_u32_e32 vcc, 1, v54
	v_cndmask_b32_e64 v13, v13, v38, s[28:29]
	v_cndmask_b32_e64 v12, v12, v38, s[26:27]
	v_cndmask_b32_e64 v11, v11, v38, s[24:25]
	v_cndmask_b32_e64 v10, v10, v38, s[22:23]
	v_cndmask_b32_e64 v9, v9, v38, s[20:21]
	v_cndmask_b32_e64 v8, v8, v38, s[18:19]
	v_cndmask_b32_e64 v7, v7, v38, s[16:17]
	v_cndmask_b32_e64 v6, v6, v38, s[14:15]
	v_cndmask_b32_e64 v5, v5, v38, s[12:13]
	v_cndmask_b32_e64 v4, v4, v38, s[10:11]
	v_cndmask_b32_e64 v3, v3, v38, s[8:9]
	v_cndmask_b32_e64 v2, v2, v38, s[6:7]
	v_cndmask_b32_e32 v38, v0, v1, vcc
	v_cmp_eq_u32_e64 s[6:7], 2, v54
	v_cmp_eq_u32_e64 s[8:9], 3, v54
	v_cmp_eq_u32_e64 s[10:11], 4, v54
	v_cndmask_b32_e64 v38, v38, v2, s[6:7]
	v_cndmask_b32_e64 v38, v38, v3, s[8:9]
	v_cndmask_b32_e64 v38, v38, v4, s[10:11]
	v_cmp_eq_u32_e64 s[12:13], 5, v54
	v_cmp_eq_u32_e64 s[14:15], 6, v54
	v_cmp_eq_u32_e64 s[16:17], 7, v54
	v_cndmask_b32_e64 v38, v38, v5, s[12:13]
	v_cndmask_b32_e64 v38, v38, v6, s[14:15]
	v_cndmask_b32_e64 v38, v38, v7, s[16:17]
	v_cmp_eq_u32_e64 s[18:19], 8, v54
	v_cmp_eq_u32_e64 s[20:21], 9, v54
	v_cmp_eq_u32_e64 s[22:23], 10, v54
	v_cndmask_b32_e64 v38, v38, v8, s[18:19]
	v_cndmask_b32_e64 v38, v38, v9, s[20:21]
	v_cndmask_b32_e64 v38, v38, v10, s[22:23]
	v_cmp_eq_u32_e64 s[24:25], 11, v54
	v_cmp_eq_u32_e64 s[26:27], 12, v54
	v_cmp_eq_u32_e64 s[28:29], 13, v54
	v_cndmask_b32_e64 v38, v38, v11, s[24:25]
	v_cndmask_b32_e64 v38, v38, v12, s[26:27]
	v_cndmask_b32_e64 v38, v38, v13, s[28:29]
	v_cmp_eq_u32_e64 s[30:31], 14, v54
	;; [unrolled: 50-line block ×4, first 2 shown]
	v_cmp_eq_u32_e64 s[34:35], 15, v56
	s_nop 0
	v_cndmask_b32_e64 v38, v38, v14, s[30:31]
	v_cndmask_b32_e64 v38, v38, v15, s[34:35]
	ds_bpermute_b32 v38, v70, v38
	s_waitcnt lgkmcnt(0)
	v_cndmask_b32_e32 v1, v1, v38, vcc
	v_cmp_eq_u32_e32 vcc, 0, v56
	v_cndmask_b32_e64 v15, v15, v38, s[34:35]
	v_cndmask_b32_e64 v14, v14, v38, s[30:31]
	;; [unrolled: 1-line block ×14, first 2 shown]
	v_cndmask_b32_e32 v38, v0, v38, vcc
	v_cmp_eq_u32_e32 vcc, 1, v57
	v_cmp_eq_u32_e64 s[6:7], 2, v57
	v_cmp_eq_u32_e64 s[8:9], 3, v57
	v_cndmask_b32_e32 v0, v38, v1, vcc
	v_cndmask_b32_e64 v0, v0, v73, s[6:7]
	v_cndmask_b32_e64 v0, v0, v72, s[8:9]
	v_cmp_eq_u32_e64 s[10:11], 4, v57
	v_cmp_eq_u32_e64 s[12:13], 5, v57
	v_cmp_eq_u32_e64 s[14:15], 6, v57
	v_cndmask_b32_e64 v0, v0, v45, s[10:11]
	v_cndmask_b32_e64 v0, v0, v44, s[12:13]
	v_cndmask_b32_e64 v0, v0, v43, s[14:15]
	v_cmp_eq_u32_e64 s[16:17], 7, v57
	v_cmp_eq_u32_e64 s[18:19], 8, v57
	v_cmp_eq_u32_e64 s[20:21], 9, v57
	v_cndmask_b32_e64 v0, v0, v42, s[16:17]
	;; [unrolled: 6-line block ×4, first 2 shown]
	v_cndmask_b32_e64 v0, v0, v14, s[30:31]
	v_cndmask_b32_e64 v0, v0, v15, s[34:35]
	ds_bpermute_b32 v74, v70, v0
	s_waitcnt lgkmcnt(0)
	v_cndmask_b32_e32 v0, v1, v74, vcc
	v_cmp_eq_u32_e32 vcc, 0, v57
	v_cndmask_b32_e64 v4, v15, v74, s[34:35]
	v_cndmask_b32_e64 v15, v73, v74, s[6:7]
	v_cndmask_b32_e32 v1, v38, v74, vcc
	v_cmp_eq_u32_e32 vcc, 1, v58
	v_cndmask_b32_e64 v5, v14, v74, s[30:31]
	v_cndmask_b32_e64 v14, v72, v74, s[8:9]
	;; [unrolled: 4-line block ×7, first 2 shown]
	v_cndmask_b32_e32 v38, v38, v13, vcc
	v_cmp_eq_u32_e32 vcc, 7, v58
	s_nop 1
	v_cndmask_b32_e32 v38, v38, v12, vcc
	v_cmp_eq_u32_e32 vcc, 8, v58
	s_nop 1
	;; [unrolled: 3-line block ×9, first 2 shown]
	v_cndmask_b32_e32 v38, v38, v4, vcc
	ds_bpermute_b32 v38, v70, v38
	v_cmp_lt_i32_e32 vcc, s74, v59
	s_and_saveexec_b64 s[60:61], vcc
	s_cbranch_execz .LBB154_29
; %bb.21:                               ;   in Loop: Header=BB154_7 Depth=1
	s_mul_i32 s6, s72, s37
	s_ashr_i32 s7, s6, 31
	s_lshl_b64 s[6:7], s[6:7], 1
	v_cmp_eq_u32_e64 s[30:31], 1, v58
	s_add_u32 s8, s48, s6
	s_addc_u32 s9, s49, s7
	s_waitcnt lgkmcnt(0)
	v_cndmask_b32_e64 v0, v0, v38, s[30:31]
	v_cmp_eq_u32_e64 s[30:31], 0, v58
	s_ashr_i32 s55, s54, 31
	s_lshl_b64 s[6:7], s[54:55], 1
	v_cndmask_b32_e64 v1, v1, v38, s[30:31]
	v_cvt_f16_f32_e32 v39, v1
	v_cvt_f16_f32_sdwa v41, v0 dst_sel:WORD_1 dst_unused:UNUSED_PAD src0_sel:DWORD
	s_add_u32 s34, s8, s6
	s_addc_u32 s35, s9, s7
	v_cmp_eq_u32_e64 s[8:9], 15, v58
	v_cmp_eq_u32_e64 s[10:11], 14, v58
	;; [unrolled: 1-line block ×10, first 2 shown]
	v_cmp_eq_u32_e32 vcc, 5, v58
	v_cmp_eq_u32_e64 s[6:7], 4, v58
	v_cmp_eq_u32_e64 s[28:29], 3, v58
	;; [unrolled: 1-line block ×3, first 2 shown]
	v_lshl_add_u64 v[0:1], s[34:35], 0, v[16:17]
	v_cmp_lt_i32_e64 s[34:35], s74, v60
	v_lshl_add_u64 v[42:43], v[18:19], 1, v[0:1]
	v_or_b32_e32 v39, v41, v39
	;;#ASMSTART
	global_atomic_pk_add_f16 v[42:43], v39, off
	
	;;#ASMEND
	s_and_b64 exec, exec, s[34:35]
	s_cbranch_execz .LBB154_29
; %bb.22:                               ;   in Loop: Header=BB154_7 Depth=1
	v_cndmask_b32_e64 v14, v14, v38, s[28:29]
	v_cndmask_b32_e64 v15, v15, v38, s[30:31]
	v_cvt_f16_f32_e32 v39, v15
	v_cvt_f16_f32_sdwa v41, v14 dst_sel:WORD_1 dst_unused:UNUSED_PAD src0_sel:DWORD
	v_cndmask_b32_e64 v4, v4, v38, s[8:9]
	v_cndmask_b32_e64 v5, v5, v38, s[10:11]
	;; [unrolled: 1-line block ×10, first 2 shown]
	v_cndmask_b32_e32 v2, v2, v38, vcc
	v_cndmask_b32_e64 v3, v3, v38, s[6:7]
	v_cmp_lt_i32_e32 vcc, s74, v61
	v_lshl_add_u64 v[14:15], v[20:21], 1, v[0:1]
	v_or_b32_e32 v38, v41, v39
	;;#ASMSTART
	global_atomic_pk_add_f16 v[14:15], v38, off
	
	;;#ASMEND
	s_and_b64 exec, exec, vcc
	s_cbranch_execz .LBB154_29
; %bb.23:                               ;   in Loop: Header=BB154_7 Depth=1
	v_cvt_f16_f32_e32 v14, v3
	v_cvt_f16_f32_sdwa v15, v2 dst_sel:WORD_1 dst_unused:UNUSED_PAD src0_sel:DWORD
	v_cmp_lt_i32_e32 vcc, s74, v62
	v_lshl_add_u64 v[2:3], v[22:23], 1, v[0:1]
	v_or_b32_e32 v14, v15, v14
	;;#ASMSTART
	global_atomic_pk_add_f16 v[2:3], v14, off
	
	;;#ASMEND
	s_and_b64 exec, exec, vcc
	s_cbranch_execz .LBB154_29
; %bb.24:                               ;   in Loop: Header=BB154_7 Depth=1
	v_cvt_f16_f32_e32 v13, v13
	v_cvt_f16_f32_sdwa v12, v12 dst_sel:WORD_1 dst_unused:UNUSED_PAD src0_sel:DWORD
	;; [unrolled: 12-line block ×6, first 2 shown]
	v_lshl_add_u64 v[0:1], v[32:33], 1, v[0:1]
	v_or_b32_e32 v2, v3, v2
	;;#ASMSTART
	global_atomic_pk_add_f16 v[0:1], v2, off
	
	;;#ASMEND
.LBB154_29:                             ;   in Loop: Header=BB154_7 Depth=1
	s_or_b64 exec, exec, s[60:61]
	v_subrev_u32_e32 v71, s75, v71
.LBB154_30:                             ;   in Loop: Header=BB154_7 Depth=1
	s_or_b64 exec, exec, s[58:59]
.LBB154_31:                             ;   in Loop: Header=BB154_7 Depth=1
	s_andn2_saveexec_b64 s[6:7], s[56:57]
	s_cbranch_execz .LBB154_40
; %bb.32:                               ;   in Loop: Header=BB154_7 Depth=1
	v_cmp_gt_i32_e32 vcc, s75, v71
	s_and_saveexec_b64 s[8:9], vcc
	s_cbranch_execz .LBB154_39
; %bb.33:                               ;   in Loop: Header=BB154_7 Depth=1
	s_mul_i32 s10, s54, s39
	s_ashr_i32 s11, s10, 31
	s_waitcnt lgkmcnt(0)
	s_add_u32 s10, s46, s10
	s_addc_u32 s11, s47, s11
	s_ashr_i32 s12, s73, 31
	s_add_u32 s10, s10, s73
	s_addc_u32 s11, s11, s12
	v_lshl_add_u64 v[0:1], s[10:11], 0, v[36:37]
	v_lshl_add_u64 v[8:9], v[0:1], 0, v[34:35]
	s_mov_b64 s[10:11], 0
	s_branch .LBB154_35
.LBB154_34:                             ;   in Loop: Header=BB154_35 Depth=2
	s_or_b64 exec, exec, s[12:13]
	v_lshl_add_u32 v12, v10, 11, v67
	;;#ASMSTART
	s_waitcnt vmcnt(1)
	;;#ASMEND
	ds_write2_b32 v12, v4, v5 offset1:32
	ds_write2_b32 v12, v6, v7 offset0:64 offset1:96
	v_add_u32_e32 v4, 0x400, v12
	v_add_u32_e32 v71, s42, v71
	;;#ASMSTART
	s_waitcnt vmcnt(0)
	;;#ASMEND
	ds_write2_b32 v4, v0, v1 offset1:32
	ds_write2_b32 v4, v2, v3 offset0:64 offset1:96
	v_add_u32_e32 v0, 1, v47
	v_add_u32_e32 v40, s42, v10
	v_cmp_le_i32_e32 vcc, s75, v71
	ds_write_b32 v11, v0 offset:24
	v_add_u32_e32 v0, 2, v47
	s_or_b64 s[10:11], vcc, s[10:11]
	v_cmp_lt_i32_e32 vcc, 2, v40
	s_nop 1
	v_cndmask_b32_e32 v47, v47, v0, vcc
	s_andn2_b64 exec, exec, s[10:11]
	s_cbranch_execz .LBB154_38
.LBB154_35:                             ;   Parent Loop BB154_7 Depth=1
                                        ; =>  This Loop Header: Depth=2
                                        ;       Child Loop BB154_37 Depth 3
	v_cmp_gt_i32_e32 vcc, 3, v40
	s_nop 1
	v_cndmask_b32_e64 v0, -3, 0, vcc
	v_add_u32_e32 v10, v0, v40
	v_lshlrev_b32_e32 v0, 6, v71
	v_ashrrev_i32_e32 v1, 31, v0
	v_lshl_add_u64 v[0:1], v[8:9], 0, v[0:1]
	v_lshlrev_b32_e32 v11, 2, v10
	;;#ASMSTART
	global_load_dwordx4 v[4:7], v[0:1], off offset:0   sc0 sc1 nt  
	global_load_dwordx4 v[0:3], v[0:1], off offset:32  sc0 sc1 nt  
	
	;;#ASMEND
	ds_read_b32 v12, v11 offset:18456
	v_add_u32_e32 v11, 0x4800, v11
	s_waitcnt lgkmcnt(0)
	v_cmp_ne_u32_e32 vcc, v12, v47
	s_and_saveexec_b64 s[12:13], vcc
	s_cbranch_execz .LBB154_34
; %bb.36:                               ;   in Loop: Header=BB154_35 Depth=2
	s_mov_b64 s[14:15], 0
.LBB154_37:                             ;   Parent Loop BB154_7 Depth=1
                                        ;     Parent Loop BB154_35 Depth=2
                                        ; =>    This Inner Loop Header: Depth=3
	;;#ASMSTART
	s_sleep 0
	;;#ASMEND
	ds_read_b32 v12, v11 offset:24
	s_waitcnt lgkmcnt(0)
	v_cmp_eq_u32_e32 vcc, v12, v47
	s_or_b64 s[14:15], vcc, s[14:15]
	s_andn2_b64 exec, exec, s[14:15]
	s_cbranch_execnz .LBB154_37
	s_branch .LBB154_34
.LBB154_38:                             ;   in Loop: Header=BB154_7 Depth=1
	s_or_b64 exec, exec, s[10:11]
.LBB154_39:                             ;   in Loop: Header=BB154_7 Depth=1
	s_or_b64 exec, exec, s[8:9]
	v_subrev_u32_e32 v71, s75, v71
.LBB154_40:                             ;   in Loop: Header=BB154_7 Depth=1
	s_or_b64 exec, exec, s[6:7]
.LBB154_41:                             ;   in Loop: Header=BB154_7 Depth=1
	s_andn2_saveexec_b64 s[6:7], s[52:53]
	s_cbranch_execz .LBB154_6
; %bb.42:                               ;   in Loop: Header=BB154_7 Depth=1
	s_lshl_b32 s16, s75, 1
	v_cmp_gt_i32_e32 vcc, s16, v71
	s_and_saveexec_b64 s[8:9], vcc
	s_cbranch_execz .LBB154_5
; %bb.43:                               ;   in Loop: Header=BB154_7 Depth=1
	s_mul_i32 s72, s72, s38
	s_max_i32 s12, s74, 0
	s_ashr_i32 s10, s72, 31
	s_waitcnt lgkmcnt(0)
	s_add_u32 s11, s44, s72
	v_add_u32_e32 v2, s12, v48
	s_addc_u32 s13, s45, s10
	s_ashr_i32 s14, s73, 31
	v_cmp_gt_u32_e32 vcc, 64, v2
	s_add_u32 s10, s11, s73
	s_addc_u32 s11, s13, s14
	v_cndmask_b32_e32 v0, 0, v68, vcc
	v_ashrrev_i32_e32 v1, 31, v0
	v_lshl_add_u64 v[0:1], s[10:11], 0, v[0:1]
	v_lshl_add_u64 v[8:9], v[0:1], 0, v[34:35]
	v_sub_u32_e32 v10, 63, v2
	s_mov_b64 s[10:11], 0
	s_branch .LBB154_45
.LBB154_44:                             ;   in Loop: Header=BB154_45 Depth=2
	s_or_b64 exec, exec, s[12:13]
	v_lshl_or_b32 v13, v11, 11, v69
	;;#ASMSTART
	s_waitcnt vmcnt(1)
	;;#ASMEND
	ds_write2_b32 v13, v4, v5 offset1:32
	ds_write2_b32 v13, v6, v7 offset0:64 offset1:96
	v_add_u32_e32 v4, 0x400, v13
	v_add_u32_e32 v71, s41, v71
	;;#ASMSTART
	s_waitcnt vmcnt(0)
	;;#ASMEND
	ds_write2_b32 v4, v0, v1 offset1:32
	ds_write2_b32 v4, v2, v3 offset0:64 offset1:96
	v_add_u32_e32 v0, 1, v47
	v_add_u32_e32 v40, s41, v11
	v_cmp_le_i32_e32 vcc, s16, v71
	ds_write_b32 v12, v0
	v_add_u32_e32 v0, 2, v47
	s_or_b64 s[10:11], vcc, s[10:11]
	v_cmp_lt_i32_e32 vcc, 5, v40
	s_nop 1
	v_cndmask_b32_e32 v47, v47, v0, vcc
	s_andn2_b64 exec, exec, s[10:11]
	s_cbranch_execz .LBB154_4
.LBB154_45:                             ;   Parent Loop BB154_7 Depth=1
                                        ; =>  This Loop Header: Depth=2
                                        ;       Child Loop BB154_47 Depth 3
	v_cmp_gt_i32_e32 vcc, 6, v40
	s_nop 1
	v_cndmask_b32_e64 v0, -6, 0, vcc
	v_add_u32_e32 v11, v0, v40
	v_lshrrev_b32_e32 v0, 31, v71
	v_add_u32_e32 v0, v71, v0
	v_and_b32_e32 v1, 0x7fffffe, v0
	v_sub_u32_e32 v1, v71, v1
	v_lshlrev_b32_e32 v1, 5, v1
	v_cmp_le_i32_e32 vcc, v1, v10
	v_lshlrev_b32_e32 v0, 5, v0
	v_and_b32_e32 v0, 0xffffffc0, v0
	v_cndmask_b32_e32 v2, 0, v1, vcc
	v_ashrrev_i32_e32 v1, 31, v0
	v_mul_lo_u32 v2, v2, s38
	v_lshl_add_u64 v[0:1], v[8:9], 0, v[0:1]
	v_ashrrev_i32_e32 v3, 31, v2
	v_lshl_add_u64 v[0:1], v[0:1], 0, v[2:3]
	v_lshlrev_b32_e32 v12, 2, v11
	;;#ASMSTART
	global_load_dwordx4 v[4:7], v[0:1], off offset:0   
	global_load_dwordx4 v[0:3], v[0:1], off offset:32  
	
	;;#ASMEND
	ds_read_b32 v13, v12 offset:18432
	v_add_u32_e32 v12, 0x4800, v12
	s_waitcnt lgkmcnt(0)
	v_cmp_ne_u32_e32 vcc, v13, v47
	s_and_saveexec_b64 s[12:13], vcc
	s_cbranch_execz .LBB154_44
; %bb.46:                               ;   in Loop: Header=BB154_45 Depth=2
	s_mov_b64 s[14:15], 0
.LBB154_47:                             ;   Parent Loop BB154_7 Depth=1
                                        ;     Parent Loop BB154_45 Depth=2
                                        ; =>    This Inner Loop Header: Depth=3
	;;#ASMSTART
	s_sleep 0
	;;#ASMEND
	ds_read_b32 v13, v12
	s_waitcnt lgkmcnt(0)
	v_cmp_eq_u32_e32 vcc, v13, v47
	s_or_b64 s[14:15], vcc, s[14:15]
	s_andn2_b64 exec, exec, s[14:15]
	s_cbranch_execnz .LBB154_47
	s_branch .LBB154_44
.LBB154_48:
	s_endpgm
	.section	.rodata,"a",@progbits
	.p2align	6, 0x0
	.amdhsa_kernel _Z19_skinny_gemm_kernelILi2ELi1ELi3ELi32ELi4EEvPKhS1_P6__halfPKfiiiiiiii
		.amdhsa_group_segment_fixed_size 18468
		.amdhsa_private_segment_fixed_size 0
		.amdhsa_kernarg_size 64
		.amdhsa_user_sgpr_count 2
		.amdhsa_user_sgpr_dispatch_ptr 0
		.amdhsa_user_sgpr_queue_ptr 0
		.amdhsa_user_sgpr_kernarg_segment_ptr 1
		.amdhsa_user_sgpr_dispatch_id 0
		.amdhsa_user_sgpr_kernarg_preload_length 0
		.amdhsa_user_sgpr_kernarg_preload_offset 0
		.amdhsa_user_sgpr_private_segment_size 0
		.amdhsa_uses_dynamic_stack 0
		.amdhsa_enable_private_segment 0
		.amdhsa_system_sgpr_workgroup_id_x 1
		.amdhsa_system_sgpr_workgroup_id_y 0
		.amdhsa_system_sgpr_workgroup_id_z 0
		.amdhsa_system_sgpr_workgroup_info 0
		.amdhsa_system_vgpr_workitem_id 0
		.amdhsa_next_free_vgpr 79
		.amdhsa_next_free_sgpr 76
		.amdhsa_accum_offset 80
		.amdhsa_reserve_vcc 1
		.amdhsa_float_round_mode_32 0
		.amdhsa_float_round_mode_16_64 0
		.amdhsa_float_denorm_mode_32 3
		.amdhsa_float_denorm_mode_16_64 3
		.amdhsa_dx10_clamp 1
		.amdhsa_ieee_mode 1
		.amdhsa_fp16_overflow 0
		.amdhsa_tg_split 0
		.amdhsa_exception_fp_ieee_invalid_op 0
		.amdhsa_exception_fp_denorm_src 0
		.amdhsa_exception_fp_ieee_div_zero 0
		.amdhsa_exception_fp_ieee_overflow 0
		.amdhsa_exception_fp_ieee_underflow 0
		.amdhsa_exception_fp_ieee_inexact 0
		.amdhsa_exception_int_div_zero 0
	.end_amdhsa_kernel
	.section	.text._Z19_skinny_gemm_kernelILi2ELi1ELi3ELi32ELi4EEvPKhS1_P6__halfPKfiiiiiiii,"axG",@progbits,_Z19_skinny_gemm_kernelILi2ELi1ELi3ELi32ELi4EEvPKhS1_P6__halfPKfiiiiiiii,comdat
.Lfunc_end154:
	.size	_Z19_skinny_gemm_kernelILi2ELi1ELi3ELi32ELi4EEvPKhS1_P6__halfPKfiiiiiiii, .Lfunc_end154-_Z19_skinny_gemm_kernelILi2ELi1ELi3ELi32ELi4EEvPKhS1_P6__halfPKfiiiiiiii
                                        ; -- End function
	.set _Z19_skinny_gemm_kernelILi2ELi1ELi3ELi32ELi4EEvPKhS1_P6__halfPKfiiiiiiii.num_vgpr, 79
	.set _Z19_skinny_gemm_kernelILi2ELi1ELi3ELi32ELi4EEvPKhS1_P6__halfPKfiiiiiiii.num_agpr, 0
	.set _Z19_skinny_gemm_kernelILi2ELi1ELi3ELi32ELi4EEvPKhS1_P6__halfPKfiiiiiiii.numbered_sgpr, 76
	.set _Z19_skinny_gemm_kernelILi2ELi1ELi3ELi32ELi4EEvPKhS1_P6__halfPKfiiiiiiii.num_named_barrier, 0
	.set _Z19_skinny_gemm_kernelILi2ELi1ELi3ELi32ELi4EEvPKhS1_P6__halfPKfiiiiiiii.private_seg_size, 0
	.set _Z19_skinny_gemm_kernelILi2ELi1ELi3ELi32ELi4EEvPKhS1_P6__halfPKfiiiiiiii.uses_vcc, 1
	.set _Z19_skinny_gemm_kernelILi2ELi1ELi3ELi32ELi4EEvPKhS1_P6__halfPKfiiiiiiii.uses_flat_scratch, 0
	.set _Z19_skinny_gemm_kernelILi2ELi1ELi3ELi32ELi4EEvPKhS1_P6__halfPKfiiiiiiii.has_dyn_sized_stack, 0
	.set _Z19_skinny_gemm_kernelILi2ELi1ELi3ELi32ELi4EEvPKhS1_P6__halfPKfiiiiiiii.has_recursion, 0
	.set _Z19_skinny_gemm_kernelILi2ELi1ELi3ELi32ELi4EEvPKhS1_P6__halfPKfiiiiiiii.has_indirect_call, 0
	.section	.AMDGPU.csdata,"",@progbits
; Kernel info:
; codeLenInByte = 6040
; TotalNumSgprs: 82
; NumVgprs: 79
; NumAgprs: 0
; TotalNumVgprs: 79
; ScratchSize: 0
; MemoryBound: 0
; FloatMode: 240
; IeeeMode: 1
; LDSByteSize: 18468 bytes/workgroup (compile time only)
; SGPRBlocks: 10
; VGPRBlocks: 9
; NumSGPRsForWavesPerEU: 82
; NumVGPRsForWavesPerEU: 79
; AccumOffset: 80
; Occupancy: 6
; WaveLimiterHint : 0
; COMPUTE_PGM_RSRC2:SCRATCH_EN: 0
; COMPUTE_PGM_RSRC2:USER_SGPR: 2
; COMPUTE_PGM_RSRC2:TRAP_HANDLER: 0
; COMPUTE_PGM_RSRC2:TGID_X_EN: 1
; COMPUTE_PGM_RSRC2:TGID_Y_EN: 0
; COMPUTE_PGM_RSRC2:TGID_Z_EN: 0
; COMPUTE_PGM_RSRC2:TIDIG_COMP_CNT: 0
; COMPUTE_PGM_RSRC3_GFX90A:ACCUM_OFFSET: 19
; COMPUTE_PGM_RSRC3_GFX90A:TG_SPLIT: 0
	.section	.text._Z19_skinny_gemm_kernelILi2ELi1ELi3ELi32ELi8EEvPKhS1_P6__halfPKfiiiiiiii,"axG",@progbits,_Z19_skinny_gemm_kernelILi2ELi1ELi3ELi32ELi8EEvPKhS1_P6__halfPKfiiiiiiii,comdat
	.protected	_Z19_skinny_gemm_kernelILi2ELi1ELi3ELi32ELi8EEvPKhS1_P6__halfPKfiiiiiiii ; -- Begin function _Z19_skinny_gemm_kernelILi2ELi1ELi3ELi32ELi8EEvPKhS1_P6__halfPKfiiiiiiii
	.globl	_Z19_skinny_gemm_kernelILi2ELi1ELi3ELi32ELi8EEvPKhS1_P6__halfPKfiiiiiiii
	.p2align	8
	.type	_Z19_skinny_gemm_kernelILi2ELi1ELi3ELi32ELi8EEvPKhS1_P6__halfPKfiiiiiiii,@function
_Z19_skinny_gemm_kernelILi2ELi1ELi3ELi32ELi8EEvPKhS1_P6__halfPKfiiiiiiii: ; @_Z19_skinny_gemm_kernelILi2ELi1ELi3ELi32ELi8EEvPKhS1_P6__halfPKfiiiiiiii
; %bb.0:
	v_cmp_gt_u32_e32 vcc, 9, v0
	s_and_saveexec_b64 s[4:5], vcc
; %bb.1:
	v_lshlrev_b32_e32 v1, 2, v0
	v_mov_b32_e32 v2, 0
	ds_write_b32 v1, v2 offset:36864
; %bb.2:
	s_or_b64 exec, exec, s[4:5]
	s_load_dwordx8 s[36:43], s[0:1], 0x20
	s_waitcnt lgkmcnt(0)
	s_barrier
	s_add_i32 s3, s36, 63
	s_ashr_i32 s5, s3, 31
	s_add_i32 s4, s37, 31
	s_lshr_b32 s5, s5, 26
	s_ashr_i32 s6, s4, 31
	s_add_i32 s3, s3, s5
	s_ashr_i32 s33, s3, 6
	s_lshr_b32 s3, s6, 27
	s_add_i32 s4, s4, s3
	s_ashr_i32 s62, s4, 5
	s_mul_i32 s3, s62, s33
	s_mul_i32 s3, s3, s40
	s_add_i32 s4, s3, 0x12f
	s_mul_hi_i32 s4, s4, 0x6bca1af3
	s_lshr_b32 s5, s4, 31
	s_ashr_i32 s4, s4, 7
	s_add_i32 s4, s4, s5
	s_add_i32 s5, s2, 1
	s_mul_i32 s5, s4, s5
	v_cvt_f64_i32_e32 v[2:3], s3
	v_cvt_f64_u32_e32 v[4:5], s5
	v_min_f64 v[2:3], v[2:3], v[4:5]
	v_cvt_i32_f64_e32 v54, v[2:3]
	s_mul_i32 s63, s4, s2
	v_cmp_ge_i32_e32 vcc, s63, v54
	s_cbranch_vccnz .LBB155_48
; %bb.3:
	v_lshrrev_b32_e32 v1, 6, v0
	s_add_i32 s4, s42, s41
	s_load_dwordx8 s[44:51], s[0:1], 0x0
	v_cmp_le_i32_e64 s[0:1], s4, v1
	v_mov_b32_e32 v2, s41
	v_cmp_le_i32_e64 s[2:3], s41, v1
	v_mov_b32_e32 v3, s42
	v_cndmask_b32_e64 v3, 0, v3, s[0:1]
	v_cndmask_b32_e64 v2, 0, v2, s[2:3]
	s_abs_i32 s5, s40
	v_add_u32_e32 v2, v2, v3
	v_cvt_f32_u32_e32 v3, s5
	v_sub_u32_e32 v40, v1, v2
	s_ashr_i32 s6, s38, 31
	s_lshr_b32 s6, s6, 25
	v_rcp_iflag_f32_e32 v2, v3
	s_sub_i32 s9, 0, s5
	s_add_i32 s6, s38, s6
	s_ashr_i32 s6, s6, 7
	v_mul_f32_e32 v2, 0x4f7ffffe, v2
	v_cvt_u32_f32_e32 v2, v2
	s_abs_i32 s8, s6
	s_xor_b32 s7, s6, s40
	s_ashr_i32 s7, s7, 31
	v_readfirstlane_b32 s10, v2
	s_mul_i32 s9, s9, s10
	s_mul_hi_u32 s9, s10, s9
	s_add_i32 s10, s10, s9
	s_mul_hi_u32 s9, s8, s10
	s_mul_i32 s10, s9, s5
	s_sub_i32 s8, s8, s10
	s_add_i32 s10, s9, 1
	s_sub_i32 s11, s8, s5
	s_cmp_ge_u32 s8, s5
	s_cselect_b32 s9, s10, s9
	s_cselect_b32 s8, s11, s8
	s_add_i32 s10, s9, 1
	s_cmp_ge_u32 s8, s5
	s_cselect_b32 s5, s10, s9
	s_xor_b32 s5, s5, s7
	s_sub_i32 s64, s5, s7
	s_add_i32 s40, s40, -1
	s_mul_i32 s5, s64, s40
	s_add_i32 s4, s4, s43
	v_and_b32_e32 v56, 31, v0
	v_lshrrev_b32_e32 v2, 3, v0
	s_sub_i32 s65, s6, s5
	v_cmp_gt_i32_e64 s[4:5], s4, v1
	v_lshlrev_b32_e32 v1, 2, v56
	v_and_b32_e32 v3, 4, v2
	v_and_b32_e32 v5, 1, v0
	v_lshlrev_b32_e32 v2, 6, v3
	v_or_b32_e32 v4, 0x6000, v1
	v_or_b32_e32 v3, v3, v5
	;; [unrolled: 1-line block ×4, first 2 shown]
	v_lshlrev_b32_e32 v2, 1, v5
	v_or_b32_e32 v5, 2, v3
	v_sub_u32_e32 v68, 32, v5
	v_or_b32_e32 v5, 8, v3
	v_sub_u32_e32 v69, 32, v5
	;; [unrolled: 2-line block ×5, first 2 shown]
	v_mul_lo_u32 v18, s37, v3
	v_sub_u32_e32 v72, 32, v5
	v_or_b32_e32 v5, 24, v3
	v_or_b32_e32 v3, 26, v3
	v_sub_u32_e32 v74, 32, v3
	v_lshrrev_b32_e32 v3, 1, v0
	s_abs_i32 s66, s33
	v_and_b32_e32 v34, 16, v3
	v_cvt_f32_u32_e32 v3, s66
	v_sub_u32_e32 v2, v0, v2
	v_add_u32_e32 v2, 1, v2
	v_and_b32_e32 v6, 63, v2
	v_bitop3_b32 v59, v0, 1, v0 bitop3:0xc
	v_bitop3_b32 v60, v0, 3, 1 bitop3:0x6c
	;; [unrolled: 1-line block ×8, first 2 shown]
	v_and_b32_e32 v2, 30, v0
	v_lshlrev_b32_e32 v0, 4, v0
	v_and_b32_e32 v0, 0x200, v0
	v_rcp_iflag_f32_e32 v3, v3
	s_abs_i32 s67, s62
	v_or_b32_e32 v77, v1, v0
	v_cvt_f32_u32_e32 v1, s67
	s_lshl_b32 s6, s37, 1
	v_add_u32_e32 v20, s6, v18
	s_mul_i32 s7, s37, 6
	v_or_b32_e32 v75, v4, v0
	v_mul_f32_e32 v0, 0x4f7ffffe, v3
	v_add_u32_e32 v22, s7, v20
	v_cvt_u32_f32_e32 v0, v0
	v_rcp_iflag_f32_e32 v1, v1
	v_add_u32_e32 v24, s6, v22
	v_add_u32_e32 v26, s7, v24
	;; [unrolled: 1-line block ×4, first 2 shown]
	v_readfirstlane_b32 s7, v0
	v_mul_f32_e32 v0, 0x4f7ffffe, v1
	v_cvt_u32_f32_e32 v0, v0
	v_add_u32_e32 v32, s6, v30
	s_sub_i32 s6, 0, s66
	s_mul_i32 s6, s6, s7
	s_mul_hi_u32 s6, s7, s6
	s_add_i32 s69, s7, s6
	s_sub_i32 s6, 0, s67
	v_readfirstlane_b32 s7, v0
	v_mbcnt_lo_u32_b32 v0, -1, 0
	s_mul_i32 s6, s6, s7
	v_mbcnt_hi_u32_b32 v0, -1, v0
	v_mov_b32_e32 v17, 0
	v_mul_lo_u32 v36, s39, v56
	s_mul_hi_u32 s6, s7, s6
	v_and_or_b32 v0, v0, 64, v6
	v_cndmask_b32_e64 v55, 0, 1, s[0:1]
	v_ashrrev_i32_e32 v19, 31, v18
	v_ashrrev_i32_e32 v21, 31, v20
	;; [unrolled: 1-line block ×6, first 2 shown]
	v_sub_u32_e32 v73, 32, v5
	v_ashrrev_i32_e32 v31, 31, v30
	v_ashrrev_i32_e32 v33, 31, v32
	;; [unrolled: 1-line block ×3, first 2 shown]
	v_mov_b32_e32 v35, v17
	v_mul_lo_u32 v76, s38, v56
	s_ashr_i32 s68, s33, 31
	s_ashr_i32 s70, s62, 31
	s_add_i32 s71, s7, s6
	v_lshlrev_b32_e32 v16, 1, v2
	v_lshlrev_b32_e32 v78, 2, v0
	v_mov_b32_e32 v79, v40
	s_branch .LBB155_7
.LBB155_4:                              ;   in Loop: Header=BB155_7 Depth=1
	s_or_b64 exec, exec, s[10:11]
.LBB155_5:                              ;   in Loop: Header=BB155_7 Depth=1
	s_or_b64 exec, exec, s[8:9]
	v_subrev_u32_e32 v79, s16, v79
.LBB155_6:                              ;   in Loop: Header=BB155_7 Depth=1
	s_or_b64 exec, exec, s[6:7]
	s_add_i32 s63, s63, 1
	v_cmp_ge_i32_e32 vcc, s63, v54
	s_cbranch_vccnz .LBB155_48
.LBB155_7:                              ; =>This Loop Header: Depth=1
                                        ;     Child Loop BB155_13 Depth 2
                                        ;       Child Loop BB155_15 Depth 3
                                        ;       Child Loop BB155_18 Depth 3
                                        ;     Child Loop BB155_35 Depth 2
                                        ;       Child Loop BB155_37 Depth 3
                                        ;     Child Loop BB155_45 Depth 2
                                        ;       Child Loop BB155_47 Depth 3
	s_abs_i32 s7, s63
	s_mul_hi_u32 s8, s7, s69
	s_mul_i32 s9, s8, s66
	s_ashr_i32 s6, s63, 31
	s_sub_i32 s7, s7, s9
	s_xor_b32 s6, s6, s68
	s_add_i32 s9, s8, 1
	s_sub_i32 s10, s7, s66
	s_cmp_ge_u32 s7, s66
	s_cselect_b32 s8, s9, s8
	s_cselect_b32 s7, s10, s7
	s_add_i32 s9, s8, 1
	s_cmp_ge_u32 s7, s66
	s_cselect_b32 s7, s9, s8
	s_xor_b32 s7, s7, s6
	s_sub_i32 s6, s7, s6
	s_abs_i32 s8, s6
	s_mul_i32 s7, s6, s33
	s_mul_hi_u32 s9, s8, s71
	s_sub_i32 s7, s63, s7
	s_mul_i32 s10, s9, s67
	s_lshl_b32 s72, s7, 6
	s_ashr_i32 s7, s6, 31
	s_sub_i32 s8, s8, s10
	s_xor_b32 s7, s7, s70
	s_add_i32 s10, s9, 1
	s_sub_i32 s11, s8, s67
	s_cmp_ge_u32 s8, s67
	s_cselect_b32 s9, s10, s9
	s_cselect_b32 s8, s11, s8
	s_add_i32 s10, s9, 1
	s_cmp_ge_u32 s8, s67
	s_cselect_b32 s8, s10, s9
	s_xor_b32 s8, s8, s7
	s_sub_i32 s7, s8, s7
	s_mul_i32 s8, s7, s64
	s_lshl_b32 s73, s8, 7
	s_cmp_eq_u32 s7, s40
	s_cselect_b32 s75, s65, s64
	s_sub_i32 s74, s72, s36
	s_add_i32 s74, s74, 64
	s_and_saveexec_b64 s[8:9], s[2:3]
	s_xor_b64 s[52:53], exec, s[8:9]
	s_cbranch_execz .LBB155_41
; %bb.8:                                ;   in Loop: Header=BB155_7 Depth=1
	s_mul_i32 s7, s7, s62
	s_sub_i32 s6, s6, s7
	s_lshl_b32 s6, s6, 5
	s_sub_i32 s14, s6, s37
	s_add_i32 s14, s14, 32
	s_max_i32 s7, s14, 0
	s_sub_i32 s54, s6, s7
	s_and_saveexec_b64 s[6:7], s[0:1]
	s_xor_b64 s[56:57], exec, s[6:7]
	s_cbranch_execz .LBB155_31
; %bb.9:                                ;   in Loop: Header=BB155_7 Depth=1
	s_and_saveexec_b64 s[58:59], s[4:5]
	s_cbranch_execz .LBB155_30
; %bb.10:                               ;   in Loop: Header=BB155_7 Depth=1
	s_waitcnt lgkmcnt(0)
	global_load_dword v80, v17, s[50:51]
	v_mov_b32_e32 v15, 0
	v_cmp_gt_i32_e32 vcc, s75, v79
	v_mov_b32_e32 v14, v15
	v_mov_b32_e32 v13, v15
	;; [unrolled: 1-line block ×15, first 2 shown]
	s_and_saveexec_b64 s[6:7], vcc
	s_cbranch_execz .LBB155_20
; %bb.11:                               ;   in Loop: Header=BB155_7 Depth=1
	v_mov_b32_e32 v0, 0
	s_mov_b64 s[8:9], 0
	v_mov_b32_e32 v1, v0
	v_mov_b32_e32 v2, v0
	;; [unrolled: 1-line block ×15, first 2 shown]
	s_branch .LBB155_13
.LBB155_12:                             ;   in Loop: Header=BB155_13 Depth=2
	s_or_b64 exec, exec, s[10:11]
	v_add_u32_e32 v86, v58, v84
	ds_read2_b32 v[84:85], v86 offset1:32
	v_add_u32_e32 v79, s43, v79
	s_waitcnt lgkmcnt(0)
	v_mfma_f32_32x32x16_fp8_fp8 v[0:15], v[52:53], v[84:85], v[0:15]
	ds_read2_b32 v[52:53], v86 offset0:128 offset1:160
	s_waitcnt lgkmcnt(0)
	v_mfma_f32_32x32x16_fp8_fp8 v[0:15], v[50:51], v[52:53], v[0:15]
	v_add_u32_e32 v52, 0x400, v86
	ds_read2_b32 v[50:51], v52 offset1:32
	s_waitcnt lgkmcnt(0)
	v_mfma_f32_32x32x16_fp8_fp8 v[0:15], v[48:49], v[50:51], v[0:15]
	ds_read2_b32 v[48:49], v52 offset0:128 offset1:160
	s_waitcnt lgkmcnt(0)
	v_mfma_f32_32x32x16_fp8_fp8 v[0:15], v[46:47], v[48:49], v[0:15]
	v_add_u32_e32 v48, 0x800, v86
	ds_read2_b32 v[46:47], v48 offset1:32
	;; [unrolled: 7-line block ×3, first 2 shown]
	ds_read2_b32 v[44:45], v44 offset0:128 offset1:160
	ds_write_b32 v82, v83 offset:36868
	s_waitcnt lgkmcnt(2)
	v_mfma_f32_32x32x16_fp8_fp8 v[0:15], v[40:41], v[42:43], v[0:15]
	v_add_u32_e32 v40, s43, v81
	v_add_u32_e32 v41, 2, v55
	v_cmp_lt_i32_e32 vcc, 2, v40
	s_nop 1
	v_cndmask_b32_e32 v55, v55, v41, vcc
	v_cmp_le_i32_e32 vcc, s75, v79
	s_waitcnt lgkmcnt(1)
	v_mfma_f32_32x32x16_fp8_fp8 v[0:15], v[38:39], v[44:45], v[0:15]
	s_or_b64 s[8:9], vcc, s[8:9]
	s_andn2_b64 exec, exec, s[8:9]
	s_cbranch_execz .LBB155_19
.LBB155_13:                             ;   Parent Loop BB155_7 Depth=1
                                        ; =>  This Loop Header: Depth=2
                                        ;       Child Loop BB155_15 Depth 3
                                        ;       Child Loop BB155_18 Depth 3
	v_cmp_gt_i32_e32 vcc, 3, v40
	s_nop 1
	v_cndmask_b32_e64 v38, -3, 0, vcc
	v_add_u32_e32 v81, v38, v40
	v_lshlrev_b32_e32 v82, 3, v81
	ds_read_b32 v38, v82 offset:36864
	s_waitcnt lgkmcnt(0)
	v_cmp_ne_u32_e32 vcc, v38, v55
	s_and_saveexec_b64 s[10:11], vcc
	s_cbranch_execz .LBB155_16
; %bb.14:                               ;   in Loop: Header=BB155_13 Depth=2
	s_mov_b64 s[12:13], 0
.LBB155_15:                             ;   Parent Loop BB155_7 Depth=1
                                        ;     Parent Loop BB155_13 Depth=2
                                        ; =>    This Inner Loop Header: Depth=3
	;;#ASMSTART
	s_sleep 0
	;;#ASMEND
	ds_read_b32 v38, v82 offset:36864
	s_waitcnt lgkmcnt(0)
	v_cmp_eq_u32_e32 vcc, v38, v55
	s_or_b64 s[12:13], vcc, s[12:13]
	s_andn2_b64 exec, exec, s[12:13]
	s_cbranch_execnz .LBB155_15
.LBB155_16:                             ;   in Loop: Header=BB155_13 Depth=2
	s_or_b64 exec, exec, s[10:11]
	v_lshlrev_b32_e32 v84, 12, v81
	v_or_b32_e32 v38, v57, v84
	v_add_u32_e32 v39, 0x400, v38
	ds_read2_b32 v[52:53], v38 offset1:32
	ds_read2_b32 v[50:51], v38 offset0:128 offset1:160
	ds_read2_b32 v[48:49], v39 offset1:32
	ds_read2_b32 v[46:47], v39 offset0:128 offset1:160
	v_add_u32_e32 v39, 0x800, v38
	v_add_u32_e32 v38, 0xc00, v38
	ds_read2_b32 v[44:45], v39 offset1:32
	ds_read2_b32 v[42:43], v39 offset0:128 offset1:160
	ds_read2_b32 v[40:41], v38 offset1:32
	ds_read_b32 v85, v82 offset:36868
	ds_read2_b32 v[38:39], v38 offset0:128 offset1:160
	v_add_u32_e32 v83, 1, v55
	ds_write_b32 v82, v83 offset:36864
	s_waitcnt lgkmcnt(2)
	v_cmp_ne_u32_e32 vcc, v85, v55
	s_and_saveexec_b64 s[10:11], vcc
	s_cbranch_execz .LBB155_12
; %bb.17:                               ;   in Loop: Header=BB155_13 Depth=2
	s_mov_b64 s[12:13], 0
.LBB155_18:                             ;   Parent Loop BB155_7 Depth=1
                                        ;     Parent Loop BB155_13 Depth=2
                                        ; =>    This Inner Loop Header: Depth=3
	;;#ASMSTART
	s_sleep 0
	;;#ASMEND
	ds_read_b32 v85, v82 offset:36868
	s_waitcnt lgkmcnt(0)
	v_cmp_eq_u32_e32 vcc, v85, v55
	s_or_b64 s[12:13], vcc, s[12:13]
	s_andn2_b64 exec, exec, s[12:13]
	s_cbranch_execnz .LBB155_18
	s_branch .LBB155_12
.LBB155_19:                             ;   in Loop: Header=BB155_7 Depth=1
	s_or_b64 exec, exec, s[8:9]
.LBB155_20:                             ;   in Loop: Header=BB155_7 Depth=1
	s_or_b64 exec, exec, s[6:7]
	v_cmp_le_i32_e32 vcc, s14, v56
	v_cmp_eq_u32_e64 s[6:7], 3, v59
	v_cmp_eq_u32_e64 s[8:9], 4, v59
	s_waitcnt vmcnt(0)
	v_cndmask_b32_e32 v38, 0, v80, vcc
	s_nop 1
	v_pk_mul_f32 v[0:1], v[38:39], v[0:1] op_sel_hi:[0,1]
	v_cmp_eq_u32_e32 vcc, 1, v59
	v_pk_mul_f32 v[14:15], v[38:39], v[14:15] op_sel_hi:[0,1]
	v_pk_mul_f32 v[12:13], v[38:39], v[12:13] op_sel_hi:[0,1]
	;; [unrolled: 1-line block ×7, first 2 shown]
	v_cndmask_b32_e32 v38, v0, v1, vcc
	v_cmp_eq_u32_e32 vcc, 2, v59
	v_cmp_eq_u32_e64 s[10:11], 5, v59
	v_cmp_eq_u32_e64 s[12:13], 6, v59
	v_cndmask_b32_e32 v38, v38, v2, vcc
	v_cndmask_b32_e64 v38, v38, v3, s[6:7]
	v_cndmask_b32_e64 v38, v38, v4, s[8:9]
	;; [unrolled: 1-line block ×4, first 2 shown]
	v_cmp_eq_u32_e64 s[14:15], 7, v59
	v_cmp_eq_u32_e64 s[16:17], 8, v59
	v_cmp_eq_u32_e64 s[18:19], 9, v59
	v_cndmask_b32_e64 v38, v38, v7, s[14:15]
	v_cndmask_b32_e64 v38, v38, v8, s[16:17]
	v_cndmask_b32_e64 v38, v38, v9, s[18:19]
	v_cmp_eq_u32_e64 s[20:21], 10, v59
	v_cmp_eq_u32_e64 s[22:23], 11, v59
	v_cmp_eq_u32_e64 s[24:25], 12, v59
	v_cndmask_b32_e64 v38, v38, v10, s[20:21]
	v_cndmask_b32_e64 v38, v38, v11, s[22:23]
	v_cndmask_b32_e64 v38, v38, v12, s[24:25]
	;; [unrolled: 6-line block ×3, first 2 shown]
	ds_bpermute_b32 v38, v78, v38
	v_cmp_eq_u32_e64 s[34:35], 15, v60
	s_waitcnt lgkmcnt(0)
	v_cndmask_b32_e32 v2, v2, v38, vcc
	v_cmp_ne_u32_e32 vcc, 0, v59
	v_cndmask_b32_e64 v15, v15, v38, s[30:31]
	v_cndmask_b32_e64 v14, v14, v38, s[28:29]
	v_cndmask_b32_e32 v1, v1, v38, vcc
	v_cmp_eq_u32_e32 vcc, 0, v59
	v_cndmask_b32_e64 v13, v13, v38, s[26:27]
	v_cndmask_b32_e64 v12, v12, v38, s[24:25]
	v_cndmask_b32_e32 v0, v0, v38, vcc
	v_cmp_eq_u32_e32 vcc, 1, v60
	v_cndmask_b32_e64 v11, v11, v38, s[22:23]
	v_cndmask_b32_e64 v10, v10, v38, s[20:21]
	;; [unrolled: 1-line block ×9, first 2 shown]
	v_cndmask_b32_e32 v38, v0, v1, vcc
	v_cmp_eq_u32_e64 s[6:7], 2, v60
	v_cmp_eq_u32_e64 s[8:9], 3, v60
	v_cmp_eq_u32_e64 s[10:11], 4, v60
	v_cndmask_b32_e64 v38, v38, v2, s[6:7]
	v_cndmask_b32_e64 v38, v38, v3, s[8:9]
	v_cndmask_b32_e64 v38, v38, v4, s[10:11]
	v_cmp_eq_u32_e64 s[12:13], 5, v60
	v_cmp_eq_u32_e64 s[14:15], 6, v60
	v_cmp_eq_u32_e64 s[16:17], 7, v60
	v_cndmask_b32_e64 v38, v38, v5, s[12:13]
	v_cndmask_b32_e64 v38, v38, v6, s[14:15]
	v_cndmask_b32_e64 v38, v38, v7, s[16:17]
	;; [unrolled: 6-line block ×4, first 2 shown]
	v_cmp_eq_u32_e64 s[30:31], 14, v60
	s_nop 1
	v_cndmask_b32_e64 v38, v38, v14, s[30:31]
	v_cndmask_b32_e64 v38, v38, v15, s[34:35]
	ds_bpermute_b32 v38, v78, v38
	s_waitcnt lgkmcnt(0)
	v_cndmask_b32_e32 v1, v1, v38, vcc
	v_cmp_eq_u32_e32 vcc, 0, v60
	v_cndmask_b32_e64 v15, v15, v38, s[34:35]
	v_cndmask_b32_e64 v14, v14, v38, s[30:31]
	v_cndmask_b32_e32 v0, v0, v38, vcc
	v_cmp_eq_u32_e32 vcc, 1, v61
	v_cndmask_b32_e64 v13, v13, v38, s[28:29]
	v_cndmask_b32_e64 v12, v12, v38, s[26:27]
	v_cndmask_b32_e64 v11, v11, v38, s[24:25]
	v_cndmask_b32_e64 v10, v10, v38, s[22:23]
	v_cndmask_b32_e64 v9, v9, v38, s[20:21]
	v_cndmask_b32_e64 v8, v8, v38, s[18:19]
	v_cndmask_b32_e64 v7, v7, v38, s[16:17]
	v_cndmask_b32_e64 v6, v6, v38, s[14:15]
	v_cndmask_b32_e64 v5, v5, v38, s[12:13]
	v_cndmask_b32_e64 v4, v4, v38, s[10:11]
	v_cndmask_b32_e64 v3, v3, v38, s[8:9]
	v_cndmask_b32_e64 v2, v2, v38, s[6:7]
	v_cndmask_b32_e32 v38, v0, v1, vcc
	v_cmp_eq_u32_e64 s[6:7], 2, v61
	v_cmp_eq_u32_e64 s[8:9], 3, v61
	v_cmp_eq_u32_e64 s[10:11], 4, v61
	v_cndmask_b32_e64 v38, v38, v2, s[6:7]
	v_cndmask_b32_e64 v38, v38, v3, s[8:9]
	v_cndmask_b32_e64 v38, v38, v4, s[10:11]
	v_cmp_eq_u32_e64 s[12:13], 5, v61
	v_cmp_eq_u32_e64 s[14:15], 6, v61
	v_cmp_eq_u32_e64 s[16:17], 7, v61
	v_cndmask_b32_e64 v38, v38, v5, s[12:13]
	v_cndmask_b32_e64 v38, v38, v6, s[14:15]
	v_cndmask_b32_e64 v38, v38, v7, s[16:17]
	v_cmp_eq_u32_e64 s[18:19], 8, v61
	v_cmp_eq_u32_e64 s[20:21], 9, v61
	v_cmp_eq_u32_e64 s[22:23], 10, v61
	v_cndmask_b32_e64 v38, v38, v8, s[18:19]
	v_cndmask_b32_e64 v38, v38, v9, s[20:21]
	v_cndmask_b32_e64 v38, v38, v10, s[22:23]
	v_cmp_eq_u32_e64 s[24:25], 11, v61
	v_cmp_eq_u32_e64 s[26:27], 12, v61
	v_cmp_eq_u32_e64 s[28:29], 13, v61
	v_cndmask_b32_e64 v38, v38, v11, s[24:25]
	v_cndmask_b32_e64 v38, v38, v12, s[26:27]
	v_cndmask_b32_e64 v38, v38, v13, s[28:29]
	v_cmp_eq_u32_e64 s[30:31], 14, v61
	v_cmp_eq_u32_e64 s[34:35], 15, v61
	s_nop 0
	v_cndmask_b32_e64 v38, v38, v14, s[30:31]
	v_cndmask_b32_e64 v38, v38, v15, s[34:35]
	ds_bpermute_b32 v38, v78, v38
	s_waitcnt lgkmcnt(0)
	v_cndmask_b32_e32 v1, v1, v38, vcc
	v_cmp_eq_u32_e32 vcc, 0, v61
	v_cndmask_b32_e64 v15, v15, v38, s[34:35]
	v_cndmask_b32_e64 v14, v14, v38, s[30:31]
	v_cndmask_b32_e32 v0, v0, v38, vcc
	v_cmp_eq_u32_e32 vcc, 1, v62
	v_cndmask_b32_e64 v13, v13, v38, s[28:29]
	v_cndmask_b32_e64 v12, v12, v38, s[26:27]
	v_cndmask_b32_e64 v11, v11, v38, s[24:25]
	v_cndmask_b32_e64 v10, v10, v38, s[22:23]
	v_cndmask_b32_e64 v9, v9, v38, s[20:21]
	v_cndmask_b32_e64 v8, v8, v38, s[18:19]
	v_cndmask_b32_e64 v7, v7, v38, s[16:17]
	v_cndmask_b32_e64 v6, v6, v38, s[14:15]
	v_cndmask_b32_e64 v5, v5, v38, s[12:13]
	v_cndmask_b32_e64 v4, v4, v38, s[10:11]
	v_cndmask_b32_e64 v3, v3, v38, s[8:9]
	v_cndmask_b32_e64 v2, v2, v38, s[6:7]
	v_cndmask_b32_e32 v38, v0, v1, vcc
	v_cmp_eq_u32_e64 s[6:7], 2, v62
	v_cmp_eq_u32_e64 s[8:9], 3, v62
	v_cmp_eq_u32_e64 s[10:11], 4, v62
	v_cndmask_b32_e64 v38, v38, v2, s[6:7]
	v_cndmask_b32_e64 v38, v38, v3, s[8:9]
	v_cndmask_b32_e64 v38, v38, v4, s[10:11]
	v_cmp_eq_u32_e64 s[12:13], 5, v62
	v_cmp_eq_u32_e64 s[14:15], 6, v62
	v_cmp_eq_u32_e64 s[16:17], 7, v62
	v_cndmask_b32_e64 v38, v38, v5, s[12:13]
	v_cndmask_b32_e64 v38, v38, v6, s[14:15]
	v_cndmask_b32_e64 v38, v38, v7, s[16:17]
	v_cmp_eq_u32_e64 s[18:19], 8, v62
	v_cmp_eq_u32_e64 s[20:21], 9, v62
	v_cmp_eq_u32_e64 s[22:23], 10, v62
	v_cndmask_b32_e64 v38, v38, v8, s[18:19]
	v_cndmask_b32_e64 v38, v38, v9, s[20:21]
	v_cndmask_b32_e64 v38, v38, v10, s[22:23]
	v_cmp_eq_u32_e64 s[24:25], 11, v62
	v_cmp_eq_u32_e64 s[26:27], 12, v62
	v_cmp_eq_u32_e64 s[28:29], 13, v62
	v_cndmask_b32_e64 v38, v38, v11, s[24:25]
	v_cndmask_b32_e64 v38, v38, v12, s[26:27]
	v_cndmask_b32_e64 v38, v38, v13, s[28:29]
	v_cmp_eq_u32_e64 s[30:31], 14, v62
	;; [unrolled: 50-line block ×4, first 2 shown]
	v_cmp_eq_u32_e64 s[34:35], 15, v64
	s_nop 0
	v_cndmask_b32_e64 v38, v38, v14, s[30:31]
	v_cndmask_b32_e64 v38, v38, v15, s[34:35]
	ds_bpermute_b32 v38, v78, v38
	s_waitcnt lgkmcnt(0)
	v_cndmask_b32_e32 v1, v1, v38, vcc
	v_cmp_eq_u32_e32 vcc, 0, v64
	v_cndmask_b32_e64 v15, v15, v38, s[34:35]
	v_cndmask_b32_e64 v14, v14, v38, s[30:31]
	;; [unrolled: 1-line block ×14, first 2 shown]
	v_cndmask_b32_e32 v38, v0, v38, vcc
	v_cmp_eq_u32_e32 vcc, 1, v65
	v_cmp_eq_u32_e64 s[6:7], 2, v65
	v_cmp_eq_u32_e64 s[8:9], 3, v65
	v_cndmask_b32_e32 v0, v38, v1, vcc
	v_cndmask_b32_e64 v0, v0, v47, s[6:7]
	v_cndmask_b32_e64 v0, v0, v46, s[8:9]
	v_cmp_eq_u32_e64 s[10:11], 4, v65
	v_cmp_eq_u32_e64 s[12:13], 5, v65
	v_cmp_eq_u32_e64 s[14:15], 6, v65
	v_cndmask_b32_e64 v0, v0, v45, s[10:11]
	v_cndmask_b32_e64 v0, v0, v44, s[12:13]
	v_cndmask_b32_e64 v0, v0, v43, s[14:15]
	v_cmp_eq_u32_e64 s[16:17], 7, v65
	v_cmp_eq_u32_e64 s[18:19], 8, v65
	v_cmp_eq_u32_e64 s[20:21], 9, v65
	v_cndmask_b32_e64 v0, v0, v42, s[16:17]
	;; [unrolled: 6-line block ×4, first 2 shown]
	v_cndmask_b32_e64 v0, v0, v14, s[30:31]
	v_cndmask_b32_e64 v0, v0, v15, s[34:35]
	ds_bpermute_b32 v48, v78, v0
	s_waitcnt lgkmcnt(0)
	v_cndmask_b32_e32 v0, v1, v48, vcc
	v_cmp_eq_u32_e32 vcc, 0, v65
	v_cndmask_b32_e64 v4, v15, v48, s[34:35]
	v_cndmask_b32_e64 v15, v47, v48, s[6:7]
	v_cndmask_b32_e32 v1, v38, v48, vcc
	v_cmp_eq_u32_e32 vcc, 1, v66
	v_cndmask_b32_e64 v5, v14, v48, s[30:31]
	v_cndmask_b32_e64 v14, v46, v48, s[8:9]
	;; [unrolled: 4-line block ×7, first 2 shown]
	v_cndmask_b32_e32 v38, v38, v13, vcc
	v_cmp_eq_u32_e32 vcc, 7, v66
	s_nop 1
	v_cndmask_b32_e32 v38, v38, v12, vcc
	v_cmp_eq_u32_e32 vcc, 8, v66
	s_nop 1
	v_cndmask_b32_e32 v38, v38, v11, vcc
	v_cmp_eq_u32_e32 vcc, 9, v66
	s_nop 1
	v_cndmask_b32_e32 v38, v38, v10, vcc
	v_cmp_eq_u32_e32 vcc, 10, v66
	s_nop 1
	v_cndmask_b32_e32 v38, v38, v9, vcc
	v_cmp_eq_u32_e32 vcc, 11, v66
	s_nop 1
	v_cndmask_b32_e32 v38, v38, v8, vcc
	v_cmp_eq_u32_e32 vcc, 12, v66
	s_nop 1
	v_cndmask_b32_e32 v38, v38, v7, vcc
	v_cmp_eq_u32_e32 vcc, 13, v66
	s_nop 1
	v_cndmask_b32_e32 v38, v38, v6, vcc
	v_cmp_eq_u32_e32 vcc, 14, v66
	s_nop 1
	v_cndmask_b32_e32 v38, v38, v5, vcc
	v_cmp_eq_u32_e32 vcc, 15, v66
	s_nop 1
	v_cndmask_b32_e32 v38, v38, v4, vcc
	ds_bpermute_b32 v38, v78, v38
	v_cmp_lt_i32_e32 vcc, s74, v67
	s_and_saveexec_b64 s[60:61], vcc
	s_cbranch_execz .LBB155_29
; %bb.21:                               ;   in Loop: Header=BB155_7 Depth=1
	s_mul_i32 s6, s72, s37
	s_ashr_i32 s7, s6, 31
	s_lshl_b64 s[6:7], s[6:7], 1
	v_cmp_eq_u32_e64 s[30:31], 1, v66
	s_add_u32 s8, s48, s6
	s_addc_u32 s9, s49, s7
	s_waitcnt lgkmcnt(0)
	v_cndmask_b32_e64 v0, v0, v38, s[30:31]
	v_cmp_eq_u32_e64 s[30:31], 0, v66
	s_ashr_i32 s55, s54, 31
	s_lshl_b64 s[6:7], s[54:55], 1
	v_cndmask_b32_e64 v1, v1, v38, s[30:31]
	v_cvt_f16_f32_e32 v39, v1
	v_cvt_f16_f32_sdwa v41, v0 dst_sel:WORD_1 dst_unused:UNUSED_PAD src0_sel:DWORD
	s_add_u32 s34, s8, s6
	s_addc_u32 s35, s9, s7
	v_cmp_eq_u32_e64 s[8:9], 15, v66
	v_cmp_eq_u32_e64 s[10:11], 14, v66
	;; [unrolled: 1-line block ×10, first 2 shown]
	v_cmp_eq_u32_e32 vcc, 5, v66
	v_cmp_eq_u32_e64 s[6:7], 4, v66
	v_cmp_eq_u32_e64 s[28:29], 3, v66
	;; [unrolled: 1-line block ×3, first 2 shown]
	v_lshl_add_u64 v[0:1], s[34:35], 0, v[16:17]
	v_cmp_lt_i32_e64 s[34:35], s74, v68
	v_lshl_add_u64 v[42:43], v[18:19], 1, v[0:1]
	v_or_b32_e32 v39, v41, v39
	;;#ASMSTART
	global_atomic_pk_add_f16 v[42:43], v39, off
	
	;;#ASMEND
	s_and_b64 exec, exec, s[34:35]
	s_cbranch_execz .LBB155_29
; %bb.22:                               ;   in Loop: Header=BB155_7 Depth=1
	v_cndmask_b32_e64 v14, v14, v38, s[28:29]
	v_cndmask_b32_e64 v15, v15, v38, s[30:31]
	v_cvt_f16_f32_e32 v39, v15
	v_cvt_f16_f32_sdwa v41, v14 dst_sel:WORD_1 dst_unused:UNUSED_PAD src0_sel:DWORD
	v_cndmask_b32_e64 v4, v4, v38, s[8:9]
	v_cndmask_b32_e64 v5, v5, v38, s[10:11]
	;; [unrolled: 1-line block ×10, first 2 shown]
	v_cndmask_b32_e32 v2, v2, v38, vcc
	v_cndmask_b32_e64 v3, v3, v38, s[6:7]
	v_cmp_lt_i32_e32 vcc, s74, v69
	v_lshl_add_u64 v[14:15], v[20:21], 1, v[0:1]
	v_or_b32_e32 v38, v41, v39
	;;#ASMSTART
	global_atomic_pk_add_f16 v[14:15], v38, off
	
	;;#ASMEND
	s_and_b64 exec, exec, vcc
	s_cbranch_execz .LBB155_29
; %bb.23:                               ;   in Loop: Header=BB155_7 Depth=1
	v_cvt_f16_f32_e32 v14, v3
	v_cvt_f16_f32_sdwa v15, v2 dst_sel:WORD_1 dst_unused:UNUSED_PAD src0_sel:DWORD
	v_cmp_lt_i32_e32 vcc, s74, v70
	v_lshl_add_u64 v[2:3], v[22:23], 1, v[0:1]
	v_or_b32_e32 v14, v15, v14
	;;#ASMSTART
	global_atomic_pk_add_f16 v[2:3], v14, off
	
	;;#ASMEND
	s_and_b64 exec, exec, vcc
	s_cbranch_execz .LBB155_29
; %bb.24:                               ;   in Loop: Header=BB155_7 Depth=1
	v_cvt_f16_f32_e32 v13, v13
	v_cvt_f16_f32_sdwa v12, v12 dst_sel:WORD_1 dst_unused:UNUSED_PAD src0_sel:DWORD
	;; [unrolled: 12-line block ×6, first 2 shown]
	v_lshl_add_u64 v[0:1], v[32:33], 1, v[0:1]
	v_or_b32_e32 v2, v3, v2
	;;#ASMSTART
	global_atomic_pk_add_f16 v[0:1], v2, off
	
	;;#ASMEND
.LBB155_29:                             ;   in Loop: Header=BB155_7 Depth=1
	s_or_b64 exec, exec, s[60:61]
	v_subrev_u32_e32 v79, s75, v79
.LBB155_30:                             ;   in Loop: Header=BB155_7 Depth=1
	s_or_b64 exec, exec, s[58:59]
.LBB155_31:                             ;   in Loop: Header=BB155_7 Depth=1
	s_andn2_saveexec_b64 s[6:7], s[56:57]
	s_cbranch_execz .LBB155_40
; %bb.32:                               ;   in Loop: Header=BB155_7 Depth=1
	v_cmp_gt_i32_e32 vcc, s75, v79
	s_and_saveexec_b64 s[8:9], vcc
	s_cbranch_execz .LBB155_39
; %bb.33:                               ;   in Loop: Header=BB155_7 Depth=1
	s_mul_i32 s10, s54, s39
	s_ashr_i32 s11, s10, 31
	s_waitcnt lgkmcnt(0)
	s_add_u32 s10, s46, s10
	s_addc_u32 s11, s47, s11
	s_ashr_i32 s12, s73, 31
	s_add_u32 s10, s10, s73
	s_addc_u32 s11, s11, s12
	v_lshl_add_u64 v[0:1], s[10:11], 0, v[36:37]
	v_lshl_add_u64 v[38:39], v[0:1], 0, v[34:35]
	s_mov_b64 s[10:11], 0
	s_branch .LBB155_35
.LBB155_34:                             ;   in Loop: Header=BB155_35 Depth=2
	s_or_b64 exec, exec, s[12:13]
	v_lshl_add_u32 v42, v40, 12, v75
	;;#ASMSTART
	s_waitcnt vmcnt(3)
	;;#ASMEND
	ds_write2_b32 v42, v12, v13 offset1:32
	ds_write2_b32 v42, v14, v15 offset0:64 offset1:96
	v_add_u32_e32 v12, 0x400, v42
	;;#ASMSTART
	s_waitcnt vmcnt(2)
	;;#ASMEND
	ds_write2_b32 v12, v8, v9 offset1:32
	ds_write2_b32 v12, v10, v11 offset0:64 offset1:96
	v_add_u32_e32 v8, 0x800, v42
	;; [unrolled: 6-line block ×3, first 2 shown]
	v_add_u32_e32 v79, s42, v79
	;;#ASMSTART
	s_waitcnt vmcnt(0)
	;;#ASMEND
	ds_write2_b32 v4, v0, v1 offset1:32
	ds_write2_b32 v4, v2, v3 offset0:64 offset1:96
	v_add_u32_e32 v0, 1, v55
	v_add_u32_e32 v40, s42, v40
	v_cmp_le_i32_e32 vcc, s75, v79
	ds_write_b32 v41, v0 offset:24
	v_add_u32_e32 v0, 2, v55
	s_or_b64 s[10:11], vcc, s[10:11]
	v_cmp_lt_i32_e32 vcc, 2, v40
	s_nop 1
	v_cndmask_b32_e32 v55, v55, v0, vcc
	s_andn2_b64 exec, exec, s[10:11]
	s_cbranch_execz .LBB155_38
.LBB155_35:                             ;   Parent Loop BB155_7 Depth=1
                                        ; =>  This Loop Header: Depth=2
                                        ;       Child Loop BB155_37 Depth 3
	v_cmp_gt_i32_e32 vcc, 3, v40
	s_nop 1
	v_cndmask_b32_e64 v0, -3, 0, vcc
	v_add_u32_e32 v40, v0, v40
	v_lshlrev_b32_e32 v0, 7, v79
	v_ashrrev_i32_e32 v1, 31, v0
	v_lshl_add_u64 v[0:1], v[38:39], 0, v[0:1]
	v_lshlrev_b32_e32 v41, 2, v40
	;;#ASMSTART
	global_load_dwordx4 v[12:15], v[0:1], off offset:0   sc0 sc1 nt  
	global_load_dwordx4 v[8:11], v[0:1], off offset:32  sc0 sc1 nt  
	global_load_dwordx4 v[4:7], v[0:1], off offset:64  sc0 sc1 nt  
	;; [unrolled: 1-line block ×3, first 2 shown]
	
	;;#ASMEND
	ds_read_b32 v42, v41 offset:36888
	v_add_u32_e32 v41, 0x9000, v41
	s_waitcnt lgkmcnt(0)
	v_cmp_ne_u32_e32 vcc, v42, v55
	s_and_saveexec_b64 s[12:13], vcc
	s_cbranch_execz .LBB155_34
; %bb.36:                               ;   in Loop: Header=BB155_35 Depth=2
	s_mov_b64 s[14:15], 0
.LBB155_37:                             ;   Parent Loop BB155_7 Depth=1
                                        ;     Parent Loop BB155_35 Depth=2
                                        ; =>    This Inner Loop Header: Depth=3
	;;#ASMSTART
	s_sleep 0
	;;#ASMEND
	ds_read_b32 v42, v41 offset:24
	s_waitcnt lgkmcnt(0)
	v_cmp_eq_u32_e32 vcc, v42, v55
	s_or_b64 s[14:15], vcc, s[14:15]
	s_andn2_b64 exec, exec, s[14:15]
	s_cbranch_execnz .LBB155_37
	s_branch .LBB155_34
.LBB155_38:                             ;   in Loop: Header=BB155_7 Depth=1
	s_or_b64 exec, exec, s[10:11]
.LBB155_39:                             ;   in Loop: Header=BB155_7 Depth=1
	s_or_b64 exec, exec, s[8:9]
	v_subrev_u32_e32 v79, s75, v79
.LBB155_40:                             ;   in Loop: Header=BB155_7 Depth=1
	s_or_b64 exec, exec, s[6:7]
.LBB155_41:                             ;   in Loop: Header=BB155_7 Depth=1
	s_andn2_saveexec_b64 s[6:7], s[52:53]
	s_cbranch_execz .LBB155_6
; %bb.42:                               ;   in Loop: Header=BB155_7 Depth=1
	s_lshl_b32 s16, s75, 1
	v_cmp_gt_i32_e32 vcc, s16, v79
	s_and_saveexec_b64 s[8:9], vcc
	s_cbranch_execz .LBB155_5
; %bb.43:                               ;   in Loop: Header=BB155_7 Depth=1
	s_mul_i32 s72, s72, s38
	s_max_i32 s12, s74, 0
	s_ashr_i32 s10, s72, 31
	s_waitcnt lgkmcnt(0)
	s_add_u32 s11, s44, s72
	v_add_u32_e32 v2, s12, v56
	s_addc_u32 s13, s45, s10
	s_ashr_i32 s14, s73, 31
	v_cmp_gt_u32_e32 vcc, 64, v2
	s_add_u32 s10, s11, s73
	s_addc_u32 s11, s13, s14
	v_cndmask_b32_e32 v0, 0, v76, vcc
	v_ashrrev_i32_e32 v1, 31, v0
	v_lshl_add_u64 v[0:1], s[10:11], 0, v[0:1]
	v_lshl_add_u64 v[38:39], v[0:1], 0, v[34:35]
	v_sub_u32_e32 v41, 63, v2
	s_mov_b64 s[10:11], 0
	s_branch .LBB155_45
.LBB155_44:                             ;   in Loop: Header=BB155_45 Depth=2
	s_or_b64 exec, exec, s[12:13]
	v_lshl_or_b32 v43, v40, 12, v77
	;;#ASMSTART
	s_waitcnt vmcnt(3)
	;;#ASMEND
	ds_write2_b32 v43, v12, v13 offset1:32
	ds_write2_b32 v43, v14, v15 offset0:64 offset1:96
	v_add_u32_e32 v12, 0x400, v43
	;;#ASMSTART
	s_waitcnt vmcnt(2)
	;;#ASMEND
	ds_write2_b32 v12, v8, v9 offset1:32
	ds_write2_b32 v12, v10, v11 offset0:64 offset1:96
	v_add_u32_e32 v8, 0x800, v43
	;; [unrolled: 6-line block ×3, first 2 shown]
	v_add_u32_e32 v79, s41, v79
	;;#ASMSTART
	s_waitcnt vmcnt(0)
	;;#ASMEND
	ds_write2_b32 v4, v0, v1 offset1:32
	ds_write2_b32 v4, v2, v3 offset0:64 offset1:96
	v_add_u32_e32 v0, 1, v55
	v_add_u32_e32 v40, s41, v40
	v_cmp_le_i32_e32 vcc, s16, v79
	ds_write_b32 v42, v0
	v_add_u32_e32 v0, 2, v55
	s_or_b64 s[10:11], vcc, s[10:11]
	v_cmp_lt_i32_e32 vcc, 5, v40
	s_nop 1
	v_cndmask_b32_e32 v55, v55, v0, vcc
	s_andn2_b64 exec, exec, s[10:11]
	s_cbranch_execz .LBB155_4
.LBB155_45:                             ;   Parent Loop BB155_7 Depth=1
                                        ; =>  This Loop Header: Depth=2
                                        ;       Child Loop BB155_47 Depth 3
	v_cmp_gt_i32_e32 vcc, 6, v40
	s_nop 1
	v_cndmask_b32_e64 v0, -6, 0, vcc
	v_add_u32_e32 v40, v0, v40
	v_lshrrev_b32_e32 v0, 31, v79
	v_add_u32_e32 v0, v79, v0
	v_and_b32_e32 v1, 0x7fffffe, v0
	v_sub_u32_e32 v1, v79, v1
	v_lshlrev_b32_e32 v1, 5, v1
	v_cmp_le_i32_e32 vcc, v1, v41
	v_lshlrev_b32_e32 v0, 6, v0
	v_and_b32_e32 v0, 0xffffff80, v0
	v_cndmask_b32_e32 v2, 0, v1, vcc
	v_ashrrev_i32_e32 v1, 31, v0
	v_mul_lo_u32 v2, v2, s38
	v_lshl_add_u64 v[0:1], v[38:39], 0, v[0:1]
	v_ashrrev_i32_e32 v3, 31, v2
	v_lshl_add_u64 v[0:1], v[0:1], 0, v[2:3]
	v_lshlrev_b32_e32 v42, 2, v40
	;;#ASMSTART
	global_load_dwordx4 v[12:15], v[0:1], off offset:0   
	global_load_dwordx4 v[8:11], v[0:1], off offset:32  
	;; [unrolled: 1-line block ×4, first 2 shown]
	
	;;#ASMEND
	ds_read_b32 v43, v42 offset:36864
	v_add_u32_e32 v42, 0x9000, v42
	s_waitcnt lgkmcnt(0)
	v_cmp_ne_u32_e32 vcc, v43, v55
	s_and_saveexec_b64 s[12:13], vcc
	s_cbranch_execz .LBB155_44
; %bb.46:                               ;   in Loop: Header=BB155_45 Depth=2
	s_mov_b64 s[14:15], 0
.LBB155_47:                             ;   Parent Loop BB155_7 Depth=1
                                        ;     Parent Loop BB155_45 Depth=2
                                        ; =>    This Inner Loop Header: Depth=3
	;;#ASMSTART
	s_sleep 0
	;;#ASMEND
	ds_read_b32 v43, v42
	s_waitcnt lgkmcnt(0)
	v_cmp_eq_u32_e32 vcc, v43, v55
	s_or_b64 s[14:15], vcc, s[14:15]
	s_andn2_b64 exec, exec, s[14:15]
	s_cbranch_execnz .LBB155_47
	s_branch .LBB155_44
.LBB155_48:
	s_endpgm
	.section	.rodata,"a",@progbits
	.p2align	6, 0x0
	.amdhsa_kernel _Z19_skinny_gemm_kernelILi2ELi1ELi3ELi32ELi8EEvPKhS1_P6__halfPKfiiiiiiii
		.amdhsa_group_segment_fixed_size 36900
		.amdhsa_private_segment_fixed_size 0
		.amdhsa_kernarg_size 64
		.amdhsa_user_sgpr_count 2
		.amdhsa_user_sgpr_dispatch_ptr 0
		.amdhsa_user_sgpr_queue_ptr 0
		.amdhsa_user_sgpr_kernarg_segment_ptr 1
		.amdhsa_user_sgpr_dispatch_id 0
		.amdhsa_user_sgpr_kernarg_preload_length 0
		.amdhsa_user_sgpr_kernarg_preload_offset 0
		.amdhsa_user_sgpr_private_segment_size 0
		.amdhsa_uses_dynamic_stack 0
		.amdhsa_enable_private_segment 0
		.amdhsa_system_sgpr_workgroup_id_x 1
		.amdhsa_system_sgpr_workgroup_id_y 0
		.amdhsa_system_sgpr_workgroup_id_z 0
		.amdhsa_system_sgpr_workgroup_info 0
		.amdhsa_system_vgpr_workitem_id 0
		.amdhsa_next_free_vgpr 87
		.amdhsa_next_free_sgpr 76
		.amdhsa_accum_offset 88
		.amdhsa_reserve_vcc 1
		.amdhsa_float_round_mode_32 0
		.amdhsa_float_round_mode_16_64 0
		.amdhsa_float_denorm_mode_32 3
		.amdhsa_float_denorm_mode_16_64 3
		.amdhsa_dx10_clamp 1
		.amdhsa_ieee_mode 1
		.amdhsa_fp16_overflow 0
		.amdhsa_tg_split 0
		.amdhsa_exception_fp_ieee_invalid_op 0
		.amdhsa_exception_fp_denorm_src 0
		.amdhsa_exception_fp_ieee_div_zero 0
		.amdhsa_exception_fp_ieee_overflow 0
		.amdhsa_exception_fp_ieee_underflow 0
		.amdhsa_exception_fp_ieee_inexact 0
		.amdhsa_exception_int_div_zero 0
	.end_amdhsa_kernel
	.section	.text._Z19_skinny_gemm_kernelILi2ELi1ELi3ELi32ELi8EEvPKhS1_P6__halfPKfiiiiiiii,"axG",@progbits,_Z19_skinny_gemm_kernelILi2ELi1ELi3ELi32ELi8EEvPKhS1_P6__halfPKfiiiiiiii,comdat
.Lfunc_end155:
	.size	_Z19_skinny_gemm_kernelILi2ELi1ELi3ELi32ELi8EEvPKhS1_P6__halfPKfiiiiiiii, .Lfunc_end155-_Z19_skinny_gemm_kernelILi2ELi1ELi3ELi32ELi8EEvPKhS1_P6__halfPKfiiiiiiii
                                        ; -- End function
	.set _Z19_skinny_gemm_kernelILi2ELi1ELi3ELi32ELi8EEvPKhS1_P6__halfPKfiiiiiiii.num_vgpr, 87
	.set _Z19_skinny_gemm_kernelILi2ELi1ELi3ELi32ELi8EEvPKhS1_P6__halfPKfiiiiiiii.num_agpr, 0
	.set _Z19_skinny_gemm_kernelILi2ELi1ELi3ELi32ELi8EEvPKhS1_P6__halfPKfiiiiiiii.numbered_sgpr, 76
	.set _Z19_skinny_gemm_kernelILi2ELi1ELi3ELi32ELi8EEvPKhS1_P6__halfPKfiiiiiiii.num_named_barrier, 0
	.set _Z19_skinny_gemm_kernelILi2ELi1ELi3ELi32ELi8EEvPKhS1_P6__halfPKfiiiiiiii.private_seg_size, 0
	.set _Z19_skinny_gemm_kernelILi2ELi1ELi3ELi32ELi8EEvPKhS1_P6__halfPKfiiiiiiii.uses_vcc, 1
	.set _Z19_skinny_gemm_kernelILi2ELi1ELi3ELi32ELi8EEvPKhS1_P6__halfPKfiiiiiiii.uses_flat_scratch, 0
	.set _Z19_skinny_gemm_kernelILi2ELi1ELi3ELi32ELi8EEvPKhS1_P6__halfPKfiiiiiiii.has_dyn_sized_stack, 0
	.set _Z19_skinny_gemm_kernelILi2ELi1ELi3ELi32ELi8EEvPKhS1_P6__halfPKfiiiiiiii.has_recursion, 0
	.set _Z19_skinny_gemm_kernelILi2ELi1ELi3ELi32ELi8EEvPKhS1_P6__halfPKfiiiiiiii.has_indirect_call, 0
	.section	.AMDGPU.csdata,"",@progbits
; Kernel info:
; codeLenInByte = 6408
; TotalNumSgprs: 82
; NumVgprs: 87
; NumAgprs: 0
; TotalNumVgprs: 87
; ScratchSize: 0
; MemoryBound: 0
; FloatMode: 240
; IeeeMode: 1
; LDSByteSize: 36900 bytes/workgroup (compile time only)
; SGPRBlocks: 10
; VGPRBlocks: 10
; NumSGPRsForWavesPerEU: 82
; NumVGPRsForWavesPerEU: 87
; AccumOffset: 88
; Occupancy: 5
; WaveLimiterHint : 0
; COMPUTE_PGM_RSRC2:SCRATCH_EN: 0
; COMPUTE_PGM_RSRC2:USER_SGPR: 2
; COMPUTE_PGM_RSRC2:TRAP_HANDLER: 0
; COMPUTE_PGM_RSRC2:TGID_X_EN: 1
; COMPUTE_PGM_RSRC2:TGID_Y_EN: 0
; COMPUTE_PGM_RSRC2:TGID_Z_EN: 0
; COMPUTE_PGM_RSRC2:TIDIG_COMP_CNT: 0
; COMPUTE_PGM_RSRC3_GFX90A:ACCUM_OFFSET: 21
; COMPUTE_PGM_RSRC3_GFX90A:TG_SPLIT: 0
	.section	.text._Z19_skinny_gemm_kernelILi2ELi1ELi4ELi16ELi4EEvPKhS1_P6__halfPKfiiiiiiii,"axG",@progbits,_Z19_skinny_gemm_kernelILi2ELi1ELi4ELi16ELi4EEvPKhS1_P6__halfPKfiiiiiiii,comdat
	.protected	_Z19_skinny_gemm_kernelILi2ELi1ELi4ELi16ELi4EEvPKhS1_P6__halfPKfiiiiiiii ; -- Begin function _Z19_skinny_gemm_kernelILi2ELi1ELi4ELi16ELi4EEvPKhS1_P6__halfPKfiiiiiiii
	.globl	_Z19_skinny_gemm_kernelILi2ELi1ELi4ELi16ELi4EEvPKhS1_P6__halfPKfiiiiiiii
	.p2align	8
	.type	_Z19_skinny_gemm_kernelILi2ELi1ELi4ELi16ELi4EEvPKhS1_P6__halfPKfiiiiiiii,@function
_Z19_skinny_gemm_kernelILi2ELi1ELi4ELi16ELi4EEvPKhS1_P6__halfPKfiiiiiiii: ; @_Z19_skinny_gemm_kernelILi2ELi1ELi4ELi16ELi4EEvPKhS1_P6__halfPKfiiiiiiii
; %bb.0:
	v_cmp_gt_u32_e32 vcc, 12, v0
	v_lshlrev_b32_e32 v1, 2, v0
	s_and_saveexec_b64 s[4:5], vcc
; %bb.1:
	v_mov_b32_e32 v2, 0
	ds_write_b32 v1, v2 offset:24576
; %bb.2:
	s_or_b64 exec, exec, s[4:5]
	s_load_dwordx8 s[12:19], s[0:1], 0x20
	s_waitcnt lgkmcnt(0)
	s_barrier
	s_add_i32 s3, s12, 31
	s_ashr_i32 s5, s3, 31
	s_add_i32 s4, s13, 15
	s_lshr_b32 s5, s5, 27
	s_ashr_i32 s6, s4, 31
	s_add_i32 s3, s3, s5
	s_ashr_i32 s33, s3, 5
	s_lshr_b32 s3, s6, 28
	s_add_i32 s4, s4, s3
	s_ashr_i32 s42, s4, 4
	s_mul_i32 s3, s42, s33
	s_mul_i32 s3, s3, s16
	s_add_i32 s4, s3, 0x12f
	s_mul_hi_i32 s4, s4, 0x6bca1af3
	s_lshr_b32 s5, s4, 31
	s_ashr_i32 s4, s4, 7
	s_add_i32 s4, s4, s5
	s_add_i32 s5, s2, 1
	s_mul_i32 s5, s4, s5
	v_cvt_f64_i32_e32 v[2:3], s3
	v_cvt_f64_u32_e32 v[4:5], s5
	v_min_f64 v[2:3], v[2:3], v[4:5]
	v_cvt_i32_f64_e32 v9, v[2:3]
	s_mul_i32 s43, s4, s2
	v_cmp_ge_i32_e32 vcc, s43, v9
	s_cbranch_vccnz .LBB156_47
; %bb.3:
	v_lshrrev_b32_e32 v2, 6, v0
	s_add_i32 s4, s18, s17
	s_load_dwordx8 s[20:27], s[0:1], 0x0
	v_cmp_le_i32_e64 s[0:1], s4, v2
	v_mov_b32_e32 v3, s17
	v_cmp_le_i32_e64 s[2:3], s17, v2
	v_mov_b32_e32 v4, s18
	v_cndmask_b32_e64 v4, 0, v4, s[0:1]
	v_cndmask_b32_e64 v3, 0, v3, s[2:3]
	s_abs_i32 s5, s16
	v_add_u32_e32 v3, v3, v4
	v_cvt_f32_u32_e32 v4, s5
	v_sub_u32_e32 v22, v2, v3
	s_ashr_i32 s6, s14, 31
	s_lshr_b32 s6, s6, 25
	v_rcp_iflag_f32_e32 v3, v4
	s_sub_i32 s9, 0, s5
	s_add_i32 s6, s14, s6
	s_ashr_i32 s6, s6, 7
	v_mul_f32_e32 v3, 0x4f7ffffe, v3
	v_cvt_u32_f32_e32 v3, v3
	s_abs_i32 s8, s6
	s_xor_b32 s7, s6, s16
	s_ashr_i32 s7, s7, 31
	v_readfirstlane_b32 s10, v3
	s_mul_i32 s9, s9, s10
	s_mul_hi_u32 s9, s10, s9
	s_add_i32 s10, s10, s9
	s_mul_hi_u32 s9, s8, s10
	s_mul_i32 s10, s9, s5
	s_sub_i32 s8, s8, s10
	s_add_i32 s10, s9, 1
	s_sub_i32 s11, s8, s5
	s_cmp_ge_u32 s8, s5
	s_cselect_b32 s9, s10, s9
	s_cselect_b32 s8, s11, s8
	s_add_i32 s10, s9, 1
	s_cmp_ge_u32 s8, s5
	s_cselect_b32 s5, s10, s9
	s_xor_b32 s5, s5, s7
	s_sub_i32 s44, s5, s7
	s_add_i32 s16, s16, -1
	s_mul_i32 s5, s44, s16
	s_add_i32 s4, s4, s19
	s_sub_i32 s45, s6, s5
	v_cmp_gt_i32_e64 s[4:5], s4, v2
	v_lshlrev_b32_e32 v2, 1, v0
	v_lshlrev_b32_e32 v3, 4, v0
	v_and_b32_e32 v1, 60, v1
	v_and_b32_e32 v2, 64, v2
	;; [unrolled: 1-line block ×3, first 2 shown]
	v_or3_b32 v27, v1, v2, v4
	v_and_b32_e32 v1, 1, v0
	v_lshrrev_b32_e32 v4, 2, v0
	s_abs_i32 s46, s33
	v_and_or_b32 v31, v4, 12, v1
	v_cvt_f32_u32_e32 v4, s46
	v_lshlrev_b32_e32 v2, 1, v1
	v_and_b32_e32 v8, 14, v0
	v_sub_u32_e32 v2, v0, v2
	v_bitop3_b32 v29, v0, 1, v0 bitop3:0xc
	v_bitop3_b32 v30, v0, 3, 1 bitop3:0x6c
	v_and_b32_e32 v14, 48, v3
	v_bfe_u32 v33, v0, 2, 4
	v_and_b32_e32 v1, 60, v0
	v_lshlrev_b32_e32 v3, 8, v0
	v_lshlrev_b32_e32 v0, 6, v0
	v_and_b32_e32 v3, 0x200, v3
	v_and_b32_e32 v0, 64, v0
	v_rcp_iflag_f32_e32 v4, v4
	s_abs_i32 s47, s42
	v_or3_b32 v34, v1, v3, v0
	v_cvt_f32_u32_e32 v1, s47
	v_mul_f32_e32 v0, 0x4f7ffffe, v4
	v_cvt_u32_f32_e32 v0, v0
	v_mad_u64_u32 v[10:11], s[6:7], s13, v31, v[8:9]
	v_rcp_iflag_f32_e32 v1, v1
	v_readfirstlane_b32 s7, v0
	s_sub_i32 s6, 0, s46
	s_mul_i32 s6, s6, s7
	v_mul_f32_e32 v0, 0x4f7ffffe, v1
	v_cvt_u32_f32_e32 v0, v0
	s_mul_hi_u32 s6, s7, s6
	v_add_u32_e32 v2, 1, v2
	s_add_i32 s49, s7, s6
	s_sub_i32 s6, 0, s47
	v_readfirstlane_b32 s7, v0
	v_mbcnt_lo_u32_b32 v0, -1, 0
	v_and_b32_e32 v2, 63, v2
	s_mul_i32 s6, s6, s7
	v_mbcnt_hi_u32_b32 v0, -1, v0
	v_lshl_add_u32 v12, s13, 4, v10
	v_mul_lo_u32 v16, s15, v33
	s_mul_hi_u32 s6, s7, s6
	v_and_or_b32 v0, v0, 64, v2
	v_cndmask_b32_e64 v26, 0, 1, s[0:1]
	v_or_b32_e32 v28, 0x4000, v27
	s_ashr_i32 s11, s13, 31
	s_mov_b32 s10, s13
	v_ashrrev_i32_e32 v11, 31, v10
	v_or_b32_e32 v32, 16, v31
	v_ashrrev_i32_e32 v13, 31, v12
	v_ashrrev_i32_e32 v17, 31, v16
	v_mov_b32_e32 v15, 0
	v_or_b32_e32 v35, 0x4000, v34
	v_mul_lo_u32 v36, s14, v33
	s_ashr_i32 s48, s33, 31
	s_ashr_i32 s50, s42, 31
	s_add_i32 s51, s7, s6
	v_lshlrev_b32_e32 v37, 2, v0
	v_mov_b32_e32 v38, v22
	s_branch .LBB156_7
.LBB156_4:                              ;   in Loop: Header=BB156_7 Depth=1
	s_or_b64 exec, exec, s[28:29]
.LBB156_5:                              ;   in Loop: Header=BB156_7 Depth=1
	s_or_b64 exec, exec, s[8:9]
	v_subrev_u32_e32 v38, s36, v38
.LBB156_6:                              ;   in Loop: Header=BB156_7 Depth=1
	s_or_b64 exec, exec, s[6:7]
	s_add_i32 s43, s43, 1
	v_cmp_ge_i32_e32 vcc, s43, v9
	s_cbranch_vccnz .LBB156_47
.LBB156_7:                              ; =>This Loop Header: Depth=1
                                        ;     Child Loop BB156_13 Depth 2
                                        ;       Child Loop BB156_15 Depth 3
                                        ;       Child Loop BB156_18 Depth 3
	;; [unrolled: 1-line block ×3, first 2 shown]
                                        ;     Child Loop BB156_34 Depth 2
                                        ;       Child Loop BB156_36 Depth 3
                                        ;     Child Loop BB156_44 Depth 2
                                        ;       Child Loop BB156_46 Depth 3
	s_abs_i32 s7, s43
	s_mul_hi_u32 s8, s7, s49
	s_mul_i32 s9, s8, s46
	s_ashr_i32 s6, s43, 31
	s_sub_i32 s7, s7, s9
	s_xor_b32 s6, s6, s48
	s_add_i32 s9, s8, 1
	s_sub_i32 s28, s7, s46
	s_cmp_ge_u32 s7, s46
	s_cselect_b32 s8, s9, s8
	s_cselect_b32 s7, s28, s7
	s_add_i32 s9, s8, 1
	s_cmp_ge_u32 s7, s46
	s_cselect_b32 s7, s9, s8
	s_xor_b32 s7, s7, s6
	s_sub_i32 s6, s7, s6
	s_abs_i32 s8, s6
	s_mul_i32 s7, s6, s33
	s_mul_hi_u32 s9, s8, s51
	s_sub_i32 s7, s43, s7
	s_mul_i32 s28, s9, s47
	s_lshl_b32 s52, s7, 5
	s_ashr_i32 s7, s6, 31
	s_sub_i32 s8, s8, s28
	s_xor_b32 s7, s7, s50
	s_add_i32 s28, s9, 1
	s_sub_i32 s29, s8, s47
	s_cmp_ge_u32 s8, s47
	s_cselect_b32 s9, s28, s9
	s_cselect_b32 s8, s29, s8
	s_add_i32 s28, s9, 1
	s_cmp_ge_u32 s8, s47
	s_cselect_b32 s8, s28, s9
	s_xor_b32 s8, s8, s7
	s_sub_i32 s7, s8, s7
	s_mul_i32 s8, s7, s44
	s_lshl_b32 s53, s8, 7
	s_cmp_eq_u32 s7, s16
	s_cselect_b32 s55, s45, s44
	s_sub_i32 s8, s52, s12
	s_add_i32 s8, s8, 32
	s_max_i32 s54, s8, 0
	s_and_saveexec_b64 s[8:9], s[2:3]
	s_xor_b64 s[28:29], exec, s[8:9]
	s_cbranch_execz .LBB156_40
; %bb.8:                                ;   in Loop: Header=BB156_7 Depth=1
	s_mul_i32 s7, s7, s42
	s_sub_i32 s6, s6, s7
	s_lshl_b32 s6, s6, 4
	s_sub_i32 s31, s6, s13
	s_add_i32 s31, s31, 16
	s_max_i32 s7, s31, 0
	s_sub_i32 s30, s6, s7
	s_and_saveexec_b64 s[6:7], s[0:1]
	s_xor_b64 s[34:35], exec, s[6:7]
	s_cbranch_execz .LBB156_30
; %bb.9:                                ;   in Loop: Header=BB156_7 Depth=1
	s_and_saveexec_b64 s[36:37], s[4:5]
	s_cbranch_execz .LBB156_29
; %bb.10:                               ;   in Loop: Header=BB156_7 Depth=1
	s_waitcnt lgkmcnt(0)
	global_load_dword v39, v15, s[26:27]
	v_mov_b32_e32 v7, 0
	v_cmp_gt_i32_e32 vcc, s55, v38
	v_mov_b32_e32 v6, v7
	v_mov_b32_e32 v5, v7
	;; [unrolled: 1-line block ×7, first 2 shown]
	s_and_saveexec_b64 s[6:7], vcc
	s_cbranch_execz .LBB156_23
; %bb.11:                               ;   in Loop: Header=BB156_7 Depth=1
	v_mov_b32_e32 v0, 0
	s_mov_b64 s[8:9], 0
	v_mov_b32_e32 v1, v0
	v_mov_b32_e32 v2, v0
	;; [unrolled: 1-line block ×7, first 2 shown]
	s_branch .LBB156_13
.LBB156_12:                             ;   in Loop: Header=BB156_13 Depth=2
	s_or_b64 exec, exec, s[38:39]
	v_add_u32_e32 v43, v27, v43
	v_add_u32_e32 v46, 0x800, v43
	ds_read2_b32 v[44:45], v46 offset1:32
	ds_read2_b32 v[46:47], v46 offset0:128 offset1:160
	v_add_u32_e32 v43, 0xc00, v43
	v_add_u32_e32 v38, s19, v38
	v_cmp_le_i32_e32 vcc, s55, v38
	s_waitcnt lgkmcnt(1)
	v_mfma_f32_16x16x32_fp8_fp8 v[0:3], v[44:45], v[22:23], v[0:3]
	ds_read2_b32 v[44:45], v43 offset1:32
	v_add_u32_e32 v22, s19, v40
	v_add_u32_e32 v23, 2, v26
	s_waitcnt lgkmcnt(1)
	v_mfma_f32_16x16x32_fp8_fp8 v[0:3], v[46:47], v[24:25], v[0:3]
	ds_read2_b32 v[24:25], v43 offset0:128 offset1:160
	s_or_b64 s[8:9], vcc, s[8:9]
	v_cmp_lt_i32_e32 vcc, 3, v22
	;;#ASMSTART
	s_waitcnt lgkmcnt(0)
	;;#ASMEND
	s_waitcnt lgkmcnt(1)
	v_mfma_f32_16x16x32_fp8_fp8 v[0:3], v[44:45], v[20:21], v[0:3]
	v_cndmask_b32_e32 v26, v26, v23, vcc
	ds_write_b32 v42, v41 offset:24580
	s_waitcnt lgkmcnt(1)
	v_mfma_f32_16x16x32_fp8_fp8 v[0:3], v[24:25], v[18:19], v[0:3]
	s_andn2_b64 exec, exec, s[8:9]
	s_cbranch_execz .LBB156_22
.LBB156_13:                             ;   Parent Loop BB156_7 Depth=1
                                        ; =>  This Loop Header: Depth=2
                                        ;       Child Loop BB156_15 Depth 3
                                        ;       Child Loop BB156_18 Depth 3
	;; [unrolled: 1-line block ×3, first 2 shown]
	v_cmp_gt_i32_e32 vcc, 4, v22
	s_nop 1
	v_cndmask_b32_e64 v18, -4, 0, vcc
	v_add_u32_e32 v40, v18, v22
	v_lshlrev_b32_e32 v18, 2, v40
	ds_read_b32 v19, v18 offset:24608
	v_add_u32_e32 v42, 0x6000, v18
	s_waitcnt lgkmcnt(0)
	v_cmp_ne_u32_e32 vcc, v19, v26
	s_and_saveexec_b64 s[38:39], vcc
	s_cbranch_execz .LBB156_16
; %bb.14:                               ;   in Loop: Header=BB156_13 Depth=2
	s_mov_b64 s[40:41], 0
.LBB156_15:                             ;   Parent Loop BB156_7 Depth=1
                                        ;     Parent Loop BB156_13 Depth=2
                                        ; =>    This Inner Loop Header: Depth=3
	;;#ASMSTART
	s_sleep 0
	;;#ASMEND
	ds_read_b32 v18, v42 offset:32
	s_waitcnt lgkmcnt(0)
	v_cmp_eq_u32_e32 vcc, v18, v26
	s_or_b64 s[40:41], vcc, s[40:41]
	s_andn2_b64 exec, exec, s[40:41]
	s_cbranch_execnz .LBB156_15
.LBB156_16:                             ;   in Loop: Header=BB156_13 Depth=2
	s_or_b64 exec, exec, s[38:39]
	v_lshl_add_u32 v18, v40, 11, v28
	ds_read2_b32 v[22:23], v18 offset1:32
	ds_read2_b32 v[24:25], v18 offset0:128 offset1:160
	v_add_u32_e32 v18, 0x400, v18
	v_add_u32_e32 v41, 1, v26
	ds_read2_b32 v[20:21], v18 offset1:32
	ds_read2_b32 v[18:19], v18 offset0:128 offset1:160
	;;#ASMSTART
	s_waitcnt lgkmcnt(0)
	;;#ASMEND
	ds_write_b32 v42, v41 offset:32
	v_lshlrev_b32_e32 v42, 3, v40
	ds_read_b32 v43, v42 offset:24576
	s_waitcnt lgkmcnt(0)
	v_cmp_ne_u32_e32 vcc, v43, v26
	s_and_saveexec_b64 s[38:39], vcc
	s_cbranch_execz .LBB156_19
; %bb.17:                               ;   in Loop: Header=BB156_13 Depth=2
	s_mov_b64 s[40:41], 0
.LBB156_18:                             ;   Parent Loop BB156_7 Depth=1
                                        ;     Parent Loop BB156_13 Depth=2
                                        ; =>    This Inner Loop Header: Depth=3
	;;#ASMSTART
	s_sleep 0
	;;#ASMEND
	ds_read_b32 v43, v42 offset:24576
	s_waitcnt lgkmcnt(0)
	v_cmp_eq_u32_e32 vcc, v43, v26
	s_or_b64 s[40:41], vcc, s[40:41]
	s_andn2_b64 exec, exec, s[40:41]
	s_cbranch_execnz .LBB156_18
.LBB156_19:                             ;   in Loop: Header=BB156_13 Depth=2
	s_or_b64 exec, exec, s[38:39]
	v_lshlrev_b32_e32 v43, 12, v40
	v_or_b32_e32 v48, v27, v43
	ds_read2_b32 v[44:45], v48 offset1:32
	ds_read2_b32 v[46:47], v48 offset0:128 offset1:160
	v_add_u32_e32 v48, 0x400, v48
	s_waitcnt lgkmcnt(1)
	v_mfma_f32_16x16x32_fp8_fp8 v[4:7], v[44:45], v[22:23], v[4:7]
	ds_read2_b32 v[44:45], v48 offset1:32
	s_waitcnt lgkmcnt(1)
	v_mfma_f32_16x16x32_fp8_fp8 v[4:7], v[46:47], v[24:25], v[4:7]
	ds_read2_b32 v[46:47], v48 offset0:128 offset1:160
	;;#ASMSTART
	s_waitcnt lgkmcnt(0)
	;;#ASMEND
	ds_write_b32 v42, v41 offset:24576
	s_waitcnt lgkmcnt(2)
	v_mfma_f32_16x16x32_fp8_fp8 v[4:7], v[44:45], v[20:21], v[4:7]
	ds_read_b32 v44, v42 offset:24580
	s_waitcnt lgkmcnt(0)
	v_cmp_ne_u32_e32 vcc, v44, v26
	v_mfma_f32_16x16x32_fp8_fp8 v[4:7], v[46:47], v[18:19], v[4:7]
	s_and_saveexec_b64 s[38:39], vcc
	s_cbranch_execz .LBB156_12
; %bb.20:                               ;   in Loop: Header=BB156_13 Depth=2
	s_mov_b64 s[40:41], 0
.LBB156_21:                             ;   Parent Loop BB156_7 Depth=1
                                        ;     Parent Loop BB156_13 Depth=2
                                        ; =>    This Inner Loop Header: Depth=3
	;;#ASMSTART
	s_sleep 0
	;;#ASMEND
	ds_read_b32 v44, v42 offset:24580
	s_waitcnt lgkmcnt(0)
	v_cmp_eq_u32_e32 vcc, v44, v26
	s_or_b64 s[40:41], vcc, s[40:41]
	s_andn2_b64 exec, exec, s[40:41]
	s_cbranch_execnz .LBB156_21
	s_branch .LBB156_12
.LBB156_22:                             ;   in Loop: Header=BB156_7 Depth=1
	s_or_b64 exec, exec, s[8:9]
.LBB156_23:                             ;   in Loop: Header=BB156_7 Depth=1
	s_or_b64 exec, exec, s[6:7]
	v_cmp_le_i32_e32 vcc, s31, v8
	v_cmp_eq_u32_e64 s[6:7], 3, v29
	s_waitcnt vmcnt(0)
	v_cndmask_b32_e32 v18, 0, v39, vcc
	v_pk_mul_f32 v[24:25], v[18:19], v[4:5] op_sel_hi:[0,1]
	v_cmp_eq_u32_e32 vcc, 1, v29
	v_pk_mul_f32 v[6:7], v[18:19], v[6:7] op_sel_hi:[0,1]
	v_add_u32_e32 v19, s54, v31
	v_cndmask_b32_e32 v4, v24, v25, vcc
	v_cmp_eq_u32_e32 vcc, 2, v29
	s_nop 1
	v_cndmask_b32_e32 v4, v4, v6, vcc
	v_cndmask_b32_e64 v4, v4, v7, s[6:7]
	ds_bpermute_b32 v5, v37, v4
	s_waitcnt lgkmcnt(0)
	v_cndmask_b32_e32 v6, v6, v5, vcc
	v_cmp_ne_u32_e32 vcc, 0, v29
	v_cndmask_b32_e64 v20, v7, v5, s[6:7]
	s_nop 0
	v_cndmask_b32_e32 v4, v25, v5, vcc
	v_cmp_eq_u32_e32 vcc, 0, v29
	s_nop 1
	v_cndmask_b32_e32 v5, v24, v5, vcc
	v_cmp_eq_u32_e32 vcc, 1, v30
	;; [unrolled: 3-line block ×4, first 2 shown]
	s_nop 1
	v_cndmask_b32_e32 v7, v7, v20, vcc
	ds_bpermute_b32 v7, v37, v7
	v_cmp_gt_u32_e32 vcc, 32, v19
	s_and_saveexec_b64 s[38:39], vcc
	s_cbranch_execz .LBB156_28
; %bb.24:                               ;   in Loop: Header=BB156_7 Depth=1
	v_cmp_eq_u32_e64 s[8:9], 1, v30
	v_cmp_eq_u32_e64 s[6:7], 3, v30
	v_cmp_eq_u32_e32 vcc, 2, v30
	s_waitcnt lgkmcnt(0)
	v_cndmask_b32_e64 v4, v4, v7, s[8:9]
	v_cmp_eq_u32_e64 s[8:9], 0, v30
	v_cvt_f16_f32_sdwa v23, v4 dst_sel:WORD_1 dst_unused:UNUSED_PAD src0_sel:DWORD
	s_nop 0
	v_cndmask_b32_e64 v5, v5, v7, s[8:9]
	s_mul_i32 s8, s52, s13
	s_ashr_i32 s9, s8, 31
	s_lshl_b64 s[8:9], s[8:9], 1
	s_add_u32 s40, s24, s8
	s_addc_u32 s41, s25, s9
	s_ashr_i32 s31, s30, 31
	s_lshl_b64 s[8:9], s[30:31], 1
	v_cvt_f16_f32_e32 v21, v5
	s_add_u32 s40, s40, s8
	s_addc_u32 s41, s41, s9
	v_lshl_add_u64 v[4:5], v[10:11], 1, s[40:41]
	v_cmp_gt_u32_e64 s[8:9], 30, v19
	v_or_b32_e32 v21, v23, v21
	;;#ASMSTART
	global_atomic_pk_add_f16 v[4:5], v21, off
	
	;;#ASMEND
	s_and_b64 exec, exec, s[8:9]
	s_cbranch_execz .LBB156_28
; %bb.25:                               ;   in Loop: Header=BB156_7 Depth=1
	v_mov_b32_e32 v19, v18
	v_cndmask_b32_e64 v23, v20, v7, s[6:7]
	v_mov_b32_e32 v20, v18
	v_mov_b32_e32 v21, v18
	v_pk_mul_f32 v[18:19], v[18:19], v[0:1]
	v_cmp_eq_u32_e64 s[6:7], 1, v29
	v_pk_mul_f32 v[20:21], v[20:21], v[2:3]
	v_cmp_eq_u32_e64 s[8:9], 3, v29
	v_cndmask_b32_e64 v0, v18, v19, s[6:7]
	v_cmp_eq_u32_e64 s[6:7], 2, v29
	v_cvt_f16_f32_sdwa v23, v23 dst_sel:WORD_1 dst_unused:UNUSED_PAD src0_sel:DWORD
	s_nop 0
	v_cndmask_b32_e64 v0, v0, v20, s[6:7]
	v_cndmask_b32_e64 v0, v0, v21, s[8:9]
	ds_bpermute_b32 v1, v37, v0
	v_cndmask_b32_e32 v0, v6, v7, vcc
	v_cmp_ne_u32_e32 vcc, 0, v29
	v_lshl_add_u64 v[6:7], s[10:11], 2, v[4:5]
	v_cvt_f16_f32_e32 v5, v0
	s_waitcnt lgkmcnt(0)
	v_cndmask_b32_e32 v0, v19, v1, vcc
	v_cmp_eq_u32_e32 vcc, 0, v29
	v_cndmask_b32_e64 v2, v21, v1, s[8:9]
	v_cndmask_b32_e64 v3, v20, v1, s[6:7]
	v_cndmask_b32_e32 v1, v18, v1, vcc
	v_cmp_eq_u32_e32 vcc, 1, v30
	v_or_b32_e32 v5, v23, v5
	;;#ASMSTART
	global_atomic_pk_add_f16 v[6:7], v5, off
	
	;;#ASMEND
	v_add_u32_e32 v5, s54, v32
	v_cndmask_b32_e32 v4, v1, v0, vcc
	v_cmp_eq_u32_e32 vcc, 2, v30
	s_nop 1
	v_cndmask_b32_e32 v4, v4, v3, vcc
	v_cmp_eq_u32_e32 vcc, 3, v30
	s_nop 1
	v_cndmask_b32_e32 v4, v4, v2, vcc
	ds_bpermute_b32 v4, v37, v4
	v_cmp_gt_u32_e32 vcc, 32, v5
	s_and_b64 exec, exec, vcc
	s_cbranch_execz .LBB156_28
; %bb.26:                               ;   in Loop: Header=BB156_7 Depth=1
	v_cmp_eq_u32_e32 vcc, 1, v30
	v_cmp_eq_u32_e64 s[6:7], 2, v30
	v_cmp_gt_u32_e64 s[8:9], 30, v5
	s_waitcnt lgkmcnt(0)
	v_cndmask_b32_e32 v0, v0, v4, vcc
	v_cmp_eq_u32_e32 vcc, 0, v30
	v_cvt_f16_f32_sdwa v7, v0 dst_sel:WORD_1 dst_unused:UNUSED_PAD src0_sel:DWORD
	s_nop 0
	v_cndmask_b32_e32 v1, v1, v4, vcc
	v_cvt_f16_f32_e32 v6, v1
	v_cmp_eq_u32_e32 vcc, 3, v30
	v_lshl_add_u64 v[0:1], v[12:13], 1, s[40:41]
	v_or_b32_e32 v6, v7, v6
	;;#ASMSTART
	global_atomic_pk_add_f16 v[0:1], v6, off
	
	;;#ASMEND
	s_and_b64 exec, exec, s[8:9]
	s_cbranch_execz .LBB156_28
; %bb.27:                               ;   in Loop: Header=BB156_7 Depth=1
	v_cndmask_b32_e32 v2, v2, v4, vcc
	v_cndmask_b32_e64 v3, v3, v4, s[6:7]
	v_cvt_f16_f32_sdwa v2, v2 dst_sel:WORD_1 dst_unused:UNUSED_PAD src0_sel:DWORD
	v_cvt_f16_f32_e32 v3, v3
	v_lshl_add_u64 v[0:1], s[10:11], 2, v[0:1]
	v_or_b32_e32 v2, v2, v3
	;;#ASMSTART
	global_atomic_pk_add_f16 v[0:1], v2, off
	
	;;#ASMEND
.LBB156_28:                             ;   in Loop: Header=BB156_7 Depth=1
	s_or_b64 exec, exec, s[38:39]
	v_subrev_u32_e32 v38, s55, v38
.LBB156_29:                             ;   in Loop: Header=BB156_7 Depth=1
	s_or_b64 exec, exec, s[36:37]
.LBB156_30:                             ;   in Loop: Header=BB156_7 Depth=1
	s_andn2_saveexec_b64 s[6:7], s[34:35]
	s_cbranch_execz .LBB156_39
; %bb.31:                               ;   in Loop: Header=BB156_7 Depth=1
	v_cmp_gt_i32_e32 vcc, s55, v38
	s_and_saveexec_b64 s[8:9], vcc
	s_cbranch_execz .LBB156_38
; %bb.32:                               ;   in Loop: Header=BB156_7 Depth=1
	s_mul_i32 s30, s30, s15
	s_ashr_i32 s31, s30, 31
	s_waitcnt lgkmcnt(0)
	s_add_u32 s30, s22, s30
	s_addc_u32 s31, s23, s31
	s_ashr_i32 s34, s53, 31
	s_add_u32 s30, s30, s53
	s_addc_u32 s31, s31, s34
	v_lshl_add_u64 v[0:1], s[30:31], 0, v[16:17]
	v_lshl_add_u64 v[18:19], v[0:1], 0, v[14:15]
	s_mov_b64 s[30:31], 0
	s_branch .LBB156_34
.LBB156_33:                             ;   in Loop: Header=BB156_34 Depth=2
	s_or_b64 exec, exec, s[34:35]
	v_lshl_add_u32 v22, v20, 11, v35
	;;#ASMSTART
	s_waitcnt vmcnt(1)
	;;#ASMEND
	ds_write2_b32 v22, v4, v5 offset1:32
	ds_write2_b32 v22, v6, v7 offset0:64 offset1:96
	v_add_u32_e32 v4, 0x400, v22
	v_add_u32_e32 v38, s18, v38
	;;#ASMSTART
	s_waitcnt vmcnt(0)
	;;#ASMEND
	ds_write2_b32 v4, v0, v1 offset1:32
	ds_write2_b32 v4, v2, v3 offset0:64 offset1:96
	v_add_u32_e32 v0, 1, v26
	v_add_u32_e32 v22, s18, v20
	v_cmp_le_i32_e32 vcc, s55, v38
	ds_write_b32 v21, v0 offset:32
	v_add_u32_e32 v0, 2, v26
	s_or_b64 s[30:31], vcc, s[30:31]
	v_cmp_lt_i32_e32 vcc, 3, v22
	s_nop 1
	v_cndmask_b32_e32 v26, v26, v0, vcc
	s_andn2_b64 exec, exec, s[30:31]
	s_cbranch_execz .LBB156_37
.LBB156_34:                             ;   Parent Loop BB156_7 Depth=1
                                        ; =>  This Loop Header: Depth=2
                                        ;       Child Loop BB156_36 Depth 3
	v_cmp_gt_i32_e32 vcc, 4, v22
	s_nop 1
	v_cndmask_b32_e64 v0, -4, 0, vcc
	v_add_u32_e32 v20, v0, v22
	v_lshlrev_b32_e32 v0, 7, v38
	v_ashrrev_i32_e32 v1, 31, v0
	v_lshl_add_u64 v[0:1], v[18:19], 0, v[0:1]
	v_lshlrev_b32_e32 v21, 2, v20
	;;#ASMSTART
	global_load_dwordx4 v[4:7], v[0:1], off offset:0   sc0 sc1 nt  
	global_load_dwordx4 v[0:3], v[0:1], off offset:64  sc0 sc1 nt  
	
	;;#ASMEND
	ds_read_b32 v22, v21 offset:24608
	v_add_u32_e32 v21, 0x6000, v21
	s_waitcnt lgkmcnt(0)
	v_cmp_ne_u32_e32 vcc, v22, v26
	s_and_saveexec_b64 s[34:35], vcc
	s_cbranch_execz .LBB156_33
; %bb.35:                               ;   in Loop: Header=BB156_34 Depth=2
	s_mov_b64 s[36:37], 0
.LBB156_36:                             ;   Parent Loop BB156_7 Depth=1
                                        ;     Parent Loop BB156_34 Depth=2
                                        ; =>    This Inner Loop Header: Depth=3
	;;#ASMSTART
	s_sleep 0
	;;#ASMEND
	ds_read_b32 v22, v21 offset:32
	s_waitcnt lgkmcnt(0)
	v_cmp_eq_u32_e32 vcc, v22, v26
	s_or_b64 s[36:37], vcc, s[36:37]
	s_andn2_b64 exec, exec, s[36:37]
	s_cbranch_execnz .LBB156_36
	s_branch .LBB156_33
.LBB156_37:                             ;   in Loop: Header=BB156_7 Depth=1
	s_or_b64 exec, exec, s[30:31]
.LBB156_38:                             ;   in Loop: Header=BB156_7 Depth=1
	s_or_b64 exec, exec, s[8:9]
	v_subrev_u32_e32 v38, s55, v38
.LBB156_39:                             ;   in Loop: Header=BB156_7 Depth=1
	s_or_b64 exec, exec, s[6:7]
.LBB156_40:                             ;   in Loop: Header=BB156_7 Depth=1
	s_andn2_saveexec_b64 s[6:7], s[28:29]
	s_cbranch_execz .LBB156_6
; %bb.41:                               ;   in Loop: Header=BB156_7 Depth=1
	s_lshl_b32 s36, s55, 1
	v_cmp_gt_i32_e32 vcc, s36, v38
	s_and_saveexec_b64 s[8:9], vcc
	s_cbranch_execz .LBB156_5
; %bb.42:                               ;   in Loop: Header=BB156_7 Depth=1
	s_mul_i32 s52, s52, s14
	s_ashr_i32 s28, s52, 31
	s_waitcnt lgkmcnt(0)
	s_add_u32 s29, s20, s52
	v_add_u32_e32 v2, s54, v33
	s_addc_u32 s30, s21, s28
	s_ashr_i32 s31, s53, 31
	v_cmp_gt_u32_e32 vcc, 32, v2
	s_add_u32 s28, s29, s53
	s_addc_u32 s29, s30, s31
	v_cndmask_b32_e32 v0, 0, v36, vcc
	v_ashrrev_i32_e32 v1, 31, v0
	v_lshl_add_u64 v[0:1], s[28:29], 0, v[0:1]
	v_lshl_add_u64 v[18:19], v[0:1], 0, v[14:15]
	v_sub_u32_e32 v20, 31, v2
	s_mov_b64 s[28:29], 0
	s_branch .LBB156_44
.LBB156_43:                             ;   in Loop: Header=BB156_44 Depth=2
	s_or_b64 exec, exec, s[30:31]
	v_lshl_or_b32 v23, v21, 11, v34
	;;#ASMSTART
	s_waitcnt vmcnt(1)
	;;#ASMEND
	ds_write2_b32 v23, v4, v5 offset1:32
	ds_write2_b32 v23, v6, v7 offset0:64 offset1:96
	v_add_u32_e32 v4, 0x400, v23
	;;#ASMSTART
	s_waitcnt vmcnt(0)
	;;#ASMEND
	ds_write2_b32 v4, v0, v1 offset1:32
	ds_write2_b32 v4, v2, v3 offset0:64 offset1:96
	v_add_u32_e32 v0, 1, v26
	v_add_u32_e32 v38, s17, v38
	ds_write_b32 v22, v0
	v_add_u32_e32 v22, s17, v21
	v_cmp_le_i32_e32 vcc, s36, v38
	v_add_u32_e32 v0, 2, v26
	s_or_b64 s[28:29], vcc, s[28:29]
	v_cmp_lt_i32_e32 vcc, 7, v22
	s_nop 1
	v_cndmask_b32_e32 v26, v26, v0, vcc
	s_andn2_b64 exec, exec, s[28:29]
	s_cbranch_execz .LBB156_4
.LBB156_44:                             ;   Parent Loop BB156_7 Depth=1
                                        ; =>  This Loop Header: Depth=2
                                        ;       Child Loop BB156_46 Depth 3
	v_cmp_gt_i32_e32 vcc, 8, v22
	s_nop 1
	v_cndmask_b32_e64 v0, -8, 0, vcc
	v_add_u32_e32 v21, v0, v22
	v_lshrrev_b32_e32 v0, 31, v38
	v_add_u32_e32 v0, v38, v0
	v_and_b32_e32 v1, 0xffffffe, v0
	v_sub_u32_e32 v1, v38, v1
	v_lshlrev_b32_e32 v1, 4, v1
	v_cmp_le_i32_e32 vcc, v1, v20
	v_lshlrev_b32_e32 v0, 6, v0
	v_and_b32_e32 v0, 0xffffff80, v0
	v_cndmask_b32_e32 v2, 0, v1, vcc
	v_ashrrev_i32_e32 v1, 31, v0
	v_mul_lo_u32 v2, v2, s14
	v_lshl_add_u64 v[0:1], v[18:19], 0, v[0:1]
	v_ashrrev_i32_e32 v3, 31, v2
	v_lshl_add_u64 v[0:1], v[0:1], 0, v[2:3]
	v_lshlrev_b32_e32 v22, 2, v21
	;;#ASMSTART
	global_load_dwordx4 v[4:7], v[0:1], off offset:0   
	global_load_dwordx4 v[0:3], v[0:1], off offset:64  
	
	;;#ASMEND
	ds_read_b32 v23, v22 offset:24576
	v_add_u32_e32 v22, 0x6000, v22
	s_waitcnt lgkmcnt(0)
	v_cmp_ne_u32_e32 vcc, v23, v26
	s_and_saveexec_b64 s[30:31], vcc
	s_cbranch_execz .LBB156_43
; %bb.45:                               ;   in Loop: Header=BB156_44 Depth=2
	s_mov_b64 s[34:35], 0
.LBB156_46:                             ;   Parent Loop BB156_7 Depth=1
                                        ;     Parent Loop BB156_44 Depth=2
                                        ; =>    This Inner Loop Header: Depth=3
	;;#ASMSTART
	s_sleep 0
	;;#ASMEND
	ds_read_b32 v23, v22
	s_waitcnt lgkmcnt(0)
	v_cmp_eq_u32_e32 vcc, v23, v26
	s_or_b64 s[34:35], vcc, s[34:35]
	s_andn2_b64 exec, exec, s[34:35]
	s_cbranch_execnz .LBB156_46
	s_branch .LBB156_43
.LBB156_47:
	s_endpgm
	.section	.rodata,"a",@progbits
	.p2align	6, 0x0
	.amdhsa_kernel _Z19_skinny_gemm_kernelILi2ELi1ELi4ELi16ELi4EEvPKhS1_P6__halfPKfiiiiiiii
		.amdhsa_group_segment_fixed_size 24624
		.amdhsa_private_segment_fixed_size 0
		.amdhsa_kernarg_size 64
		.amdhsa_user_sgpr_count 2
		.amdhsa_user_sgpr_dispatch_ptr 0
		.amdhsa_user_sgpr_queue_ptr 0
		.amdhsa_user_sgpr_kernarg_segment_ptr 1
		.amdhsa_user_sgpr_dispatch_id 0
		.amdhsa_user_sgpr_kernarg_preload_length 0
		.amdhsa_user_sgpr_kernarg_preload_offset 0
		.amdhsa_user_sgpr_private_segment_size 0
		.amdhsa_uses_dynamic_stack 0
		.amdhsa_enable_private_segment 0
		.amdhsa_system_sgpr_workgroup_id_x 1
		.amdhsa_system_sgpr_workgroup_id_y 0
		.amdhsa_system_sgpr_workgroup_id_z 0
		.amdhsa_system_sgpr_workgroup_info 0
		.amdhsa_system_vgpr_workitem_id 0
		.amdhsa_next_free_vgpr 49
		.amdhsa_next_free_sgpr 56
		.amdhsa_accum_offset 52
		.amdhsa_reserve_vcc 1
		.amdhsa_float_round_mode_32 0
		.amdhsa_float_round_mode_16_64 0
		.amdhsa_float_denorm_mode_32 3
		.amdhsa_float_denorm_mode_16_64 3
		.amdhsa_dx10_clamp 1
		.amdhsa_ieee_mode 1
		.amdhsa_fp16_overflow 0
		.amdhsa_tg_split 0
		.amdhsa_exception_fp_ieee_invalid_op 0
		.amdhsa_exception_fp_denorm_src 0
		.amdhsa_exception_fp_ieee_div_zero 0
		.amdhsa_exception_fp_ieee_overflow 0
		.amdhsa_exception_fp_ieee_underflow 0
		.amdhsa_exception_fp_ieee_inexact 0
		.amdhsa_exception_int_div_zero 0
	.end_amdhsa_kernel
	.section	.text._Z19_skinny_gemm_kernelILi2ELi1ELi4ELi16ELi4EEvPKhS1_P6__halfPKfiiiiiiii,"axG",@progbits,_Z19_skinny_gemm_kernelILi2ELi1ELi4ELi16ELi4EEvPKhS1_P6__halfPKfiiiiiiii,comdat
.Lfunc_end156:
	.size	_Z19_skinny_gemm_kernelILi2ELi1ELi4ELi16ELi4EEvPKhS1_P6__halfPKfiiiiiiii, .Lfunc_end156-_Z19_skinny_gemm_kernelILi2ELi1ELi4ELi16ELi4EEvPKhS1_P6__halfPKfiiiiiiii
                                        ; -- End function
	.set _Z19_skinny_gemm_kernelILi2ELi1ELi4ELi16ELi4EEvPKhS1_P6__halfPKfiiiiiiii.num_vgpr, 49
	.set _Z19_skinny_gemm_kernelILi2ELi1ELi4ELi16ELi4EEvPKhS1_P6__halfPKfiiiiiiii.num_agpr, 0
	.set _Z19_skinny_gemm_kernelILi2ELi1ELi4ELi16ELi4EEvPKhS1_P6__halfPKfiiiiiiii.numbered_sgpr, 56
	.set _Z19_skinny_gemm_kernelILi2ELi1ELi4ELi16ELi4EEvPKhS1_P6__halfPKfiiiiiiii.num_named_barrier, 0
	.set _Z19_skinny_gemm_kernelILi2ELi1ELi4ELi16ELi4EEvPKhS1_P6__halfPKfiiiiiiii.private_seg_size, 0
	.set _Z19_skinny_gemm_kernelILi2ELi1ELi4ELi16ELi4EEvPKhS1_P6__halfPKfiiiiiiii.uses_vcc, 1
	.set _Z19_skinny_gemm_kernelILi2ELi1ELi4ELi16ELi4EEvPKhS1_P6__halfPKfiiiiiiii.uses_flat_scratch, 0
	.set _Z19_skinny_gemm_kernelILi2ELi1ELi4ELi16ELi4EEvPKhS1_P6__halfPKfiiiiiiii.has_dyn_sized_stack, 0
	.set _Z19_skinny_gemm_kernelILi2ELi1ELi4ELi16ELi4EEvPKhS1_P6__halfPKfiiiiiiii.has_recursion, 0
	.set _Z19_skinny_gemm_kernelILi2ELi1ELi4ELi16ELi4EEvPKhS1_P6__halfPKfiiiiiiii.has_indirect_call, 0
	.section	.AMDGPU.csdata,"",@progbits
; Kernel info:
; codeLenInByte = 3240
; TotalNumSgprs: 62
; NumVgprs: 49
; NumAgprs: 0
; TotalNumVgprs: 49
; ScratchSize: 0
; MemoryBound: 0
; FloatMode: 240
; IeeeMode: 1
; LDSByteSize: 24624 bytes/workgroup (compile time only)
; SGPRBlocks: 7
; VGPRBlocks: 6
; NumSGPRsForWavesPerEU: 62
; NumVGPRsForWavesPerEU: 49
; AccumOffset: 52
; Occupancy: 8
; WaveLimiterHint : 0
; COMPUTE_PGM_RSRC2:SCRATCH_EN: 0
; COMPUTE_PGM_RSRC2:USER_SGPR: 2
; COMPUTE_PGM_RSRC2:TRAP_HANDLER: 0
; COMPUTE_PGM_RSRC2:TGID_X_EN: 1
; COMPUTE_PGM_RSRC2:TGID_Y_EN: 0
; COMPUTE_PGM_RSRC2:TGID_Z_EN: 0
; COMPUTE_PGM_RSRC2:TIDIG_COMP_CNT: 0
; COMPUTE_PGM_RSRC3_GFX90A:ACCUM_OFFSET: 12
; COMPUTE_PGM_RSRC3_GFX90A:TG_SPLIT: 0
	.section	.text._Z19_skinny_gemm_kernelILi2ELi1ELi4ELi16ELi8EEvPKhS1_P6__halfPKfiiiiiiii,"axG",@progbits,_Z19_skinny_gemm_kernelILi2ELi1ELi4ELi16ELi8EEvPKhS1_P6__halfPKfiiiiiiii,comdat
	.protected	_Z19_skinny_gemm_kernelILi2ELi1ELi4ELi16ELi8EEvPKhS1_P6__halfPKfiiiiiiii ; -- Begin function _Z19_skinny_gemm_kernelILi2ELi1ELi4ELi16ELi8EEvPKhS1_P6__halfPKfiiiiiiii
	.globl	_Z19_skinny_gemm_kernelILi2ELi1ELi4ELi16ELi8EEvPKhS1_P6__halfPKfiiiiiiii
	.p2align	8
	.type	_Z19_skinny_gemm_kernelILi2ELi1ELi4ELi16ELi8EEvPKhS1_P6__halfPKfiiiiiiii,@function
_Z19_skinny_gemm_kernelILi2ELi1ELi4ELi16ELi8EEvPKhS1_P6__halfPKfiiiiiiii: ; @_Z19_skinny_gemm_kernelILi2ELi1ELi4ELi16ELi8EEvPKhS1_P6__halfPKfiiiiiiii
; %bb.0:
	v_cmp_gt_u32_e32 vcc, 12, v0
	v_lshlrev_b32_e32 v1, 2, v0
	s_and_saveexec_b64 s[4:5], vcc
; %bb.1:
	v_mov_b32_e32 v2, 0
	ds_write_b32 v1, v2 offset:49152
; %bb.2:
	s_or_b64 exec, exec, s[4:5]
	s_load_dwordx8 s[12:19], s[0:1], 0x20
	s_waitcnt lgkmcnt(0)
	s_barrier
	s_add_i32 s3, s12, 31
	s_ashr_i32 s5, s3, 31
	s_add_i32 s4, s13, 15
	s_lshr_b32 s5, s5, 27
	s_ashr_i32 s6, s4, 31
	s_add_i32 s3, s3, s5
	s_ashr_i32 s33, s3, 5
	s_lshr_b32 s3, s6, 28
	s_add_i32 s4, s4, s3
	s_ashr_i32 s42, s4, 4
	s_mul_i32 s3, s42, s33
	s_mul_i32 s3, s3, s16
	s_add_i32 s4, s3, 0x12f
	s_mul_hi_i32 s4, s4, 0x6bca1af3
	s_lshr_b32 s5, s4, 31
	s_ashr_i32 s4, s4, 7
	s_add_i32 s4, s4, s5
	s_add_i32 s5, s2, 1
	s_mul_i32 s5, s4, s5
	v_cvt_f64_i32_e32 v[2:3], s3
	v_cvt_f64_u32_e32 v[4:5], s5
	v_min_f64 v[2:3], v[2:3], v[4:5]
	v_cvt_i32_f64_e32 v17, v[2:3]
	s_mul_i32 s43, s4, s2
	v_cmp_ge_i32_e32 vcc, s43, v17
	s_cbranch_vccnz .LBB157_47
; %bb.3:
	v_lshrrev_b32_e32 v2, 6, v0
	s_add_i32 s4, s18, s17
	s_load_dwordx8 s[20:27], s[0:1], 0x0
	v_cmp_le_i32_e64 s[0:1], s4, v2
	v_mov_b32_e32 v3, s17
	v_cmp_le_i32_e64 s[2:3], s17, v2
	v_mov_b32_e32 v4, s18
	v_cndmask_b32_e64 v4, 0, v4, s[0:1]
	v_cndmask_b32_e64 v3, 0, v3, s[2:3]
	s_abs_i32 s5, s16
	v_add_u32_e32 v3, v3, v4
	v_cvt_f32_u32_e32 v4, s5
	v_sub_u32_e32 v10, v2, v3
	s_ashr_i32 s6, s14, 31
	s_lshr_b32 s6, s6, 24
	v_rcp_iflag_f32_e32 v3, v4
	s_sub_i32 s9, 0, s5
	s_add_i32 s6, s14, s6
	s_ashr_i32 s6, s6, 8
	v_mul_f32_e32 v3, 0x4f7ffffe, v3
	v_cvt_u32_f32_e32 v3, v3
	s_abs_i32 s8, s6
	s_xor_b32 s7, s6, s16
	s_ashr_i32 s7, s7, 31
	v_readfirstlane_b32 s10, v3
	s_mul_i32 s9, s9, s10
	s_mul_hi_u32 s9, s10, s9
	s_add_i32 s10, s10, s9
	s_mul_hi_u32 s9, s8, s10
	s_mul_i32 s10, s9, s5
	s_sub_i32 s8, s8, s10
	s_add_i32 s10, s9, 1
	s_sub_i32 s11, s8, s5
	s_cmp_ge_u32 s8, s5
	s_cselect_b32 s9, s10, s9
	s_cselect_b32 s8, s11, s8
	s_add_i32 s10, s9, 1
	s_cmp_ge_u32 s8, s5
	s_cselect_b32 s5, s10, s9
	s_xor_b32 s5, s5, s7
	s_sub_i32 s44, s5, s7
	s_add_i32 s16, s16, -1
	s_mul_i32 s5, s44, s16
	s_add_i32 s4, s4, s19
	s_sub_i32 s45, s6, s5
	v_cmp_gt_i32_e64 s[4:5], s4, v2
	v_lshlrev_b32_e32 v2, 1, v0
	v_lshlrev_b32_e32 v3, 4, v0
	v_and_b32_e32 v1, 60, v1
	v_and_b32_e32 v2, 64, v2
	;; [unrolled: 1-line block ×3, first 2 shown]
	v_or3_b32 v35, v1, v2, v4
	v_and_b32_e32 v1, 1, v0
	v_lshrrev_b32_e32 v4, 2, v0
	s_abs_i32 s46, s33
	v_and_or_b32 v39, v4, 12, v1
	v_cvt_f32_u32_e32 v4, s46
	v_lshlrev_b32_e32 v2, 1, v1
	v_and_b32_e32 v16, 14, v0
	v_sub_u32_e32 v2, v0, v2
	v_bitop3_b32 v37, v0, 1, v0 bitop3:0xc
	v_bitop3_b32 v38, v0, 3, 1 bitop3:0x6c
	v_and_b32_e32 v22, 48, v3
	v_bfe_u32 v41, v0, 2, 4
	v_and_b32_e32 v1, 60, v0
	v_lshlrev_b32_e32 v3, 8, v0
	v_lshlrev_b32_e32 v0, 6, v0
	v_and_b32_e32 v3, 0x200, v3
	v_and_b32_e32 v0, 64, v0
	v_rcp_iflag_f32_e32 v4, v4
	s_abs_i32 s47, s42
	v_or3_b32 v42, v1, v3, v0
	v_cvt_f32_u32_e32 v1, s47
	v_mul_f32_e32 v0, 0x4f7ffffe, v4
	v_cvt_u32_f32_e32 v0, v0
	v_mad_u64_u32 v[18:19], s[6:7], s13, v39, v[16:17]
	v_rcp_iflag_f32_e32 v1, v1
	v_readfirstlane_b32 s7, v0
	s_sub_i32 s6, 0, s46
	s_mul_i32 s6, s6, s7
	v_mul_f32_e32 v0, 0x4f7ffffe, v1
	v_cvt_u32_f32_e32 v0, v0
	s_mul_hi_u32 s6, s7, s6
	v_add_u32_e32 v2, 1, v2
	s_add_i32 s49, s7, s6
	s_sub_i32 s6, 0, s47
	v_readfirstlane_b32 s7, v0
	v_mbcnt_lo_u32_b32 v0, -1, 0
	v_and_b32_e32 v2, 63, v2
	s_mul_i32 s6, s6, s7
	v_mbcnt_hi_u32_b32 v0, -1, v0
	v_lshl_add_u32 v20, s13, 4, v18
	v_mul_lo_u32 v24, s15, v41
	s_mul_hi_u32 s6, s7, s6
	v_and_or_b32 v0, v0, 64, v2
	v_cndmask_b32_e64 v34, 0, 1, s[0:1]
	v_or_b32_e32 v36, 0x8000, v35
	s_ashr_i32 s11, s13, 31
	s_mov_b32 s10, s13
	v_ashrrev_i32_e32 v19, 31, v18
	v_or_b32_e32 v40, 16, v39
	v_ashrrev_i32_e32 v21, 31, v20
	v_ashrrev_i32_e32 v25, 31, v24
	v_mov_b32_e32 v23, 0
	v_or_b32_e32 v43, 0x8000, v42
	v_mul_lo_u32 v44, s14, v41
	s_ashr_i32 s48, s33, 31
	s_ashr_i32 s50, s42, 31
	s_add_i32 s51, s7, s6
	v_lshlrev_b32_e32 v45, 2, v0
	v_mov_b32_e32 v46, v10
	s_branch .LBB157_7
.LBB157_4:                              ;   in Loop: Header=BB157_7 Depth=1
	s_or_b64 exec, exec, s[28:29]
.LBB157_5:                              ;   in Loop: Header=BB157_7 Depth=1
	s_or_b64 exec, exec, s[8:9]
	v_subrev_u32_e32 v46, s36, v46
.LBB157_6:                              ;   in Loop: Header=BB157_7 Depth=1
	s_or_b64 exec, exec, s[6:7]
	s_add_i32 s43, s43, 1
	v_cmp_ge_i32_e32 vcc, s43, v17
	s_cbranch_vccnz .LBB157_47
.LBB157_7:                              ; =>This Loop Header: Depth=1
                                        ;     Child Loop BB157_13 Depth 2
                                        ;       Child Loop BB157_15 Depth 3
                                        ;       Child Loop BB157_18 Depth 3
                                        ;       Child Loop BB157_21 Depth 3
                                        ;     Child Loop BB157_34 Depth 2
                                        ;       Child Loop BB157_36 Depth 3
                                        ;     Child Loop BB157_44 Depth 2
                                        ;       Child Loop BB157_46 Depth 3
	s_abs_i32 s7, s43
	s_mul_hi_u32 s8, s7, s49
	s_mul_i32 s9, s8, s46
	s_ashr_i32 s6, s43, 31
	s_sub_i32 s7, s7, s9
	s_xor_b32 s6, s6, s48
	s_add_i32 s9, s8, 1
	s_sub_i32 s28, s7, s46
	s_cmp_ge_u32 s7, s46
	s_cselect_b32 s8, s9, s8
	s_cselect_b32 s7, s28, s7
	s_add_i32 s9, s8, 1
	s_cmp_ge_u32 s7, s46
	s_cselect_b32 s7, s9, s8
	s_xor_b32 s7, s7, s6
	s_sub_i32 s6, s7, s6
	s_abs_i32 s8, s6
	s_mul_i32 s7, s6, s33
	s_mul_hi_u32 s9, s8, s51
	s_sub_i32 s7, s43, s7
	s_mul_i32 s28, s9, s47
	s_lshl_b32 s52, s7, 5
	s_ashr_i32 s7, s6, 31
	s_sub_i32 s8, s8, s28
	s_xor_b32 s7, s7, s50
	s_add_i32 s28, s9, 1
	s_sub_i32 s29, s8, s47
	s_cmp_ge_u32 s8, s47
	s_cselect_b32 s9, s28, s9
	s_cselect_b32 s8, s29, s8
	s_add_i32 s28, s9, 1
	s_cmp_ge_u32 s8, s47
	s_cselect_b32 s8, s28, s9
	s_xor_b32 s8, s8, s7
	s_sub_i32 s7, s8, s7
	s_mul_i32 s8, s7, s44
	s_lshl_b32 s53, s8, 8
	s_cmp_eq_u32 s7, s16
	s_cselect_b32 s55, s45, s44
	s_sub_i32 s8, s52, s12
	s_add_i32 s8, s8, 32
	s_max_i32 s54, s8, 0
	s_and_saveexec_b64 s[8:9], s[2:3]
	s_xor_b64 s[28:29], exec, s[8:9]
	s_cbranch_execz .LBB157_40
; %bb.8:                                ;   in Loop: Header=BB157_7 Depth=1
	s_mul_i32 s7, s7, s42
	s_sub_i32 s6, s6, s7
	s_lshl_b32 s6, s6, 4
	s_sub_i32 s31, s6, s13
	s_add_i32 s31, s31, 16
	s_max_i32 s7, s31, 0
	s_sub_i32 s30, s6, s7
	s_and_saveexec_b64 s[6:7], s[0:1]
	s_xor_b64 s[34:35], exec, s[6:7]
	s_cbranch_execz .LBB157_30
; %bb.9:                                ;   in Loop: Header=BB157_7 Depth=1
	s_and_saveexec_b64 s[36:37], s[4:5]
	s_cbranch_execz .LBB157_29
; %bb.10:                               ;   in Loop: Header=BB157_7 Depth=1
	s_waitcnt lgkmcnt(0)
	global_load_dword v47, v23, s[26:27]
	v_mov_b32_e32 v7, 0
	v_cmp_gt_i32_e32 vcc, s55, v46
	v_mov_b32_e32 v6, v7
	v_mov_b32_e32 v5, v7
	;; [unrolled: 1-line block ×7, first 2 shown]
	s_and_saveexec_b64 s[6:7], vcc
	s_cbranch_execz .LBB157_23
; %bb.11:                               ;   in Loop: Header=BB157_7 Depth=1
	v_mov_b32_e32 v0, 0
	s_mov_b64 s[8:9], 0
	v_mov_b32_e32 v1, v0
	v_mov_b32_e32 v2, v0
	;; [unrolled: 1-line block ×7, first 2 shown]
	s_branch .LBB157_13
.LBB157_12:                             ;   in Loop: Header=BB157_13 Depth=2
	s_or_b64 exec, exec, s[38:39]
	v_add_u32_e32 v51, v35, v51
	v_add_u32_e32 v54, 0x1000, v51
	ds_read2_b32 v[52:53], v54 offset1:32
	ds_read2_b32 v[54:55], v54 offset0:128 offset1:160
	v_add_u32_e32 v56, 0x1400, v51
	v_add_u32_e32 v46, s19, v46
	v_cmp_le_i32_e32 vcc, s55, v46
	s_waitcnt lgkmcnt(1)
	v_mfma_f32_16x16x32_fp8_fp8 v[0:3], v[52:53], v[10:11], v[0:3]
	ds_read2_b32 v[10:11], v56 offset1:32
	v_add_u32_e32 v52, 0x1800, v51
	s_or_b64 s[8:9], vcc, s[8:9]
	s_waitcnt lgkmcnt(1)
	v_mfma_f32_16x16x32_fp8_fp8 v[0:3], v[54:55], v[12:13], v[0:3]
	ds_read2_b32 v[12:13], v56 offset0:128 offset1:160
	s_waitcnt lgkmcnt(1)
	v_mfma_f32_16x16x32_fp8_fp8 v[0:3], v[10:11], v[26:27], v[0:3]
	ds_read2_b32 v[10:11], v52 offset1:32
	s_waitcnt lgkmcnt(1)
	v_mfma_f32_16x16x32_fp8_fp8 v[0:3], v[12:13], v[28:29], v[0:3]
	ds_read2_b32 v[12:13], v52 offset0:128 offset1:160
	v_add_u32_e32 v28, 0x1c00, v51
	ds_read2_b32 v[26:27], v28 offset1:32
	s_waitcnt lgkmcnt(2)
	v_mfma_f32_16x16x32_fp8_fp8 v[0:3], v[10:11], v[30:31], v[0:3]
	v_add_u32_e32 v10, s19, v48
	v_add_u32_e32 v11, 2, v34
	v_cmp_lt_i32_e32 vcc, 3, v10
	s_waitcnt lgkmcnt(1)
	v_mfma_f32_16x16x32_fp8_fp8 v[0:3], v[12:13], v[32:33], v[0:3]
	ds_read2_b32 v[12:13], v28 offset0:128 offset1:160
	v_cndmask_b32_e32 v34, v34, v11, vcc
	;;#ASMSTART
	s_waitcnt lgkmcnt(0)
	;;#ASMEND
	s_waitcnt lgkmcnt(1)
	v_mfma_f32_16x16x32_fp8_fp8 v[0:3], v[26:27], v[14:15], v[0:3]
	ds_write_b32 v50, v49 offset:49156
	s_waitcnt lgkmcnt(1)
	v_mfma_f32_16x16x32_fp8_fp8 v[0:3], v[12:13], v[8:9], v[0:3]
	s_andn2_b64 exec, exec, s[8:9]
	s_cbranch_execz .LBB157_22
.LBB157_13:                             ;   Parent Loop BB157_7 Depth=1
                                        ; =>  This Loop Header: Depth=2
                                        ;       Child Loop BB157_15 Depth 3
                                        ;       Child Loop BB157_18 Depth 3
	;; [unrolled: 1-line block ×3, first 2 shown]
	v_cmp_gt_i32_e32 vcc, 4, v10
	s_nop 1
	v_cndmask_b32_e64 v8, -4, 0, vcc
	v_add_u32_e32 v48, v8, v10
	v_lshlrev_b32_e32 v8, 2, v48
	ds_read_b32 v9, v8 offset:49184
	v_add_u32_e32 v50, 0xc000, v8
	s_waitcnt lgkmcnt(0)
	v_cmp_ne_u32_e32 vcc, v9, v34
	s_and_saveexec_b64 s[38:39], vcc
	s_cbranch_execz .LBB157_16
; %bb.14:                               ;   in Loop: Header=BB157_13 Depth=2
	s_mov_b64 s[40:41], 0
.LBB157_15:                             ;   Parent Loop BB157_7 Depth=1
                                        ;     Parent Loop BB157_13 Depth=2
                                        ; =>    This Inner Loop Header: Depth=3
	;;#ASMSTART
	s_sleep 0
	;;#ASMEND
	ds_read_b32 v8, v50 offset:32
	s_waitcnt lgkmcnt(0)
	v_cmp_eq_u32_e32 vcc, v8, v34
	s_or_b64 s[40:41], vcc, s[40:41]
	s_andn2_b64 exec, exec, s[40:41]
	s_cbranch_execnz .LBB157_15
.LBB157_16:                             ;   in Loop: Header=BB157_13 Depth=2
	s_or_b64 exec, exec, s[38:39]
	v_lshl_add_u32 v8, v48, 12, v36
	v_add_u32_e32 v9, 0x400, v8
	ds_read2_b32 v[10:11], v8 offset1:32
	ds_read2_b32 v[12:13], v8 offset0:128 offset1:160
	ds_read2_b32 v[26:27], v9 offset1:32
	ds_read2_b32 v[28:29], v9 offset0:128 offset1:160
	v_add_u32_e32 v9, 0x800, v8
	v_add_u32_e32 v8, 0xc00, v8
	v_add_u32_e32 v49, 1, v34
	ds_read2_b32 v[30:31], v9 offset1:32
	ds_read2_b32 v[32:33], v9 offset0:128 offset1:160
	ds_read2_b32 v[14:15], v8 offset1:32
	ds_read2_b32 v[8:9], v8 offset0:128 offset1:160
	;;#ASMSTART
	s_waitcnt lgkmcnt(0)
	;;#ASMEND
	ds_write_b32 v50, v49 offset:32
	v_lshlrev_b32_e32 v50, 3, v48
	ds_read_b32 v51, v50 offset:49152
	s_waitcnt lgkmcnt(0)
	v_cmp_ne_u32_e32 vcc, v51, v34
	s_and_saveexec_b64 s[38:39], vcc
	s_cbranch_execz .LBB157_19
; %bb.17:                               ;   in Loop: Header=BB157_13 Depth=2
	s_mov_b64 s[40:41], 0
.LBB157_18:                             ;   Parent Loop BB157_7 Depth=1
                                        ;     Parent Loop BB157_13 Depth=2
                                        ; =>    This Inner Loop Header: Depth=3
	;;#ASMSTART
	s_sleep 0
	;;#ASMEND
	ds_read_b32 v51, v50 offset:49152
	s_waitcnt lgkmcnt(0)
	v_cmp_eq_u32_e32 vcc, v51, v34
	s_or_b64 s[40:41], vcc, s[40:41]
	s_andn2_b64 exec, exec, s[40:41]
	s_cbranch_execnz .LBB157_18
.LBB157_19:                             ;   in Loop: Header=BB157_13 Depth=2
	s_or_b64 exec, exec, s[38:39]
	v_lshlrev_b32_e32 v51, 13, v48
	v_or_b32_e32 v56, v35, v51
	ds_read2_b32 v[52:53], v56 offset1:32
	ds_read2_b32 v[54:55], v56 offset0:128 offset1:160
	v_add_u32_e32 v57, 0x400, v56
	s_waitcnt lgkmcnt(1)
	v_mfma_f32_16x16x32_fp8_fp8 v[4:7], v[52:53], v[10:11], v[4:7]
	ds_read2_b32 v[52:53], v57 offset1:32
	s_waitcnt lgkmcnt(1)
	v_mfma_f32_16x16x32_fp8_fp8 v[4:7], v[54:55], v[12:13], v[4:7]
	ds_read2_b32 v[54:55], v57 offset0:128 offset1:160
	v_add_u32_e32 v57, 0x800, v56
	v_add_u32_e32 v56, 0xc00, v56
	s_waitcnt lgkmcnt(1)
	v_mfma_f32_16x16x32_fp8_fp8 v[4:7], v[52:53], v[26:27], v[4:7]
	ds_read2_b32 v[52:53], v57 offset1:32
	s_waitcnt lgkmcnt(1)
	v_mfma_f32_16x16x32_fp8_fp8 v[4:7], v[54:55], v[28:29], v[4:7]
	ds_read2_b32 v[54:55], v57 offset0:128 offset1:160
	s_waitcnt lgkmcnt(1)
	v_mfma_f32_16x16x32_fp8_fp8 v[4:7], v[52:53], v[30:31], v[4:7]
	ds_read2_b32 v[52:53], v56 offset1:32
	s_waitcnt lgkmcnt(1)
	v_mfma_f32_16x16x32_fp8_fp8 v[4:7], v[54:55], v[32:33], v[4:7]
	ds_read2_b32 v[54:55], v56 offset0:128 offset1:160
	;;#ASMSTART
	s_waitcnt lgkmcnt(0)
	;;#ASMEND
	ds_write_b32 v50, v49 offset:49152
	s_waitcnt lgkmcnt(2)
	v_mfma_f32_16x16x32_fp8_fp8 v[4:7], v[52:53], v[14:15], v[4:7]
	ds_read_b32 v52, v50 offset:49156
	s_waitcnt lgkmcnt(0)
	v_cmp_ne_u32_e32 vcc, v52, v34
	v_mfma_f32_16x16x32_fp8_fp8 v[4:7], v[54:55], v[8:9], v[4:7]
	s_and_saveexec_b64 s[38:39], vcc
	s_cbranch_execz .LBB157_12
; %bb.20:                               ;   in Loop: Header=BB157_13 Depth=2
	s_mov_b64 s[40:41], 0
.LBB157_21:                             ;   Parent Loop BB157_7 Depth=1
                                        ;     Parent Loop BB157_13 Depth=2
                                        ; =>    This Inner Loop Header: Depth=3
	;;#ASMSTART
	s_sleep 0
	;;#ASMEND
	ds_read_b32 v52, v50 offset:49156
	s_waitcnt lgkmcnt(0)
	v_cmp_eq_u32_e32 vcc, v52, v34
	s_or_b64 s[40:41], vcc, s[40:41]
	s_andn2_b64 exec, exec, s[40:41]
	s_cbranch_execnz .LBB157_21
	s_branch .LBB157_12
.LBB157_22:                             ;   in Loop: Header=BB157_7 Depth=1
	s_or_b64 exec, exec, s[8:9]
.LBB157_23:                             ;   in Loop: Header=BB157_7 Depth=1
	s_or_b64 exec, exec, s[6:7]
	v_cmp_le_i32_e32 vcc, s31, v16
	v_cmp_eq_u32_e64 s[6:7], 3, v37
	s_waitcnt vmcnt(0)
	v_cndmask_b32_e32 v8, 0, v47, vcc
	v_pk_mul_f32 v[12:13], v[8:9], v[4:5] op_sel_hi:[0,1]
	v_cmp_eq_u32_e32 vcc, 1, v37
	v_pk_mul_f32 v[6:7], v[8:9], v[6:7] op_sel_hi:[0,1]
	v_add_u32_e32 v9, s54, v39
	v_cndmask_b32_e32 v4, v12, v13, vcc
	v_cmp_eq_u32_e32 vcc, 2, v37
	s_nop 1
	v_cndmask_b32_e32 v4, v4, v6, vcc
	v_cndmask_b32_e64 v4, v4, v7, s[6:7]
	ds_bpermute_b32 v5, v45, v4
	s_waitcnt lgkmcnt(0)
	v_cndmask_b32_e32 v6, v6, v5, vcc
	v_cmp_ne_u32_e32 vcc, 0, v37
	v_cndmask_b32_e64 v11, v7, v5, s[6:7]
	s_nop 0
	v_cndmask_b32_e32 v4, v13, v5, vcc
	v_cmp_eq_u32_e32 vcc, 0, v37
	s_nop 1
	v_cndmask_b32_e32 v5, v12, v5, vcc
	v_cmp_eq_u32_e32 vcc, 1, v38
	;; [unrolled: 3-line block ×4, first 2 shown]
	s_nop 1
	v_cndmask_b32_e32 v7, v7, v11, vcc
	ds_bpermute_b32 v7, v45, v7
	v_cmp_gt_u32_e32 vcc, 32, v9
	s_and_saveexec_b64 s[38:39], vcc
	s_cbranch_execz .LBB157_28
; %bb.24:                               ;   in Loop: Header=BB157_7 Depth=1
	v_cmp_eq_u32_e64 s[8:9], 1, v38
	v_cmp_eq_u32_e64 s[6:7], 3, v38
	v_cmp_eq_u32_e32 vcc, 2, v38
	s_waitcnt lgkmcnt(0)
	v_cndmask_b32_e64 v4, v4, v7, s[8:9]
	v_cmp_eq_u32_e64 s[8:9], 0, v38
	v_cvt_f16_f32_sdwa v13, v4 dst_sel:WORD_1 dst_unused:UNUSED_PAD src0_sel:DWORD
	s_nop 0
	v_cndmask_b32_e64 v5, v5, v7, s[8:9]
	s_mul_i32 s8, s52, s13
	s_ashr_i32 s9, s8, 31
	s_lshl_b64 s[8:9], s[8:9], 1
	s_add_u32 s40, s24, s8
	s_addc_u32 s41, s25, s9
	s_ashr_i32 s31, s30, 31
	s_lshl_b64 s[8:9], s[30:31], 1
	v_cvt_f16_f32_e32 v12, v5
	s_add_u32 s40, s40, s8
	s_addc_u32 s41, s41, s9
	v_lshl_add_u64 v[4:5], v[18:19], 1, s[40:41]
	v_cmp_gt_u32_e64 s[8:9], 30, v9
	v_or_b32_e32 v12, v13, v12
	;;#ASMSTART
	global_atomic_pk_add_f16 v[4:5], v12, off
	
	;;#ASMEND
	s_and_b64 exec, exec, s[8:9]
	s_cbranch_execz .LBB157_28
; %bb.25:                               ;   in Loop: Header=BB157_7 Depth=1
	v_mov_b32_e32 v9, v8
	v_cndmask_b32_e64 v11, v11, v7, s[6:7]
	v_mov_b32_e32 v12, v8
	v_mov_b32_e32 v13, v8
	v_pk_mul_f32 v[8:9], v[8:9], v[0:1]
	v_cmp_eq_u32_e64 s[6:7], 1, v37
	v_pk_mul_f32 v[12:13], v[12:13], v[2:3]
	v_cmp_eq_u32_e64 s[8:9], 3, v37
	v_cndmask_b32_e64 v0, v8, v9, s[6:7]
	v_cmp_eq_u32_e64 s[6:7], 2, v37
	v_cvt_f16_f32_sdwa v11, v11 dst_sel:WORD_1 dst_unused:UNUSED_PAD src0_sel:DWORD
	s_nop 0
	v_cndmask_b32_e64 v0, v0, v12, s[6:7]
	v_cndmask_b32_e64 v0, v0, v13, s[8:9]
	ds_bpermute_b32 v1, v45, v0
	v_cndmask_b32_e32 v0, v6, v7, vcc
	v_cmp_ne_u32_e32 vcc, 0, v37
	v_lshl_add_u64 v[6:7], s[10:11], 2, v[4:5]
	v_cvt_f16_f32_e32 v5, v0
	s_waitcnt lgkmcnt(0)
	v_cndmask_b32_e32 v0, v9, v1, vcc
	v_cmp_eq_u32_e32 vcc, 0, v37
	v_cndmask_b32_e64 v2, v13, v1, s[8:9]
	v_cndmask_b32_e64 v3, v12, v1, s[6:7]
	v_cndmask_b32_e32 v1, v8, v1, vcc
	v_cmp_eq_u32_e32 vcc, 1, v38
	v_or_b32_e32 v5, v11, v5
	;;#ASMSTART
	global_atomic_pk_add_f16 v[6:7], v5, off
	
	;;#ASMEND
	v_add_u32_e32 v5, s54, v40
	v_cndmask_b32_e32 v4, v1, v0, vcc
	v_cmp_eq_u32_e32 vcc, 2, v38
	s_nop 1
	v_cndmask_b32_e32 v4, v4, v3, vcc
	v_cmp_eq_u32_e32 vcc, 3, v38
	s_nop 1
	v_cndmask_b32_e32 v4, v4, v2, vcc
	ds_bpermute_b32 v4, v45, v4
	v_cmp_gt_u32_e32 vcc, 32, v5
	s_and_b64 exec, exec, vcc
	s_cbranch_execz .LBB157_28
; %bb.26:                               ;   in Loop: Header=BB157_7 Depth=1
	v_cmp_eq_u32_e32 vcc, 1, v38
	v_cmp_eq_u32_e64 s[6:7], 2, v38
	v_cmp_gt_u32_e64 s[8:9], 30, v5
	s_waitcnt lgkmcnt(0)
	v_cndmask_b32_e32 v0, v0, v4, vcc
	v_cmp_eq_u32_e32 vcc, 0, v38
	v_cvt_f16_f32_sdwa v7, v0 dst_sel:WORD_1 dst_unused:UNUSED_PAD src0_sel:DWORD
	s_nop 0
	v_cndmask_b32_e32 v1, v1, v4, vcc
	v_cvt_f16_f32_e32 v6, v1
	v_cmp_eq_u32_e32 vcc, 3, v38
	v_lshl_add_u64 v[0:1], v[20:21], 1, s[40:41]
	v_or_b32_e32 v6, v7, v6
	;;#ASMSTART
	global_atomic_pk_add_f16 v[0:1], v6, off
	
	;;#ASMEND
	s_and_b64 exec, exec, s[8:9]
	s_cbranch_execz .LBB157_28
; %bb.27:                               ;   in Loop: Header=BB157_7 Depth=1
	v_cndmask_b32_e32 v2, v2, v4, vcc
	v_cndmask_b32_e64 v3, v3, v4, s[6:7]
	v_cvt_f16_f32_sdwa v2, v2 dst_sel:WORD_1 dst_unused:UNUSED_PAD src0_sel:DWORD
	v_cvt_f16_f32_e32 v3, v3
	v_lshl_add_u64 v[0:1], s[10:11], 2, v[0:1]
	v_or_b32_e32 v2, v2, v3
	;;#ASMSTART
	global_atomic_pk_add_f16 v[0:1], v2, off
	
	;;#ASMEND
.LBB157_28:                             ;   in Loop: Header=BB157_7 Depth=1
	s_or_b64 exec, exec, s[38:39]
	v_subrev_u32_e32 v46, s55, v46
.LBB157_29:                             ;   in Loop: Header=BB157_7 Depth=1
	s_or_b64 exec, exec, s[36:37]
.LBB157_30:                             ;   in Loop: Header=BB157_7 Depth=1
	s_andn2_saveexec_b64 s[6:7], s[34:35]
	s_cbranch_execz .LBB157_39
; %bb.31:                               ;   in Loop: Header=BB157_7 Depth=1
	v_cmp_gt_i32_e32 vcc, s55, v46
	s_and_saveexec_b64 s[8:9], vcc
	s_cbranch_execz .LBB157_38
; %bb.32:                               ;   in Loop: Header=BB157_7 Depth=1
	s_mul_i32 s30, s30, s15
	s_ashr_i32 s31, s30, 31
	s_waitcnt lgkmcnt(0)
	s_add_u32 s30, s22, s30
	s_addc_u32 s31, s23, s31
	s_ashr_i32 s34, s53, 31
	s_add_u32 s30, s30, s53
	s_addc_u32 s31, s31, s34
	v_lshl_add_u64 v[0:1], s[30:31], 0, v[24:25]
	v_lshl_add_u64 v[26:27], v[0:1], 0, v[22:23]
	s_mov_b64 s[30:31], 0
	s_branch .LBB157_34
.LBB157_33:                             ;   in Loop: Header=BB157_34 Depth=2
	s_or_b64 exec, exec, s[34:35]
	v_lshl_add_u32 v30, v28, 12, v43
	;;#ASMSTART
	s_waitcnt vmcnt(3)
	;;#ASMEND
	ds_write2_b32 v30, v12, v13 offset1:32
	ds_write2_b32 v30, v14, v15 offset0:64 offset1:96
	v_add_u32_e32 v12, 0x400, v30
	;;#ASMSTART
	s_waitcnt vmcnt(2)
	;;#ASMEND
	ds_write2_b32 v12, v8, v9 offset1:32
	ds_write2_b32 v12, v10, v11 offset0:64 offset1:96
	v_add_u32_e32 v8, 0x800, v30
	;; [unrolled: 6-line block ×3, first 2 shown]
	v_add_u32_e32 v46, s18, v46
	;;#ASMSTART
	s_waitcnt vmcnt(0)
	;;#ASMEND
	ds_write2_b32 v4, v0, v1 offset1:32
	ds_write2_b32 v4, v2, v3 offset0:64 offset1:96
	v_add_u32_e32 v0, 1, v34
	v_add_u32_e32 v10, s18, v28
	v_cmp_le_i32_e32 vcc, s55, v46
	ds_write_b32 v29, v0 offset:32
	v_add_u32_e32 v0, 2, v34
	s_or_b64 s[30:31], vcc, s[30:31]
	v_cmp_lt_i32_e32 vcc, 3, v10
	s_nop 1
	v_cndmask_b32_e32 v34, v34, v0, vcc
	s_andn2_b64 exec, exec, s[30:31]
	s_cbranch_execz .LBB157_37
.LBB157_34:                             ;   Parent Loop BB157_7 Depth=1
                                        ; =>  This Loop Header: Depth=2
                                        ;       Child Loop BB157_36 Depth 3
	v_cmp_gt_i32_e32 vcc, 4, v10
	s_nop 1
	v_cndmask_b32_e64 v0, -4, 0, vcc
	v_add_u32_e32 v28, v0, v10
	v_lshlrev_b32_e32 v0, 8, v46
	v_ashrrev_i32_e32 v1, 31, v0
	v_lshl_add_u64 v[0:1], v[26:27], 0, v[0:1]
	v_lshlrev_b32_e32 v29, 2, v28
	;;#ASMSTART
	global_load_dwordx4 v[12:15], v[0:1], off offset:0    sc0 sc1 nt  
	global_load_dwordx4 v[8:11], v[0:1], off offset:64   sc0 sc1 nt  
	global_load_dwordx4 v[4:7], v[0:1], off offset:128  sc0 sc1 nt  
	global_load_dwordx4 v[0:3], v[0:1], off offset:192  sc0 sc1 nt  
	
	;;#ASMEND
	ds_read_b32 v30, v29 offset:49184
	v_add_u32_e32 v29, 0xc000, v29
	s_waitcnt lgkmcnt(0)
	v_cmp_ne_u32_e32 vcc, v30, v34
	s_and_saveexec_b64 s[34:35], vcc
	s_cbranch_execz .LBB157_33
; %bb.35:                               ;   in Loop: Header=BB157_34 Depth=2
	s_mov_b64 s[36:37], 0
.LBB157_36:                             ;   Parent Loop BB157_7 Depth=1
                                        ;     Parent Loop BB157_34 Depth=2
                                        ; =>    This Inner Loop Header: Depth=3
	;;#ASMSTART
	s_sleep 0
	;;#ASMEND
	ds_read_b32 v30, v29 offset:32
	s_waitcnt lgkmcnt(0)
	v_cmp_eq_u32_e32 vcc, v30, v34
	s_or_b64 s[36:37], vcc, s[36:37]
	s_andn2_b64 exec, exec, s[36:37]
	s_cbranch_execnz .LBB157_36
	s_branch .LBB157_33
.LBB157_37:                             ;   in Loop: Header=BB157_7 Depth=1
	s_or_b64 exec, exec, s[30:31]
.LBB157_38:                             ;   in Loop: Header=BB157_7 Depth=1
	s_or_b64 exec, exec, s[8:9]
	v_subrev_u32_e32 v46, s55, v46
.LBB157_39:                             ;   in Loop: Header=BB157_7 Depth=1
	s_or_b64 exec, exec, s[6:7]
.LBB157_40:                             ;   in Loop: Header=BB157_7 Depth=1
	s_andn2_saveexec_b64 s[6:7], s[28:29]
	s_cbranch_execz .LBB157_6
; %bb.41:                               ;   in Loop: Header=BB157_7 Depth=1
	s_lshl_b32 s36, s55, 1
	v_cmp_gt_i32_e32 vcc, s36, v46
	s_and_saveexec_b64 s[8:9], vcc
	s_cbranch_execz .LBB157_5
; %bb.42:                               ;   in Loop: Header=BB157_7 Depth=1
	s_mul_i32 s52, s52, s14
	s_ashr_i32 s28, s52, 31
	s_waitcnt lgkmcnt(0)
	s_add_u32 s29, s20, s52
	v_add_u32_e32 v2, s54, v41
	s_addc_u32 s30, s21, s28
	s_ashr_i32 s31, s53, 31
	v_cmp_gt_u32_e32 vcc, 32, v2
	s_add_u32 s28, s29, s53
	s_addc_u32 s29, s30, s31
	v_cndmask_b32_e32 v0, 0, v44, vcc
	v_ashrrev_i32_e32 v1, 31, v0
	v_lshl_add_u64 v[0:1], s[28:29], 0, v[0:1]
	v_lshl_add_u64 v[26:27], v[0:1], 0, v[22:23]
	v_sub_u32_e32 v28, 31, v2
	s_mov_b64 s[28:29], 0
	s_branch .LBB157_44
.LBB157_43:                             ;   in Loop: Header=BB157_44 Depth=2
	s_or_b64 exec, exec, s[30:31]
	v_lshl_or_b32 v31, v29, 12, v42
	;;#ASMSTART
	s_waitcnt vmcnt(3)
	;;#ASMEND
	ds_write2_b32 v31, v12, v13 offset1:32
	ds_write2_b32 v31, v14, v15 offset0:64 offset1:96
	v_add_u32_e32 v12, 0x400, v31
	;;#ASMSTART
	s_waitcnt vmcnt(2)
	;;#ASMEND
	ds_write2_b32 v12, v8, v9 offset1:32
	ds_write2_b32 v12, v10, v11 offset0:64 offset1:96
	v_add_u32_e32 v8, 0x800, v31
	;; [unrolled: 6-line block ×3, first 2 shown]
	v_add_u32_e32 v46, s17, v46
	;;#ASMSTART
	s_waitcnt vmcnt(0)
	;;#ASMEND
	ds_write2_b32 v4, v0, v1 offset1:32
	ds_write2_b32 v4, v2, v3 offset0:64 offset1:96
	v_add_u32_e32 v0, 1, v34
	v_add_u32_e32 v10, s17, v29
	v_cmp_le_i32_e32 vcc, s36, v46
	ds_write_b32 v30, v0
	v_add_u32_e32 v0, 2, v34
	s_or_b64 s[28:29], vcc, s[28:29]
	v_cmp_lt_i32_e32 vcc, 7, v10
	s_nop 1
	v_cndmask_b32_e32 v34, v34, v0, vcc
	s_andn2_b64 exec, exec, s[28:29]
	s_cbranch_execz .LBB157_4
.LBB157_44:                             ;   Parent Loop BB157_7 Depth=1
                                        ; =>  This Loop Header: Depth=2
                                        ;       Child Loop BB157_46 Depth 3
	v_cmp_gt_i32_e32 vcc, 8, v10
	s_nop 1
	v_cndmask_b32_e64 v0, -8, 0, vcc
	v_add_u32_e32 v29, v0, v10
	v_lshrrev_b32_e32 v0, 31, v46
	v_add_u32_e32 v0, v46, v0
	v_and_b32_e32 v1, 0xffffffe, v0
	v_sub_u32_e32 v1, v46, v1
	v_lshlrev_b32_e32 v1, 4, v1
	v_cmp_le_i32_e32 vcc, v1, v28
	v_lshlrev_b32_e32 v0, 7, v0
	v_and_b32_e32 v0, 0xffffff00, v0
	v_cndmask_b32_e32 v2, 0, v1, vcc
	v_ashrrev_i32_e32 v1, 31, v0
	v_mul_lo_u32 v2, v2, s14
	v_lshl_add_u64 v[0:1], v[26:27], 0, v[0:1]
	v_ashrrev_i32_e32 v3, 31, v2
	v_lshl_add_u64 v[0:1], v[0:1], 0, v[2:3]
	v_lshlrev_b32_e32 v30, 2, v29
	;;#ASMSTART
	global_load_dwordx4 v[12:15], v[0:1], off offset:0    
	global_load_dwordx4 v[8:11], v[0:1], off offset:64   
	;; [unrolled: 1-line block ×4, first 2 shown]
	
	;;#ASMEND
	ds_read_b32 v31, v30 offset:49152
	v_add_u32_e32 v30, 0xc000, v30
	s_waitcnt lgkmcnt(0)
	v_cmp_ne_u32_e32 vcc, v31, v34
	s_and_saveexec_b64 s[30:31], vcc
	s_cbranch_execz .LBB157_43
; %bb.45:                               ;   in Loop: Header=BB157_44 Depth=2
	s_mov_b64 s[34:35], 0
.LBB157_46:                             ;   Parent Loop BB157_7 Depth=1
                                        ;     Parent Loop BB157_44 Depth=2
                                        ; =>    This Inner Loop Header: Depth=3
	;;#ASMSTART
	s_sleep 0
	;;#ASMEND
	ds_read_b32 v31, v30
	s_waitcnt lgkmcnt(0)
	v_cmp_eq_u32_e32 vcc, v31, v34
	s_or_b64 s[34:35], vcc, s[34:35]
	s_andn2_b64 exec, exec, s[34:35]
	s_cbranch_execnz .LBB157_46
	s_branch .LBB157_43
.LBB157_47:
	s_endpgm
	.section	.rodata,"a",@progbits
	.p2align	6, 0x0
	.amdhsa_kernel _Z19_skinny_gemm_kernelILi2ELi1ELi4ELi16ELi8EEvPKhS1_P6__halfPKfiiiiiiii
		.amdhsa_group_segment_fixed_size 49200
		.amdhsa_private_segment_fixed_size 0
		.amdhsa_kernarg_size 64
		.amdhsa_user_sgpr_count 2
		.amdhsa_user_sgpr_dispatch_ptr 0
		.amdhsa_user_sgpr_queue_ptr 0
		.amdhsa_user_sgpr_kernarg_segment_ptr 1
		.amdhsa_user_sgpr_dispatch_id 0
		.amdhsa_user_sgpr_kernarg_preload_length 0
		.amdhsa_user_sgpr_kernarg_preload_offset 0
		.amdhsa_user_sgpr_private_segment_size 0
		.amdhsa_uses_dynamic_stack 0
		.amdhsa_enable_private_segment 0
		.amdhsa_system_sgpr_workgroup_id_x 1
		.amdhsa_system_sgpr_workgroup_id_y 0
		.amdhsa_system_sgpr_workgroup_id_z 0
		.amdhsa_system_sgpr_workgroup_info 0
		.amdhsa_system_vgpr_workitem_id 0
		.amdhsa_next_free_vgpr 58
		.amdhsa_next_free_sgpr 56
		.amdhsa_accum_offset 60
		.amdhsa_reserve_vcc 1
		.amdhsa_float_round_mode_32 0
		.amdhsa_float_round_mode_16_64 0
		.amdhsa_float_denorm_mode_32 3
		.amdhsa_float_denorm_mode_16_64 3
		.amdhsa_dx10_clamp 1
		.amdhsa_ieee_mode 1
		.amdhsa_fp16_overflow 0
		.amdhsa_tg_split 0
		.amdhsa_exception_fp_ieee_invalid_op 0
		.amdhsa_exception_fp_denorm_src 0
		.amdhsa_exception_fp_ieee_div_zero 0
		.amdhsa_exception_fp_ieee_overflow 0
		.amdhsa_exception_fp_ieee_underflow 0
		.amdhsa_exception_fp_ieee_inexact 0
		.amdhsa_exception_int_div_zero 0
	.end_amdhsa_kernel
	.section	.text._Z19_skinny_gemm_kernelILi2ELi1ELi4ELi16ELi8EEvPKhS1_P6__halfPKfiiiiiiii,"axG",@progbits,_Z19_skinny_gemm_kernelILi2ELi1ELi4ELi16ELi8EEvPKhS1_P6__halfPKfiiiiiiii,comdat
.Lfunc_end157:
	.size	_Z19_skinny_gemm_kernelILi2ELi1ELi4ELi16ELi8EEvPKhS1_P6__halfPKfiiiiiiii, .Lfunc_end157-_Z19_skinny_gemm_kernelILi2ELi1ELi4ELi16ELi8EEvPKhS1_P6__halfPKfiiiiiiii
                                        ; -- End function
	.set _Z19_skinny_gemm_kernelILi2ELi1ELi4ELi16ELi8EEvPKhS1_P6__halfPKfiiiiiiii.num_vgpr, 58
	.set _Z19_skinny_gemm_kernelILi2ELi1ELi4ELi16ELi8EEvPKhS1_P6__halfPKfiiiiiiii.num_agpr, 0
	.set _Z19_skinny_gemm_kernelILi2ELi1ELi4ELi16ELi8EEvPKhS1_P6__halfPKfiiiiiiii.numbered_sgpr, 56
	.set _Z19_skinny_gemm_kernelILi2ELi1ELi4ELi16ELi8EEvPKhS1_P6__halfPKfiiiiiiii.num_named_barrier, 0
	.set _Z19_skinny_gemm_kernelILi2ELi1ELi4ELi16ELi8EEvPKhS1_P6__halfPKfiiiiiiii.private_seg_size, 0
	.set _Z19_skinny_gemm_kernelILi2ELi1ELi4ELi16ELi8EEvPKhS1_P6__halfPKfiiiiiiii.uses_vcc, 1
	.set _Z19_skinny_gemm_kernelILi2ELi1ELi4ELi16ELi8EEvPKhS1_P6__halfPKfiiiiiiii.uses_flat_scratch, 0
	.set _Z19_skinny_gemm_kernelILi2ELi1ELi4ELi16ELi8EEvPKhS1_P6__halfPKfiiiiiiii.has_dyn_sized_stack, 0
	.set _Z19_skinny_gemm_kernelILi2ELi1ELi4ELi16ELi8EEvPKhS1_P6__halfPKfiiiiiiii.has_recursion, 0
	.set _Z19_skinny_gemm_kernelILi2ELi1ELi4ELi16ELi8EEvPKhS1_P6__halfPKfiiiiiiii.has_indirect_call, 0
	.section	.AMDGPU.csdata,"",@progbits
; Kernel info:
; codeLenInByte = 3704
; TotalNumSgprs: 62
; NumVgprs: 58
; NumAgprs: 0
; TotalNumVgprs: 58
; ScratchSize: 0
; MemoryBound: 0
; FloatMode: 240
; IeeeMode: 1
; LDSByteSize: 49200 bytes/workgroup (compile time only)
; SGPRBlocks: 7
; VGPRBlocks: 7
; NumSGPRsForWavesPerEU: 62
; NumVGPRsForWavesPerEU: 58
; AccumOffset: 60
; Occupancy: 8
; WaveLimiterHint : 0
; COMPUTE_PGM_RSRC2:SCRATCH_EN: 0
; COMPUTE_PGM_RSRC2:USER_SGPR: 2
; COMPUTE_PGM_RSRC2:TRAP_HANDLER: 0
; COMPUTE_PGM_RSRC2:TGID_X_EN: 1
; COMPUTE_PGM_RSRC2:TGID_Y_EN: 0
; COMPUTE_PGM_RSRC2:TGID_Z_EN: 0
; COMPUTE_PGM_RSRC2:TIDIG_COMP_CNT: 0
; COMPUTE_PGM_RSRC3_GFX90A:ACCUM_OFFSET: 14
; COMPUTE_PGM_RSRC3_GFX90A:TG_SPLIT: 0
	.section	.text._Z19_skinny_gemm_kernelILi2ELi1ELi4ELi32ELi4EEvPKhS1_P6__halfPKfiiiiiiii,"axG",@progbits,_Z19_skinny_gemm_kernelILi2ELi1ELi4ELi32ELi4EEvPKhS1_P6__halfPKfiiiiiiii,comdat
	.protected	_Z19_skinny_gemm_kernelILi2ELi1ELi4ELi32ELi4EEvPKhS1_P6__halfPKfiiiiiiii ; -- Begin function _Z19_skinny_gemm_kernelILi2ELi1ELi4ELi32ELi4EEvPKhS1_P6__halfPKfiiiiiiii
	.globl	_Z19_skinny_gemm_kernelILi2ELi1ELi4ELi32ELi4EEvPKhS1_P6__halfPKfiiiiiiii
	.p2align	8
	.type	_Z19_skinny_gemm_kernelILi2ELi1ELi4ELi32ELi4EEvPKhS1_P6__halfPKfiiiiiiii,@function
_Z19_skinny_gemm_kernelILi2ELi1ELi4ELi32ELi4EEvPKhS1_P6__halfPKfiiiiiiii: ; @_Z19_skinny_gemm_kernelILi2ELi1ELi4ELi32ELi4EEvPKhS1_P6__halfPKfiiiiiiii
; %bb.0:
	v_cmp_gt_u32_e32 vcc, 12, v0
	s_and_saveexec_b64 s[4:5], vcc
; %bb.1:
	v_lshlrev_b32_e32 v1, 2, v0
	v_mov_b32_e32 v2, 0
	ds_write_b32 v1, v2 offset:24576
; %bb.2:
	s_or_b64 exec, exec, s[4:5]
	s_load_dwordx8 s[36:43], s[0:1], 0x20
	s_waitcnt lgkmcnt(0)
	s_barrier
	s_add_i32 s3, s36, 63
	s_ashr_i32 s5, s3, 31
	s_add_i32 s4, s37, 31
	s_lshr_b32 s5, s5, 26
	s_ashr_i32 s6, s4, 31
	s_add_i32 s3, s3, s5
	s_ashr_i32 s33, s3, 6
	s_lshr_b32 s3, s6, 27
	s_add_i32 s4, s4, s3
	s_ashr_i32 s62, s4, 5
	s_mul_i32 s3, s62, s33
	s_mul_i32 s3, s3, s40
	s_add_i32 s4, s3, 0x12f
	s_mul_hi_i32 s4, s4, 0x6bca1af3
	s_lshr_b32 s5, s4, 31
	s_ashr_i32 s4, s4, 7
	s_add_i32 s4, s4, s5
	s_add_i32 s5, s2, 1
	s_mul_i32 s5, s4, s5
	v_cvt_f64_i32_e32 v[2:3], s3
	v_cvt_f64_u32_e32 v[4:5], s5
	v_min_f64 v[2:3], v[2:3], v[4:5]
	v_cvt_i32_f64_e32 v46, v[2:3]
	s_mul_i32 s63, s4, s2
	v_cmp_ge_i32_e32 vcc, s63, v46
	s_cbranch_vccnz .LBB158_48
; %bb.3:
	v_lshrrev_b32_e32 v1, 6, v0
	s_add_i32 s4, s42, s41
	s_load_dwordx8 s[44:51], s[0:1], 0x0
	v_cmp_le_i32_e64 s[0:1], s4, v1
	v_mov_b32_e32 v2, s41
	v_cmp_le_i32_e64 s[2:3], s41, v1
	v_mov_b32_e32 v3, s42
	v_cndmask_b32_e64 v3, 0, v3, s[0:1]
	v_cndmask_b32_e64 v2, 0, v2, s[2:3]
	s_abs_i32 s5, s40
	v_add_u32_e32 v2, v2, v3
	v_cvt_f32_u32_e32 v3, s5
	v_sub_u32_e32 v40, v1, v2
	s_ashr_i32 s6, s38, 31
	s_lshr_b32 s6, s6, 26
	v_rcp_iflag_f32_e32 v2, v3
	s_sub_i32 s9, 0, s5
	s_add_i32 s6, s38, s6
	s_ashr_i32 s6, s6, 6
	v_mul_f32_e32 v2, 0x4f7ffffe, v2
	v_cvt_u32_f32_e32 v2, v2
	s_abs_i32 s8, s6
	s_xor_b32 s7, s6, s40
	s_ashr_i32 s7, s7, 31
	v_readfirstlane_b32 s10, v2
	s_mul_i32 s9, s9, s10
	s_mul_hi_u32 s9, s10, s9
	s_add_i32 s10, s10, s9
	s_mul_hi_u32 s9, s8, s10
	s_mul_i32 s10, s9, s5
	s_sub_i32 s8, s8, s10
	s_add_i32 s10, s9, 1
	s_sub_i32 s11, s8, s5
	s_cmp_ge_u32 s8, s5
	s_cselect_b32 s9, s10, s9
	s_cselect_b32 s8, s11, s8
	s_add_i32 s10, s9, 1
	s_cmp_ge_u32 s8, s5
	s_cselect_b32 s5, s10, s9
	s_xor_b32 s5, s5, s7
	s_sub_i32 s64, s5, s7
	s_add_i32 s40, s40, -1
	s_mul_i32 s5, s64, s40
	s_add_i32 s4, s4, s43
	v_and_b32_e32 v48, 31, v0
	v_lshrrev_b32_e32 v2, 3, v0
	s_sub_i32 s65, s6, s5
	v_cmp_gt_i32_e64 s[4:5], s4, v1
	v_lshlrev_b32_e32 v1, 2, v48
	v_and_b32_e32 v3, 4, v2
	v_and_b32_e32 v5, 1, v0
	v_lshlrev_b32_e32 v2, 6, v3
	v_or_b32_e32 v4, 0x4000, v1
	v_or_b32_e32 v3, v3, v5
	;; [unrolled: 1-line block ×4, first 2 shown]
	v_lshlrev_b32_e32 v2, 1, v5
	v_or_b32_e32 v5, 2, v3
	v_sub_u32_e32 v60, 32, v5
	v_or_b32_e32 v5, 8, v3
	v_sub_u32_e32 v61, 32, v5
	;; [unrolled: 2-line block ×5, first 2 shown]
	v_mul_lo_u32 v18, s37, v3
	v_sub_u32_e32 v64, 32, v5
	v_or_b32_e32 v5, 24, v3
	v_or_b32_e32 v3, 26, v3
	v_sub_u32_e32 v66, 32, v3
	v_lshrrev_b32_e32 v3, 1, v0
	s_abs_i32 s66, s33
	v_and_b32_e32 v34, 16, v3
	v_cvt_f32_u32_e32 v3, s66
	v_sub_u32_e32 v2, v0, v2
	v_add_u32_e32 v2, 1, v2
	v_and_b32_e32 v6, 63, v2
	v_bitop3_b32 v51, v0, 1, v0 bitop3:0xc
	v_bitop3_b32 v52, v0, 3, 1 bitop3:0x6c
	;; [unrolled: 1-line block ×8, first 2 shown]
	v_and_b32_e32 v2, 30, v0
	v_lshlrev_b32_e32 v0, 4, v0
	v_and_b32_e32 v0, 0x200, v0
	v_rcp_iflag_f32_e32 v3, v3
	s_abs_i32 s67, s62
	v_or_b32_e32 v69, v1, v0
	v_cvt_f32_u32_e32 v1, s67
	s_lshl_b32 s6, s37, 1
	v_add_u32_e32 v20, s6, v18
	s_mul_i32 s7, s37, 6
	v_or_b32_e32 v67, v4, v0
	v_mul_f32_e32 v0, 0x4f7ffffe, v3
	v_add_u32_e32 v22, s7, v20
	v_cvt_u32_f32_e32 v0, v0
	v_rcp_iflag_f32_e32 v1, v1
	v_add_u32_e32 v24, s6, v22
	v_add_u32_e32 v26, s7, v24
	;; [unrolled: 1-line block ×4, first 2 shown]
	v_readfirstlane_b32 s7, v0
	v_mul_f32_e32 v0, 0x4f7ffffe, v1
	v_cvt_u32_f32_e32 v0, v0
	v_add_u32_e32 v32, s6, v30
	s_sub_i32 s6, 0, s66
	s_mul_i32 s6, s6, s7
	s_mul_hi_u32 s6, s7, s6
	s_add_i32 s69, s7, s6
	s_sub_i32 s6, 0, s67
	v_readfirstlane_b32 s7, v0
	v_mbcnt_lo_u32_b32 v0, -1, 0
	s_mul_i32 s6, s6, s7
	v_mbcnt_hi_u32_b32 v0, -1, v0
	v_mov_b32_e32 v17, 0
	v_mul_lo_u32 v36, s39, v48
	s_mul_hi_u32 s6, s7, s6
	v_and_or_b32 v0, v0, 64, v6
	v_cndmask_b32_e64 v47, 0, 1, s[0:1]
	v_ashrrev_i32_e32 v19, 31, v18
	v_ashrrev_i32_e32 v21, 31, v20
	;; [unrolled: 1-line block ×6, first 2 shown]
	v_sub_u32_e32 v65, 32, v5
	v_ashrrev_i32_e32 v31, 31, v30
	v_ashrrev_i32_e32 v33, 31, v32
	;; [unrolled: 1-line block ×3, first 2 shown]
	v_mov_b32_e32 v35, v17
	v_mul_lo_u32 v68, s38, v48
	s_ashr_i32 s68, s33, 31
	s_ashr_i32 s70, s62, 31
	s_add_i32 s71, s7, s6
	v_lshlrev_b32_e32 v16, 1, v2
	v_lshlrev_b32_e32 v70, 2, v0
	v_mov_b32_e32 v71, v40
	s_branch .LBB158_7
.LBB158_4:                              ;   in Loop: Header=BB158_7 Depth=1
	s_or_b64 exec, exec, s[10:11]
.LBB158_5:                              ;   in Loop: Header=BB158_7 Depth=1
	s_or_b64 exec, exec, s[8:9]
	v_subrev_u32_e32 v71, s16, v71
.LBB158_6:                              ;   in Loop: Header=BB158_7 Depth=1
	s_or_b64 exec, exec, s[6:7]
	s_add_i32 s63, s63, 1
	v_cmp_ge_i32_e32 vcc, s63, v46
	s_cbranch_vccnz .LBB158_48
.LBB158_7:                              ; =>This Loop Header: Depth=1
                                        ;     Child Loop BB158_13 Depth 2
                                        ;       Child Loop BB158_15 Depth 3
                                        ;       Child Loop BB158_18 Depth 3
                                        ;     Child Loop BB158_35 Depth 2
                                        ;       Child Loop BB158_37 Depth 3
                                        ;     Child Loop BB158_45 Depth 2
                                        ;       Child Loop BB158_47 Depth 3
	s_abs_i32 s7, s63
	s_mul_hi_u32 s8, s7, s69
	s_mul_i32 s9, s8, s66
	s_ashr_i32 s6, s63, 31
	s_sub_i32 s7, s7, s9
	s_xor_b32 s6, s6, s68
	s_add_i32 s9, s8, 1
	s_sub_i32 s10, s7, s66
	s_cmp_ge_u32 s7, s66
	s_cselect_b32 s8, s9, s8
	s_cselect_b32 s7, s10, s7
	s_add_i32 s9, s8, 1
	s_cmp_ge_u32 s7, s66
	s_cselect_b32 s7, s9, s8
	s_xor_b32 s7, s7, s6
	s_sub_i32 s6, s7, s6
	s_abs_i32 s8, s6
	s_mul_i32 s7, s6, s33
	s_mul_hi_u32 s9, s8, s71
	s_sub_i32 s7, s63, s7
	s_mul_i32 s10, s9, s67
	s_lshl_b32 s72, s7, 6
	s_ashr_i32 s7, s6, 31
	s_sub_i32 s8, s8, s10
	s_xor_b32 s7, s7, s70
	s_add_i32 s10, s9, 1
	s_sub_i32 s11, s8, s67
	s_cmp_ge_u32 s8, s67
	s_cselect_b32 s9, s10, s9
	s_cselect_b32 s8, s11, s8
	s_add_i32 s10, s9, 1
	s_cmp_ge_u32 s8, s67
	s_cselect_b32 s8, s10, s9
	s_xor_b32 s8, s8, s7
	s_sub_i32 s7, s8, s7
	s_mul_i32 s8, s7, s64
	s_lshl_b32 s73, s8, 6
	s_cmp_eq_u32 s7, s40
	s_cselect_b32 s75, s65, s64
	s_sub_i32 s74, s72, s36
	s_add_i32 s74, s74, 64
	s_and_saveexec_b64 s[8:9], s[2:3]
	s_xor_b64 s[52:53], exec, s[8:9]
	s_cbranch_execz .LBB158_41
; %bb.8:                                ;   in Loop: Header=BB158_7 Depth=1
	s_mul_i32 s7, s7, s62
	s_sub_i32 s6, s6, s7
	s_lshl_b32 s6, s6, 5
	s_sub_i32 s14, s6, s37
	s_add_i32 s14, s14, 32
	s_max_i32 s7, s14, 0
	s_sub_i32 s54, s6, s7
	s_and_saveexec_b64 s[6:7], s[0:1]
	s_xor_b64 s[56:57], exec, s[6:7]
	s_cbranch_execz .LBB158_31
; %bb.9:                                ;   in Loop: Header=BB158_7 Depth=1
	s_and_saveexec_b64 s[58:59], s[4:5]
	s_cbranch_execz .LBB158_30
; %bb.10:                               ;   in Loop: Header=BB158_7 Depth=1
	s_waitcnt lgkmcnt(0)
	global_load_dword v72, v17, s[50:51]
	v_mov_b32_e32 v15, 0
	v_cmp_gt_i32_e32 vcc, s75, v71
	v_mov_b32_e32 v14, v15
	v_mov_b32_e32 v13, v15
	;; [unrolled: 1-line block ×15, first 2 shown]
	s_and_saveexec_b64 s[6:7], vcc
	s_cbranch_execz .LBB158_20
; %bb.11:                               ;   in Loop: Header=BB158_7 Depth=1
	v_mov_b32_e32 v0, 0
	s_mov_b64 s[8:9], 0
	v_mov_b32_e32 v1, v0
	v_mov_b32_e32 v2, v0
	;; [unrolled: 1-line block ×15, first 2 shown]
	s_branch .LBB158_13
.LBB158_12:                             ;   in Loop: Header=BB158_13 Depth=2
	s_or_b64 exec, exec, s[10:11]
	v_add_u32_e32 v78, v50, v76
	ds_read2_b32 v[76:77], v78 offset1:32
	v_add_u32_e32 v71, s43, v71
	s_waitcnt lgkmcnt(0)
	v_mfma_f32_32x32x16_fp8_fp8 v[0:15], v[44:45], v[76:77], v[0:15]
	ds_read2_b32 v[44:45], v78 offset0:128 offset1:160
	s_waitcnt lgkmcnt(0)
	v_mfma_f32_32x32x16_fp8_fp8 v[0:15], v[42:43], v[44:45], v[0:15]
	v_add_u32_e32 v44, 0x400, v78
	ds_read2_b32 v[42:43], v44 offset1:32
	ds_read2_b32 v[44:45], v44 offset0:128 offset1:160
	ds_write_b32 v74, v75 offset:24580
	s_waitcnt lgkmcnt(2)
	v_mfma_f32_32x32x16_fp8_fp8 v[0:15], v[40:41], v[42:43], v[0:15]
	v_add_u32_e32 v40, s43, v73
	v_add_u32_e32 v41, 2, v47
	v_cmp_lt_i32_e32 vcc, 3, v40
	s_nop 1
	v_cndmask_b32_e32 v47, v47, v41, vcc
	v_cmp_le_i32_e32 vcc, s75, v71
	s_waitcnt lgkmcnt(1)
	v_mfma_f32_32x32x16_fp8_fp8 v[0:15], v[38:39], v[44:45], v[0:15]
	s_or_b64 s[8:9], vcc, s[8:9]
	s_andn2_b64 exec, exec, s[8:9]
	s_cbranch_execz .LBB158_19
.LBB158_13:                             ;   Parent Loop BB158_7 Depth=1
                                        ; =>  This Loop Header: Depth=2
                                        ;       Child Loop BB158_15 Depth 3
                                        ;       Child Loop BB158_18 Depth 3
	v_cmp_gt_i32_e32 vcc, 4, v40
	s_nop 1
	v_cndmask_b32_e64 v38, -4, 0, vcc
	v_add_u32_e32 v73, v38, v40
	v_lshlrev_b32_e32 v74, 3, v73
	ds_read_b32 v38, v74 offset:24576
	s_waitcnt lgkmcnt(0)
	v_cmp_ne_u32_e32 vcc, v38, v47
	s_and_saveexec_b64 s[10:11], vcc
	s_cbranch_execz .LBB158_16
; %bb.14:                               ;   in Loop: Header=BB158_13 Depth=2
	s_mov_b64 s[12:13], 0
.LBB158_15:                             ;   Parent Loop BB158_7 Depth=1
                                        ;     Parent Loop BB158_13 Depth=2
                                        ; =>    This Inner Loop Header: Depth=3
	;;#ASMSTART
	s_sleep 0
	;;#ASMEND
	ds_read_b32 v38, v74 offset:24576
	s_waitcnt lgkmcnt(0)
	v_cmp_eq_u32_e32 vcc, v38, v47
	s_or_b64 s[12:13], vcc, s[12:13]
	s_andn2_b64 exec, exec, s[12:13]
	s_cbranch_execnz .LBB158_15
.LBB158_16:                             ;   in Loop: Header=BB158_13 Depth=2
	s_or_b64 exec, exec, s[10:11]
	v_lshlrev_b32_e32 v76, 11, v73
	v_or_b32_e32 v38, v49, v76
	ds_read2_b32 v[44:45], v38 offset1:32
	ds_read2_b32 v[42:43], v38 offset0:128 offset1:160
	v_add_u32_e32 v38, 0x400, v38
	ds_read2_b32 v[40:41], v38 offset1:32
	ds_read_b32 v77, v74 offset:24580
	ds_read2_b32 v[38:39], v38 offset0:128 offset1:160
	v_add_u32_e32 v75, 1, v47
	ds_write_b32 v74, v75 offset:24576
	s_waitcnt lgkmcnt(2)
	v_cmp_ne_u32_e32 vcc, v77, v47
	s_and_saveexec_b64 s[10:11], vcc
	s_cbranch_execz .LBB158_12
; %bb.17:                               ;   in Loop: Header=BB158_13 Depth=2
	s_mov_b64 s[12:13], 0
.LBB158_18:                             ;   Parent Loop BB158_7 Depth=1
                                        ;     Parent Loop BB158_13 Depth=2
                                        ; =>    This Inner Loop Header: Depth=3
	;;#ASMSTART
	s_sleep 0
	;;#ASMEND
	ds_read_b32 v77, v74 offset:24580
	s_waitcnt lgkmcnt(0)
	v_cmp_eq_u32_e32 vcc, v77, v47
	s_or_b64 s[12:13], vcc, s[12:13]
	s_andn2_b64 exec, exec, s[12:13]
	s_cbranch_execnz .LBB158_18
	s_branch .LBB158_12
.LBB158_19:                             ;   in Loop: Header=BB158_7 Depth=1
	s_or_b64 exec, exec, s[8:9]
.LBB158_20:                             ;   in Loop: Header=BB158_7 Depth=1
	s_or_b64 exec, exec, s[6:7]
	v_cmp_le_i32_e32 vcc, s14, v48
	v_cmp_eq_u32_e64 s[6:7], 3, v51
	v_cmp_eq_u32_e64 s[8:9], 4, v51
	s_waitcnt vmcnt(0)
	v_cndmask_b32_e32 v38, 0, v72, vcc
	s_nop 1
	v_pk_mul_f32 v[0:1], v[38:39], v[0:1] op_sel_hi:[0,1]
	v_cmp_eq_u32_e32 vcc, 1, v51
	v_pk_mul_f32 v[14:15], v[38:39], v[14:15] op_sel_hi:[0,1]
	v_pk_mul_f32 v[12:13], v[38:39], v[12:13] op_sel_hi:[0,1]
	v_pk_mul_f32 v[10:11], v[38:39], v[10:11] op_sel_hi:[0,1]
	v_pk_mul_f32 v[8:9], v[38:39], v[8:9] op_sel_hi:[0,1]
	v_pk_mul_f32 v[6:7], v[38:39], v[6:7] op_sel_hi:[0,1]
	v_pk_mul_f32 v[4:5], v[38:39], v[4:5] op_sel_hi:[0,1]
	v_pk_mul_f32 v[2:3], v[38:39], v[2:3] op_sel_hi:[0,1]
	v_cndmask_b32_e32 v38, v0, v1, vcc
	v_cmp_eq_u32_e32 vcc, 2, v51
	v_cmp_eq_u32_e64 s[10:11], 5, v51
	v_cmp_eq_u32_e64 s[12:13], 6, v51
	v_cndmask_b32_e32 v38, v38, v2, vcc
	v_cndmask_b32_e64 v38, v38, v3, s[6:7]
	v_cndmask_b32_e64 v38, v38, v4, s[8:9]
	;; [unrolled: 1-line block ×4, first 2 shown]
	v_cmp_eq_u32_e64 s[14:15], 7, v51
	v_cmp_eq_u32_e64 s[16:17], 8, v51
	v_cmp_eq_u32_e64 s[18:19], 9, v51
	v_cndmask_b32_e64 v38, v38, v7, s[14:15]
	v_cndmask_b32_e64 v38, v38, v8, s[16:17]
	v_cndmask_b32_e64 v38, v38, v9, s[18:19]
	v_cmp_eq_u32_e64 s[20:21], 10, v51
	v_cmp_eq_u32_e64 s[22:23], 11, v51
	v_cmp_eq_u32_e64 s[24:25], 12, v51
	v_cndmask_b32_e64 v38, v38, v10, s[20:21]
	v_cndmask_b32_e64 v38, v38, v11, s[22:23]
	v_cndmask_b32_e64 v38, v38, v12, s[24:25]
	;; [unrolled: 6-line block ×3, first 2 shown]
	ds_bpermute_b32 v38, v70, v38
	v_cmp_eq_u32_e64 s[34:35], 15, v52
	s_waitcnt lgkmcnt(0)
	v_cndmask_b32_e32 v2, v2, v38, vcc
	v_cmp_ne_u32_e32 vcc, 0, v51
	v_cndmask_b32_e64 v15, v15, v38, s[30:31]
	v_cndmask_b32_e64 v14, v14, v38, s[28:29]
	v_cndmask_b32_e32 v1, v1, v38, vcc
	v_cmp_eq_u32_e32 vcc, 0, v51
	v_cndmask_b32_e64 v13, v13, v38, s[26:27]
	v_cndmask_b32_e64 v12, v12, v38, s[24:25]
	v_cndmask_b32_e32 v0, v0, v38, vcc
	v_cmp_eq_u32_e32 vcc, 1, v52
	v_cndmask_b32_e64 v11, v11, v38, s[22:23]
	v_cndmask_b32_e64 v10, v10, v38, s[20:21]
	;; [unrolled: 1-line block ×9, first 2 shown]
	v_cndmask_b32_e32 v38, v0, v1, vcc
	v_cmp_eq_u32_e64 s[6:7], 2, v52
	v_cmp_eq_u32_e64 s[8:9], 3, v52
	v_cmp_eq_u32_e64 s[10:11], 4, v52
	v_cndmask_b32_e64 v38, v38, v2, s[6:7]
	v_cndmask_b32_e64 v38, v38, v3, s[8:9]
	v_cndmask_b32_e64 v38, v38, v4, s[10:11]
	v_cmp_eq_u32_e64 s[12:13], 5, v52
	v_cmp_eq_u32_e64 s[14:15], 6, v52
	v_cmp_eq_u32_e64 s[16:17], 7, v52
	v_cndmask_b32_e64 v38, v38, v5, s[12:13]
	v_cndmask_b32_e64 v38, v38, v6, s[14:15]
	v_cndmask_b32_e64 v38, v38, v7, s[16:17]
	;; [unrolled: 6-line block ×4, first 2 shown]
	v_cmp_eq_u32_e64 s[30:31], 14, v52
	s_nop 1
	v_cndmask_b32_e64 v38, v38, v14, s[30:31]
	v_cndmask_b32_e64 v38, v38, v15, s[34:35]
	ds_bpermute_b32 v38, v70, v38
	s_waitcnt lgkmcnt(0)
	v_cndmask_b32_e32 v1, v1, v38, vcc
	v_cmp_eq_u32_e32 vcc, 0, v52
	v_cndmask_b32_e64 v15, v15, v38, s[34:35]
	v_cndmask_b32_e64 v14, v14, v38, s[30:31]
	v_cndmask_b32_e32 v0, v0, v38, vcc
	v_cmp_eq_u32_e32 vcc, 1, v53
	v_cndmask_b32_e64 v13, v13, v38, s[28:29]
	v_cndmask_b32_e64 v12, v12, v38, s[26:27]
	v_cndmask_b32_e64 v11, v11, v38, s[24:25]
	v_cndmask_b32_e64 v10, v10, v38, s[22:23]
	v_cndmask_b32_e64 v9, v9, v38, s[20:21]
	v_cndmask_b32_e64 v8, v8, v38, s[18:19]
	v_cndmask_b32_e64 v7, v7, v38, s[16:17]
	v_cndmask_b32_e64 v6, v6, v38, s[14:15]
	v_cndmask_b32_e64 v5, v5, v38, s[12:13]
	v_cndmask_b32_e64 v4, v4, v38, s[10:11]
	v_cndmask_b32_e64 v3, v3, v38, s[8:9]
	v_cndmask_b32_e64 v2, v2, v38, s[6:7]
	v_cndmask_b32_e32 v38, v0, v1, vcc
	v_cmp_eq_u32_e64 s[6:7], 2, v53
	v_cmp_eq_u32_e64 s[8:9], 3, v53
	v_cmp_eq_u32_e64 s[10:11], 4, v53
	v_cndmask_b32_e64 v38, v38, v2, s[6:7]
	v_cndmask_b32_e64 v38, v38, v3, s[8:9]
	v_cndmask_b32_e64 v38, v38, v4, s[10:11]
	v_cmp_eq_u32_e64 s[12:13], 5, v53
	v_cmp_eq_u32_e64 s[14:15], 6, v53
	v_cmp_eq_u32_e64 s[16:17], 7, v53
	v_cndmask_b32_e64 v38, v38, v5, s[12:13]
	v_cndmask_b32_e64 v38, v38, v6, s[14:15]
	v_cndmask_b32_e64 v38, v38, v7, s[16:17]
	v_cmp_eq_u32_e64 s[18:19], 8, v53
	v_cmp_eq_u32_e64 s[20:21], 9, v53
	v_cmp_eq_u32_e64 s[22:23], 10, v53
	v_cndmask_b32_e64 v38, v38, v8, s[18:19]
	v_cndmask_b32_e64 v38, v38, v9, s[20:21]
	v_cndmask_b32_e64 v38, v38, v10, s[22:23]
	v_cmp_eq_u32_e64 s[24:25], 11, v53
	v_cmp_eq_u32_e64 s[26:27], 12, v53
	v_cmp_eq_u32_e64 s[28:29], 13, v53
	v_cndmask_b32_e64 v38, v38, v11, s[24:25]
	v_cndmask_b32_e64 v38, v38, v12, s[26:27]
	v_cndmask_b32_e64 v38, v38, v13, s[28:29]
	v_cmp_eq_u32_e64 s[30:31], 14, v53
	v_cmp_eq_u32_e64 s[34:35], 15, v53
	s_nop 0
	v_cndmask_b32_e64 v38, v38, v14, s[30:31]
	v_cndmask_b32_e64 v38, v38, v15, s[34:35]
	ds_bpermute_b32 v38, v70, v38
	s_waitcnt lgkmcnt(0)
	v_cndmask_b32_e32 v1, v1, v38, vcc
	v_cmp_eq_u32_e32 vcc, 0, v53
	v_cndmask_b32_e64 v15, v15, v38, s[34:35]
	v_cndmask_b32_e64 v14, v14, v38, s[30:31]
	v_cndmask_b32_e32 v0, v0, v38, vcc
	v_cmp_eq_u32_e32 vcc, 1, v54
	v_cndmask_b32_e64 v13, v13, v38, s[28:29]
	v_cndmask_b32_e64 v12, v12, v38, s[26:27]
	v_cndmask_b32_e64 v11, v11, v38, s[24:25]
	v_cndmask_b32_e64 v10, v10, v38, s[22:23]
	v_cndmask_b32_e64 v9, v9, v38, s[20:21]
	v_cndmask_b32_e64 v8, v8, v38, s[18:19]
	v_cndmask_b32_e64 v7, v7, v38, s[16:17]
	v_cndmask_b32_e64 v6, v6, v38, s[14:15]
	v_cndmask_b32_e64 v5, v5, v38, s[12:13]
	v_cndmask_b32_e64 v4, v4, v38, s[10:11]
	v_cndmask_b32_e64 v3, v3, v38, s[8:9]
	v_cndmask_b32_e64 v2, v2, v38, s[6:7]
	v_cndmask_b32_e32 v38, v0, v1, vcc
	v_cmp_eq_u32_e64 s[6:7], 2, v54
	v_cmp_eq_u32_e64 s[8:9], 3, v54
	v_cmp_eq_u32_e64 s[10:11], 4, v54
	v_cndmask_b32_e64 v38, v38, v2, s[6:7]
	v_cndmask_b32_e64 v38, v38, v3, s[8:9]
	v_cndmask_b32_e64 v38, v38, v4, s[10:11]
	v_cmp_eq_u32_e64 s[12:13], 5, v54
	v_cmp_eq_u32_e64 s[14:15], 6, v54
	v_cmp_eq_u32_e64 s[16:17], 7, v54
	v_cndmask_b32_e64 v38, v38, v5, s[12:13]
	v_cndmask_b32_e64 v38, v38, v6, s[14:15]
	v_cndmask_b32_e64 v38, v38, v7, s[16:17]
	v_cmp_eq_u32_e64 s[18:19], 8, v54
	v_cmp_eq_u32_e64 s[20:21], 9, v54
	v_cmp_eq_u32_e64 s[22:23], 10, v54
	v_cndmask_b32_e64 v38, v38, v8, s[18:19]
	v_cndmask_b32_e64 v38, v38, v9, s[20:21]
	v_cndmask_b32_e64 v38, v38, v10, s[22:23]
	v_cmp_eq_u32_e64 s[24:25], 11, v54
	v_cmp_eq_u32_e64 s[26:27], 12, v54
	v_cmp_eq_u32_e64 s[28:29], 13, v54
	v_cndmask_b32_e64 v38, v38, v11, s[24:25]
	v_cndmask_b32_e64 v38, v38, v12, s[26:27]
	v_cndmask_b32_e64 v38, v38, v13, s[28:29]
	v_cmp_eq_u32_e64 s[30:31], 14, v54
	;; [unrolled: 50-line block ×4, first 2 shown]
	v_cmp_eq_u32_e64 s[34:35], 15, v56
	s_nop 0
	v_cndmask_b32_e64 v38, v38, v14, s[30:31]
	v_cndmask_b32_e64 v38, v38, v15, s[34:35]
	ds_bpermute_b32 v38, v70, v38
	s_waitcnt lgkmcnt(0)
	v_cndmask_b32_e32 v1, v1, v38, vcc
	v_cmp_eq_u32_e32 vcc, 0, v56
	v_cndmask_b32_e64 v15, v15, v38, s[34:35]
	v_cndmask_b32_e64 v14, v14, v38, s[30:31]
	;; [unrolled: 1-line block ×14, first 2 shown]
	v_cndmask_b32_e32 v38, v0, v38, vcc
	v_cmp_eq_u32_e32 vcc, 1, v57
	v_cmp_eq_u32_e64 s[6:7], 2, v57
	v_cmp_eq_u32_e64 s[8:9], 3, v57
	v_cndmask_b32_e32 v0, v38, v1, vcc
	v_cndmask_b32_e64 v0, v0, v73, s[6:7]
	v_cndmask_b32_e64 v0, v0, v72, s[8:9]
	v_cmp_eq_u32_e64 s[10:11], 4, v57
	v_cmp_eq_u32_e64 s[12:13], 5, v57
	v_cmp_eq_u32_e64 s[14:15], 6, v57
	v_cndmask_b32_e64 v0, v0, v45, s[10:11]
	v_cndmask_b32_e64 v0, v0, v44, s[12:13]
	v_cndmask_b32_e64 v0, v0, v43, s[14:15]
	v_cmp_eq_u32_e64 s[16:17], 7, v57
	v_cmp_eq_u32_e64 s[18:19], 8, v57
	v_cmp_eq_u32_e64 s[20:21], 9, v57
	v_cndmask_b32_e64 v0, v0, v42, s[16:17]
	;; [unrolled: 6-line block ×4, first 2 shown]
	v_cndmask_b32_e64 v0, v0, v14, s[30:31]
	v_cndmask_b32_e64 v0, v0, v15, s[34:35]
	ds_bpermute_b32 v74, v70, v0
	s_waitcnt lgkmcnt(0)
	v_cndmask_b32_e32 v0, v1, v74, vcc
	v_cmp_eq_u32_e32 vcc, 0, v57
	v_cndmask_b32_e64 v4, v15, v74, s[34:35]
	v_cndmask_b32_e64 v15, v73, v74, s[6:7]
	v_cndmask_b32_e32 v1, v38, v74, vcc
	v_cmp_eq_u32_e32 vcc, 1, v58
	v_cndmask_b32_e64 v5, v14, v74, s[30:31]
	v_cndmask_b32_e64 v14, v72, v74, s[8:9]
	;; [unrolled: 4-line block ×7, first 2 shown]
	v_cndmask_b32_e32 v38, v38, v13, vcc
	v_cmp_eq_u32_e32 vcc, 7, v58
	s_nop 1
	v_cndmask_b32_e32 v38, v38, v12, vcc
	v_cmp_eq_u32_e32 vcc, 8, v58
	s_nop 1
	;; [unrolled: 3-line block ×9, first 2 shown]
	v_cndmask_b32_e32 v38, v38, v4, vcc
	ds_bpermute_b32 v38, v70, v38
	v_cmp_lt_i32_e32 vcc, s74, v59
	s_and_saveexec_b64 s[60:61], vcc
	s_cbranch_execz .LBB158_29
; %bb.21:                               ;   in Loop: Header=BB158_7 Depth=1
	s_mul_i32 s6, s72, s37
	s_ashr_i32 s7, s6, 31
	s_lshl_b64 s[6:7], s[6:7], 1
	v_cmp_eq_u32_e64 s[30:31], 1, v58
	s_add_u32 s8, s48, s6
	s_addc_u32 s9, s49, s7
	s_waitcnt lgkmcnt(0)
	v_cndmask_b32_e64 v0, v0, v38, s[30:31]
	v_cmp_eq_u32_e64 s[30:31], 0, v58
	s_ashr_i32 s55, s54, 31
	s_lshl_b64 s[6:7], s[54:55], 1
	v_cndmask_b32_e64 v1, v1, v38, s[30:31]
	v_cvt_f16_f32_e32 v39, v1
	v_cvt_f16_f32_sdwa v41, v0 dst_sel:WORD_1 dst_unused:UNUSED_PAD src0_sel:DWORD
	s_add_u32 s34, s8, s6
	s_addc_u32 s35, s9, s7
	v_cmp_eq_u32_e64 s[8:9], 15, v58
	v_cmp_eq_u32_e64 s[10:11], 14, v58
	;; [unrolled: 1-line block ×10, first 2 shown]
	v_cmp_eq_u32_e32 vcc, 5, v58
	v_cmp_eq_u32_e64 s[6:7], 4, v58
	v_cmp_eq_u32_e64 s[28:29], 3, v58
	;; [unrolled: 1-line block ×3, first 2 shown]
	v_lshl_add_u64 v[0:1], s[34:35], 0, v[16:17]
	v_cmp_lt_i32_e64 s[34:35], s74, v60
	v_lshl_add_u64 v[42:43], v[18:19], 1, v[0:1]
	v_or_b32_e32 v39, v41, v39
	;;#ASMSTART
	global_atomic_pk_add_f16 v[42:43], v39, off
	
	;;#ASMEND
	s_and_b64 exec, exec, s[34:35]
	s_cbranch_execz .LBB158_29
; %bb.22:                               ;   in Loop: Header=BB158_7 Depth=1
	v_cndmask_b32_e64 v14, v14, v38, s[28:29]
	v_cndmask_b32_e64 v15, v15, v38, s[30:31]
	v_cvt_f16_f32_e32 v39, v15
	v_cvt_f16_f32_sdwa v41, v14 dst_sel:WORD_1 dst_unused:UNUSED_PAD src0_sel:DWORD
	v_cndmask_b32_e64 v4, v4, v38, s[8:9]
	v_cndmask_b32_e64 v5, v5, v38, s[10:11]
	;; [unrolled: 1-line block ×10, first 2 shown]
	v_cndmask_b32_e32 v2, v2, v38, vcc
	v_cndmask_b32_e64 v3, v3, v38, s[6:7]
	v_cmp_lt_i32_e32 vcc, s74, v61
	v_lshl_add_u64 v[14:15], v[20:21], 1, v[0:1]
	v_or_b32_e32 v38, v41, v39
	;;#ASMSTART
	global_atomic_pk_add_f16 v[14:15], v38, off
	
	;;#ASMEND
	s_and_b64 exec, exec, vcc
	s_cbranch_execz .LBB158_29
; %bb.23:                               ;   in Loop: Header=BB158_7 Depth=1
	v_cvt_f16_f32_e32 v14, v3
	v_cvt_f16_f32_sdwa v15, v2 dst_sel:WORD_1 dst_unused:UNUSED_PAD src0_sel:DWORD
	v_cmp_lt_i32_e32 vcc, s74, v62
	v_lshl_add_u64 v[2:3], v[22:23], 1, v[0:1]
	v_or_b32_e32 v14, v15, v14
	;;#ASMSTART
	global_atomic_pk_add_f16 v[2:3], v14, off
	
	;;#ASMEND
	s_and_b64 exec, exec, vcc
	s_cbranch_execz .LBB158_29
; %bb.24:                               ;   in Loop: Header=BB158_7 Depth=1
	v_cvt_f16_f32_e32 v13, v13
	v_cvt_f16_f32_sdwa v12, v12 dst_sel:WORD_1 dst_unused:UNUSED_PAD src0_sel:DWORD
	;; [unrolled: 12-line block ×6, first 2 shown]
	v_lshl_add_u64 v[0:1], v[32:33], 1, v[0:1]
	v_or_b32_e32 v2, v3, v2
	;;#ASMSTART
	global_atomic_pk_add_f16 v[0:1], v2, off
	
	;;#ASMEND
.LBB158_29:                             ;   in Loop: Header=BB158_7 Depth=1
	s_or_b64 exec, exec, s[60:61]
	v_subrev_u32_e32 v71, s75, v71
.LBB158_30:                             ;   in Loop: Header=BB158_7 Depth=1
	s_or_b64 exec, exec, s[58:59]
.LBB158_31:                             ;   in Loop: Header=BB158_7 Depth=1
	s_andn2_saveexec_b64 s[6:7], s[56:57]
	s_cbranch_execz .LBB158_40
; %bb.32:                               ;   in Loop: Header=BB158_7 Depth=1
	v_cmp_gt_i32_e32 vcc, s75, v71
	s_and_saveexec_b64 s[8:9], vcc
	s_cbranch_execz .LBB158_39
; %bb.33:                               ;   in Loop: Header=BB158_7 Depth=1
	s_mul_i32 s10, s54, s39
	s_ashr_i32 s11, s10, 31
	s_waitcnt lgkmcnt(0)
	s_add_u32 s10, s46, s10
	s_addc_u32 s11, s47, s11
	s_ashr_i32 s12, s73, 31
	s_add_u32 s10, s10, s73
	s_addc_u32 s11, s11, s12
	v_lshl_add_u64 v[0:1], s[10:11], 0, v[36:37]
	v_lshl_add_u64 v[8:9], v[0:1], 0, v[34:35]
	s_mov_b64 s[10:11], 0
	s_branch .LBB158_35
.LBB158_34:                             ;   in Loop: Header=BB158_35 Depth=2
	s_or_b64 exec, exec, s[12:13]
	v_lshl_add_u32 v12, v10, 11, v67
	;;#ASMSTART
	s_waitcnt vmcnt(1)
	;;#ASMEND
	ds_write2_b32 v12, v4, v5 offset1:32
	ds_write2_b32 v12, v6, v7 offset0:64 offset1:96
	v_add_u32_e32 v4, 0x400, v12
	v_add_u32_e32 v71, s42, v71
	;;#ASMSTART
	s_waitcnt vmcnt(0)
	;;#ASMEND
	ds_write2_b32 v4, v0, v1 offset1:32
	ds_write2_b32 v4, v2, v3 offset0:64 offset1:96
	v_add_u32_e32 v0, 1, v47
	v_add_u32_e32 v40, s42, v10
	v_cmp_le_i32_e32 vcc, s75, v71
	ds_write_b32 v11, v0 offset:32
	v_add_u32_e32 v0, 2, v47
	s_or_b64 s[10:11], vcc, s[10:11]
	v_cmp_lt_i32_e32 vcc, 3, v40
	s_nop 1
	v_cndmask_b32_e32 v47, v47, v0, vcc
	s_andn2_b64 exec, exec, s[10:11]
	s_cbranch_execz .LBB158_38
.LBB158_35:                             ;   Parent Loop BB158_7 Depth=1
                                        ; =>  This Loop Header: Depth=2
                                        ;       Child Loop BB158_37 Depth 3
	v_cmp_gt_i32_e32 vcc, 4, v40
	s_nop 1
	v_cndmask_b32_e64 v0, -4, 0, vcc
	v_add_u32_e32 v10, v0, v40
	v_lshlrev_b32_e32 v0, 6, v71
	v_ashrrev_i32_e32 v1, 31, v0
	v_lshl_add_u64 v[0:1], v[8:9], 0, v[0:1]
	v_lshlrev_b32_e32 v11, 2, v10
	;;#ASMSTART
	global_load_dwordx4 v[4:7], v[0:1], off offset:0   sc0 sc1 nt  
	global_load_dwordx4 v[0:3], v[0:1], off offset:32  sc0 sc1 nt  
	
	;;#ASMEND
	ds_read_b32 v12, v11 offset:24608
	v_add_u32_e32 v11, 0x6000, v11
	s_waitcnt lgkmcnt(0)
	v_cmp_ne_u32_e32 vcc, v12, v47
	s_and_saveexec_b64 s[12:13], vcc
	s_cbranch_execz .LBB158_34
; %bb.36:                               ;   in Loop: Header=BB158_35 Depth=2
	s_mov_b64 s[14:15], 0
.LBB158_37:                             ;   Parent Loop BB158_7 Depth=1
                                        ;     Parent Loop BB158_35 Depth=2
                                        ; =>    This Inner Loop Header: Depth=3
	;;#ASMSTART
	s_sleep 0
	;;#ASMEND
	ds_read_b32 v12, v11 offset:32
	s_waitcnt lgkmcnt(0)
	v_cmp_eq_u32_e32 vcc, v12, v47
	s_or_b64 s[14:15], vcc, s[14:15]
	s_andn2_b64 exec, exec, s[14:15]
	s_cbranch_execnz .LBB158_37
	s_branch .LBB158_34
.LBB158_38:                             ;   in Loop: Header=BB158_7 Depth=1
	s_or_b64 exec, exec, s[10:11]
.LBB158_39:                             ;   in Loop: Header=BB158_7 Depth=1
	s_or_b64 exec, exec, s[8:9]
	v_subrev_u32_e32 v71, s75, v71
.LBB158_40:                             ;   in Loop: Header=BB158_7 Depth=1
	s_or_b64 exec, exec, s[6:7]
.LBB158_41:                             ;   in Loop: Header=BB158_7 Depth=1
	s_andn2_saveexec_b64 s[6:7], s[52:53]
	s_cbranch_execz .LBB158_6
; %bb.42:                               ;   in Loop: Header=BB158_7 Depth=1
	s_lshl_b32 s16, s75, 1
	v_cmp_gt_i32_e32 vcc, s16, v71
	s_and_saveexec_b64 s[8:9], vcc
	s_cbranch_execz .LBB158_5
; %bb.43:                               ;   in Loop: Header=BB158_7 Depth=1
	s_mul_i32 s72, s72, s38
	s_max_i32 s12, s74, 0
	s_ashr_i32 s10, s72, 31
	s_waitcnt lgkmcnt(0)
	s_add_u32 s11, s44, s72
	v_add_u32_e32 v2, s12, v48
	s_addc_u32 s13, s45, s10
	s_ashr_i32 s14, s73, 31
	v_cmp_gt_u32_e32 vcc, 64, v2
	s_add_u32 s10, s11, s73
	s_addc_u32 s11, s13, s14
	v_cndmask_b32_e32 v0, 0, v68, vcc
	v_ashrrev_i32_e32 v1, 31, v0
	v_lshl_add_u64 v[0:1], s[10:11], 0, v[0:1]
	v_lshl_add_u64 v[8:9], v[0:1], 0, v[34:35]
	v_sub_u32_e32 v10, 63, v2
	s_mov_b64 s[10:11], 0
	s_branch .LBB158_45
.LBB158_44:                             ;   in Loop: Header=BB158_45 Depth=2
	s_or_b64 exec, exec, s[12:13]
	v_lshl_or_b32 v13, v11, 11, v69
	;;#ASMSTART
	s_waitcnt vmcnt(1)
	;;#ASMEND
	ds_write2_b32 v13, v4, v5 offset1:32
	ds_write2_b32 v13, v6, v7 offset0:64 offset1:96
	v_add_u32_e32 v4, 0x400, v13
	v_add_u32_e32 v71, s41, v71
	;;#ASMSTART
	s_waitcnt vmcnt(0)
	;;#ASMEND
	ds_write2_b32 v4, v0, v1 offset1:32
	ds_write2_b32 v4, v2, v3 offset0:64 offset1:96
	v_add_u32_e32 v0, 1, v47
	v_add_u32_e32 v40, s41, v11
	v_cmp_le_i32_e32 vcc, s16, v71
	ds_write_b32 v12, v0
	v_add_u32_e32 v0, 2, v47
	s_or_b64 s[10:11], vcc, s[10:11]
	v_cmp_lt_i32_e32 vcc, 7, v40
	s_nop 1
	v_cndmask_b32_e32 v47, v47, v0, vcc
	s_andn2_b64 exec, exec, s[10:11]
	s_cbranch_execz .LBB158_4
.LBB158_45:                             ;   Parent Loop BB158_7 Depth=1
                                        ; =>  This Loop Header: Depth=2
                                        ;       Child Loop BB158_47 Depth 3
	v_cmp_gt_i32_e32 vcc, 8, v40
	s_nop 1
	v_cndmask_b32_e64 v0, -8, 0, vcc
	v_add_u32_e32 v11, v0, v40
	v_lshrrev_b32_e32 v0, 31, v71
	v_add_u32_e32 v0, v71, v0
	v_and_b32_e32 v1, 0x7fffffe, v0
	v_sub_u32_e32 v1, v71, v1
	v_lshlrev_b32_e32 v1, 5, v1
	v_cmp_le_i32_e32 vcc, v1, v10
	v_lshlrev_b32_e32 v0, 5, v0
	v_and_b32_e32 v0, 0xffffffc0, v0
	v_cndmask_b32_e32 v2, 0, v1, vcc
	v_ashrrev_i32_e32 v1, 31, v0
	v_mul_lo_u32 v2, v2, s38
	v_lshl_add_u64 v[0:1], v[8:9], 0, v[0:1]
	v_ashrrev_i32_e32 v3, 31, v2
	v_lshl_add_u64 v[0:1], v[0:1], 0, v[2:3]
	v_lshlrev_b32_e32 v12, 2, v11
	;;#ASMSTART
	global_load_dwordx4 v[4:7], v[0:1], off offset:0   
	global_load_dwordx4 v[0:3], v[0:1], off offset:32  
	
	;;#ASMEND
	ds_read_b32 v13, v12 offset:24576
	v_add_u32_e32 v12, 0x6000, v12
	s_waitcnt lgkmcnt(0)
	v_cmp_ne_u32_e32 vcc, v13, v47
	s_and_saveexec_b64 s[12:13], vcc
	s_cbranch_execz .LBB158_44
; %bb.46:                               ;   in Loop: Header=BB158_45 Depth=2
	s_mov_b64 s[14:15], 0
.LBB158_47:                             ;   Parent Loop BB158_7 Depth=1
                                        ;     Parent Loop BB158_45 Depth=2
                                        ; =>    This Inner Loop Header: Depth=3
	;;#ASMSTART
	s_sleep 0
	;;#ASMEND
	ds_read_b32 v13, v12
	s_waitcnt lgkmcnt(0)
	v_cmp_eq_u32_e32 vcc, v13, v47
	s_or_b64 s[14:15], vcc, s[14:15]
	s_andn2_b64 exec, exec, s[14:15]
	s_cbranch_execnz .LBB158_47
	s_branch .LBB158_44
.LBB158_48:
	s_endpgm
	.section	.rodata,"a",@progbits
	.p2align	6, 0x0
	.amdhsa_kernel _Z19_skinny_gemm_kernelILi2ELi1ELi4ELi32ELi4EEvPKhS1_P6__halfPKfiiiiiiii
		.amdhsa_group_segment_fixed_size 24624
		.amdhsa_private_segment_fixed_size 0
		.amdhsa_kernarg_size 64
		.amdhsa_user_sgpr_count 2
		.amdhsa_user_sgpr_dispatch_ptr 0
		.amdhsa_user_sgpr_queue_ptr 0
		.amdhsa_user_sgpr_kernarg_segment_ptr 1
		.amdhsa_user_sgpr_dispatch_id 0
		.amdhsa_user_sgpr_kernarg_preload_length 0
		.amdhsa_user_sgpr_kernarg_preload_offset 0
		.amdhsa_user_sgpr_private_segment_size 0
		.amdhsa_uses_dynamic_stack 0
		.amdhsa_enable_private_segment 0
		.amdhsa_system_sgpr_workgroup_id_x 1
		.amdhsa_system_sgpr_workgroup_id_y 0
		.amdhsa_system_sgpr_workgroup_id_z 0
		.amdhsa_system_sgpr_workgroup_info 0
		.amdhsa_system_vgpr_workitem_id 0
		.amdhsa_next_free_vgpr 79
		.amdhsa_next_free_sgpr 76
		.amdhsa_accum_offset 80
		.amdhsa_reserve_vcc 1
		.amdhsa_float_round_mode_32 0
		.amdhsa_float_round_mode_16_64 0
		.amdhsa_float_denorm_mode_32 3
		.amdhsa_float_denorm_mode_16_64 3
		.amdhsa_dx10_clamp 1
		.amdhsa_ieee_mode 1
		.amdhsa_fp16_overflow 0
		.amdhsa_tg_split 0
		.amdhsa_exception_fp_ieee_invalid_op 0
		.amdhsa_exception_fp_denorm_src 0
		.amdhsa_exception_fp_ieee_div_zero 0
		.amdhsa_exception_fp_ieee_overflow 0
		.amdhsa_exception_fp_ieee_underflow 0
		.amdhsa_exception_fp_ieee_inexact 0
		.amdhsa_exception_int_div_zero 0
	.end_amdhsa_kernel
	.section	.text._Z19_skinny_gemm_kernelILi2ELi1ELi4ELi32ELi4EEvPKhS1_P6__halfPKfiiiiiiii,"axG",@progbits,_Z19_skinny_gemm_kernelILi2ELi1ELi4ELi32ELi4EEvPKhS1_P6__halfPKfiiiiiiii,comdat
.Lfunc_end158:
	.size	_Z19_skinny_gemm_kernelILi2ELi1ELi4ELi32ELi4EEvPKhS1_P6__halfPKfiiiiiiii, .Lfunc_end158-_Z19_skinny_gemm_kernelILi2ELi1ELi4ELi32ELi4EEvPKhS1_P6__halfPKfiiiiiiii
                                        ; -- End function
	.set _Z19_skinny_gemm_kernelILi2ELi1ELi4ELi32ELi4EEvPKhS1_P6__halfPKfiiiiiiii.num_vgpr, 79
	.set _Z19_skinny_gemm_kernelILi2ELi1ELi4ELi32ELi4EEvPKhS1_P6__halfPKfiiiiiiii.num_agpr, 0
	.set _Z19_skinny_gemm_kernelILi2ELi1ELi4ELi32ELi4EEvPKhS1_P6__halfPKfiiiiiiii.numbered_sgpr, 76
	.set _Z19_skinny_gemm_kernelILi2ELi1ELi4ELi32ELi4EEvPKhS1_P6__halfPKfiiiiiiii.num_named_barrier, 0
	.set _Z19_skinny_gemm_kernelILi2ELi1ELi4ELi32ELi4EEvPKhS1_P6__halfPKfiiiiiiii.private_seg_size, 0
	.set _Z19_skinny_gemm_kernelILi2ELi1ELi4ELi32ELi4EEvPKhS1_P6__halfPKfiiiiiiii.uses_vcc, 1
	.set _Z19_skinny_gemm_kernelILi2ELi1ELi4ELi32ELi4EEvPKhS1_P6__halfPKfiiiiiiii.uses_flat_scratch, 0
	.set _Z19_skinny_gemm_kernelILi2ELi1ELi4ELi32ELi4EEvPKhS1_P6__halfPKfiiiiiiii.has_dyn_sized_stack, 0
	.set _Z19_skinny_gemm_kernelILi2ELi1ELi4ELi32ELi4EEvPKhS1_P6__halfPKfiiiiiiii.has_recursion, 0
	.set _Z19_skinny_gemm_kernelILi2ELi1ELi4ELi32ELi4EEvPKhS1_P6__halfPKfiiiiiiii.has_indirect_call, 0
	.section	.AMDGPU.csdata,"",@progbits
; Kernel info:
; codeLenInByte = 6040
; TotalNumSgprs: 82
; NumVgprs: 79
; NumAgprs: 0
; TotalNumVgprs: 79
; ScratchSize: 0
; MemoryBound: 0
; FloatMode: 240
; IeeeMode: 1
; LDSByteSize: 24624 bytes/workgroup (compile time only)
; SGPRBlocks: 10
; VGPRBlocks: 9
; NumSGPRsForWavesPerEU: 82
; NumVGPRsForWavesPerEU: 79
; AccumOffset: 80
; Occupancy: 6
; WaveLimiterHint : 0
; COMPUTE_PGM_RSRC2:SCRATCH_EN: 0
; COMPUTE_PGM_RSRC2:USER_SGPR: 2
; COMPUTE_PGM_RSRC2:TRAP_HANDLER: 0
; COMPUTE_PGM_RSRC2:TGID_X_EN: 1
; COMPUTE_PGM_RSRC2:TGID_Y_EN: 0
; COMPUTE_PGM_RSRC2:TGID_Z_EN: 0
; COMPUTE_PGM_RSRC2:TIDIG_COMP_CNT: 0
; COMPUTE_PGM_RSRC3_GFX90A:ACCUM_OFFSET: 19
; COMPUTE_PGM_RSRC3_GFX90A:TG_SPLIT: 0
	.section	.text._Z19_skinny_gemm_kernelILi2ELi1ELi4ELi32ELi8EEvPKhS1_P6__halfPKfiiiiiiii,"axG",@progbits,_Z19_skinny_gemm_kernelILi2ELi1ELi4ELi32ELi8EEvPKhS1_P6__halfPKfiiiiiiii,comdat
	.protected	_Z19_skinny_gemm_kernelILi2ELi1ELi4ELi32ELi8EEvPKhS1_P6__halfPKfiiiiiiii ; -- Begin function _Z19_skinny_gemm_kernelILi2ELi1ELi4ELi32ELi8EEvPKhS1_P6__halfPKfiiiiiiii
	.globl	_Z19_skinny_gemm_kernelILi2ELi1ELi4ELi32ELi8EEvPKhS1_P6__halfPKfiiiiiiii
	.p2align	8
	.type	_Z19_skinny_gemm_kernelILi2ELi1ELi4ELi32ELi8EEvPKhS1_P6__halfPKfiiiiiiii,@function
_Z19_skinny_gemm_kernelILi2ELi1ELi4ELi32ELi8EEvPKhS1_P6__halfPKfiiiiiiii: ; @_Z19_skinny_gemm_kernelILi2ELi1ELi4ELi32ELi8EEvPKhS1_P6__halfPKfiiiiiiii
; %bb.0:
	v_cmp_gt_u32_e32 vcc, 12, v0
	s_and_saveexec_b64 s[4:5], vcc
; %bb.1:
	v_lshlrev_b32_e32 v1, 2, v0
	v_mov_b32_e32 v2, 0
	ds_write_b32 v1, v2 offset:49152
; %bb.2:
	s_or_b64 exec, exec, s[4:5]
	s_load_dwordx8 s[36:43], s[0:1], 0x20
	s_waitcnt lgkmcnt(0)
	s_barrier
	s_add_i32 s3, s36, 63
	s_ashr_i32 s5, s3, 31
	s_add_i32 s4, s37, 31
	s_lshr_b32 s5, s5, 26
	s_ashr_i32 s6, s4, 31
	s_add_i32 s3, s3, s5
	s_ashr_i32 s33, s3, 6
	s_lshr_b32 s3, s6, 27
	s_add_i32 s4, s4, s3
	s_ashr_i32 s62, s4, 5
	s_mul_i32 s3, s62, s33
	s_mul_i32 s3, s3, s40
	s_add_i32 s4, s3, 0x12f
	s_mul_hi_i32 s4, s4, 0x6bca1af3
	s_lshr_b32 s5, s4, 31
	s_ashr_i32 s4, s4, 7
	s_add_i32 s4, s4, s5
	s_add_i32 s5, s2, 1
	s_mul_i32 s5, s4, s5
	v_cvt_f64_i32_e32 v[2:3], s3
	v_cvt_f64_u32_e32 v[4:5], s5
	v_min_f64 v[2:3], v[2:3], v[4:5]
	v_cvt_i32_f64_e32 v54, v[2:3]
	s_mul_i32 s63, s4, s2
	v_cmp_ge_i32_e32 vcc, s63, v54
	s_cbranch_vccnz .LBB159_48
; %bb.3:
	v_lshrrev_b32_e32 v1, 6, v0
	s_add_i32 s4, s42, s41
	s_load_dwordx8 s[44:51], s[0:1], 0x0
	v_cmp_le_i32_e64 s[0:1], s4, v1
	v_mov_b32_e32 v2, s41
	v_cmp_le_i32_e64 s[2:3], s41, v1
	v_mov_b32_e32 v3, s42
	v_cndmask_b32_e64 v3, 0, v3, s[0:1]
	v_cndmask_b32_e64 v2, 0, v2, s[2:3]
	s_abs_i32 s5, s40
	v_add_u32_e32 v2, v2, v3
	v_cvt_f32_u32_e32 v3, s5
	v_sub_u32_e32 v40, v1, v2
	s_ashr_i32 s6, s38, 31
	s_lshr_b32 s6, s6, 25
	v_rcp_iflag_f32_e32 v2, v3
	s_sub_i32 s9, 0, s5
	s_add_i32 s6, s38, s6
	s_ashr_i32 s6, s6, 7
	v_mul_f32_e32 v2, 0x4f7ffffe, v2
	v_cvt_u32_f32_e32 v2, v2
	s_abs_i32 s8, s6
	s_xor_b32 s7, s6, s40
	s_ashr_i32 s7, s7, 31
	v_readfirstlane_b32 s10, v2
	s_mul_i32 s9, s9, s10
	s_mul_hi_u32 s9, s10, s9
	s_add_i32 s10, s10, s9
	s_mul_hi_u32 s9, s8, s10
	s_mul_i32 s10, s9, s5
	s_sub_i32 s8, s8, s10
	s_add_i32 s10, s9, 1
	s_sub_i32 s11, s8, s5
	s_cmp_ge_u32 s8, s5
	s_cselect_b32 s9, s10, s9
	s_cselect_b32 s8, s11, s8
	s_add_i32 s10, s9, 1
	s_cmp_ge_u32 s8, s5
	s_cselect_b32 s5, s10, s9
	s_xor_b32 s5, s5, s7
	s_sub_i32 s64, s5, s7
	s_add_i32 s40, s40, -1
	s_mul_i32 s5, s64, s40
	s_add_i32 s4, s4, s43
	v_and_b32_e32 v56, 31, v0
	v_lshrrev_b32_e32 v2, 3, v0
	s_sub_i32 s65, s6, s5
	v_cmp_gt_i32_e64 s[4:5], s4, v1
	v_lshlrev_b32_e32 v1, 2, v56
	v_and_b32_e32 v3, 4, v2
	v_and_b32_e32 v5, 1, v0
	v_lshlrev_b32_e32 v2, 6, v3
	v_or_b32_e32 v4, 0x8000, v1
	v_or_b32_e32 v3, v3, v5
	;; [unrolled: 1-line block ×4, first 2 shown]
	v_lshlrev_b32_e32 v2, 1, v5
	v_or_b32_e32 v5, 2, v3
	v_sub_u32_e32 v68, 32, v5
	v_or_b32_e32 v5, 8, v3
	v_sub_u32_e32 v69, 32, v5
	;; [unrolled: 2-line block ×5, first 2 shown]
	v_mul_lo_u32 v18, s37, v3
	v_sub_u32_e32 v72, 32, v5
	v_or_b32_e32 v5, 24, v3
	v_or_b32_e32 v3, 26, v3
	v_sub_u32_e32 v74, 32, v3
	v_lshrrev_b32_e32 v3, 1, v0
	s_abs_i32 s66, s33
	v_and_b32_e32 v34, 16, v3
	v_cvt_f32_u32_e32 v3, s66
	v_sub_u32_e32 v2, v0, v2
	v_add_u32_e32 v2, 1, v2
	v_and_b32_e32 v6, 63, v2
	v_bitop3_b32 v59, v0, 1, v0 bitop3:0xc
	v_bitop3_b32 v60, v0, 3, 1 bitop3:0x6c
	;; [unrolled: 1-line block ×8, first 2 shown]
	v_and_b32_e32 v2, 30, v0
	v_lshlrev_b32_e32 v0, 4, v0
	v_and_b32_e32 v0, 0x200, v0
	v_rcp_iflag_f32_e32 v3, v3
	s_abs_i32 s67, s62
	v_or_b32_e32 v77, v1, v0
	v_cvt_f32_u32_e32 v1, s67
	s_lshl_b32 s6, s37, 1
	v_add_u32_e32 v20, s6, v18
	s_mul_i32 s7, s37, 6
	v_or_b32_e32 v75, v4, v0
	v_mul_f32_e32 v0, 0x4f7ffffe, v3
	v_add_u32_e32 v22, s7, v20
	v_cvt_u32_f32_e32 v0, v0
	v_rcp_iflag_f32_e32 v1, v1
	v_add_u32_e32 v24, s6, v22
	v_add_u32_e32 v26, s7, v24
	;; [unrolled: 1-line block ×4, first 2 shown]
	v_readfirstlane_b32 s7, v0
	v_mul_f32_e32 v0, 0x4f7ffffe, v1
	v_cvt_u32_f32_e32 v0, v0
	v_add_u32_e32 v32, s6, v30
	s_sub_i32 s6, 0, s66
	s_mul_i32 s6, s6, s7
	s_mul_hi_u32 s6, s7, s6
	s_add_i32 s69, s7, s6
	s_sub_i32 s6, 0, s67
	v_readfirstlane_b32 s7, v0
	v_mbcnt_lo_u32_b32 v0, -1, 0
	s_mul_i32 s6, s6, s7
	v_mbcnt_hi_u32_b32 v0, -1, v0
	v_mov_b32_e32 v17, 0
	v_mul_lo_u32 v36, s39, v56
	s_mul_hi_u32 s6, s7, s6
	v_and_or_b32 v0, v0, 64, v6
	v_cndmask_b32_e64 v55, 0, 1, s[0:1]
	v_ashrrev_i32_e32 v19, 31, v18
	v_ashrrev_i32_e32 v21, 31, v20
	;; [unrolled: 1-line block ×6, first 2 shown]
	v_sub_u32_e32 v73, 32, v5
	v_ashrrev_i32_e32 v31, 31, v30
	v_ashrrev_i32_e32 v33, 31, v32
	;; [unrolled: 1-line block ×3, first 2 shown]
	v_mov_b32_e32 v35, v17
	v_mul_lo_u32 v76, s38, v56
	s_ashr_i32 s68, s33, 31
	s_ashr_i32 s70, s62, 31
	s_add_i32 s71, s7, s6
	v_lshlrev_b32_e32 v16, 1, v2
	v_lshlrev_b32_e32 v78, 2, v0
	v_mov_b32_e32 v79, v40
	s_branch .LBB159_7
.LBB159_4:                              ;   in Loop: Header=BB159_7 Depth=1
	s_or_b64 exec, exec, s[10:11]
.LBB159_5:                              ;   in Loop: Header=BB159_7 Depth=1
	s_or_b64 exec, exec, s[8:9]
	v_subrev_u32_e32 v79, s16, v79
.LBB159_6:                              ;   in Loop: Header=BB159_7 Depth=1
	s_or_b64 exec, exec, s[6:7]
	s_add_i32 s63, s63, 1
	v_cmp_ge_i32_e32 vcc, s63, v54
	s_cbranch_vccnz .LBB159_48
.LBB159_7:                              ; =>This Loop Header: Depth=1
                                        ;     Child Loop BB159_13 Depth 2
                                        ;       Child Loop BB159_15 Depth 3
                                        ;       Child Loop BB159_18 Depth 3
                                        ;     Child Loop BB159_35 Depth 2
                                        ;       Child Loop BB159_37 Depth 3
                                        ;     Child Loop BB159_45 Depth 2
                                        ;       Child Loop BB159_47 Depth 3
	s_abs_i32 s7, s63
	s_mul_hi_u32 s8, s7, s69
	s_mul_i32 s9, s8, s66
	s_ashr_i32 s6, s63, 31
	s_sub_i32 s7, s7, s9
	s_xor_b32 s6, s6, s68
	s_add_i32 s9, s8, 1
	s_sub_i32 s10, s7, s66
	s_cmp_ge_u32 s7, s66
	s_cselect_b32 s8, s9, s8
	s_cselect_b32 s7, s10, s7
	s_add_i32 s9, s8, 1
	s_cmp_ge_u32 s7, s66
	s_cselect_b32 s7, s9, s8
	s_xor_b32 s7, s7, s6
	s_sub_i32 s6, s7, s6
	s_abs_i32 s8, s6
	s_mul_i32 s7, s6, s33
	s_mul_hi_u32 s9, s8, s71
	s_sub_i32 s7, s63, s7
	s_mul_i32 s10, s9, s67
	s_lshl_b32 s72, s7, 6
	s_ashr_i32 s7, s6, 31
	s_sub_i32 s8, s8, s10
	s_xor_b32 s7, s7, s70
	s_add_i32 s10, s9, 1
	s_sub_i32 s11, s8, s67
	s_cmp_ge_u32 s8, s67
	s_cselect_b32 s9, s10, s9
	s_cselect_b32 s8, s11, s8
	s_add_i32 s10, s9, 1
	s_cmp_ge_u32 s8, s67
	s_cselect_b32 s8, s10, s9
	s_xor_b32 s8, s8, s7
	s_sub_i32 s7, s8, s7
	s_mul_i32 s8, s7, s64
	s_lshl_b32 s73, s8, 7
	s_cmp_eq_u32 s7, s40
	s_cselect_b32 s75, s65, s64
	s_sub_i32 s74, s72, s36
	s_add_i32 s74, s74, 64
	s_and_saveexec_b64 s[8:9], s[2:3]
	s_xor_b64 s[52:53], exec, s[8:9]
	s_cbranch_execz .LBB159_41
; %bb.8:                                ;   in Loop: Header=BB159_7 Depth=1
	s_mul_i32 s7, s7, s62
	s_sub_i32 s6, s6, s7
	s_lshl_b32 s6, s6, 5
	s_sub_i32 s14, s6, s37
	s_add_i32 s14, s14, 32
	s_max_i32 s7, s14, 0
	s_sub_i32 s54, s6, s7
	s_and_saveexec_b64 s[6:7], s[0:1]
	s_xor_b64 s[56:57], exec, s[6:7]
	s_cbranch_execz .LBB159_31
; %bb.9:                                ;   in Loop: Header=BB159_7 Depth=1
	s_and_saveexec_b64 s[58:59], s[4:5]
	s_cbranch_execz .LBB159_30
; %bb.10:                               ;   in Loop: Header=BB159_7 Depth=1
	s_waitcnt lgkmcnt(0)
	global_load_dword v80, v17, s[50:51]
	v_mov_b32_e32 v15, 0
	v_cmp_gt_i32_e32 vcc, s75, v79
	v_mov_b32_e32 v14, v15
	v_mov_b32_e32 v13, v15
	;; [unrolled: 1-line block ×15, first 2 shown]
	s_and_saveexec_b64 s[6:7], vcc
	s_cbranch_execz .LBB159_20
; %bb.11:                               ;   in Loop: Header=BB159_7 Depth=1
	v_mov_b32_e32 v0, 0
	s_mov_b64 s[8:9], 0
	v_mov_b32_e32 v1, v0
	v_mov_b32_e32 v2, v0
	;; [unrolled: 1-line block ×15, first 2 shown]
	s_branch .LBB159_13
.LBB159_12:                             ;   in Loop: Header=BB159_13 Depth=2
	s_or_b64 exec, exec, s[10:11]
	v_add_u32_e32 v86, v58, v84
	ds_read2_b32 v[84:85], v86 offset1:32
	v_add_u32_e32 v79, s43, v79
	s_waitcnt lgkmcnt(0)
	v_mfma_f32_32x32x16_fp8_fp8 v[0:15], v[52:53], v[84:85], v[0:15]
	ds_read2_b32 v[52:53], v86 offset0:128 offset1:160
	s_waitcnt lgkmcnt(0)
	v_mfma_f32_32x32x16_fp8_fp8 v[0:15], v[50:51], v[52:53], v[0:15]
	v_add_u32_e32 v52, 0x400, v86
	ds_read2_b32 v[50:51], v52 offset1:32
	s_waitcnt lgkmcnt(0)
	v_mfma_f32_32x32x16_fp8_fp8 v[0:15], v[48:49], v[50:51], v[0:15]
	ds_read2_b32 v[48:49], v52 offset0:128 offset1:160
	s_waitcnt lgkmcnt(0)
	v_mfma_f32_32x32x16_fp8_fp8 v[0:15], v[46:47], v[48:49], v[0:15]
	v_add_u32_e32 v48, 0x800, v86
	ds_read2_b32 v[46:47], v48 offset1:32
	;; [unrolled: 7-line block ×3, first 2 shown]
	ds_read2_b32 v[44:45], v44 offset0:128 offset1:160
	ds_write_b32 v82, v83 offset:49156
	s_waitcnt lgkmcnt(2)
	v_mfma_f32_32x32x16_fp8_fp8 v[0:15], v[40:41], v[42:43], v[0:15]
	v_add_u32_e32 v40, s43, v81
	v_add_u32_e32 v41, 2, v55
	v_cmp_lt_i32_e32 vcc, 3, v40
	s_nop 1
	v_cndmask_b32_e32 v55, v55, v41, vcc
	v_cmp_le_i32_e32 vcc, s75, v79
	s_waitcnt lgkmcnt(1)
	v_mfma_f32_32x32x16_fp8_fp8 v[0:15], v[38:39], v[44:45], v[0:15]
	s_or_b64 s[8:9], vcc, s[8:9]
	s_andn2_b64 exec, exec, s[8:9]
	s_cbranch_execz .LBB159_19
.LBB159_13:                             ;   Parent Loop BB159_7 Depth=1
                                        ; =>  This Loop Header: Depth=2
                                        ;       Child Loop BB159_15 Depth 3
                                        ;       Child Loop BB159_18 Depth 3
	v_cmp_gt_i32_e32 vcc, 4, v40
	s_nop 1
	v_cndmask_b32_e64 v38, -4, 0, vcc
	v_add_u32_e32 v81, v38, v40
	v_lshlrev_b32_e32 v82, 3, v81
	ds_read_b32 v38, v82 offset:49152
	s_waitcnt lgkmcnt(0)
	v_cmp_ne_u32_e32 vcc, v38, v55
	s_and_saveexec_b64 s[10:11], vcc
	s_cbranch_execz .LBB159_16
; %bb.14:                               ;   in Loop: Header=BB159_13 Depth=2
	s_mov_b64 s[12:13], 0
.LBB159_15:                             ;   Parent Loop BB159_7 Depth=1
                                        ;     Parent Loop BB159_13 Depth=2
                                        ; =>    This Inner Loop Header: Depth=3
	;;#ASMSTART
	s_sleep 0
	;;#ASMEND
	ds_read_b32 v38, v82 offset:49152
	s_waitcnt lgkmcnt(0)
	v_cmp_eq_u32_e32 vcc, v38, v55
	s_or_b64 s[12:13], vcc, s[12:13]
	s_andn2_b64 exec, exec, s[12:13]
	s_cbranch_execnz .LBB159_15
.LBB159_16:                             ;   in Loop: Header=BB159_13 Depth=2
	s_or_b64 exec, exec, s[10:11]
	v_lshlrev_b32_e32 v84, 12, v81
	v_or_b32_e32 v38, v57, v84
	v_add_u32_e32 v39, 0x400, v38
	ds_read2_b32 v[52:53], v38 offset1:32
	ds_read2_b32 v[50:51], v38 offset0:128 offset1:160
	ds_read2_b32 v[48:49], v39 offset1:32
	ds_read2_b32 v[46:47], v39 offset0:128 offset1:160
	v_add_u32_e32 v39, 0x800, v38
	v_add_u32_e32 v38, 0xc00, v38
	ds_read2_b32 v[44:45], v39 offset1:32
	ds_read2_b32 v[42:43], v39 offset0:128 offset1:160
	ds_read2_b32 v[40:41], v38 offset1:32
	ds_read_b32 v85, v82 offset:49156
	ds_read2_b32 v[38:39], v38 offset0:128 offset1:160
	v_add_u32_e32 v83, 1, v55
	ds_write_b32 v82, v83 offset:49152
	s_waitcnt lgkmcnt(2)
	v_cmp_ne_u32_e32 vcc, v85, v55
	s_and_saveexec_b64 s[10:11], vcc
	s_cbranch_execz .LBB159_12
; %bb.17:                               ;   in Loop: Header=BB159_13 Depth=2
	s_mov_b64 s[12:13], 0
.LBB159_18:                             ;   Parent Loop BB159_7 Depth=1
                                        ;     Parent Loop BB159_13 Depth=2
                                        ; =>    This Inner Loop Header: Depth=3
	;;#ASMSTART
	s_sleep 0
	;;#ASMEND
	ds_read_b32 v85, v82 offset:49156
	s_waitcnt lgkmcnt(0)
	v_cmp_eq_u32_e32 vcc, v85, v55
	s_or_b64 s[12:13], vcc, s[12:13]
	s_andn2_b64 exec, exec, s[12:13]
	s_cbranch_execnz .LBB159_18
	s_branch .LBB159_12
.LBB159_19:                             ;   in Loop: Header=BB159_7 Depth=1
	s_or_b64 exec, exec, s[8:9]
.LBB159_20:                             ;   in Loop: Header=BB159_7 Depth=1
	s_or_b64 exec, exec, s[6:7]
	v_cmp_le_i32_e32 vcc, s14, v56
	v_cmp_eq_u32_e64 s[6:7], 3, v59
	v_cmp_eq_u32_e64 s[8:9], 4, v59
	s_waitcnt vmcnt(0)
	v_cndmask_b32_e32 v38, 0, v80, vcc
	s_nop 1
	v_pk_mul_f32 v[0:1], v[38:39], v[0:1] op_sel_hi:[0,1]
	v_cmp_eq_u32_e32 vcc, 1, v59
	v_pk_mul_f32 v[14:15], v[38:39], v[14:15] op_sel_hi:[0,1]
	v_pk_mul_f32 v[12:13], v[38:39], v[12:13] op_sel_hi:[0,1]
	v_pk_mul_f32 v[10:11], v[38:39], v[10:11] op_sel_hi:[0,1]
	v_pk_mul_f32 v[8:9], v[38:39], v[8:9] op_sel_hi:[0,1]
	v_pk_mul_f32 v[6:7], v[38:39], v[6:7] op_sel_hi:[0,1]
	v_pk_mul_f32 v[4:5], v[38:39], v[4:5] op_sel_hi:[0,1]
	v_pk_mul_f32 v[2:3], v[38:39], v[2:3] op_sel_hi:[0,1]
	v_cndmask_b32_e32 v38, v0, v1, vcc
	v_cmp_eq_u32_e32 vcc, 2, v59
	v_cmp_eq_u32_e64 s[10:11], 5, v59
	v_cmp_eq_u32_e64 s[12:13], 6, v59
	v_cndmask_b32_e32 v38, v38, v2, vcc
	v_cndmask_b32_e64 v38, v38, v3, s[6:7]
	v_cndmask_b32_e64 v38, v38, v4, s[8:9]
	;; [unrolled: 1-line block ×4, first 2 shown]
	v_cmp_eq_u32_e64 s[14:15], 7, v59
	v_cmp_eq_u32_e64 s[16:17], 8, v59
	v_cmp_eq_u32_e64 s[18:19], 9, v59
	v_cndmask_b32_e64 v38, v38, v7, s[14:15]
	v_cndmask_b32_e64 v38, v38, v8, s[16:17]
	v_cndmask_b32_e64 v38, v38, v9, s[18:19]
	v_cmp_eq_u32_e64 s[20:21], 10, v59
	v_cmp_eq_u32_e64 s[22:23], 11, v59
	v_cmp_eq_u32_e64 s[24:25], 12, v59
	v_cndmask_b32_e64 v38, v38, v10, s[20:21]
	v_cndmask_b32_e64 v38, v38, v11, s[22:23]
	v_cndmask_b32_e64 v38, v38, v12, s[24:25]
	v_cmp_eq_u32_e64 s[26:27], 13, v59
	v_cmp_eq_u32_e64 s[28:29], 14, v59
	v_cmp_eq_u32_e64 s[30:31], 15, v59
	v_cndmask_b32_e64 v38, v38, v13, s[26:27]
	v_cndmask_b32_e64 v38, v38, v14, s[28:29]
	v_cndmask_b32_e64 v38, v38, v15, s[30:31]
	ds_bpermute_b32 v38, v78, v38
	v_cmp_eq_u32_e64 s[34:35], 15, v60
	s_waitcnt lgkmcnt(0)
	v_cndmask_b32_e32 v2, v2, v38, vcc
	v_cmp_ne_u32_e32 vcc, 0, v59
	v_cndmask_b32_e64 v15, v15, v38, s[30:31]
	v_cndmask_b32_e64 v14, v14, v38, s[28:29]
	v_cndmask_b32_e32 v1, v1, v38, vcc
	v_cmp_eq_u32_e32 vcc, 0, v59
	v_cndmask_b32_e64 v13, v13, v38, s[26:27]
	v_cndmask_b32_e64 v12, v12, v38, s[24:25]
	v_cndmask_b32_e32 v0, v0, v38, vcc
	v_cmp_eq_u32_e32 vcc, 1, v60
	v_cndmask_b32_e64 v11, v11, v38, s[22:23]
	v_cndmask_b32_e64 v10, v10, v38, s[20:21]
	v_cndmask_b32_e64 v9, v9, v38, s[18:19]
	v_cndmask_b32_e64 v8, v8, v38, s[16:17]
	v_cndmask_b32_e64 v7, v7, v38, s[14:15]
	v_cndmask_b32_e64 v6, v6, v38, s[12:13]
	v_cndmask_b32_e64 v5, v5, v38, s[10:11]
	v_cndmask_b32_e64 v4, v4, v38, s[8:9]
	v_cndmask_b32_e64 v3, v3, v38, s[6:7]
	v_cndmask_b32_e32 v38, v0, v1, vcc
	v_cmp_eq_u32_e64 s[6:7], 2, v60
	v_cmp_eq_u32_e64 s[8:9], 3, v60
	v_cmp_eq_u32_e64 s[10:11], 4, v60
	v_cndmask_b32_e64 v38, v38, v2, s[6:7]
	v_cndmask_b32_e64 v38, v38, v3, s[8:9]
	v_cndmask_b32_e64 v38, v38, v4, s[10:11]
	v_cmp_eq_u32_e64 s[12:13], 5, v60
	v_cmp_eq_u32_e64 s[14:15], 6, v60
	v_cmp_eq_u32_e64 s[16:17], 7, v60
	v_cndmask_b32_e64 v38, v38, v5, s[12:13]
	v_cndmask_b32_e64 v38, v38, v6, s[14:15]
	v_cndmask_b32_e64 v38, v38, v7, s[16:17]
	;; [unrolled: 6-line block ×4, first 2 shown]
	v_cmp_eq_u32_e64 s[30:31], 14, v60
	s_nop 1
	v_cndmask_b32_e64 v38, v38, v14, s[30:31]
	v_cndmask_b32_e64 v38, v38, v15, s[34:35]
	ds_bpermute_b32 v38, v78, v38
	s_waitcnt lgkmcnt(0)
	v_cndmask_b32_e32 v1, v1, v38, vcc
	v_cmp_eq_u32_e32 vcc, 0, v60
	v_cndmask_b32_e64 v15, v15, v38, s[34:35]
	v_cndmask_b32_e64 v14, v14, v38, s[30:31]
	v_cndmask_b32_e32 v0, v0, v38, vcc
	v_cmp_eq_u32_e32 vcc, 1, v61
	v_cndmask_b32_e64 v13, v13, v38, s[28:29]
	v_cndmask_b32_e64 v12, v12, v38, s[26:27]
	v_cndmask_b32_e64 v11, v11, v38, s[24:25]
	v_cndmask_b32_e64 v10, v10, v38, s[22:23]
	v_cndmask_b32_e64 v9, v9, v38, s[20:21]
	v_cndmask_b32_e64 v8, v8, v38, s[18:19]
	v_cndmask_b32_e64 v7, v7, v38, s[16:17]
	v_cndmask_b32_e64 v6, v6, v38, s[14:15]
	v_cndmask_b32_e64 v5, v5, v38, s[12:13]
	v_cndmask_b32_e64 v4, v4, v38, s[10:11]
	v_cndmask_b32_e64 v3, v3, v38, s[8:9]
	v_cndmask_b32_e64 v2, v2, v38, s[6:7]
	v_cndmask_b32_e32 v38, v0, v1, vcc
	v_cmp_eq_u32_e64 s[6:7], 2, v61
	v_cmp_eq_u32_e64 s[8:9], 3, v61
	v_cmp_eq_u32_e64 s[10:11], 4, v61
	v_cndmask_b32_e64 v38, v38, v2, s[6:7]
	v_cndmask_b32_e64 v38, v38, v3, s[8:9]
	v_cndmask_b32_e64 v38, v38, v4, s[10:11]
	v_cmp_eq_u32_e64 s[12:13], 5, v61
	v_cmp_eq_u32_e64 s[14:15], 6, v61
	v_cmp_eq_u32_e64 s[16:17], 7, v61
	v_cndmask_b32_e64 v38, v38, v5, s[12:13]
	v_cndmask_b32_e64 v38, v38, v6, s[14:15]
	v_cndmask_b32_e64 v38, v38, v7, s[16:17]
	v_cmp_eq_u32_e64 s[18:19], 8, v61
	v_cmp_eq_u32_e64 s[20:21], 9, v61
	v_cmp_eq_u32_e64 s[22:23], 10, v61
	v_cndmask_b32_e64 v38, v38, v8, s[18:19]
	v_cndmask_b32_e64 v38, v38, v9, s[20:21]
	v_cndmask_b32_e64 v38, v38, v10, s[22:23]
	v_cmp_eq_u32_e64 s[24:25], 11, v61
	v_cmp_eq_u32_e64 s[26:27], 12, v61
	v_cmp_eq_u32_e64 s[28:29], 13, v61
	v_cndmask_b32_e64 v38, v38, v11, s[24:25]
	v_cndmask_b32_e64 v38, v38, v12, s[26:27]
	v_cndmask_b32_e64 v38, v38, v13, s[28:29]
	v_cmp_eq_u32_e64 s[30:31], 14, v61
	v_cmp_eq_u32_e64 s[34:35], 15, v61
	s_nop 0
	v_cndmask_b32_e64 v38, v38, v14, s[30:31]
	v_cndmask_b32_e64 v38, v38, v15, s[34:35]
	ds_bpermute_b32 v38, v78, v38
	s_waitcnt lgkmcnt(0)
	v_cndmask_b32_e32 v1, v1, v38, vcc
	v_cmp_eq_u32_e32 vcc, 0, v61
	v_cndmask_b32_e64 v15, v15, v38, s[34:35]
	v_cndmask_b32_e64 v14, v14, v38, s[30:31]
	v_cndmask_b32_e32 v0, v0, v38, vcc
	v_cmp_eq_u32_e32 vcc, 1, v62
	v_cndmask_b32_e64 v13, v13, v38, s[28:29]
	v_cndmask_b32_e64 v12, v12, v38, s[26:27]
	v_cndmask_b32_e64 v11, v11, v38, s[24:25]
	v_cndmask_b32_e64 v10, v10, v38, s[22:23]
	v_cndmask_b32_e64 v9, v9, v38, s[20:21]
	v_cndmask_b32_e64 v8, v8, v38, s[18:19]
	v_cndmask_b32_e64 v7, v7, v38, s[16:17]
	v_cndmask_b32_e64 v6, v6, v38, s[14:15]
	v_cndmask_b32_e64 v5, v5, v38, s[12:13]
	v_cndmask_b32_e64 v4, v4, v38, s[10:11]
	v_cndmask_b32_e64 v3, v3, v38, s[8:9]
	v_cndmask_b32_e64 v2, v2, v38, s[6:7]
	v_cndmask_b32_e32 v38, v0, v1, vcc
	v_cmp_eq_u32_e64 s[6:7], 2, v62
	v_cmp_eq_u32_e64 s[8:9], 3, v62
	v_cmp_eq_u32_e64 s[10:11], 4, v62
	v_cndmask_b32_e64 v38, v38, v2, s[6:7]
	v_cndmask_b32_e64 v38, v38, v3, s[8:9]
	v_cndmask_b32_e64 v38, v38, v4, s[10:11]
	v_cmp_eq_u32_e64 s[12:13], 5, v62
	v_cmp_eq_u32_e64 s[14:15], 6, v62
	v_cmp_eq_u32_e64 s[16:17], 7, v62
	v_cndmask_b32_e64 v38, v38, v5, s[12:13]
	v_cndmask_b32_e64 v38, v38, v6, s[14:15]
	v_cndmask_b32_e64 v38, v38, v7, s[16:17]
	v_cmp_eq_u32_e64 s[18:19], 8, v62
	v_cmp_eq_u32_e64 s[20:21], 9, v62
	v_cmp_eq_u32_e64 s[22:23], 10, v62
	v_cndmask_b32_e64 v38, v38, v8, s[18:19]
	v_cndmask_b32_e64 v38, v38, v9, s[20:21]
	v_cndmask_b32_e64 v38, v38, v10, s[22:23]
	v_cmp_eq_u32_e64 s[24:25], 11, v62
	v_cmp_eq_u32_e64 s[26:27], 12, v62
	v_cmp_eq_u32_e64 s[28:29], 13, v62
	v_cndmask_b32_e64 v38, v38, v11, s[24:25]
	v_cndmask_b32_e64 v38, v38, v12, s[26:27]
	v_cndmask_b32_e64 v38, v38, v13, s[28:29]
	v_cmp_eq_u32_e64 s[30:31], 14, v62
	;; [unrolled: 50-line block ×4, first 2 shown]
	v_cmp_eq_u32_e64 s[34:35], 15, v64
	s_nop 0
	v_cndmask_b32_e64 v38, v38, v14, s[30:31]
	v_cndmask_b32_e64 v38, v38, v15, s[34:35]
	ds_bpermute_b32 v38, v78, v38
	s_waitcnt lgkmcnt(0)
	v_cndmask_b32_e32 v1, v1, v38, vcc
	v_cmp_eq_u32_e32 vcc, 0, v64
	v_cndmask_b32_e64 v15, v15, v38, s[34:35]
	v_cndmask_b32_e64 v14, v14, v38, s[30:31]
	;; [unrolled: 1-line block ×14, first 2 shown]
	v_cndmask_b32_e32 v38, v0, v38, vcc
	v_cmp_eq_u32_e32 vcc, 1, v65
	v_cmp_eq_u32_e64 s[6:7], 2, v65
	v_cmp_eq_u32_e64 s[8:9], 3, v65
	v_cndmask_b32_e32 v0, v38, v1, vcc
	v_cndmask_b32_e64 v0, v0, v47, s[6:7]
	v_cndmask_b32_e64 v0, v0, v46, s[8:9]
	v_cmp_eq_u32_e64 s[10:11], 4, v65
	v_cmp_eq_u32_e64 s[12:13], 5, v65
	v_cmp_eq_u32_e64 s[14:15], 6, v65
	v_cndmask_b32_e64 v0, v0, v45, s[10:11]
	v_cndmask_b32_e64 v0, v0, v44, s[12:13]
	v_cndmask_b32_e64 v0, v0, v43, s[14:15]
	v_cmp_eq_u32_e64 s[16:17], 7, v65
	v_cmp_eq_u32_e64 s[18:19], 8, v65
	v_cmp_eq_u32_e64 s[20:21], 9, v65
	v_cndmask_b32_e64 v0, v0, v42, s[16:17]
	;; [unrolled: 6-line block ×4, first 2 shown]
	v_cndmask_b32_e64 v0, v0, v14, s[30:31]
	v_cndmask_b32_e64 v0, v0, v15, s[34:35]
	ds_bpermute_b32 v48, v78, v0
	s_waitcnt lgkmcnt(0)
	v_cndmask_b32_e32 v0, v1, v48, vcc
	v_cmp_eq_u32_e32 vcc, 0, v65
	v_cndmask_b32_e64 v4, v15, v48, s[34:35]
	v_cndmask_b32_e64 v15, v47, v48, s[6:7]
	v_cndmask_b32_e32 v1, v38, v48, vcc
	v_cmp_eq_u32_e32 vcc, 1, v66
	v_cndmask_b32_e64 v5, v14, v48, s[30:31]
	v_cndmask_b32_e64 v14, v46, v48, s[8:9]
	;; [unrolled: 4-line block ×7, first 2 shown]
	v_cndmask_b32_e32 v38, v38, v13, vcc
	v_cmp_eq_u32_e32 vcc, 7, v66
	s_nop 1
	v_cndmask_b32_e32 v38, v38, v12, vcc
	v_cmp_eq_u32_e32 vcc, 8, v66
	s_nop 1
	;; [unrolled: 3-line block ×9, first 2 shown]
	v_cndmask_b32_e32 v38, v38, v4, vcc
	ds_bpermute_b32 v38, v78, v38
	v_cmp_lt_i32_e32 vcc, s74, v67
	s_and_saveexec_b64 s[60:61], vcc
	s_cbranch_execz .LBB159_29
; %bb.21:                               ;   in Loop: Header=BB159_7 Depth=1
	s_mul_i32 s6, s72, s37
	s_ashr_i32 s7, s6, 31
	s_lshl_b64 s[6:7], s[6:7], 1
	v_cmp_eq_u32_e64 s[30:31], 1, v66
	s_add_u32 s8, s48, s6
	s_addc_u32 s9, s49, s7
	s_waitcnt lgkmcnt(0)
	v_cndmask_b32_e64 v0, v0, v38, s[30:31]
	v_cmp_eq_u32_e64 s[30:31], 0, v66
	s_ashr_i32 s55, s54, 31
	s_lshl_b64 s[6:7], s[54:55], 1
	v_cndmask_b32_e64 v1, v1, v38, s[30:31]
	v_cvt_f16_f32_e32 v39, v1
	v_cvt_f16_f32_sdwa v41, v0 dst_sel:WORD_1 dst_unused:UNUSED_PAD src0_sel:DWORD
	s_add_u32 s34, s8, s6
	s_addc_u32 s35, s9, s7
	v_cmp_eq_u32_e64 s[8:9], 15, v66
	v_cmp_eq_u32_e64 s[10:11], 14, v66
	;; [unrolled: 1-line block ×10, first 2 shown]
	v_cmp_eq_u32_e32 vcc, 5, v66
	v_cmp_eq_u32_e64 s[6:7], 4, v66
	v_cmp_eq_u32_e64 s[28:29], 3, v66
	;; [unrolled: 1-line block ×3, first 2 shown]
	v_lshl_add_u64 v[0:1], s[34:35], 0, v[16:17]
	v_cmp_lt_i32_e64 s[34:35], s74, v68
	v_lshl_add_u64 v[42:43], v[18:19], 1, v[0:1]
	v_or_b32_e32 v39, v41, v39
	;;#ASMSTART
	global_atomic_pk_add_f16 v[42:43], v39, off
	
	;;#ASMEND
	s_and_b64 exec, exec, s[34:35]
	s_cbranch_execz .LBB159_29
; %bb.22:                               ;   in Loop: Header=BB159_7 Depth=1
	v_cndmask_b32_e64 v14, v14, v38, s[28:29]
	v_cndmask_b32_e64 v15, v15, v38, s[30:31]
	v_cvt_f16_f32_e32 v39, v15
	v_cvt_f16_f32_sdwa v41, v14 dst_sel:WORD_1 dst_unused:UNUSED_PAD src0_sel:DWORD
	v_cndmask_b32_e64 v4, v4, v38, s[8:9]
	v_cndmask_b32_e64 v5, v5, v38, s[10:11]
	;; [unrolled: 1-line block ×10, first 2 shown]
	v_cndmask_b32_e32 v2, v2, v38, vcc
	v_cndmask_b32_e64 v3, v3, v38, s[6:7]
	v_cmp_lt_i32_e32 vcc, s74, v69
	v_lshl_add_u64 v[14:15], v[20:21], 1, v[0:1]
	v_or_b32_e32 v38, v41, v39
	;;#ASMSTART
	global_atomic_pk_add_f16 v[14:15], v38, off
	
	;;#ASMEND
	s_and_b64 exec, exec, vcc
	s_cbranch_execz .LBB159_29
; %bb.23:                               ;   in Loop: Header=BB159_7 Depth=1
	v_cvt_f16_f32_e32 v14, v3
	v_cvt_f16_f32_sdwa v15, v2 dst_sel:WORD_1 dst_unused:UNUSED_PAD src0_sel:DWORD
	v_cmp_lt_i32_e32 vcc, s74, v70
	v_lshl_add_u64 v[2:3], v[22:23], 1, v[0:1]
	v_or_b32_e32 v14, v15, v14
	;;#ASMSTART
	global_atomic_pk_add_f16 v[2:3], v14, off
	
	;;#ASMEND
	s_and_b64 exec, exec, vcc
	s_cbranch_execz .LBB159_29
; %bb.24:                               ;   in Loop: Header=BB159_7 Depth=1
	v_cvt_f16_f32_e32 v13, v13
	v_cvt_f16_f32_sdwa v12, v12 dst_sel:WORD_1 dst_unused:UNUSED_PAD src0_sel:DWORD
	;; [unrolled: 12-line block ×6, first 2 shown]
	v_lshl_add_u64 v[0:1], v[32:33], 1, v[0:1]
	v_or_b32_e32 v2, v3, v2
	;;#ASMSTART
	global_atomic_pk_add_f16 v[0:1], v2, off
	
	;;#ASMEND
.LBB159_29:                             ;   in Loop: Header=BB159_7 Depth=1
	s_or_b64 exec, exec, s[60:61]
	v_subrev_u32_e32 v79, s75, v79
.LBB159_30:                             ;   in Loop: Header=BB159_7 Depth=1
	s_or_b64 exec, exec, s[58:59]
.LBB159_31:                             ;   in Loop: Header=BB159_7 Depth=1
	s_andn2_saveexec_b64 s[6:7], s[56:57]
	s_cbranch_execz .LBB159_40
; %bb.32:                               ;   in Loop: Header=BB159_7 Depth=1
	v_cmp_gt_i32_e32 vcc, s75, v79
	s_and_saveexec_b64 s[8:9], vcc
	s_cbranch_execz .LBB159_39
; %bb.33:                               ;   in Loop: Header=BB159_7 Depth=1
	s_mul_i32 s10, s54, s39
	s_ashr_i32 s11, s10, 31
	s_waitcnt lgkmcnt(0)
	s_add_u32 s10, s46, s10
	s_addc_u32 s11, s47, s11
	s_ashr_i32 s12, s73, 31
	s_add_u32 s10, s10, s73
	s_addc_u32 s11, s11, s12
	v_lshl_add_u64 v[0:1], s[10:11], 0, v[36:37]
	v_lshl_add_u64 v[38:39], v[0:1], 0, v[34:35]
	s_mov_b64 s[10:11], 0
	s_branch .LBB159_35
.LBB159_34:                             ;   in Loop: Header=BB159_35 Depth=2
	s_or_b64 exec, exec, s[12:13]
	v_lshl_add_u32 v42, v40, 12, v75
	;;#ASMSTART
	s_waitcnt vmcnt(3)
	;;#ASMEND
	ds_write2_b32 v42, v12, v13 offset1:32
	ds_write2_b32 v42, v14, v15 offset0:64 offset1:96
	v_add_u32_e32 v12, 0x400, v42
	;;#ASMSTART
	s_waitcnt vmcnt(2)
	;;#ASMEND
	ds_write2_b32 v12, v8, v9 offset1:32
	ds_write2_b32 v12, v10, v11 offset0:64 offset1:96
	v_add_u32_e32 v8, 0x800, v42
	;;#ASMSTART
	s_waitcnt vmcnt(1)
	;;#ASMEND
	ds_write2_b32 v8, v4, v5 offset1:32
	ds_write2_b32 v8, v6, v7 offset0:64 offset1:96
	v_add_u32_e32 v4, 0xc00, v42
	v_add_u32_e32 v79, s42, v79
	;;#ASMSTART
	s_waitcnt vmcnt(0)
	;;#ASMEND
	ds_write2_b32 v4, v0, v1 offset1:32
	ds_write2_b32 v4, v2, v3 offset0:64 offset1:96
	v_add_u32_e32 v0, 1, v55
	v_add_u32_e32 v40, s42, v40
	v_cmp_le_i32_e32 vcc, s75, v79
	ds_write_b32 v41, v0 offset:32
	v_add_u32_e32 v0, 2, v55
	s_or_b64 s[10:11], vcc, s[10:11]
	v_cmp_lt_i32_e32 vcc, 3, v40
	s_nop 1
	v_cndmask_b32_e32 v55, v55, v0, vcc
	s_andn2_b64 exec, exec, s[10:11]
	s_cbranch_execz .LBB159_38
.LBB159_35:                             ;   Parent Loop BB159_7 Depth=1
                                        ; =>  This Loop Header: Depth=2
                                        ;       Child Loop BB159_37 Depth 3
	v_cmp_gt_i32_e32 vcc, 4, v40
	s_nop 1
	v_cndmask_b32_e64 v0, -4, 0, vcc
	v_add_u32_e32 v40, v0, v40
	v_lshlrev_b32_e32 v0, 7, v79
	v_ashrrev_i32_e32 v1, 31, v0
	v_lshl_add_u64 v[0:1], v[38:39], 0, v[0:1]
	v_lshlrev_b32_e32 v41, 2, v40
	;;#ASMSTART
	global_load_dwordx4 v[12:15], v[0:1], off offset:0   sc0 sc1 nt  
	global_load_dwordx4 v[8:11], v[0:1], off offset:32  sc0 sc1 nt  
	global_load_dwordx4 v[4:7], v[0:1], off offset:64  sc0 sc1 nt  
	global_load_dwordx4 v[0:3], v[0:1], off offset:96  sc0 sc1 nt  
	
	;;#ASMEND
	ds_read_b32 v42, v41 offset:49184
	v_add_u32_e32 v41, 0xc000, v41
	s_waitcnt lgkmcnt(0)
	v_cmp_ne_u32_e32 vcc, v42, v55
	s_and_saveexec_b64 s[12:13], vcc
	s_cbranch_execz .LBB159_34
; %bb.36:                               ;   in Loop: Header=BB159_35 Depth=2
	s_mov_b64 s[14:15], 0
.LBB159_37:                             ;   Parent Loop BB159_7 Depth=1
                                        ;     Parent Loop BB159_35 Depth=2
                                        ; =>    This Inner Loop Header: Depth=3
	;;#ASMSTART
	s_sleep 0
	;;#ASMEND
	ds_read_b32 v42, v41 offset:32
	s_waitcnt lgkmcnt(0)
	v_cmp_eq_u32_e32 vcc, v42, v55
	s_or_b64 s[14:15], vcc, s[14:15]
	s_andn2_b64 exec, exec, s[14:15]
	s_cbranch_execnz .LBB159_37
	s_branch .LBB159_34
.LBB159_38:                             ;   in Loop: Header=BB159_7 Depth=1
	s_or_b64 exec, exec, s[10:11]
.LBB159_39:                             ;   in Loop: Header=BB159_7 Depth=1
	s_or_b64 exec, exec, s[8:9]
	v_subrev_u32_e32 v79, s75, v79
.LBB159_40:                             ;   in Loop: Header=BB159_7 Depth=1
	s_or_b64 exec, exec, s[6:7]
.LBB159_41:                             ;   in Loop: Header=BB159_7 Depth=1
	s_andn2_saveexec_b64 s[6:7], s[52:53]
	s_cbranch_execz .LBB159_6
; %bb.42:                               ;   in Loop: Header=BB159_7 Depth=1
	s_lshl_b32 s16, s75, 1
	v_cmp_gt_i32_e32 vcc, s16, v79
	s_and_saveexec_b64 s[8:9], vcc
	s_cbranch_execz .LBB159_5
; %bb.43:                               ;   in Loop: Header=BB159_7 Depth=1
	s_mul_i32 s72, s72, s38
	s_max_i32 s12, s74, 0
	s_ashr_i32 s10, s72, 31
	s_waitcnt lgkmcnt(0)
	s_add_u32 s11, s44, s72
	v_add_u32_e32 v2, s12, v56
	s_addc_u32 s13, s45, s10
	s_ashr_i32 s14, s73, 31
	v_cmp_gt_u32_e32 vcc, 64, v2
	s_add_u32 s10, s11, s73
	s_addc_u32 s11, s13, s14
	v_cndmask_b32_e32 v0, 0, v76, vcc
	v_ashrrev_i32_e32 v1, 31, v0
	v_lshl_add_u64 v[0:1], s[10:11], 0, v[0:1]
	v_lshl_add_u64 v[38:39], v[0:1], 0, v[34:35]
	v_sub_u32_e32 v41, 63, v2
	s_mov_b64 s[10:11], 0
	s_branch .LBB159_45
.LBB159_44:                             ;   in Loop: Header=BB159_45 Depth=2
	s_or_b64 exec, exec, s[12:13]
	v_lshl_or_b32 v43, v40, 12, v77
	;;#ASMSTART
	s_waitcnt vmcnt(3)
	;;#ASMEND
	ds_write2_b32 v43, v12, v13 offset1:32
	ds_write2_b32 v43, v14, v15 offset0:64 offset1:96
	v_add_u32_e32 v12, 0x400, v43
	;;#ASMSTART
	s_waitcnt vmcnt(2)
	;;#ASMEND
	ds_write2_b32 v12, v8, v9 offset1:32
	ds_write2_b32 v12, v10, v11 offset0:64 offset1:96
	v_add_u32_e32 v8, 0x800, v43
	;; [unrolled: 6-line block ×3, first 2 shown]
	v_add_u32_e32 v79, s41, v79
	;;#ASMSTART
	s_waitcnt vmcnt(0)
	;;#ASMEND
	ds_write2_b32 v4, v0, v1 offset1:32
	ds_write2_b32 v4, v2, v3 offset0:64 offset1:96
	v_add_u32_e32 v0, 1, v55
	v_add_u32_e32 v40, s41, v40
	v_cmp_le_i32_e32 vcc, s16, v79
	ds_write_b32 v42, v0
	v_add_u32_e32 v0, 2, v55
	s_or_b64 s[10:11], vcc, s[10:11]
	v_cmp_lt_i32_e32 vcc, 7, v40
	s_nop 1
	v_cndmask_b32_e32 v55, v55, v0, vcc
	s_andn2_b64 exec, exec, s[10:11]
	s_cbranch_execz .LBB159_4
.LBB159_45:                             ;   Parent Loop BB159_7 Depth=1
                                        ; =>  This Loop Header: Depth=2
                                        ;       Child Loop BB159_47 Depth 3
	v_cmp_gt_i32_e32 vcc, 8, v40
	s_nop 1
	v_cndmask_b32_e64 v0, -8, 0, vcc
	v_add_u32_e32 v40, v0, v40
	v_lshrrev_b32_e32 v0, 31, v79
	v_add_u32_e32 v0, v79, v0
	v_and_b32_e32 v1, 0x7fffffe, v0
	v_sub_u32_e32 v1, v79, v1
	v_lshlrev_b32_e32 v1, 5, v1
	v_cmp_le_i32_e32 vcc, v1, v41
	v_lshlrev_b32_e32 v0, 6, v0
	v_and_b32_e32 v0, 0xffffff80, v0
	v_cndmask_b32_e32 v2, 0, v1, vcc
	v_ashrrev_i32_e32 v1, 31, v0
	v_mul_lo_u32 v2, v2, s38
	v_lshl_add_u64 v[0:1], v[38:39], 0, v[0:1]
	v_ashrrev_i32_e32 v3, 31, v2
	v_lshl_add_u64 v[0:1], v[0:1], 0, v[2:3]
	v_lshlrev_b32_e32 v42, 2, v40
	;;#ASMSTART
	global_load_dwordx4 v[12:15], v[0:1], off offset:0   
	global_load_dwordx4 v[8:11], v[0:1], off offset:32  
	global_load_dwordx4 v[4:7], v[0:1], off offset:64  
	global_load_dwordx4 v[0:3], v[0:1], off offset:96  
	
	;;#ASMEND
	ds_read_b32 v43, v42 offset:49152
	v_add_u32_e32 v42, 0xc000, v42
	s_waitcnt lgkmcnt(0)
	v_cmp_ne_u32_e32 vcc, v43, v55
	s_and_saveexec_b64 s[12:13], vcc
	s_cbranch_execz .LBB159_44
; %bb.46:                               ;   in Loop: Header=BB159_45 Depth=2
	s_mov_b64 s[14:15], 0
.LBB159_47:                             ;   Parent Loop BB159_7 Depth=1
                                        ;     Parent Loop BB159_45 Depth=2
                                        ; =>    This Inner Loop Header: Depth=3
	;;#ASMSTART
	s_sleep 0
	;;#ASMEND
	ds_read_b32 v43, v42
	s_waitcnt lgkmcnt(0)
	v_cmp_eq_u32_e32 vcc, v43, v55
	s_or_b64 s[14:15], vcc, s[14:15]
	s_andn2_b64 exec, exec, s[14:15]
	s_cbranch_execnz .LBB159_47
	s_branch .LBB159_44
.LBB159_48:
	s_endpgm
	.section	.rodata,"a",@progbits
	.p2align	6, 0x0
	.amdhsa_kernel _Z19_skinny_gemm_kernelILi2ELi1ELi4ELi32ELi8EEvPKhS1_P6__halfPKfiiiiiiii
		.amdhsa_group_segment_fixed_size 49200
		.amdhsa_private_segment_fixed_size 0
		.amdhsa_kernarg_size 64
		.amdhsa_user_sgpr_count 2
		.amdhsa_user_sgpr_dispatch_ptr 0
		.amdhsa_user_sgpr_queue_ptr 0
		.amdhsa_user_sgpr_kernarg_segment_ptr 1
		.amdhsa_user_sgpr_dispatch_id 0
		.amdhsa_user_sgpr_kernarg_preload_length 0
		.amdhsa_user_sgpr_kernarg_preload_offset 0
		.amdhsa_user_sgpr_private_segment_size 0
		.amdhsa_uses_dynamic_stack 0
		.amdhsa_enable_private_segment 0
		.amdhsa_system_sgpr_workgroup_id_x 1
		.amdhsa_system_sgpr_workgroup_id_y 0
		.amdhsa_system_sgpr_workgroup_id_z 0
		.amdhsa_system_sgpr_workgroup_info 0
		.amdhsa_system_vgpr_workitem_id 0
		.amdhsa_next_free_vgpr 87
		.amdhsa_next_free_sgpr 76
		.amdhsa_accum_offset 88
		.amdhsa_reserve_vcc 1
		.amdhsa_float_round_mode_32 0
		.amdhsa_float_round_mode_16_64 0
		.amdhsa_float_denorm_mode_32 3
		.amdhsa_float_denorm_mode_16_64 3
		.amdhsa_dx10_clamp 1
		.amdhsa_ieee_mode 1
		.amdhsa_fp16_overflow 0
		.amdhsa_tg_split 0
		.amdhsa_exception_fp_ieee_invalid_op 0
		.amdhsa_exception_fp_denorm_src 0
		.amdhsa_exception_fp_ieee_div_zero 0
		.amdhsa_exception_fp_ieee_overflow 0
		.amdhsa_exception_fp_ieee_underflow 0
		.amdhsa_exception_fp_ieee_inexact 0
		.amdhsa_exception_int_div_zero 0
	.end_amdhsa_kernel
	.section	.text._Z19_skinny_gemm_kernelILi2ELi1ELi4ELi32ELi8EEvPKhS1_P6__halfPKfiiiiiiii,"axG",@progbits,_Z19_skinny_gemm_kernelILi2ELi1ELi4ELi32ELi8EEvPKhS1_P6__halfPKfiiiiiiii,comdat
.Lfunc_end159:
	.size	_Z19_skinny_gemm_kernelILi2ELi1ELi4ELi32ELi8EEvPKhS1_P6__halfPKfiiiiiiii, .Lfunc_end159-_Z19_skinny_gemm_kernelILi2ELi1ELi4ELi32ELi8EEvPKhS1_P6__halfPKfiiiiiiii
                                        ; -- End function
	.set _Z19_skinny_gemm_kernelILi2ELi1ELi4ELi32ELi8EEvPKhS1_P6__halfPKfiiiiiiii.num_vgpr, 87
	.set _Z19_skinny_gemm_kernelILi2ELi1ELi4ELi32ELi8EEvPKhS1_P6__halfPKfiiiiiiii.num_agpr, 0
	.set _Z19_skinny_gemm_kernelILi2ELi1ELi4ELi32ELi8EEvPKhS1_P6__halfPKfiiiiiiii.numbered_sgpr, 76
	.set _Z19_skinny_gemm_kernelILi2ELi1ELi4ELi32ELi8EEvPKhS1_P6__halfPKfiiiiiiii.num_named_barrier, 0
	.set _Z19_skinny_gemm_kernelILi2ELi1ELi4ELi32ELi8EEvPKhS1_P6__halfPKfiiiiiiii.private_seg_size, 0
	.set _Z19_skinny_gemm_kernelILi2ELi1ELi4ELi32ELi8EEvPKhS1_P6__halfPKfiiiiiiii.uses_vcc, 1
	.set _Z19_skinny_gemm_kernelILi2ELi1ELi4ELi32ELi8EEvPKhS1_P6__halfPKfiiiiiiii.uses_flat_scratch, 0
	.set _Z19_skinny_gemm_kernelILi2ELi1ELi4ELi32ELi8EEvPKhS1_P6__halfPKfiiiiiiii.has_dyn_sized_stack, 0
	.set _Z19_skinny_gemm_kernelILi2ELi1ELi4ELi32ELi8EEvPKhS1_P6__halfPKfiiiiiiii.has_recursion, 0
	.set _Z19_skinny_gemm_kernelILi2ELi1ELi4ELi32ELi8EEvPKhS1_P6__halfPKfiiiiiiii.has_indirect_call, 0
	.section	.AMDGPU.csdata,"",@progbits
; Kernel info:
; codeLenInByte = 6408
; TotalNumSgprs: 82
; NumVgprs: 87
; NumAgprs: 0
; TotalNumVgprs: 87
; ScratchSize: 0
; MemoryBound: 0
; FloatMode: 240
; IeeeMode: 1
; LDSByteSize: 49200 bytes/workgroup (compile time only)
; SGPRBlocks: 10
; VGPRBlocks: 10
; NumSGPRsForWavesPerEU: 82
; NumVGPRsForWavesPerEU: 87
; AccumOffset: 88
; Occupancy: 5
; WaveLimiterHint : 0
; COMPUTE_PGM_RSRC2:SCRATCH_EN: 0
; COMPUTE_PGM_RSRC2:USER_SGPR: 2
; COMPUTE_PGM_RSRC2:TRAP_HANDLER: 0
; COMPUTE_PGM_RSRC2:TGID_X_EN: 1
; COMPUTE_PGM_RSRC2:TGID_Y_EN: 0
; COMPUTE_PGM_RSRC2:TGID_Z_EN: 0
; COMPUTE_PGM_RSRC2:TIDIG_COMP_CNT: 0
; COMPUTE_PGM_RSRC3_GFX90A:ACCUM_OFFSET: 21
; COMPUTE_PGM_RSRC3_GFX90A:TG_SPLIT: 0
	.section	.text._Z19_skinny_gemm_kernelILi2ELi1ELi5ELi16ELi4EEvPKhS1_P6__halfPKfiiiiiiii,"axG",@progbits,_Z19_skinny_gemm_kernelILi2ELi1ELi5ELi16ELi4EEvPKhS1_P6__halfPKfiiiiiiii,comdat
	.protected	_Z19_skinny_gemm_kernelILi2ELi1ELi5ELi16ELi4EEvPKhS1_P6__halfPKfiiiiiiii ; -- Begin function _Z19_skinny_gemm_kernelILi2ELi1ELi5ELi16ELi4EEvPKhS1_P6__halfPKfiiiiiiii
	.globl	_Z19_skinny_gemm_kernelILi2ELi1ELi5ELi16ELi4EEvPKhS1_P6__halfPKfiiiiiiii
	.p2align	8
	.type	_Z19_skinny_gemm_kernelILi2ELi1ELi5ELi16ELi4EEvPKhS1_P6__halfPKfiiiiiiii,@function
_Z19_skinny_gemm_kernelILi2ELi1ELi5ELi16ELi4EEvPKhS1_P6__halfPKfiiiiiiii: ; @_Z19_skinny_gemm_kernelILi2ELi1ELi5ELi16ELi4EEvPKhS1_P6__halfPKfiiiiiiii
; %bb.0:
	v_cmp_gt_u32_e32 vcc, 15, v0
	v_lshlrev_b32_e32 v1, 2, v0
	s_and_saveexec_b64 s[4:5], vcc
; %bb.1:
	v_mov_b32_e32 v2, 0
	ds_write_b32 v1, v2 offset:30720
; %bb.2:
	s_or_b64 exec, exec, s[4:5]
	s_load_dwordx8 s[12:19], s[0:1], 0x20
	s_waitcnt lgkmcnt(0)
	s_barrier
	s_add_i32 s3, s12, 31
	s_ashr_i32 s5, s3, 31
	s_add_i32 s4, s13, 15
	s_lshr_b32 s5, s5, 27
	s_ashr_i32 s6, s4, 31
	s_add_i32 s3, s3, s5
	s_ashr_i32 s33, s3, 5
	s_lshr_b32 s3, s6, 28
	s_add_i32 s4, s4, s3
	s_ashr_i32 s42, s4, 4
	s_mul_i32 s3, s42, s33
	s_mul_i32 s3, s3, s16
	s_add_i32 s4, s3, 0x12f
	s_mul_hi_i32 s4, s4, 0x6bca1af3
	s_lshr_b32 s5, s4, 31
	s_ashr_i32 s4, s4, 7
	s_add_i32 s4, s4, s5
	s_add_i32 s5, s2, 1
	s_mul_i32 s5, s4, s5
	v_cvt_f64_i32_e32 v[2:3], s3
	v_cvt_f64_u32_e32 v[4:5], s5
	v_min_f64 v[2:3], v[2:3], v[4:5]
	v_cvt_i32_f64_e32 v9, v[2:3]
	s_mul_i32 s43, s4, s2
	v_cmp_ge_i32_e32 vcc, s43, v9
	s_cbranch_vccnz .LBB160_47
; %bb.3:
	v_lshrrev_b32_e32 v2, 6, v0
	s_add_i32 s4, s18, s17
	s_load_dwordx8 s[20:27], s[0:1], 0x0
	v_cmp_le_i32_e64 s[0:1], s4, v2
	v_mov_b32_e32 v3, s17
	v_cmp_le_i32_e64 s[2:3], s17, v2
	v_mov_b32_e32 v4, s18
	v_cndmask_b32_e64 v4, 0, v4, s[0:1]
	v_cndmask_b32_e64 v3, 0, v3, s[2:3]
	s_abs_i32 s5, s16
	v_add_u32_e32 v3, v3, v4
	v_cvt_f32_u32_e32 v4, s5
	v_sub_u32_e32 v22, v2, v3
	s_ashr_i32 s6, s14, 31
	s_lshr_b32 s6, s6, 25
	v_rcp_iflag_f32_e32 v3, v4
	s_sub_i32 s9, 0, s5
	s_add_i32 s6, s14, s6
	s_ashr_i32 s6, s6, 7
	v_mul_f32_e32 v3, 0x4f7ffffe, v3
	v_cvt_u32_f32_e32 v3, v3
	s_abs_i32 s8, s6
	s_xor_b32 s7, s6, s16
	s_ashr_i32 s7, s7, 31
	v_readfirstlane_b32 s10, v3
	s_mul_i32 s9, s9, s10
	s_mul_hi_u32 s9, s10, s9
	s_add_i32 s10, s10, s9
	s_mul_hi_u32 s9, s8, s10
	s_mul_i32 s10, s9, s5
	s_sub_i32 s8, s8, s10
	s_add_i32 s10, s9, 1
	s_sub_i32 s11, s8, s5
	s_cmp_ge_u32 s8, s5
	s_cselect_b32 s9, s10, s9
	s_cselect_b32 s8, s11, s8
	s_add_i32 s10, s9, 1
	s_cmp_ge_u32 s8, s5
	s_cselect_b32 s5, s10, s9
	s_xor_b32 s5, s5, s7
	s_sub_i32 s44, s5, s7
	s_add_i32 s16, s16, -1
	s_mul_i32 s5, s44, s16
	s_add_i32 s4, s4, s19
	s_sub_i32 s45, s6, s5
	v_cmp_gt_i32_e64 s[4:5], s4, v2
	v_lshlrev_b32_e32 v2, 1, v0
	v_lshlrev_b32_e32 v3, 4, v0
	v_and_b32_e32 v1, 60, v1
	v_and_b32_e32 v2, 64, v2
	;; [unrolled: 1-line block ×3, first 2 shown]
	v_or3_b32 v27, v1, v2, v4
	v_and_b32_e32 v1, 1, v0
	v_lshrrev_b32_e32 v4, 2, v0
	s_abs_i32 s46, s33
	v_and_or_b32 v31, v4, 12, v1
	v_cvt_f32_u32_e32 v4, s46
	v_lshlrev_b32_e32 v2, 1, v1
	v_and_b32_e32 v8, 14, v0
	v_sub_u32_e32 v2, v0, v2
	v_bitop3_b32 v29, v0, 1, v0 bitop3:0xc
	v_bitop3_b32 v30, v0, 3, 1 bitop3:0x6c
	v_and_b32_e32 v14, 48, v3
	v_bfe_u32 v33, v0, 2, 4
	v_and_b32_e32 v1, 60, v0
	v_lshlrev_b32_e32 v3, 8, v0
	v_lshlrev_b32_e32 v0, 6, v0
	v_and_b32_e32 v3, 0x200, v3
	v_and_b32_e32 v0, 64, v0
	v_rcp_iflag_f32_e32 v4, v4
	s_abs_i32 s47, s42
	v_or3_b32 v34, v1, v3, v0
	v_cvt_f32_u32_e32 v1, s47
	v_mul_f32_e32 v0, 0x4f7ffffe, v4
	v_cvt_u32_f32_e32 v0, v0
	v_mad_u64_u32 v[10:11], s[6:7], s13, v31, v[8:9]
	v_rcp_iflag_f32_e32 v1, v1
	v_readfirstlane_b32 s7, v0
	s_sub_i32 s6, 0, s46
	s_mul_i32 s6, s6, s7
	v_mul_f32_e32 v0, 0x4f7ffffe, v1
	v_cvt_u32_f32_e32 v0, v0
	s_mul_hi_u32 s6, s7, s6
	v_add_u32_e32 v2, 1, v2
	s_add_i32 s49, s7, s6
	s_sub_i32 s6, 0, s47
	v_readfirstlane_b32 s7, v0
	v_mbcnt_lo_u32_b32 v0, -1, 0
	v_and_b32_e32 v2, 63, v2
	s_mul_i32 s6, s6, s7
	v_mbcnt_hi_u32_b32 v0, -1, v0
	v_lshl_add_u32 v12, s13, 4, v10
	v_mul_lo_u32 v16, s15, v33
	s_mul_hi_u32 s6, s7, s6
	v_and_or_b32 v0, v0, 64, v2
	v_cndmask_b32_e64 v26, 0, 1, s[0:1]
	v_or_b32_e32 v28, 0x5000, v27
	s_ashr_i32 s11, s13, 31
	s_mov_b32 s10, s13
	v_ashrrev_i32_e32 v11, 31, v10
	v_or_b32_e32 v32, 16, v31
	v_ashrrev_i32_e32 v13, 31, v12
	v_ashrrev_i32_e32 v17, 31, v16
	v_mov_b32_e32 v15, 0
	v_or_b32_e32 v35, 0x5000, v34
	v_mul_lo_u32 v36, s14, v33
	s_ashr_i32 s48, s33, 31
	s_ashr_i32 s50, s42, 31
	s_add_i32 s51, s7, s6
	v_lshlrev_b32_e32 v37, 2, v0
	v_mov_b32_e32 v38, v22
	s_branch .LBB160_7
.LBB160_4:                              ;   in Loop: Header=BB160_7 Depth=1
	s_or_b64 exec, exec, s[28:29]
.LBB160_5:                              ;   in Loop: Header=BB160_7 Depth=1
	s_or_b64 exec, exec, s[8:9]
	v_subrev_u32_e32 v38, s36, v38
.LBB160_6:                              ;   in Loop: Header=BB160_7 Depth=1
	s_or_b64 exec, exec, s[6:7]
	s_add_i32 s43, s43, 1
	v_cmp_ge_i32_e32 vcc, s43, v9
	s_cbranch_vccnz .LBB160_47
.LBB160_7:                              ; =>This Loop Header: Depth=1
                                        ;     Child Loop BB160_13 Depth 2
                                        ;       Child Loop BB160_15 Depth 3
                                        ;       Child Loop BB160_18 Depth 3
                                        ;       Child Loop BB160_21 Depth 3
                                        ;     Child Loop BB160_34 Depth 2
                                        ;       Child Loop BB160_36 Depth 3
                                        ;     Child Loop BB160_44 Depth 2
                                        ;       Child Loop BB160_46 Depth 3
	s_abs_i32 s7, s43
	s_mul_hi_u32 s8, s7, s49
	s_mul_i32 s9, s8, s46
	s_ashr_i32 s6, s43, 31
	s_sub_i32 s7, s7, s9
	s_xor_b32 s6, s6, s48
	s_add_i32 s9, s8, 1
	s_sub_i32 s28, s7, s46
	s_cmp_ge_u32 s7, s46
	s_cselect_b32 s8, s9, s8
	s_cselect_b32 s7, s28, s7
	s_add_i32 s9, s8, 1
	s_cmp_ge_u32 s7, s46
	s_cselect_b32 s7, s9, s8
	s_xor_b32 s7, s7, s6
	s_sub_i32 s6, s7, s6
	s_abs_i32 s8, s6
	s_mul_i32 s7, s6, s33
	s_mul_hi_u32 s9, s8, s51
	s_sub_i32 s7, s43, s7
	s_mul_i32 s28, s9, s47
	s_lshl_b32 s52, s7, 5
	s_ashr_i32 s7, s6, 31
	s_sub_i32 s8, s8, s28
	s_xor_b32 s7, s7, s50
	s_add_i32 s28, s9, 1
	s_sub_i32 s29, s8, s47
	s_cmp_ge_u32 s8, s47
	s_cselect_b32 s9, s28, s9
	s_cselect_b32 s8, s29, s8
	s_add_i32 s28, s9, 1
	s_cmp_ge_u32 s8, s47
	s_cselect_b32 s8, s28, s9
	s_xor_b32 s8, s8, s7
	s_sub_i32 s7, s8, s7
	s_mul_i32 s8, s7, s44
	s_lshl_b32 s53, s8, 7
	s_cmp_eq_u32 s7, s16
	s_cselect_b32 s55, s45, s44
	s_sub_i32 s8, s52, s12
	s_add_i32 s8, s8, 32
	s_max_i32 s54, s8, 0
	s_and_saveexec_b64 s[8:9], s[2:3]
	s_xor_b64 s[28:29], exec, s[8:9]
	s_cbranch_execz .LBB160_40
; %bb.8:                                ;   in Loop: Header=BB160_7 Depth=1
	s_mul_i32 s7, s7, s42
	s_sub_i32 s6, s6, s7
	s_lshl_b32 s6, s6, 4
	s_sub_i32 s31, s6, s13
	s_add_i32 s31, s31, 16
	s_max_i32 s7, s31, 0
	s_sub_i32 s30, s6, s7
	s_and_saveexec_b64 s[6:7], s[0:1]
	s_xor_b64 s[34:35], exec, s[6:7]
	s_cbranch_execz .LBB160_30
; %bb.9:                                ;   in Loop: Header=BB160_7 Depth=1
	s_and_saveexec_b64 s[36:37], s[4:5]
	s_cbranch_execz .LBB160_29
; %bb.10:                               ;   in Loop: Header=BB160_7 Depth=1
	s_waitcnt lgkmcnt(0)
	global_load_dword v39, v15, s[26:27]
	v_mov_b32_e32 v7, 0
	v_cmp_gt_i32_e32 vcc, s55, v38
	v_mov_b32_e32 v6, v7
	v_mov_b32_e32 v5, v7
	;; [unrolled: 1-line block ×7, first 2 shown]
	s_and_saveexec_b64 s[6:7], vcc
	s_cbranch_execz .LBB160_23
; %bb.11:                               ;   in Loop: Header=BB160_7 Depth=1
	v_mov_b32_e32 v0, 0
	s_mov_b64 s[8:9], 0
	v_mov_b32_e32 v1, v0
	v_mov_b32_e32 v2, v0
	;; [unrolled: 1-line block ×7, first 2 shown]
	s_branch .LBB160_13
.LBB160_12:                             ;   in Loop: Header=BB160_13 Depth=2
	s_or_b64 exec, exec, s[38:39]
	v_add_u32_e32 v43, v27, v43
	v_add_u32_e32 v46, 0x800, v43
	ds_read2_b32 v[44:45], v46 offset1:32
	ds_read2_b32 v[46:47], v46 offset0:128 offset1:160
	v_add_u32_e32 v43, 0xc00, v43
	v_add_u32_e32 v38, s19, v38
	v_cmp_le_i32_e32 vcc, s55, v38
	s_waitcnt lgkmcnt(1)
	v_mfma_f32_16x16x32_fp8_fp8 v[0:3], v[44:45], v[22:23], v[0:3]
	ds_read2_b32 v[44:45], v43 offset1:32
	v_add_u32_e32 v22, s19, v40
	v_add_u32_e32 v23, 2, v26
	s_waitcnt lgkmcnt(1)
	v_mfma_f32_16x16x32_fp8_fp8 v[0:3], v[46:47], v[24:25], v[0:3]
	ds_read2_b32 v[24:25], v43 offset0:128 offset1:160
	s_or_b64 s[8:9], vcc, s[8:9]
	v_cmp_lt_i32_e32 vcc, 4, v22
	;;#ASMSTART
	s_waitcnt lgkmcnt(0)
	;;#ASMEND
	s_waitcnt lgkmcnt(1)
	v_mfma_f32_16x16x32_fp8_fp8 v[0:3], v[44:45], v[20:21], v[0:3]
	v_cndmask_b32_e32 v26, v26, v23, vcc
	ds_write_b32 v42, v41 offset:30724
	s_waitcnt lgkmcnt(1)
	v_mfma_f32_16x16x32_fp8_fp8 v[0:3], v[24:25], v[18:19], v[0:3]
	s_andn2_b64 exec, exec, s[8:9]
	s_cbranch_execz .LBB160_22
.LBB160_13:                             ;   Parent Loop BB160_7 Depth=1
                                        ; =>  This Loop Header: Depth=2
                                        ;       Child Loop BB160_15 Depth 3
                                        ;       Child Loop BB160_18 Depth 3
	;; [unrolled: 1-line block ×3, first 2 shown]
	v_cmp_gt_i32_e32 vcc, 5, v22
	s_nop 1
	v_cndmask_b32_e64 v18, -5, 0, vcc
	v_add_u32_e32 v40, v18, v22
	v_lshlrev_b32_e32 v18, 2, v40
	ds_read_b32 v19, v18 offset:30760
	v_add_u32_e32 v42, 0x7800, v18
	s_waitcnt lgkmcnt(0)
	v_cmp_ne_u32_e32 vcc, v19, v26
	s_and_saveexec_b64 s[38:39], vcc
	s_cbranch_execz .LBB160_16
; %bb.14:                               ;   in Loop: Header=BB160_13 Depth=2
	s_mov_b64 s[40:41], 0
.LBB160_15:                             ;   Parent Loop BB160_7 Depth=1
                                        ;     Parent Loop BB160_13 Depth=2
                                        ; =>    This Inner Loop Header: Depth=3
	;;#ASMSTART
	s_sleep 0
	;;#ASMEND
	ds_read_b32 v18, v42 offset:40
	s_waitcnt lgkmcnt(0)
	v_cmp_eq_u32_e32 vcc, v18, v26
	s_or_b64 s[40:41], vcc, s[40:41]
	s_andn2_b64 exec, exec, s[40:41]
	s_cbranch_execnz .LBB160_15
.LBB160_16:                             ;   in Loop: Header=BB160_13 Depth=2
	s_or_b64 exec, exec, s[38:39]
	v_lshl_add_u32 v18, v40, 11, v28
	ds_read2_b32 v[22:23], v18 offset1:32
	ds_read2_b32 v[24:25], v18 offset0:128 offset1:160
	v_add_u32_e32 v18, 0x400, v18
	v_add_u32_e32 v41, 1, v26
	ds_read2_b32 v[20:21], v18 offset1:32
	ds_read2_b32 v[18:19], v18 offset0:128 offset1:160
	;;#ASMSTART
	s_waitcnt lgkmcnt(0)
	;;#ASMEND
	ds_write_b32 v42, v41 offset:40
	v_lshlrev_b32_e32 v42, 3, v40
	ds_read_b32 v43, v42 offset:30720
	s_waitcnt lgkmcnt(0)
	v_cmp_ne_u32_e32 vcc, v43, v26
	s_and_saveexec_b64 s[38:39], vcc
	s_cbranch_execz .LBB160_19
; %bb.17:                               ;   in Loop: Header=BB160_13 Depth=2
	s_mov_b64 s[40:41], 0
.LBB160_18:                             ;   Parent Loop BB160_7 Depth=1
                                        ;     Parent Loop BB160_13 Depth=2
                                        ; =>    This Inner Loop Header: Depth=3
	;;#ASMSTART
	s_sleep 0
	;;#ASMEND
	ds_read_b32 v43, v42 offset:30720
	s_waitcnt lgkmcnt(0)
	v_cmp_eq_u32_e32 vcc, v43, v26
	s_or_b64 s[40:41], vcc, s[40:41]
	s_andn2_b64 exec, exec, s[40:41]
	s_cbranch_execnz .LBB160_18
.LBB160_19:                             ;   in Loop: Header=BB160_13 Depth=2
	s_or_b64 exec, exec, s[38:39]
	v_lshlrev_b32_e32 v43, 12, v40
	v_or_b32_e32 v48, v27, v43
	ds_read2_b32 v[44:45], v48 offset1:32
	ds_read2_b32 v[46:47], v48 offset0:128 offset1:160
	v_add_u32_e32 v48, 0x400, v48
	s_waitcnt lgkmcnt(1)
	v_mfma_f32_16x16x32_fp8_fp8 v[4:7], v[44:45], v[22:23], v[4:7]
	ds_read2_b32 v[44:45], v48 offset1:32
	s_waitcnt lgkmcnt(1)
	v_mfma_f32_16x16x32_fp8_fp8 v[4:7], v[46:47], v[24:25], v[4:7]
	ds_read2_b32 v[46:47], v48 offset0:128 offset1:160
	;;#ASMSTART
	s_waitcnt lgkmcnt(0)
	;;#ASMEND
	ds_write_b32 v42, v41 offset:30720
	s_waitcnt lgkmcnt(2)
	v_mfma_f32_16x16x32_fp8_fp8 v[4:7], v[44:45], v[20:21], v[4:7]
	ds_read_b32 v44, v42 offset:30724
	s_waitcnt lgkmcnt(0)
	v_cmp_ne_u32_e32 vcc, v44, v26
	v_mfma_f32_16x16x32_fp8_fp8 v[4:7], v[46:47], v[18:19], v[4:7]
	s_and_saveexec_b64 s[38:39], vcc
	s_cbranch_execz .LBB160_12
; %bb.20:                               ;   in Loop: Header=BB160_13 Depth=2
	s_mov_b64 s[40:41], 0
.LBB160_21:                             ;   Parent Loop BB160_7 Depth=1
                                        ;     Parent Loop BB160_13 Depth=2
                                        ; =>    This Inner Loop Header: Depth=3
	;;#ASMSTART
	s_sleep 0
	;;#ASMEND
	ds_read_b32 v44, v42 offset:30724
	s_waitcnt lgkmcnt(0)
	v_cmp_eq_u32_e32 vcc, v44, v26
	s_or_b64 s[40:41], vcc, s[40:41]
	s_andn2_b64 exec, exec, s[40:41]
	s_cbranch_execnz .LBB160_21
	s_branch .LBB160_12
.LBB160_22:                             ;   in Loop: Header=BB160_7 Depth=1
	s_or_b64 exec, exec, s[8:9]
.LBB160_23:                             ;   in Loop: Header=BB160_7 Depth=1
	s_or_b64 exec, exec, s[6:7]
	v_cmp_le_i32_e32 vcc, s31, v8
	v_cmp_eq_u32_e64 s[6:7], 3, v29
	s_waitcnt vmcnt(0)
	v_cndmask_b32_e32 v18, 0, v39, vcc
	v_pk_mul_f32 v[24:25], v[18:19], v[4:5] op_sel_hi:[0,1]
	v_cmp_eq_u32_e32 vcc, 1, v29
	v_pk_mul_f32 v[6:7], v[18:19], v[6:7] op_sel_hi:[0,1]
	v_add_u32_e32 v19, s54, v31
	v_cndmask_b32_e32 v4, v24, v25, vcc
	v_cmp_eq_u32_e32 vcc, 2, v29
	s_nop 1
	v_cndmask_b32_e32 v4, v4, v6, vcc
	v_cndmask_b32_e64 v4, v4, v7, s[6:7]
	ds_bpermute_b32 v5, v37, v4
	s_waitcnt lgkmcnt(0)
	v_cndmask_b32_e32 v6, v6, v5, vcc
	v_cmp_ne_u32_e32 vcc, 0, v29
	v_cndmask_b32_e64 v20, v7, v5, s[6:7]
	s_nop 0
	v_cndmask_b32_e32 v4, v25, v5, vcc
	v_cmp_eq_u32_e32 vcc, 0, v29
	s_nop 1
	v_cndmask_b32_e32 v5, v24, v5, vcc
	v_cmp_eq_u32_e32 vcc, 1, v30
	;; [unrolled: 3-line block ×4, first 2 shown]
	s_nop 1
	v_cndmask_b32_e32 v7, v7, v20, vcc
	ds_bpermute_b32 v7, v37, v7
	v_cmp_gt_u32_e32 vcc, 32, v19
	s_and_saveexec_b64 s[38:39], vcc
	s_cbranch_execz .LBB160_28
; %bb.24:                               ;   in Loop: Header=BB160_7 Depth=1
	v_cmp_eq_u32_e64 s[8:9], 1, v30
	v_cmp_eq_u32_e64 s[6:7], 3, v30
	v_cmp_eq_u32_e32 vcc, 2, v30
	s_waitcnt lgkmcnt(0)
	v_cndmask_b32_e64 v4, v4, v7, s[8:9]
	v_cmp_eq_u32_e64 s[8:9], 0, v30
	v_cvt_f16_f32_sdwa v23, v4 dst_sel:WORD_1 dst_unused:UNUSED_PAD src0_sel:DWORD
	s_nop 0
	v_cndmask_b32_e64 v5, v5, v7, s[8:9]
	s_mul_i32 s8, s52, s13
	s_ashr_i32 s9, s8, 31
	s_lshl_b64 s[8:9], s[8:9], 1
	s_add_u32 s40, s24, s8
	s_addc_u32 s41, s25, s9
	s_ashr_i32 s31, s30, 31
	s_lshl_b64 s[8:9], s[30:31], 1
	v_cvt_f16_f32_e32 v21, v5
	s_add_u32 s40, s40, s8
	s_addc_u32 s41, s41, s9
	v_lshl_add_u64 v[4:5], v[10:11], 1, s[40:41]
	v_cmp_gt_u32_e64 s[8:9], 30, v19
	v_or_b32_e32 v21, v23, v21
	;;#ASMSTART
	global_atomic_pk_add_f16 v[4:5], v21, off
	
	;;#ASMEND
	s_and_b64 exec, exec, s[8:9]
	s_cbranch_execz .LBB160_28
; %bb.25:                               ;   in Loop: Header=BB160_7 Depth=1
	v_mov_b32_e32 v19, v18
	v_cndmask_b32_e64 v23, v20, v7, s[6:7]
	v_mov_b32_e32 v20, v18
	v_mov_b32_e32 v21, v18
	v_pk_mul_f32 v[18:19], v[18:19], v[0:1]
	v_cmp_eq_u32_e64 s[6:7], 1, v29
	v_pk_mul_f32 v[20:21], v[20:21], v[2:3]
	v_cmp_eq_u32_e64 s[8:9], 3, v29
	v_cndmask_b32_e64 v0, v18, v19, s[6:7]
	v_cmp_eq_u32_e64 s[6:7], 2, v29
	v_cvt_f16_f32_sdwa v23, v23 dst_sel:WORD_1 dst_unused:UNUSED_PAD src0_sel:DWORD
	s_nop 0
	v_cndmask_b32_e64 v0, v0, v20, s[6:7]
	v_cndmask_b32_e64 v0, v0, v21, s[8:9]
	ds_bpermute_b32 v1, v37, v0
	v_cndmask_b32_e32 v0, v6, v7, vcc
	v_cmp_ne_u32_e32 vcc, 0, v29
	v_lshl_add_u64 v[6:7], s[10:11], 2, v[4:5]
	v_cvt_f16_f32_e32 v5, v0
	s_waitcnt lgkmcnt(0)
	v_cndmask_b32_e32 v0, v19, v1, vcc
	v_cmp_eq_u32_e32 vcc, 0, v29
	v_cndmask_b32_e64 v2, v21, v1, s[8:9]
	v_cndmask_b32_e64 v3, v20, v1, s[6:7]
	v_cndmask_b32_e32 v1, v18, v1, vcc
	v_cmp_eq_u32_e32 vcc, 1, v30
	v_or_b32_e32 v5, v23, v5
	;;#ASMSTART
	global_atomic_pk_add_f16 v[6:7], v5, off
	
	;;#ASMEND
	v_add_u32_e32 v5, s54, v32
	v_cndmask_b32_e32 v4, v1, v0, vcc
	v_cmp_eq_u32_e32 vcc, 2, v30
	s_nop 1
	v_cndmask_b32_e32 v4, v4, v3, vcc
	v_cmp_eq_u32_e32 vcc, 3, v30
	s_nop 1
	v_cndmask_b32_e32 v4, v4, v2, vcc
	ds_bpermute_b32 v4, v37, v4
	v_cmp_gt_u32_e32 vcc, 32, v5
	s_and_b64 exec, exec, vcc
	s_cbranch_execz .LBB160_28
; %bb.26:                               ;   in Loop: Header=BB160_7 Depth=1
	v_cmp_eq_u32_e32 vcc, 1, v30
	v_cmp_eq_u32_e64 s[6:7], 2, v30
	v_cmp_gt_u32_e64 s[8:9], 30, v5
	s_waitcnt lgkmcnt(0)
	v_cndmask_b32_e32 v0, v0, v4, vcc
	v_cmp_eq_u32_e32 vcc, 0, v30
	v_cvt_f16_f32_sdwa v7, v0 dst_sel:WORD_1 dst_unused:UNUSED_PAD src0_sel:DWORD
	s_nop 0
	v_cndmask_b32_e32 v1, v1, v4, vcc
	v_cvt_f16_f32_e32 v6, v1
	v_cmp_eq_u32_e32 vcc, 3, v30
	v_lshl_add_u64 v[0:1], v[12:13], 1, s[40:41]
	v_or_b32_e32 v6, v7, v6
	;;#ASMSTART
	global_atomic_pk_add_f16 v[0:1], v6, off
	
	;;#ASMEND
	s_and_b64 exec, exec, s[8:9]
	s_cbranch_execz .LBB160_28
; %bb.27:                               ;   in Loop: Header=BB160_7 Depth=1
	v_cndmask_b32_e32 v2, v2, v4, vcc
	v_cndmask_b32_e64 v3, v3, v4, s[6:7]
	v_cvt_f16_f32_sdwa v2, v2 dst_sel:WORD_1 dst_unused:UNUSED_PAD src0_sel:DWORD
	v_cvt_f16_f32_e32 v3, v3
	v_lshl_add_u64 v[0:1], s[10:11], 2, v[0:1]
	v_or_b32_e32 v2, v2, v3
	;;#ASMSTART
	global_atomic_pk_add_f16 v[0:1], v2, off
	
	;;#ASMEND
.LBB160_28:                             ;   in Loop: Header=BB160_7 Depth=1
	s_or_b64 exec, exec, s[38:39]
	v_subrev_u32_e32 v38, s55, v38
.LBB160_29:                             ;   in Loop: Header=BB160_7 Depth=1
	s_or_b64 exec, exec, s[36:37]
.LBB160_30:                             ;   in Loop: Header=BB160_7 Depth=1
	s_andn2_saveexec_b64 s[6:7], s[34:35]
	s_cbranch_execz .LBB160_39
; %bb.31:                               ;   in Loop: Header=BB160_7 Depth=1
	v_cmp_gt_i32_e32 vcc, s55, v38
	s_and_saveexec_b64 s[8:9], vcc
	s_cbranch_execz .LBB160_38
; %bb.32:                               ;   in Loop: Header=BB160_7 Depth=1
	s_mul_i32 s30, s30, s15
	s_ashr_i32 s31, s30, 31
	s_waitcnt lgkmcnt(0)
	s_add_u32 s30, s22, s30
	s_addc_u32 s31, s23, s31
	s_ashr_i32 s34, s53, 31
	s_add_u32 s30, s30, s53
	s_addc_u32 s31, s31, s34
	v_lshl_add_u64 v[0:1], s[30:31], 0, v[16:17]
	v_lshl_add_u64 v[18:19], v[0:1], 0, v[14:15]
	s_mov_b64 s[30:31], 0
	s_branch .LBB160_34
.LBB160_33:                             ;   in Loop: Header=BB160_34 Depth=2
	s_or_b64 exec, exec, s[34:35]
	v_lshl_add_u32 v22, v20, 11, v35
	;;#ASMSTART
	s_waitcnt vmcnt(1)
	;;#ASMEND
	ds_write2_b32 v22, v4, v5 offset1:32
	ds_write2_b32 v22, v6, v7 offset0:64 offset1:96
	v_add_u32_e32 v4, 0x400, v22
	v_add_u32_e32 v38, s18, v38
	;;#ASMSTART
	s_waitcnt vmcnt(0)
	;;#ASMEND
	ds_write2_b32 v4, v0, v1 offset1:32
	ds_write2_b32 v4, v2, v3 offset0:64 offset1:96
	v_add_u32_e32 v0, 1, v26
	v_add_u32_e32 v22, s18, v20
	v_cmp_le_i32_e32 vcc, s55, v38
	ds_write_b32 v21, v0 offset:40
	v_add_u32_e32 v0, 2, v26
	s_or_b64 s[30:31], vcc, s[30:31]
	v_cmp_lt_i32_e32 vcc, 4, v22
	s_nop 1
	v_cndmask_b32_e32 v26, v26, v0, vcc
	s_andn2_b64 exec, exec, s[30:31]
	s_cbranch_execz .LBB160_37
.LBB160_34:                             ;   Parent Loop BB160_7 Depth=1
                                        ; =>  This Loop Header: Depth=2
                                        ;       Child Loop BB160_36 Depth 3
	v_cmp_gt_i32_e32 vcc, 5, v22
	s_nop 1
	v_cndmask_b32_e64 v0, -5, 0, vcc
	v_add_u32_e32 v20, v0, v22
	v_lshlrev_b32_e32 v0, 7, v38
	v_ashrrev_i32_e32 v1, 31, v0
	v_lshl_add_u64 v[0:1], v[18:19], 0, v[0:1]
	v_lshlrev_b32_e32 v21, 2, v20
	;;#ASMSTART
	global_load_dwordx4 v[4:7], v[0:1], off offset:0   sc0 sc1 nt  
	global_load_dwordx4 v[0:3], v[0:1], off offset:64  sc0 sc1 nt  
	
	;;#ASMEND
	ds_read_b32 v22, v21 offset:30760
	v_add_u32_e32 v21, 0x7800, v21
	s_waitcnt lgkmcnt(0)
	v_cmp_ne_u32_e32 vcc, v22, v26
	s_and_saveexec_b64 s[34:35], vcc
	s_cbranch_execz .LBB160_33
; %bb.35:                               ;   in Loop: Header=BB160_34 Depth=2
	s_mov_b64 s[36:37], 0
.LBB160_36:                             ;   Parent Loop BB160_7 Depth=1
                                        ;     Parent Loop BB160_34 Depth=2
                                        ; =>    This Inner Loop Header: Depth=3
	;;#ASMSTART
	s_sleep 0
	;;#ASMEND
	ds_read_b32 v22, v21 offset:40
	s_waitcnt lgkmcnt(0)
	v_cmp_eq_u32_e32 vcc, v22, v26
	s_or_b64 s[36:37], vcc, s[36:37]
	s_andn2_b64 exec, exec, s[36:37]
	s_cbranch_execnz .LBB160_36
	s_branch .LBB160_33
.LBB160_37:                             ;   in Loop: Header=BB160_7 Depth=1
	s_or_b64 exec, exec, s[30:31]
.LBB160_38:                             ;   in Loop: Header=BB160_7 Depth=1
	s_or_b64 exec, exec, s[8:9]
	v_subrev_u32_e32 v38, s55, v38
.LBB160_39:                             ;   in Loop: Header=BB160_7 Depth=1
	s_or_b64 exec, exec, s[6:7]
.LBB160_40:                             ;   in Loop: Header=BB160_7 Depth=1
	s_andn2_saveexec_b64 s[6:7], s[28:29]
	s_cbranch_execz .LBB160_6
; %bb.41:                               ;   in Loop: Header=BB160_7 Depth=1
	s_lshl_b32 s36, s55, 1
	v_cmp_gt_i32_e32 vcc, s36, v38
	s_and_saveexec_b64 s[8:9], vcc
	s_cbranch_execz .LBB160_5
; %bb.42:                               ;   in Loop: Header=BB160_7 Depth=1
	s_mul_i32 s52, s52, s14
	s_ashr_i32 s28, s52, 31
	s_waitcnt lgkmcnt(0)
	s_add_u32 s29, s20, s52
	v_add_u32_e32 v2, s54, v33
	s_addc_u32 s30, s21, s28
	s_ashr_i32 s31, s53, 31
	v_cmp_gt_u32_e32 vcc, 32, v2
	s_add_u32 s28, s29, s53
	s_addc_u32 s29, s30, s31
	v_cndmask_b32_e32 v0, 0, v36, vcc
	v_ashrrev_i32_e32 v1, 31, v0
	v_lshl_add_u64 v[0:1], s[28:29], 0, v[0:1]
	v_lshl_add_u64 v[18:19], v[0:1], 0, v[14:15]
	v_sub_u32_e32 v20, 31, v2
	s_mov_b64 s[28:29], 0
	s_branch .LBB160_44
.LBB160_43:                             ;   in Loop: Header=BB160_44 Depth=2
	s_or_b64 exec, exec, s[30:31]
	v_lshl_or_b32 v23, v21, 11, v34
	;;#ASMSTART
	s_waitcnt vmcnt(1)
	;;#ASMEND
	ds_write2_b32 v23, v4, v5 offset1:32
	ds_write2_b32 v23, v6, v7 offset0:64 offset1:96
	v_add_u32_e32 v4, 0x400, v23
	;;#ASMSTART
	s_waitcnt vmcnt(0)
	;;#ASMEND
	ds_write2_b32 v4, v0, v1 offset1:32
	ds_write2_b32 v4, v2, v3 offset0:64 offset1:96
	v_add_u32_e32 v0, 1, v26
	v_add_u32_e32 v38, s17, v38
	ds_write_b32 v22, v0
	v_add_u32_e32 v22, s17, v21
	v_cmp_le_i32_e32 vcc, s36, v38
	v_add_u32_e32 v0, 2, v26
	s_or_b64 s[28:29], vcc, s[28:29]
	v_cmp_lt_i32_e32 vcc, 9, v22
	s_nop 1
	v_cndmask_b32_e32 v26, v26, v0, vcc
	s_andn2_b64 exec, exec, s[28:29]
	s_cbranch_execz .LBB160_4
.LBB160_44:                             ;   Parent Loop BB160_7 Depth=1
                                        ; =>  This Loop Header: Depth=2
                                        ;       Child Loop BB160_46 Depth 3
	v_cmp_gt_i32_e32 vcc, 10, v22
	s_nop 1
	v_cndmask_b32_e64 v0, -10, 0, vcc
	v_add_u32_e32 v21, v0, v22
	v_lshrrev_b32_e32 v0, 31, v38
	v_add_u32_e32 v0, v38, v0
	v_and_b32_e32 v1, 0xffffffe, v0
	v_sub_u32_e32 v1, v38, v1
	v_lshlrev_b32_e32 v1, 4, v1
	v_cmp_le_i32_e32 vcc, v1, v20
	v_lshlrev_b32_e32 v0, 6, v0
	v_and_b32_e32 v0, 0xffffff80, v0
	v_cndmask_b32_e32 v2, 0, v1, vcc
	v_ashrrev_i32_e32 v1, 31, v0
	v_mul_lo_u32 v2, v2, s14
	v_lshl_add_u64 v[0:1], v[18:19], 0, v[0:1]
	v_ashrrev_i32_e32 v3, 31, v2
	v_lshl_add_u64 v[0:1], v[0:1], 0, v[2:3]
	v_lshlrev_b32_e32 v22, 2, v21
	;;#ASMSTART
	global_load_dwordx4 v[4:7], v[0:1], off offset:0   
	global_load_dwordx4 v[0:3], v[0:1], off offset:64  
	
	;;#ASMEND
	ds_read_b32 v23, v22 offset:30720
	v_add_u32_e32 v22, 0x7800, v22
	s_waitcnt lgkmcnt(0)
	v_cmp_ne_u32_e32 vcc, v23, v26
	s_and_saveexec_b64 s[30:31], vcc
	s_cbranch_execz .LBB160_43
; %bb.45:                               ;   in Loop: Header=BB160_44 Depth=2
	s_mov_b64 s[34:35], 0
.LBB160_46:                             ;   Parent Loop BB160_7 Depth=1
                                        ;     Parent Loop BB160_44 Depth=2
                                        ; =>    This Inner Loop Header: Depth=3
	;;#ASMSTART
	s_sleep 0
	;;#ASMEND
	ds_read_b32 v23, v22
	s_waitcnt lgkmcnt(0)
	v_cmp_eq_u32_e32 vcc, v23, v26
	s_or_b64 s[34:35], vcc, s[34:35]
	s_andn2_b64 exec, exec, s[34:35]
	s_cbranch_execnz .LBB160_46
	s_branch .LBB160_43
.LBB160_47:
	s_endpgm
	.section	.rodata,"a",@progbits
	.p2align	6, 0x0
	.amdhsa_kernel _Z19_skinny_gemm_kernelILi2ELi1ELi5ELi16ELi4EEvPKhS1_P6__halfPKfiiiiiiii
		.amdhsa_group_segment_fixed_size 30780
		.amdhsa_private_segment_fixed_size 0
		.amdhsa_kernarg_size 64
		.amdhsa_user_sgpr_count 2
		.amdhsa_user_sgpr_dispatch_ptr 0
		.amdhsa_user_sgpr_queue_ptr 0
		.amdhsa_user_sgpr_kernarg_segment_ptr 1
		.amdhsa_user_sgpr_dispatch_id 0
		.amdhsa_user_sgpr_kernarg_preload_length 0
		.amdhsa_user_sgpr_kernarg_preload_offset 0
		.amdhsa_user_sgpr_private_segment_size 0
		.amdhsa_uses_dynamic_stack 0
		.amdhsa_enable_private_segment 0
		.amdhsa_system_sgpr_workgroup_id_x 1
		.amdhsa_system_sgpr_workgroup_id_y 0
		.amdhsa_system_sgpr_workgroup_id_z 0
		.amdhsa_system_sgpr_workgroup_info 0
		.amdhsa_system_vgpr_workitem_id 0
		.amdhsa_next_free_vgpr 49
		.amdhsa_next_free_sgpr 56
		.amdhsa_accum_offset 52
		.amdhsa_reserve_vcc 1
		.amdhsa_float_round_mode_32 0
		.amdhsa_float_round_mode_16_64 0
		.amdhsa_float_denorm_mode_32 3
		.amdhsa_float_denorm_mode_16_64 3
		.amdhsa_dx10_clamp 1
		.amdhsa_ieee_mode 1
		.amdhsa_fp16_overflow 0
		.amdhsa_tg_split 0
		.amdhsa_exception_fp_ieee_invalid_op 0
		.amdhsa_exception_fp_denorm_src 0
		.amdhsa_exception_fp_ieee_div_zero 0
		.amdhsa_exception_fp_ieee_overflow 0
		.amdhsa_exception_fp_ieee_underflow 0
		.amdhsa_exception_fp_ieee_inexact 0
		.amdhsa_exception_int_div_zero 0
	.end_amdhsa_kernel
	.section	.text._Z19_skinny_gemm_kernelILi2ELi1ELi5ELi16ELi4EEvPKhS1_P6__halfPKfiiiiiiii,"axG",@progbits,_Z19_skinny_gemm_kernelILi2ELi1ELi5ELi16ELi4EEvPKhS1_P6__halfPKfiiiiiiii,comdat
.Lfunc_end160:
	.size	_Z19_skinny_gemm_kernelILi2ELi1ELi5ELi16ELi4EEvPKhS1_P6__halfPKfiiiiiiii, .Lfunc_end160-_Z19_skinny_gemm_kernelILi2ELi1ELi5ELi16ELi4EEvPKhS1_P6__halfPKfiiiiiiii
                                        ; -- End function
	.set _Z19_skinny_gemm_kernelILi2ELi1ELi5ELi16ELi4EEvPKhS1_P6__halfPKfiiiiiiii.num_vgpr, 49
	.set _Z19_skinny_gemm_kernelILi2ELi1ELi5ELi16ELi4EEvPKhS1_P6__halfPKfiiiiiiii.num_agpr, 0
	.set _Z19_skinny_gemm_kernelILi2ELi1ELi5ELi16ELi4EEvPKhS1_P6__halfPKfiiiiiiii.numbered_sgpr, 56
	.set _Z19_skinny_gemm_kernelILi2ELi1ELi5ELi16ELi4EEvPKhS1_P6__halfPKfiiiiiiii.num_named_barrier, 0
	.set _Z19_skinny_gemm_kernelILi2ELi1ELi5ELi16ELi4EEvPKhS1_P6__halfPKfiiiiiiii.private_seg_size, 0
	.set _Z19_skinny_gemm_kernelILi2ELi1ELi5ELi16ELi4EEvPKhS1_P6__halfPKfiiiiiiii.uses_vcc, 1
	.set _Z19_skinny_gemm_kernelILi2ELi1ELi5ELi16ELi4EEvPKhS1_P6__halfPKfiiiiiiii.uses_flat_scratch, 0
	.set _Z19_skinny_gemm_kernelILi2ELi1ELi5ELi16ELi4EEvPKhS1_P6__halfPKfiiiiiiii.has_dyn_sized_stack, 0
	.set _Z19_skinny_gemm_kernelILi2ELi1ELi5ELi16ELi4EEvPKhS1_P6__halfPKfiiiiiiii.has_recursion, 0
	.set _Z19_skinny_gemm_kernelILi2ELi1ELi5ELi16ELi4EEvPKhS1_P6__halfPKfiiiiiiii.has_indirect_call, 0
	.section	.AMDGPU.csdata,"",@progbits
; Kernel info:
; codeLenInByte = 3240
; TotalNumSgprs: 62
; NumVgprs: 49
; NumAgprs: 0
; TotalNumVgprs: 49
; ScratchSize: 0
; MemoryBound: 0
; FloatMode: 240
; IeeeMode: 1
; LDSByteSize: 30780 bytes/workgroup (compile time only)
; SGPRBlocks: 7
; VGPRBlocks: 6
; NumSGPRsForWavesPerEU: 62
; NumVGPRsForWavesPerEU: 49
; AccumOffset: 52
; Occupancy: 8
; WaveLimiterHint : 0
; COMPUTE_PGM_RSRC2:SCRATCH_EN: 0
; COMPUTE_PGM_RSRC2:USER_SGPR: 2
; COMPUTE_PGM_RSRC2:TRAP_HANDLER: 0
; COMPUTE_PGM_RSRC2:TGID_X_EN: 1
; COMPUTE_PGM_RSRC2:TGID_Y_EN: 0
; COMPUTE_PGM_RSRC2:TGID_Z_EN: 0
; COMPUTE_PGM_RSRC2:TIDIG_COMP_CNT: 0
; COMPUTE_PGM_RSRC3_GFX90A:ACCUM_OFFSET: 12
; COMPUTE_PGM_RSRC3_GFX90A:TG_SPLIT: 0
	.section	.text._Z19_skinny_gemm_kernelILi2ELi1ELi5ELi16ELi8EEvPKhS1_P6__halfPKfiiiiiiii,"axG",@progbits,_Z19_skinny_gemm_kernelILi2ELi1ELi5ELi16ELi8EEvPKhS1_P6__halfPKfiiiiiiii,comdat
	.protected	_Z19_skinny_gemm_kernelILi2ELi1ELi5ELi16ELi8EEvPKhS1_P6__halfPKfiiiiiiii ; -- Begin function _Z19_skinny_gemm_kernelILi2ELi1ELi5ELi16ELi8EEvPKhS1_P6__halfPKfiiiiiiii
	.globl	_Z19_skinny_gemm_kernelILi2ELi1ELi5ELi16ELi8EEvPKhS1_P6__halfPKfiiiiiiii
	.p2align	8
	.type	_Z19_skinny_gemm_kernelILi2ELi1ELi5ELi16ELi8EEvPKhS1_P6__halfPKfiiiiiiii,@function
_Z19_skinny_gemm_kernelILi2ELi1ELi5ELi16ELi8EEvPKhS1_P6__halfPKfiiiiiiii: ; @_Z19_skinny_gemm_kernelILi2ELi1ELi5ELi16ELi8EEvPKhS1_P6__halfPKfiiiiiiii
; %bb.0:
	v_cmp_gt_u32_e32 vcc, 15, v0
	v_lshlrev_b32_e32 v1, 2, v0
	s_and_saveexec_b64 s[4:5], vcc
; %bb.1:
	v_mov_b32_e32 v2, 0
	ds_write_b32 v1, v2 offset:61440
; %bb.2:
	s_or_b64 exec, exec, s[4:5]
	s_load_dwordx8 s[12:19], s[0:1], 0x20
	s_waitcnt lgkmcnt(0)
	s_barrier
	s_add_i32 s3, s12, 31
	s_ashr_i32 s5, s3, 31
	s_add_i32 s4, s13, 15
	s_lshr_b32 s5, s5, 27
	s_ashr_i32 s6, s4, 31
	s_add_i32 s3, s3, s5
	s_ashr_i32 s33, s3, 5
	s_lshr_b32 s3, s6, 28
	s_add_i32 s4, s4, s3
	s_ashr_i32 s42, s4, 4
	s_mul_i32 s3, s42, s33
	s_mul_i32 s3, s3, s16
	s_add_i32 s4, s3, 0x12f
	s_mul_hi_i32 s4, s4, 0x6bca1af3
	s_lshr_b32 s5, s4, 31
	s_ashr_i32 s4, s4, 7
	s_add_i32 s4, s4, s5
	s_add_i32 s5, s2, 1
	s_mul_i32 s5, s4, s5
	v_cvt_f64_i32_e32 v[2:3], s3
	v_cvt_f64_u32_e32 v[4:5], s5
	v_min_f64 v[2:3], v[2:3], v[4:5]
	v_cvt_i32_f64_e32 v17, v[2:3]
	s_mul_i32 s43, s4, s2
	v_cmp_ge_i32_e32 vcc, s43, v17
	s_cbranch_vccnz .LBB161_47
; %bb.3:
	v_lshrrev_b32_e32 v2, 6, v0
	s_add_i32 s4, s18, s17
	s_load_dwordx8 s[20:27], s[0:1], 0x0
	v_cmp_le_i32_e64 s[0:1], s4, v2
	v_mov_b32_e32 v3, s17
	v_cmp_le_i32_e64 s[2:3], s17, v2
	v_mov_b32_e32 v4, s18
	v_cndmask_b32_e64 v4, 0, v4, s[0:1]
	v_cndmask_b32_e64 v3, 0, v3, s[2:3]
	s_abs_i32 s5, s16
	v_add_u32_e32 v3, v3, v4
	v_cvt_f32_u32_e32 v4, s5
	v_sub_u32_e32 v10, v2, v3
	s_ashr_i32 s6, s14, 31
	s_lshr_b32 s6, s6, 24
	v_rcp_iflag_f32_e32 v3, v4
	s_sub_i32 s9, 0, s5
	s_add_i32 s6, s14, s6
	s_ashr_i32 s6, s6, 8
	v_mul_f32_e32 v3, 0x4f7ffffe, v3
	v_cvt_u32_f32_e32 v3, v3
	s_abs_i32 s8, s6
	s_xor_b32 s7, s6, s16
	s_ashr_i32 s7, s7, 31
	v_readfirstlane_b32 s10, v3
	s_mul_i32 s9, s9, s10
	s_mul_hi_u32 s9, s10, s9
	s_add_i32 s10, s10, s9
	s_mul_hi_u32 s9, s8, s10
	s_mul_i32 s10, s9, s5
	s_sub_i32 s8, s8, s10
	s_add_i32 s10, s9, 1
	s_sub_i32 s11, s8, s5
	s_cmp_ge_u32 s8, s5
	s_cselect_b32 s9, s10, s9
	s_cselect_b32 s8, s11, s8
	s_add_i32 s10, s9, 1
	s_cmp_ge_u32 s8, s5
	s_cselect_b32 s5, s10, s9
	s_xor_b32 s5, s5, s7
	s_sub_i32 s44, s5, s7
	s_add_i32 s16, s16, -1
	s_mul_i32 s5, s44, s16
	s_add_i32 s4, s4, s19
	s_sub_i32 s45, s6, s5
	v_cmp_gt_i32_e64 s[4:5], s4, v2
	v_lshlrev_b32_e32 v2, 1, v0
	v_lshlrev_b32_e32 v3, 4, v0
	v_and_b32_e32 v1, 60, v1
	v_and_b32_e32 v2, 64, v2
	;; [unrolled: 1-line block ×3, first 2 shown]
	v_or3_b32 v35, v1, v2, v4
	v_and_b32_e32 v1, 1, v0
	v_lshrrev_b32_e32 v4, 2, v0
	s_abs_i32 s46, s33
	v_and_or_b32 v39, v4, 12, v1
	v_cvt_f32_u32_e32 v4, s46
	v_lshlrev_b32_e32 v2, 1, v1
	v_and_b32_e32 v16, 14, v0
	v_sub_u32_e32 v2, v0, v2
	v_bitop3_b32 v37, v0, 1, v0 bitop3:0xc
	v_bitop3_b32 v38, v0, 3, 1 bitop3:0x6c
	v_and_b32_e32 v22, 48, v3
	v_bfe_u32 v41, v0, 2, 4
	v_and_b32_e32 v1, 60, v0
	v_lshlrev_b32_e32 v3, 8, v0
	v_lshlrev_b32_e32 v0, 6, v0
	v_and_b32_e32 v3, 0x200, v3
	v_and_b32_e32 v0, 64, v0
	v_rcp_iflag_f32_e32 v4, v4
	s_abs_i32 s47, s42
	v_or3_b32 v42, v1, v3, v0
	v_cvt_f32_u32_e32 v1, s47
	v_mul_f32_e32 v0, 0x4f7ffffe, v4
	v_cvt_u32_f32_e32 v0, v0
	v_mad_u64_u32 v[18:19], s[6:7], s13, v39, v[16:17]
	v_rcp_iflag_f32_e32 v1, v1
	v_readfirstlane_b32 s7, v0
	s_sub_i32 s6, 0, s46
	s_mul_i32 s6, s6, s7
	v_mul_f32_e32 v0, 0x4f7ffffe, v1
	v_cvt_u32_f32_e32 v0, v0
	s_mul_hi_u32 s6, s7, s6
	v_add_u32_e32 v2, 1, v2
	s_add_i32 s49, s7, s6
	s_sub_i32 s6, 0, s47
	v_readfirstlane_b32 s7, v0
	v_mbcnt_lo_u32_b32 v0, -1, 0
	v_and_b32_e32 v2, 63, v2
	s_mul_i32 s6, s6, s7
	v_mbcnt_hi_u32_b32 v0, -1, v0
	v_lshl_add_u32 v20, s13, 4, v18
	v_mul_lo_u32 v24, s15, v41
	s_mul_hi_u32 s6, s7, s6
	v_and_or_b32 v0, v0, 64, v2
	v_cndmask_b32_e64 v34, 0, 1, s[0:1]
	v_or_b32_e32 v36, 0xa000, v35
	s_ashr_i32 s11, s13, 31
	s_mov_b32 s10, s13
	v_ashrrev_i32_e32 v19, 31, v18
	v_or_b32_e32 v40, 16, v39
	v_ashrrev_i32_e32 v21, 31, v20
	v_ashrrev_i32_e32 v25, 31, v24
	v_mov_b32_e32 v23, 0
	v_or_b32_e32 v43, 0xa000, v42
	v_mul_lo_u32 v44, s14, v41
	s_ashr_i32 s48, s33, 31
	s_ashr_i32 s50, s42, 31
	s_add_i32 s51, s7, s6
	v_lshlrev_b32_e32 v45, 2, v0
	v_mov_b32_e32 v46, v10
	s_branch .LBB161_7
.LBB161_4:                              ;   in Loop: Header=BB161_7 Depth=1
	s_or_b64 exec, exec, s[28:29]
.LBB161_5:                              ;   in Loop: Header=BB161_7 Depth=1
	s_or_b64 exec, exec, s[8:9]
	v_subrev_u32_e32 v46, s36, v46
.LBB161_6:                              ;   in Loop: Header=BB161_7 Depth=1
	s_or_b64 exec, exec, s[6:7]
	s_add_i32 s43, s43, 1
	v_cmp_ge_i32_e32 vcc, s43, v17
	s_cbranch_vccnz .LBB161_47
.LBB161_7:                              ; =>This Loop Header: Depth=1
                                        ;     Child Loop BB161_13 Depth 2
                                        ;       Child Loop BB161_15 Depth 3
                                        ;       Child Loop BB161_18 Depth 3
	;; [unrolled: 1-line block ×3, first 2 shown]
                                        ;     Child Loop BB161_34 Depth 2
                                        ;       Child Loop BB161_36 Depth 3
                                        ;     Child Loop BB161_44 Depth 2
                                        ;       Child Loop BB161_46 Depth 3
	s_abs_i32 s7, s43
	s_mul_hi_u32 s8, s7, s49
	s_mul_i32 s9, s8, s46
	s_ashr_i32 s6, s43, 31
	s_sub_i32 s7, s7, s9
	s_xor_b32 s6, s6, s48
	s_add_i32 s9, s8, 1
	s_sub_i32 s28, s7, s46
	s_cmp_ge_u32 s7, s46
	s_cselect_b32 s8, s9, s8
	s_cselect_b32 s7, s28, s7
	s_add_i32 s9, s8, 1
	s_cmp_ge_u32 s7, s46
	s_cselect_b32 s7, s9, s8
	s_xor_b32 s7, s7, s6
	s_sub_i32 s6, s7, s6
	s_abs_i32 s8, s6
	s_mul_i32 s7, s6, s33
	s_mul_hi_u32 s9, s8, s51
	s_sub_i32 s7, s43, s7
	s_mul_i32 s28, s9, s47
	s_lshl_b32 s52, s7, 5
	s_ashr_i32 s7, s6, 31
	s_sub_i32 s8, s8, s28
	s_xor_b32 s7, s7, s50
	s_add_i32 s28, s9, 1
	s_sub_i32 s29, s8, s47
	s_cmp_ge_u32 s8, s47
	s_cselect_b32 s9, s28, s9
	s_cselect_b32 s8, s29, s8
	s_add_i32 s28, s9, 1
	s_cmp_ge_u32 s8, s47
	s_cselect_b32 s8, s28, s9
	s_xor_b32 s8, s8, s7
	s_sub_i32 s7, s8, s7
	s_mul_i32 s8, s7, s44
	s_lshl_b32 s53, s8, 8
	s_cmp_eq_u32 s7, s16
	s_cselect_b32 s55, s45, s44
	s_sub_i32 s8, s52, s12
	s_add_i32 s8, s8, 32
	s_max_i32 s54, s8, 0
	s_and_saveexec_b64 s[8:9], s[2:3]
	s_xor_b64 s[28:29], exec, s[8:9]
	s_cbranch_execz .LBB161_40
; %bb.8:                                ;   in Loop: Header=BB161_7 Depth=1
	s_mul_i32 s7, s7, s42
	s_sub_i32 s6, s6, s7
	s_lshl_b32 s6, s6, 4
	s_sub_i32 s31, s6, s13
	s_add_i32 s31, s31, 16
	s_max_i32 s7, s31, 0
	s_sub_i32 s30, s6, s7
	s_and_saveexec_b64 s[6:7], s[0:1]
	s_xor_b64 s[34:35], exec, s[6:7]
	s_cbranch_execz .LBB161_30
; %bb.9:                                ;   in Loop: Header=BB161_7 Depth=1
	s_and_saveexec_b64 s[36:37], s[4:5]
	s_cbranch_execz .LBB161_29
; %bb.10:                               ;   in Loop: Header=BB161_7 Depth=1
	s_waitcnt lgkmcnt(0)
	global_load_dword v47, v23, s[26:27]
	v_mov_b32_e32 v7, 0
	v_cmp_gt_i32_e32 vcc, s55, v46
	v_mov_b32_e32 v6, v7
	v_mov_b32_e32 v5, v7
	;; [unrolled: 1-line block ×7, first 2 shown]
	s_and_saveexec_b64 s[6:7], vcc
	s_cbranch_execz .LBB161_23
; %bb.11:                               ;   in Loop: Header=BB161_7 Depth=1
	v_mov_b32_e32 v0, 0
	s_mov_b64 s[8:9], 0
	v_mov_b32_e32 v1, v0
	v_mov_b32_e32 v2, v0
	;; [unrolled: 1-line block ×7, first 2 shown]
	s_branch .LBB161_13
.LBB161_12:                             ;   in Loop: Header=BB161_13 Depth=2
	s_or_b64 exec, exec, s[38:39]
	v_add_u32_e32 v51, v35, v51
	v_add_u32_e32 v54, 0x1000, v51
	ds_read2_b32 v[52:53], v54 offset1:32
	ds_read2_b32 v[54:55], v54 offset0:128 offset1:160
	v_add_u32_e32 v56, 0x1400, v51
	v_add_u32_e32 v46, s19, v46
	v_cmp_le_i32_e32 vcc, s55, v46
	s_waitcnt lgkmcnt(1)
	v_mfma_f32_16x16x32_fp8_fp8 v[0:3], v[52:53], v[10:11], v[0:3]
	ds_read2_b32 v[10:11], v56 offset1:32
	v_add_u32_e32 v52, 0x1800, v51
	s_or_b64 s[8:9], vcc, s[8:9]
	s_waitcnt lgkmcnt(1)
	v_mfma_f32_16x16x32_fp8_fp8 v[0:3], v[54:55], v[12:13], v[0:3]
	ds_read2_b32 v[12:13], v56 offset0:128 offset1:160
	s_waitcnt lgkmcnt(1)
	v_mfma_f32_16x16x32_fp8_fp8 v[0:3], v[10:11], v[26:27], v[0:3]
	ds_read2_b32 v[10:11], v52 offset1:32
	s_waitcnt lgkmcnt(1)
	v_mfma_f32_16x16x32_fp8_fp8 v[0:3], v[12:13], v[28:29], v[0:3]
	ds_read2_b32 v[12:13], v52 offset0:128 offset1:160
	v_add_u32_e32 v28, 0x1c00, v51
	ds_read2_b32 v[26:27], v28 offset1:32
	s_waitcnt lgkmcnt(2)
	v_mfma_f32_16x16x32_fp8_fp8 v[0:3], v[10:11], v[30:31], v[0:3]
	v_add_u32_e32 v10, s19, v48
	v_add_u32_e32 v11, 2, v34
	v_cmp_lt_i32_e32 vcc, 4, v10
	s_waitcnt lgkmcnt(1)
	v_mfma_f32_16x16x32_fp8_fp8 v[0:3], v[12:13], v[32:33], v[0:3]
	ds_read2_b32 v[12:13], v28 offset0:128 offset1:160
	v_cndmask_b32_e32 v34, v34, v11, vcc
	;;#ASMSTART
	s_waitcnt lgkmcnt(0)
	;;#ASMEND
	s_waitcnt lgkmcnt(1)
	v_mfma_f32_16x16x32_fp8_fp8 v[0:3], v[26:27], v[14:15], v[0:3]
	ds_write_b32 v50, v49 offset:61444
	s_waitcnt lgkmcnt(1)
	v_mfma_f32_16x16x32_fp8_fp8 v[0:3], v[12:13], v[8:9], v[0:3]
	s_andn2_b64 exec, exec, s[8:9]
	s_cbranch_execz .LBB161_22
.LBB161_13:                             ;   Parent Loop BB161_7 Depth=1
                                        ; =>  This Loop Header: Depth=2
                                        ;       Child Loop BB161_15 Depth 3
                                        ;       Child Loop BB161_18 Depth 3
	;; [unrolled: 1-line block ×3, first 2 shown]
	v_cmp_gt_i32_e32 vcc, 5, v10
	s_nop 1
	v_cndmask_b32_e64 v8, -5, 0, vcc
	v_add_u32_e32 v48, v8, v10
	v_lshlrev_b32_e32 v8, 2, v48
	ds_read_b32 v9, v8 offset:61480
	v_add_u32_e32 v50, 0xf000, v8
	s_waitcnt lgkmcnt(0)
	v_cmp_ne_u32_e32 vcc, v9, v34
	s_and_saveexec_b64 s[38:39], vcc
	s_cbranch_execz .LBB161_16
; %bb.14:                               ;   in Loop: Header=BB161_13 Depth=2
	s_mov_b64 s[40:41], 0
.LBB161_15:                             ;   Parent Loop BB161_7 Depth=1
                                        ;     Parent Loop BB161_13 Depth=2
                                        ; =>    This Inner Loop Header: Depth=3
	;;#ASMSTART
	s_sleep 0
	;;#ASMEND
	ds_read_b32 v8, v50 offset:40
	s_waitcnt lgkmcnt(0)
	v_cmp_eq_u32_e32 vcc, v8, v34
	s_or_b64 s[40:41], vcc, s[40:41]
	s_andn2_b64 exec, exec, s[40:41]
	s_cbranch_execnz .LBB161_15
.LBB161_16:                             ;   in Loop: Header=BB161_13 Depth=2
	s_or_b64 exec, exec, s[38:39]
	v_lshl_add_u32 v8, v48, 12, v36
	v_add_u32_e32 v9, 0x400, v8
	ds_read2_b32 v[10:11], v8 offset1:32
	ds_read2_b32 v[12:13], v8 offset0:128 offset1:160
	ds_read2_b32 v[26:27], v9 offset1:32
	ds_read2_b32 v[28:29], v9 offset0:128 offset1:160
	v_add_u32_e32 v9, 0x800, v8
	v_add_u32_e32 v8, 0xc00, v8
	;; [unrolled: 1-line block ×3, first 2 shown]
	ds_read2_b32 v[30:31], v9 offset1:32
	ds_read2_b32 v[32:33], v9 offset0:128 offset1:160
	ds_read2_b32 v[14:15], v8 offset1:32
	ds_read2_b32 v[8:9], v8 offset0:128 offset1:160
	;;#ASMSTART
	s_waitcnt lgkmcnt(0)
	;;#ASMEND
	ds_write_b32 v50, v49 offset:40
	v_lshlrev_b32_e32 v50, 3, v48
	ds_read_b32 v51, v50 offset:61440
	s_waitcnt lgkmcnt(0)
	v_cmp_ne_u32_e32 vcc, v51, v34
	s_and_saveexec_b64 s[38:39], vcc
	s_cbranch_execz .LBB161_19
; %bb.17:                               ;   in Loop: Header=BB161_13 Depth=2
	s_mov_b64 s[40:41], 0
.LBB161_18:                             ;   Parent Loop BB161_7 Depth=1
                                        ;     Parent Loop BB161_13 Depth=2
                                        ; =>    This Inner Loop Header: Depth=3
	;;#ASMSTART
	s_sleep 0
	;;#ASMEND
	ds_read_b32 v51, v50 offset:61440
	s_waitcnt lgkmcnt(0)
	v_cmp_eq_u32_e32 vcc, v51, v34
	s_or_b64 s[40:41], vcc, s[40:41]
	s_andn2_b64 exec, exec, s[40:41]
	s_cbranch_execnz .LBB161_18
.LBB161_19:                             ;   in Loop: Header=BB161_13 Depth=2
	s_or_b64 exec, exec, s[38:39]
	v_lshlrev_b32_e32 v51, 13, v48
	v_or_b32_e32 v56, v35, v51
	ds_read2_b32 v[52:53], v56 offset1:32
	ds_read2_b32 v[54:55], v56 offset0:128 offset1:160
	v_add_u32_e32 v57, 0x400, v56
	s_waitcnt lgkmcnt(1)
	v_mfma_f32_16x16x32_fp8_fp8 v[4:7], v[52:53], v[10:11], v[4:7]
	ds_read2_b32 v[52:53], v57 offset1:32
	s_waitcnt lgkmcnt(1)
	v_mfma_f32_16x16x32_fp8_fp8 v[4:7], v[54:55], v[12:13], v[4:7]
	ds_read2_b32 v[54:55], v57 offset0:128 offset1:160
	v_add_u32_e32 v57, 0x800, v56
	v_add_u32_e32 v56, 0xc00, v56
	s_waitcnt lgkmcnt(1)
	v_mfma_f32_16x16x32_fp8_fp8 v[4:7], v[52:53], v[26:27], v[4:7]
	ds_read2_b32 v[52:53], v57 offset1:32
	s_waitcnt lgkmcnt(1)
	v_mfma_f32_16x16x32_fp8_fp8 v[4:7], v[54:55], v[28:29], v[4:7]
	ds_read2_b32 v[54:55], v57 offset0:128 offset1:160
	s_waitcnt lgkmcnt(1)
	v_mfma_f32_16x16x32_fp8_fp8 v[4:7], v[52:53], v[30:31], v[4:7]
	ds_read2_b32 v[52:53], v56 offset1:32
	s_waitcnt lgkmcnt(1)
	v_mfma_f32_16x16x32_fp8_fp8 v[4:7], v[54:55], v[32:33], v[4:7]
	ds_read2_b32 v[54:55], v56 offset0:128 offset1:160
	;;#ASMSTART
	s_waitcnt lgkmcnt(0)
	;;#ASMEND
	ds_write_b32 v50, v49 offset:61440
	s_waitcnt lgkmcnt(2)
	v_mfma_f32_16x16x32_fp8_fp8 v[4:7], v[52:53], v[14:15], v[4:7]
	ds_read_b32 v52, v50 offset:61444
	s_waitcnt lgkmcnt(0)
	v_cmp_ne_u32_e32 vcc, v52, v34
	v_mfma_f32_16x16x32_fp8_fp8 v[4:7], v[54:55], v[8:9], v[4:7]
	s_and_saveexec_b64 s[38:39], vcc
	s_cbranch_execz .LBB161_12
; %bb.20:                               ;   in Loop: Header=BB161_13 Depth=2
	s_mov_b64 s[40:41], 0
.LBB161_21:                             ;   Parent Loop BB161_7 Depth=1
                                        ;     Parent Loop BB161_13 Depth=2
                                        ; =>    This Inner Loop Header: Depth=3
	;;#ASMSTART
	s_sleep 0
	;;#ASMEND
	ds_read_b32 v52, v50 offset:61444
	s_waitcnt lgkmcnt(0)
	v_cmp_eq_u32_e32 vcc, v52, v34
	s_or_b64 s[40:41], vcc, s[40:41]
	s_andn2_b64 exec, exec, s[40:41]
	s_cbranch_execnz .LBB161_21
	s_branch .LBB161_12
.LBB161_22:                             ;   in Loop: Header=BB161_7 Depth=1
	s_or_b64 exec, exec, s[8:9]
.LBB161_23:                             ;   in Loop: Header=BB161_7 Depth=1
	s_or_b64 exec, exec, s[6:7]
	v_cmp_le_i32_e32 vcc, s31, v16
	v_cmp_eq_u32_e64 s[6:7], 3, v37
	s_waitcnt vmcnt(0)
	v_cndmask_b32_e32 v8, 0, v47, vcc
	v_pk_mul_f32 v[12:13], v[8:9], v[4:5] op_sel_hi:[0,1]
	v_cmp_eq_u32_e32 vcc, 1, v37
	v_pk_mul_f32 v[6:7], v[8:9], v[6:7] op_sel_hi:[0,1]
	v_add_u32_e32 v9, s54, v39
	v_cndmask_b32_e32 v4, v12, v13, vcc
	v_cmp_eq_u32_e32 vcc, 2, v37
	s_nop 1
	v_cndmask_b32_e32 v4, v4, v6, vcc
	v_cndmask_b32_e64 v4, v4, v7, s[6:7]
	ds_bpermute_b32 v5, v45, v4
	s_waitcnt lgkmcnt(0)
	v_cndmask_b32_e32 v6, v6, v5, vcc
	v_cmp_ne_u32_e32 vcc, 0, v37
	v_cndmask_b32_e64 v11, v7, v5, s[6:7]
	s_nop 0
	v_cndmask_b32_e32 v4, v13, v5, vcc
	v_cmp_eq_u32_e32 vcc, 0, v37
	s_nop 1
	v_cndmask_b32_e32 v5, v12, v5, vcc
	v_cmp_eq_u32_e32 vcc, 1, v38
	;; [unrolled: 3-line block ×4, first 2 shown]
	s_nop 1
	v_cndmask_b32_e32 v7, v7, v11, vcc
	ds_bpermute_b32 v7, v45, v7
	v_cmp_gt_u32_e32 vcc, 32, v9
	s_and_saveexec_b64 s[38:39], vcc
	s_cbranch_execz .LBB161_28
; %bb.24:                               ;   in Loop: Header=BB161_7 Depth=1
	v_cmp_eq_u32_e64 s[8:9], 1, v38
	v_cmp_eq_u32_e64 s[6:7], 3, v38
	v_cmp_eq_u32_e32 vcc, 2, v38
	s_waitcnt lgkmcnt(0)
	v_cndmask_b32_e64 v4, v4, v7, s[8:9]
	v_cmp_eq_u32_e64 s[8:9], 0, v38
	v_cvt_f16_f32_sdwa v13, v4 dst_sel:WORD_1 dst_unused:UNUSED_PAD src0_sel:DWORD
	s_nop 0
	v_cndmask_b32_e64 v5, v5, v7, s[8:9]
	s_mul_i32 s8, s52, s13
	s_ashr_i32 s9, s8, 31
	s_lshl_b64 s[8:9], s[8:9], 1
	s_add_u32 s40, s24, s8
	s_addc_u32 s41, s25, s9
	s_ashr_i32 s31, s30, 31
	s_lshl_b64 s[8:9], s[30:31], 1
	v_cvt_f16_f32_e32 v12, v5
	s_add_u32 s40, s40, s8
	s_addc_u32 s41, s41, s9
	v_lshl_add_u64 v[4:5], v[18:19], 1, s[40:41]
	v_cmp_gt_u32_e64 s[8:9], 30, v9
	v_or_b32_e32 v12, v13, v12
	;;#ASMSTART
	global_atomic_pk_add_f16 v[4:5], v12, off
	
	;;#ASMEND
	s_and_b64 exec, exec, s[8:9]
	s_cbranch_execz .LBB161_28
; %bb.25:                               ;   in Loop: Header=BB161_7 Depth=1
	v_mov_b32_e32 v9, v8
	v_cndmask_b32_e64 v11, v11, v7, s[6:7]
	v_mov_b32_e32 v12, v8
	v_mov_b32_e32 v13, v8
	v_pk_mul_f32 v[8:9], v[8:9], v[0:1]
	v_cmp_eq_u32_e64 s[6:7], 1, v37
	v_pk_mul_f32 v[12:13], v[12:13], v[2:3]
	v_cmp_eq_u32_e64 s[8:9], 3, v37
	v_cndmask_b32_e64 v0, v8, v9, s[6:7]
	v_cmp_eq_u32_e64 s[6:7], 2, v37
	v_cvt_f16_f32_sdwa v11, v11 dst_sel:WORD_1 dst_unused:UNUSED_PAD src0_sel:DWORD
	s_nop 0
	v_cndmask_b32_e64 v0, v0, v12, s[6:7]
	v_cndmask_b32_e64 v0, v0, v13, s[8:9]
	ds_bpermute_b32 v1, v45, v0
	v_cndmask_b32_e32 v0, v6, v7, vcc
	v_cmp_ne_u32_e32 vcc, 0, v37
	v_lshl_add_u64 v[6:7], s[10:11], 2, v[4:5]
	v_cvt_f16_f32_e32 v5, v0
	s_waitcnt lgkmcnt(0)
	v_cndmask_b32_e32 v0, v9, v1, vcc
	v_cmp_eq_u32_e32 vcc, 0, v37
	v_cndmask_b32_e64 v2, v13, v1, s[8:9]
	v_cndmask_b32_e64 v3, v12, v1, s[6:7]
	v_cndmask_b32_e32 v1, v8, v1, vcc
	v_cmp_eq_u32_e32 vcc, 1, v38
	v_or_b32_e32 v5, v11, v5
	;;#ASMSTART
	global_atomic_pk_add_f16 v[6:7], v5, off
	
	;;#ASMEND
	v_add_u32_e32 v5, s54, v40
	v_cndmask_b32_e32 v4, v1, v0, vcc
	v_cmp_eq_u32_e32 vcc, 2, v38
	s_nop 1
	v_cndmask_b32_e32 v4, v4, v3, vcc
	v_cmp_eq_u32_e32 vcc, 3, v38
	s_nop 1
	v_cndmask_b32_e32 v4, v4, v2, vcc
	ds_bpermute_b32 v4, v45, v4
	v_cmp_gt_u32_e32 vcc, 32, v5
	s_and_b64 exec, exec, vcc
	s_cbranch_execz .LBB161_28
; %bb.26:                               ;   in Loop: Header=BB161_7 Depth=1
	v_cmp_eq_u32_e32 vcc, 1, v38
	v_cmp_eq_u32_e64 s[6:7], 2, v38
	v_cmp_gt_u32_e64 s[8:9], 30, v5
	s_waitcnt lgkmcnt(0)
	v_cndmask_b32_e32 v0, v0, v4, vcc
	v_cmp_eq_u32_e32 vcc, 0, v38
	v_cvt_f16_f32_sdwa v7, v0 dst_sel:WORD_1 dst_unused:UNUSED_PAD src0_sel:DWORD
	s_nop 0
	v_cndmask_b32_e32 v1, v1, v4, vcc
	v_cvt_f16_f32_e32 v6, v1
	v_cmp_eq_u32_e32 vcc, 3, v38
	v_lshl_add_u64 v[0:1], v[20:21], 1, s[40:41]
	v_or_b32_e32 v6, v7, v6
	;;#ASMSTART
	global_atomic_pk_add_f16 v[0:1], v6, off
	
	;;#ASMEND
	s_and_b64 exec, exec, s[8:9]
	s_cbranch_execz .LBB161_28
; %bb.27:                               ;   in Loop: Header=BB161_7 Depth=1
	v_cndmask_b32_e32 v2, v2, v4, vcc
	v_cndmask_b32_e64 v3, v3, v4, s[6:7]
	v_cvt_f16_f32_sdwa v2, v2 dst_sel:WORD_1 dst_unused:UNUSED_PAD src0_sel:DWORD
	v_cvt_f16_f32_e32 v3, v3
	v_lshl_add_u64 v[0:1], s[10:11], 2, v[0:1]
	v_or_b32_e32 v2, v2, v3
	;;#ASMSTART
	global_atomic_pk_add_f16 v[0:1], v2, off
	
	;;#ASMEND
.LBB161_28:                             ;   in Loop: Header=BB161_7 Depth=1
	s_or_b64 exec, exec, s[38:39]
	v_subrev_u32_e32 v46, s55, v46
.LBB161_29:                             ;   in Loop: Header=BB161_7 Depth=1
	s_or_b64 exec, exec, s[36:37]
.LBB161_30:                             ;   in Loop: Header=BB161_7 Depth=1
	s_andn2_saveexec_b64 s[6:7], s[34:35]
	s_cbranch_execz .LBB161_39
; %bb.31:                               ;   in Loop: Header=BB161_7 Depth=1
	v_cmp_gt_i32_e32 vcc, s55, v46
	s_and_saveexec_b64 s[8:9], vcc
	s_cbranch_execz .LBB161_38
; %bb.32:                               ;   in Loop: Header=BB161_7 Depth=1
	s_mul_i32 s30, s30, s15
	s_ashr_i32 s31, s30, 31
	s_waitcnt lgkmcnt(0)
	s_add_u32 s30, s22, s30
	s_addc_u32 s31, s23, s31
	s_ashr_i32 s34, s53, 31
	s_add_u32 s30, s30, s53
	s_addc_u32 s31, s31, s34
	v_lshl_add_u64 v[0:1], s[30:31], 0, v[24:25]
	v_lshl_add_u64 v[26:27], v[0:1], 0, v[22:23]
	s_mov_b64 s[30:31], 0
	s_branch .LBB161_34
.LBB161_33:                             ;   in Loop: Header=BB161_34 Depth=2
	s_or_b64 exec, exec, s[34:35]
	v_lshl_add_u32 v30, v28, 12, v43
	;;#ASMSTART
	s_waitcnt vmcnt(3)
	;;#ASMEND
	ds_write2_b32 v30, v12, v13 offset1:32
	ds_write2_b32 v30, v14, v15 offset0:64 offset1:96
	v_add_u32_e32 v12, 0x400, v30
	;;#ASMSTART
	s_waitcnt vmcnt(2)
	;;#ASMEND
	ds_write2_b32 v12, v8, v9 offset1:32
	ds_write2_b32 v12, v10, v11 offset0:64 offset1:96
	v_add_u32_e32 v8, 0x800, v30
	;; [unrolled: 6-line block ×3, first 2 shown]
	v_add_u32_e32 v46, s18, v46
	;;#ASMSTART
	s_waitcnt vmcnt(0)
	;;#ASMEND
	ds_write2_b32 v4, v0, v1 offset1:32
	ds_write2_b32 v4, v2, v3 offset0:64 offset1:96
	v_add_u32_e32 v0, 1, v34
	v_add_u32_e32 v10, s18, v28
	v_cmp_le_i32_e32 vcc, s55, v46
	ds_write_b32 v29, v0 offset:40
	v_add_u32_e32 v0, 2, v34
	s_or_b64 s[30:31], vcc, s[30:31]
	v_cmp_lt_i32_e32 vcc, 4, v10
	s_nop 1
	v_cndmask_b32_e32 v34, v34, v0, vcc
	s_andn2_b64 exec, exec, s[30:31]
	s_cbranch_execz .LBB161_37
.LBB161_34:                             ;   Parent Loop BB161_7 Depth=1
                                        ; =>  This Loop Header: Depth=2
                                        ;       Child Loop BB161_36 Depth 3
	v_cmp_gt_i32_e32 vcc, 5, v10
	s_nop 1
	v_cndmask_b32_e64 v0, -5, 0, vcc
	v_add_u32_e32 v28, v0, v10
	v_lshlrev_b32_e32 v0, 8, v46
	v_ashrrev_i32_e32 v1, 31, v0
	v_lshl_add_u64 v[0:1], v[26:27], 0, v[0:1]
	v_lshlrev_b32_e32 v29, 2, v28
	;;#ASMSTART
	global_load_dwordx4 v[12:15], v[0:1], off offset:0    sc0 sc1 nt  
	global_load_dwordx4 v[8:11], v[0:1], off offset:64   sc0 sc1 nt  
	global_load_dwordx4 v[4:7], v[0:1], off offset:128  sc0 sc1 nt  
	global_load_dwordx4 v[0:3], v[0:1], off offset:192  sc0 sc1 nt  
	
	;;#ASMEND
	ds_read_b32 v30, v29 offset:61480
	v_add_u32_e32 v29, 0xf000, v29
	s_waitcnt lgkmcnt(0)
	v_cmp_ne_u32_e32 vcc, v30, v34
	s_and_saveexec_b64 s[34:35], vcc
	s_cbranch_execz .LBB161_33
; %bb.35:                               ;   in Loop: Header=BB161_34 Depth=2
	s_mov_b64 s[36:37], 0
.LBB161_36:                             ;   Parent Loop BB161_7 Depth=1
                                        ;     Parent Loop BB161_34 Depth=2
                                        ; =>    This Inner Loop Header: Depth=3
	;;#ASMSTART
	s_sleep 0
	;;#ASMEND
	ds_read_b32 v30, v29 offset:40
	s_waitcnt lgkmcnt(0)
	v_cmp_eq_u32_e32 vcc, v30, v34
	s_or_b64 s[36:37], vcc, s[36:37]
	s_andn2_b64 exec, exec, s[36:37]
	s_cbranch_execnz .LBB161_36
	s_branch .LBB161_33
.LBB161_37:                             ;   in Loop: Header=BB161_7 Depth=1
	s_or_b64 exec, exec, s[30:31]
.LBB161_38:                             ;   in Loop: Header=BB161_7 Depth=1
	s_or_b64 exec, exec, s[8:9]
	v_subrev_u32_e32 v46, s55, v46
.LBB161_39:                             ;   in Loop: Header=BB161_7 Depth=1
	s_or_b64 exec, exec, s[6:7]
.LBB161_40:                             ;   in Loop: Header=BB161_7 Depth=1
	s_andn2_saveexec_b64 s[6:7], s[28:29]
	s_cbranch_execz .LBB161_6
; %bb.41:                               ;   in Loop: Header=BB161_7 Depth=1
	s_lshl_b32 s36, s55, 1
	v_cmp_gt_i32_e32 vcc, s36, v46
	s_and_saveexec_b64 s[8:9], vcc
	s_cbranch_execz .LBB161_5
; %bb.42:                               ;   in Loop: Header=BB161_7 Depth=1
	s_mul_i32 s52, s52, s14
	s_ashr_i32 s28, s52, 31
	s_waitcnt lgkmcnt(0)
	s_add_u32 s29, s20, s52
	v_add_u32_e32 v2, s54, v41
	s_addc_u32 s30, s21, s28
	s_ashr_i32 s31, s53, 31
	v_cmp_gt_u32_e32 vcc, 32, v2
	s_add_u32 s28, s29, s53
	s_addc_u32 s29, s30, s31
	v_cndmask_b32_e32 v0, 0, v44, vcc
	v_ashrrev_i32_e32 v1, 31, v0
	v_lshl_add_u64 v[0:1], s[28:29], 0, v[0:1]
	v_lshl_add_u64 v[26:27], v[0:1], 0, v[22:23]
	v_sub_u32_e32 v28, 31, v2
	s_mov_b64 s[28:29], 0
	s_branch .LBB161_44
.LBB161_43:                             ;   in Loop: Header=BB161_44 Depth=2
	s_or_b64 exec, exec, s[30:31]
	v_lshl_or_b32 v31, v29, 12, v42
	;;#ASMSTART
	s_waitcnt vmcnt(3)
	;;#ASMEND
	ds_write2_b32 v31, v12, v13 offset1:32
	ds_write2_b32 v31, v14, v15 offset0:64 offset1:96
	v_add_u32_e32 v12, 0x400, v31
	;;#ASMSTART
	s_waitcnt vmcnt(2)
	;;#ASMEND
	ds_write2_b32 v12, v8, v9 offset1:32
	ds_write2_b32 v12, v10, v11 offset0:64 offset1:96
	v_add_u32_e32 v8, 0x800, v31
	;; [unrolled: 6-line block ×3, first 2 shown]
	v_add_u32_e32 v46, s17, v46
	;;#ASMSTART
	s_waitcnt vmcnt(0)
	;;#ASMEND
	ds_write2_b32 v4, v0, v1 offset1:32
	ds_write2_b32 v4, v2, v3 offset0:64 offset1:96
	v_add_u32_e32 v0, 1, v34
	v_add_u32_e32 v10, s17, v29
	v_cmp_le_i32_e32 vcc, s36, v46
	ds_write_b32 v30, v0
	v_add_u32_e32 v0, 2, v34
	s_or_b64 s[28:29], vcc, s[28:29]
	v_cmp_lt_i32_e32 vcc, 9, v10
	s_nop 1
	v_cndmask_b32_e32 v34, v34, v0, vcc
	s_andn2_b64 exec, exec, s[28:29]
	s_cbranch_execz .LBB161_4
.LBB161_44:                             ;   Parent Loop BB161_7 Depth=1
                                        ; =>  This Loop Header: Depth=2
                                        ;       Child Loop BB161_46 Depth 3
	v_cmp_gt_i32_e32 vcc, 10, v10
	s_nop 1
	v_cndmask_b32_e64 v0, -10, 0, vcc
	v_add_u32_e32 v29, v0, v10
	v_lshrrev_b32_e32 v0, 31, v46
	v_add_u32_e32 v0, v46, v0
	v_and_b32_e32 v1, 0xffffffe, v0
	v_sub_u32_e32 v1, v46, v1
	v_lshlrev_b32_e32 v1, 4, v1
	v_cmp_le_i32_e32 vcc, v1, v28
	v_lshlrev_b32_e32 v0, 7, v0
	v_and_b32_e32 v0, 0xffffff00, v0
	v_cndmask_b32_e32 v2, 0, v1, vcc
	v_ashrrev_i32_e32 v1, 31, v0
	v_mul_lo_u32 v2, v2, s14
	v_lshl_add_u64 v[0:1], v[26:27], 0, v[0:1]
	v_ashrrev_i32_e32 v3, 31, v2
	v_lshl_add_u64 v[0:1], v[0:1], 0, v[2:3]
	v_lshlrev_b32_e32 v30, 2, v29
	;;#ASMSTART
	global_load_dwordx4 v[12:15], v[0:1], off offset:0    
	global_load_dwordx4 v[8:11], v[0:1], off offset:64   
	;; [unrolled: 1-line block ×4, first 2 shown]
	
	;;#ASMEND
	ds_read_b32 v31, v30 offset:61440
	v_add_u32_e32 v30, 0xf000, v30
	s_waitcnt lgkmcnt(0)
	v_cmp_ne_u32_e32 vcc, v31, v34
	s_and_saveexec_b64 s[30:31], vcc
	s_cbranch_execz .LBB161_43
; %bb.45:                               ;   in Loop: Header=BB161_44 Depth=2
	s_mov_b64 s[34:35], 0
.LBB161_46:                             ;   Parent Loop BB161_7 Depth=1
                                        ;     Parent Loop BB161_44 Depth=2
                                        ; =>    This Inner Loop Header: Depth=3
	;;#ASMSTART
	s_sleep 0
	;;#ASMEND
	ds_read_b32 v31, v30
	s_waitcnt lgkmcnt(0)
	v_cmp_eq_u32_e32 vcc, v31, v34
	s_or_b64 s[34:35], vcc, s[34:35]
	s_andn2_b64 exec, exec, s[34:35]
	s_cbranch_execnz .LBB161_46
	s_branch .LBB161_43
.LBB161_47:
	s_endpgm
	.section	.rodata,"a",@progbits
	.p2align	6, 0x0
	.amdhsa_kernel _Z19_skinny_gemm_kernelILi2ELi1ELi5ELi16ELi8EEvPKhS1_P6__halfPKfiiiiiiii
		.amdhsa_group_segment_fixed_size 61500
		.amdhsa_private_segment_fixed_size 0
		.amdhsa_kernarg_size 64
		.amdhsa_user_sgpr_count 2
		.amdhsa_user_sgpr_dispatch_ptr 0
		.amdhsa_user_sgpr_queue_ptr 0
		.amdhsa_user_sgpr_kernarg_segment_ptr 1
		.amdhsa_user_sgpr_dispatch_id 0
		.amdhsa_user_sgpr_kernarg_preload_length 0
		.amdhsa_user_sgpr_kernarg_preload_offset 0
		.amdhsa_user_sgpr_private_segment_size 0
		.amdhsa_uses_dynamic_stack 0
		.amdhsa_enable_private_segment 0
		.amdhsa_system_sgpr_workgroup_id_x 1
		.amdhsa_system_sgpr_workgroup_id_y 0
		.amdhsa_system_sgpr_workgroup_id_z 0
		.amdhsa_system_sgpr_workgroup_info 0
		.amdhsa_system_vgpr_workitem_id 0
		.amdhsa_next_free_vgpr 58
		.amdhsa_next_free_sgpr 56
		.amdhsa_accum_offset 60
		.amdhsa_reserve_vcc 1
		.amdhsa_float_round_mode_32 0
		.amdhsa_float_round_mode_16_64 0
		.amdhsa_float_denorm_mode_32 3
		.amdhsa_float_denorm_mode_16_64 3
		.amdhsa_dx10_clamp 1
		.amdhsa_ieee_mode 1
		.amdhsa_fp16_overflow 0
		.amdhsa_tg_split 0
		.amdhsa_exception_fp_ieee_invalid_op 0
		.amdhsa_exception_fp_denorm_src 0
		.amdhsa_exception_fp_ieee_div_zero 0
		.amdhsa_exception_fp_ieee_overflow 0
		.amdhsa_exception_fp_ieee_underflow 0
		.amdhsa_exception_fp_ieee_inexact 0
		.amdhsa_exception_int_div_zero 0
	.end_amdhsa_kernel
	.section	.text._Z19_skinny_gemm_kernelILi2ELi1ELi5ELi16ELi8EEvPKhS1_P6__halfPKfiiiiiiii,"axG",@progbits,_Z19_skinny_gemm_kernelILi2ELi1ELi5ELi16ELi8EEvPKhS1_P6__halfPKfiiiiiiii,comdat
.Lfunc_end161:
	.size	_Z19_skinny_gemm_kernelILi2ELi1ELi5ELi16ELi8EEvPKhS1_P6__halfPKfiiiiiiii, .Lfunc_end161-_Z19_skinny_gemm_kernelILi2ELi1ELi5ELi16ELi8EEvPKhS1_P6__halfPKfiiiiiiii
                                        ; -- End function
	.set _Z19_skinny_gemm_kernelILi2ELi1ELi5ELi16ELi8EEvPKhS1_P6__halfPKfiiiiiiii.num_vgpr, 58
	.set _Z19_skinny_gemm_kernelILi2ELi1ELi5ELi16ELi8EEvPKhS1_P6__halfPKfiiiiiiii.num_agpr, 0
	.set _Z19_skinny_gemm_kernelILi2ELi1ELi5ELi16ELi8EEvPKhS1_P6__halfPKfiiiiiiii.numbered_sgpr, 56
	.set _Z19_skinny_gemm_kernelILi2ELi1ELi5ELi16ELi8EEvPKhS1_P6__halfPKfiiiiiiii.num_named_barrier, 0
	.set _Z19_skinny_gemm_kernelILi2ELi1ELi5ELi16ELi8EEvPKhS1_P6__halfPKfiiiiiiii.private_seg_size, 0
	.set _Z19_skinny_gemm_kernelILi2ELi1ELi5ELi16ELi8EEvPKhS1_P6__halfPKfiiiiiiii.uses_vcc, 1
	.set _Z19_skinny_gemm_kernelILi2ELi1ELi5ELi16ELi8EEvPKhS1_P6__halfPKfiiiiiiii.uses_flat_scratch, 0
	.set _Z19_skinny_gemm_kernelILi2ELi1ELi5ELi16ELi8EEvPKhS1_P6__halfPKfiiiiiiii.has_dyn_sized_stack, 0
	.set _Z19_skinny_gemm_kernelILi2ELi1ELi5ELi16ELi8EEvPKhS1_P6__halfPKfiiiiiiii.has_recursion, 0
	.set _Z19_skinny_gemm_kernelILi2ELi1ELi5ELi16ELi8EEvPKhS1_P6__halfPKfiiiiiiii.has_indirect_call, 0
	.section	.AMDGPU.csdata,"",@progbits
; Kernel info:
; codeLenInByte = 3704
; TotalNumSgprs: 62
; NumVgprs: 58
; NumAgprs: 0
; TotalNumVgprs: 58
; ScratchSize: 0
; MemoryBound: 0
; FloatMode: 240
; IeeeMode: 1
; LDSByteSize: 61500 bytes/workgroup (compile time only)
; SGPRBlocks: 7
; VGPRBlocks: 7
; NumSGPRsForWavesPerEU: 62
; NumVGPRsForWavesPerEU: 58
; AccumOffset: 60
; Occupancy: 8
; WaveLimiterHint : 0
; COMPUTE_PGM_RSRC2:SCRATCH_EN: 0
; COMPUTE_PGM_RSRC2:USER_SGPR: 2
; COMPUTE_PGM_RSRC2:TRAP_HANDLER: 0
; COMPUTE_PGM_RSRC2:TGID_X_EN: 1
; COMPUTE_PGM_RSRC2:TGID_Y_EN: 0
; COMPUTE_PGM_RSRC2:TGID_Z_EN: 0
; COMPUTE_PGM_RSRC2:TIDIG_COMP_CNT: 0
; COMPUTE_PGM_RSRC3_GFX90A:ACCUM_OFFSET: 14
; COMPUTE_PGM_RSRC3_GFX90A:TG_SPLIT: 0
	.section	.text._Z19_skinny_gemm_kernelILi2ELi1ELi5ELi32ELi4EEvPKhS1_P6__halfPKfiiiiiiii,"axG",@progbits,_Z19_skinny_gemm_kernelILi2ELi1ELi5ELi32ELi4EEvPKhS1_P6__halfPKfiiiiiiii,comdat
	.protected	_Z19_skinny_gemm_kernelILi2ELi1ELi5ELi32ELi4EEvPKhS1_P6__halfPKfiiiiiiii ; -- Begin function _Z19_skinny_gemm_kernelILi2ELi1ELi5ELi32ELi4EEvPKhS1_P6__halfPKfiiiiiiii
	.globl	_Z19_skinny_gemm_kernelILi2ELi1ELi5ELi32ELi4EEvPKhS1_P6__halfPKfiiiiiiii
	.p2align	8
	.type	_Z19_skinny_gemm_kernelILi2ELi1ELi5ELi32ELi4EEvPKhS1_P6__halfPKfiiiiiiii,@function
_Z19_skinny_gemm_kernelILi2ELi1ELi5ELi32ELi4EEvPKhS1_P6__halfPKfiiiiiiii: ; @_Z19_skinny_gemm_kernelILi2ELi1ELi5ELi32ELi4EEvPKhS1_P6__halfPKfiiiiiiii
; %bb.0:
	v_cmp_gt_u32_e32 vcc, 15, v0
	s_and_saveexec_b64 s[4:5], vcc
; %bb.1:
	v_lshlrev_b32_e32 v1, 2, v0
	v_mov_b32_e32 v2, 0
	ds_write_b32 v1, v2 offset:30720
; %bb.2:
	s_or_b64 exec, exec, s[4:5]
	s_load_dwordx8 s[36:43], s[0:1], 0x20
	s_waitcnt lgkmcnt(0)
	s_barrier
	s_add_i32 s3, s36, 63
	s_ashr_i32 s5, s3, 31
	s_add_i32 s4, s37, 31
	s_lshr_b32 s5, s5, 26
	s_ashr_i32 s6, s4, 31
	s_add_i32 s3, s3, s5
	s_ashr_i32 s33, s3, 6
	s_lshr_b32 s3, s6, 27
	s_add_i32 s4, s4, s3
	s_ashr_i32 s62, s4, 5
	s_mul_i32 s3, s62, s33
	s_mul_i32 s3, s3, s40
	s_add_i32 s4, s3, 0x12f
	s_mul_hi_i32 s4, s4, 0x6bca1af3
	s_lshr_b32 s5, s4, 31
	s_ashr_i32 s4, s4, 7
	s_add_i32 s4, s4, s5
	s_add_i32 s5, s2, 1
	s_mul_i32 s5, s4, s5
	v_cvt_f64_i32_e32 v[2:3], s3
	v_cvt_f64_u32_e32 v[4:5], s5
	v_min_f64 v[2:3], v[2:3], v[4:5]
	v_cvt_i32_f64_e32 v46, v[2:3]
	s_mul_i32 s63, s4, s2
	v_cmp_ge_i32_e32 vcc, s63, v46
	s_cbranch_vccnz .LBB162_48
; %bb.3:
	v_lshrrev_b32_e32 v1, 6, v0
	s_add_i32 s4, s42, s41
	s_load_dwordx8 s[44:51], s[0:1], 0x0
	v_cmp_le_i32_e64 s[0:1], s4, v1
	v_mov_b32_e32 v2, s41
	v_cmp_le_i32_e64 s[2:3], s41, v1
	v_mov_b32_e32 v3, s42
	v_cndmask_b32_e64 v3, 0, v3, s[0:1]
	v_cndmask_b32_e64 v2, 0, v2, s[2:3]
	s_abs_i32 s5, s40
	v_add_u32_e32 v2, v2, v3
	v_cvt_f32_u32_e32 v3, s5
	v_sub_u32_e32 v40, v1, v2
	s_ashr_i32 s6, s38, 31
	s_lshr_b32 s6, s6, 26
	v_rcp_iflag_f32_e32 v2, v3
	s_sub_i32 s9, 0, s5
	s_add_i32 s6, s38, s6
	s_ashr_i32 s6, s6, 6
	v_mul_f32_e32 v2, 0x4f7ffffe, v2
	v_cvt_u32_f32_e32 v2, v2
	s_abs_i32 s8, s6
	s_xor_b32 s7, s6, s40
	s_ashr_i32 s7, s7, 31
	v_readfirstlane_b32 s10, v2
	s_mul_i32 s9, s9, s10
	s_mul_hi_u32 s9, s10, s9
	s_add_i32 s10, s10, s9
	s_mul_hi_u32 s9, s8, s10
	s_mul_i32 s10, s9, s5
	s_sub_i32 s8, s8, s10
	s_add_i32 s10, s9, 1
	s_sub_i32 s11, s8, s5
	s_cmp_ge_u32 s8, s5
	s_cselect_b32 s9, s10, s9
	s_cselect_b32 s8, s11, s8
	s_add_i32 s10, s9, 1
	s_cmp_ge_u32 s8, s5
	s_cselect_b32 s5, s10, s9
	s_xor_b32 s5, s5, s7
	s_sub_i32 s64, s5, s7
	s_add_i32 s40, s40, -1
	s_mul_i32 s5, s64, s40
	s_add_i32 s4, s4, s43
	v_and_b32_e32 v48, 31, v0
	v_lshrrev_b32_e32 v2, 3, v0
	s_sub_i32 s65, s6, s5
	v_cmp_gt_i32_e64 s[4:5], s4, v1
	v_lshlrev_b32_e32 v1, 2, v48
	v_and_b32_e32 v3, 4, v2
	v_and_b32_e32 v5, 1, v0
	v_lshlrev_b32_e32 v2, 6, v3
	v_or_b32_e32 v4, 0x5000, v1
	v_or_b32_e32 v3, v3, v5
	v_or_b32_e32 v49, v1, v2
	v_or_b32_e32 v50, v4, v2
	v_lshlrev_b32_e32 v2, 1, v5
	v_or_b32_e32 v5, 2, v3
	v_sub_u32_e32 v60, 32, v5
	v_or_b32_e32 v5, 8, v3
	v_sub_u32_e32 v61, 32, v5
	;; [unrolled: 2-line block ×5, first 2 shown]
	v_mul_lo_u32 v18, s37, v3
	v_sub_u32_e32 v64, 32, v5
	v_or_b32_e32 v5, 24, v3
	v_or_b32_e32 v3, 26, v3
	v_sub_u32_e32 v66, 32, v3
	v_lshrrev_b32_e32 v3, 1, v0
	s_abs_i32 s66, s33
	v_and_b32_e32 v34, 16, v3
	v_cvt_f32_u32_e32 v3, s66
	v_sub_u32_e32 v2, v0, v2
	v_add_u32_e32 v2, 1, v2
	v_and_b32_e32 v6, 63, v2
	v_bitop3_b32 v51, v0, 1, v0 bitop3:0xc
	v_bitop3_b32 v52, v0, 3, 1 bitop3:0x6c
	;; [unrolled: 1-line block ×8, first 2 shown]
	v_and_b32_e32 v2, 30, v0
	v_lshlrev_b32_e32 v0, 4, v0
	v_and_b32_e32 v0, 0x200, v0
	v_rcp_iflag_f32_e32 v3, v3
	s_abs_i32 s67, s62
	v_or_b32_e32 v69, v1, v0
	v_cvt_f32_u32_e32 v1, s67
	s_lshl_b32 s6, s37, 1
	v_add_u32_e32 v20, s6, v18
	s_mul_i32 s7, s37, 6
	v_or_b32_e32 v67, v4, v0
	v_mul_f32_e32 v0, 0x4f7ffffe, v3
	v_add_u32_e32 v22, s7, v20
	v_cvt_u32_f32_e32 v0, v0
	v_rcp_iflag_f32_e32 v1, v1
	v_add_u32_e32 v24, s6, v22
	v_add_u32_e32 v26, s7, v24
	;; [unrolled: 1-line block ×4, first 2 shown]
	v_readfirstlane_b32 s7, v0
	v_mul_f32_e32 v0, 0x4f7ffffe, v1
	v_cvt_u32_f32_e32 v0, v0
	v_add_u32_e32 v32, s6, v30
	s_sub_i32 s6, 0, s66
	s_mul_i32 s6, s6, s7
	s_mul_hi_u32 s6, s7, s6
	s_add_i32 s69, s7, s6
	s_sub_i32 s6, 0, s67
	v_readfirstlane_b32 s7, v0
	v_mbcnt_lo_u32_b32 v0, -1, 0
	s_mul_i32 s6, s6, s7
	v_mbcnt_hi_u32_b32 v0, -1, v0
	v_mov_b32_e32 v17, 0
	v_mul_lo_u32 v36, s39, v48
	s_mul_hi_u32 s6, s7, s6
	v_and_or_b32 v0, v0, 64, v6
	v_cndmask_b32_e64 v47, 0, 1, s[0:1]
	v_ashrrev_i32_e32 v19, 31, v18
	v_ashrrev_i32_e32 v21, 31, v20
	;; [unrolled: 1-line block ×6, first 2 shown]
	v_sub_u32_e32 v65, 32, v5
	v_ashrrev_i32_e32 v31, 31, v30
	v_ashrrev_i32_e32 v33, 31, v32
	;; [unrolled: 1-line block ×3, first 2 shown]
	v_mov_b32_e32 v35, v17
	v_mul_lo_u32 v68, s38, v48
	s_ashr_i32 s68, s33, 31
	s_ashr_i32 s70, s62, 31
	s_add_i32 s71, s7, s6
	v_lshlrev_b32_e32 v16, 1, v2
	v_lshlrev_b32_e32 v70, 2, v0
	v_mov_b32_e32 v71, v40
	s_branch .LBB162_7
.LBB162_4:                              ;   in Loop: Header=BB162_7 Depth=1
	s_or_b64 exec, exec, s[10:11]
.LBB162_5:                              ;   in Loop: Header=BB162_7 Depth=1
	s_or_b64 exec, exec, s[8:9]
	v_subrev_u32_e32 v71, s16, v71
.LBB162_6:                              ;   in Loop: Header=BB162_7 Depth=1
	s_or_b64 exec, exec, s[6:7]
	s_add_i32 s63, s63, 1
	v_cmp_ge_i32_e32 vcc, s63, v46
	s_cbranch_vccnz .LBB162_48
.LBB162_7:                              ; =>This Loop Header: Depth=1
                                        ;     Child Loop BB162_13 Depth 2
                                        ;       Child Loop BB162_15 Depth 3
                                        ;       Child Loop BB162_18 Depth 3
                                        ;     Child Loop BB162_35 Depth 2
                                        ;       Child Loop BB162_37 Depth 3
                                        ;     Child Loop BB162_45 Depth 2
                                        ;       Child Loop BB162_47 Depth 3
	s_abs_i32 s7, s63
	s_mul_hi_u32 s8, s7, s69
	s_mul_i32 s9, s8, s66
	s_ashr_i32 s6, s63, 31
	s_sub_i32 s7, s7, s9
	s_xor_b32 s6, s6, s68
	s_add_i32 s9, s8, 1
	s_sub_i32 s10, s7, s66
	s_cmp_ge_u32 s7, s66
	s_cselect_b32 s8, s9, s8
	s_cselect_b32 s7, s10, s7
	s_add_i32 s9, s8, 1
	s_cmp_ge_u32 s7, s66
	s_cselect_b32 s7, s9, s8
	s_xor_b32 s7, s7, s6
	s_sub_i32 s6, s7, s6
	s_abs_i32 s8, s6
	s_mul_i32 s7, s6, s33
	s_mul_hi_u32 s9, s8, s71
	s_sub_i32 s7, s63, s7
	s_mul_i32 s10, s9, s67
	s_lshl_b32 s72, s7, 6
	s_ashr_i32 s7, s6, 31
	s_sub_i32 s8, s8, s10
	s_xor_b32 s7, s7, s70
	s_add_i32 s10, s9, 1
	s_sub_i32 s11, s8, s67
	s_cmp_ge_u32 s8, s67
	s_cselect_b32 s9, s10, s9
	s_cselect_b32 s8, s11, s8
	s_add_i32 s10, s9, 1
	s_cmp_ge_u32 s8, s67
	s_cselect_b32 s8, s10, s9
	s_xor_b32 s8, s8, s7
	s_sub_i32 s7, s8, s7
	s_mul_i32 s8, s7, s64
	s_lshl_b32 s73, s8, 6
	s_cmp_eq_u32 s7, s40
	s_cselect_b32 s75, s65, s64
	s_sub_i32 s74, s72, s36
	s_add_i32 s74, s74, 64
	s_and_saveexec_b64 s[8:9], s[2:3]
	s_xor_b64 s[52:53], exec, s[8:9]
	s_cbranch_execz .LBB162_41
; %bb.8:                                ;   in Loop: Header=BB162_7 Depth=1
	s_mul_i32 s7, s7, s62
	s_sub_i32 s6, s6, s7
	s_lshl_b32 s6, s6, 5
	s_sub_i32 s14, s6, s37
	s_add_i32 s14, s14, 32
	s_max_i32 s7, s14, 0
	s_sub_i32 s54, s6, s7
	s_and_saveexec_b64 s[6:7], s[0:1]
	s_xor_b64 s[56:57], exec, s[6:7]
	s_cbranch_execz .LBB162_31
; %bb.9:                                ;   in Loop: Header=BB162_7 Depth=1
	s_and_saveexec_b64 s[58:59], s[4:5]
	s_cbranch_execz .LBB162_30
; %bb.10:                               ;   in Loop: Header=BB162_7 Depth=1
	s_waitcnt lgkmcnt(0)
	global_load_dword v72, v17, s[50:51]
	v_mov_b32_e32 v15, 0
	v_cmp_gt_i32_e32 vcc, s75, v71
	v_mov_b32_e32 v14, v15
	v_mov_b32_e32 v13, v15
	;; [unrolled: 1-line block ×15, first 2 shown]
	s_and_saveexec_b64 s[6:7], vcc
	s_cbranch_execz .LBB162_20
; %bb.11:                               ;   in Loop: Header=BB162_7 Depth=1
	v_mov_b32_e32 v0, 0
	s_mov_b64 s[8:9], 0
	v_mov_b32_e32 v1, v0
	v_mov_b32_e32 v2, v0
	;; [unrolled: 1-line block ×15, first 2 shown]
	s_branch .LBB162_13
.LBB162_12:                             ;   in Loop: Header=BB162_13 Depth=2
	s_or_b64 exec, exec, s[10:11]
	v_add_u32_e32 v78, v50, v76
	ds_read2_b32 v[76:77], v78 offset1:32
	v_add_u32_e32 v71, s43, v71
	s_waitcnt lgkmcnt(0)
	v_mfma_f32_32x32x16_fp8_fp8 v[0:15], v[44:45], v[76:77], v[0:15]
	ds_read2_b32 v[44:45], v78 offset0:128 offset1:160
	s_waitcnt lgkmcnt(0)
	v_mfma_f32_32x32x16_fp8_fp8 v[0:15], v[42:43], v[44:45], v[0:15]
	v_add_u32_e32 v44, 0x400, v78
	ds_read2_b32 v[42:43], v44 offset1:32
	ds_read2_b32 v[44:45], v44 offset0:128 offset1:160
	ds_write_b32 v74, v75 offset:30724
	s_waitcnt lgkmcnt(2)
	v_mfma_f32_32x32x16_fp8_fp8 v[0:15], v[40:41], v[42:43], v[0:15]
	v_add_u32_e32 v40, s43, v73
	v_add_u32_e32 v41, 2, v47
	v_cmp_lt_i32_e32 vcc, 4, v40
	s_nop 1
	v_cndmask_b32_e32 v47, v47, v41, vcc
	v_cmp_le_i32_e32 vcc, s75, v71
	s_waitcnt lgkmcnt(1)
	v_mfma_f32_32x32x16_fp8_fp8 v[0:15], v[38:39], v[44:45], v[0:15]
	s_or_b64 s[8:9], vcc, s[8:9]
	s_andn2_b64 exec, exec, s[8:9]
	s_cbranch_execz .LBB162_19
.LBB162_13:                             ;   Parent Loop BB162_7 Depth=1
                                        ; =>  This Loop Header: Depth=2
                                        ;       Child Loop BB162_15 Depth 3
                                        ;       Child Loop BB162_18 Depth 3
	v_cmp_gt_i32_e32 vcc, 5, v40
	s_nop 1
	v_cndmask_b32_e64 v38, -5, 0, vcc
	v_add_u32_e32 v73, v38, v40
	v_lshlrev_b32_e32 v74, 3, v73
	ds_read_b32 v38, v74 offset:30720
	s_waitcnt lgkmcnt(0)
	v_cmp_ne_u32_e32 vcc, v38, v47
	s_and_saveexec_b64 s[10:11], vcc
	s_cbranch_execz .LBB162_16
; %bb.14:                               ;   in Loop: Header=BB162_13 Depth=2
	s_mov_b64 s[12:13], 0
.LBB162_15:                             ;   Parent Loop BB162_7 Depth=1
                                        ;     Parent Loop BB162_13 Depth=2
                                        ; =>    This Inner Loop Header: Depth=3
	;;#ASMSTART
	s_sleep 0
	;;#ASMEND
	ds_read_b32 v38, v74 offset:30720
	s_waitcnt lgkmcnt(0)
	v_cmp_eq_u32_e32 vcc, v38, v47
	s_or_b64 s[12:13], vcc, s[12:13]
	s_andn2_b64 exec, exec, s[12:13]
	s_cbranch_execnz .LBB162_15
.LBB162_16:                             ;   in Loop: Header=BB162_13 Depth=2
	s_or_b64 exec, exec, s[10:11]
	v_lshlrev_b32_e32 v76, 11, v73
	v_or_b32_e32 v38, v49, v76
	ds_read2_b32 v[44:45], v38 offset1:32
	ds_read2_b32 v[42:43], v38 offset0:128 offset1:160
	v_add_u32_e32 v38, 0x400, v38
	ds_read2_b32 v[40:41], v38 offset1:32
	ds_read_b32 v77, v74 offset:30724
	ds_read2_b32 v[38:39], v38 offset0:128 offset1:160
	v_add_u32_e32 v75, 1, v47
	ds_write_b32 v74, v75 offset:30720
	s_waitcnt lgkmcnt(2)
	v_cmp_ne_u32_e32 vcc, v77, v47
	s_and_saveexec_b64 s[10:11], vcc
	s_cbranch_execz .LBB162_12
; %bb.17:                               ;   in Loop: Header=BB162_13 Depth=2
	s_mov_b64 s[12:13], 0
.LBB162_18:                             ;   Parent Loop BB162_7 Depth=1
                                        ;     Parent Loop BB162_13 Depth=2
                                        ; =>    This Inner Loop Header: Depth=3
	;;#ASMSTART
	s_sleep 0
	;;#ASMEND
	ds_read_b32 v77, v74 offset:30724
	s_waitcnt lgkmcnt(0)
	v_cmp_eq_u32_e32 vcc, v77, v47
	s_or_b64 s[12:13], vcc, s[12:13]
	s_andn2_b64 exec, exec, s[12:13]
	s_cbranch_execnz .LBB162_18
	s_branch .LBB162_12
.LBB162_19:                             ;   in Loop: Header=BB162_7 Depth=1
	s_or_b64 exec, exec, s[8:9]
.LBB162_20:                             ;   in Loop: Header=BB162_7 Depth=1
	s_or_b64 exec, exec, s[6:7]
	v_cmp_le_i32_e32 vcc, s14, v48
	v_cmp_eq_u32_e64 s[6:7], 3, v51
	v_cmp_eq_u32_e64 s[8:9], 4, v51
	s_waitcnt vmcnt(0)
	v_cndmask_b32_e32 v38, 0, v72, vcc
	s_nop 1
	v_pk_mul_f32 v[0:1], v[38:39], v[0:1] op_sel_hi:[0,1]
	v_cmp_eq_u32_e32 vcc, 1, v51
	v_pk_mul_f32 v[14:15], v[38:39], v[14:15] op_sel_hi:[0,1]
	v_pk_mul_f32 v[12:13], v[38:39], v[12:13] op_sel_hi:[0,1]
	;; [unrolled: 1-line block ×7, first 2 shown]
	v_cndmask_b32_e32 v38, v0, v1, vcc
	v_cmp_eq_u32_e32 vcc, 2, v51
	v_cmp_eq_u32_e64 s[10:11], 5, v51
	v_cmp_eq_u32_e64 s[12:13], 6, v51
	v_cndmask_b32_e32 v38, v38, v2, vcc
	v_cndmask_b32_e64 v38, v38, v3, s[6:7]
	v_cndmask_b32_e64 v38, v38, v4, s[8:9]
	;; [unrolled: 1-line block ×4, first 2 shown]
	v_cmp_eq_u32_e64 s[14:15], 7, v51
	v_cmp_eq_u32_e64 s[16:17], 8, v51
	v_cmp_eq_u32_e64 s[18:19], 9, v51
	v_cndmask_b32_e64 v38, v38, v7, s[14:15]
	v_cndmask_b32_e64 v38, v38, v8, s[16:17]
	v_cndmask_b32_e64 v38, v38, v9, s[18:19]
	v_cmp_eq_u32_e64 s[20:21], 10, v51
	v_cmp_eq_u32_e64 s[22:23], 11, v51
	v_cmp_eq_u32_e64 s[24:25], 12, v51
	v_cndmask_b32_e64 v38, v38, v10, s[20:21]
	v_cndmask_b32_e64 v38, v38, v11, s[22:23]
	v_cndmask_b32_e64 v38, v38, v12, s[24:25]
	;; [unrolled: 6-line block ×3, first 2 shown]
	ds_bpermute_b32 v38, v70, v38
	v_cmp_eq_u32_e64 s[34:35], 15, v52
	s_waitcnt lgkmcnt(0)
	v_cndmask_b32_e32 v2, v2, v38, vcc
	v_cmp_ne_u32_e32 vcc, 0, v51
	v_cndmask_b32_e64 v15, v15, v38, s[30:31]
	v_cndmask_b32_e64 v14, v14, v38, s[28:29]
	v_cndmask_b32_e32 v1, v1, v38, vcc
	v_cmp_eq_u32_e32 vcc, 0, v51
	v_cndmask_b32_e64 v13, v13, v38, s[26:27]
	v_cndmask_b32_e64 v12, v12, v38, s[24:25]
	v_cndmask_b32_e32 v0, v0, v38, vcc
	v_cmp_eq_u32_e32 vcc, 1, v52
	v_cndmask_b32_e64 v11, v11, v38, s[22:23]
	v_cndmask_b32_e64 v10, v10, v38, s[20:21]
	;; [unrolled: 1-line block ×9, first 2 shown]
	v_cndmask_b32_e32 v38, v0, v1, vcc
	v_cmp_eq_u32_e64 s[6:7], 2, v52
	v_cmp_eq_u32_e64 s[8:9], 3, v52
	v_cmp_eq_u32_e64 s[10:11], 4, v52
	v_cndmask_b32_e64 v38, v38, v2, s[6:7]
	v_cndmask_b32_e64 v38, v38, v3, s[8:9]
	v_cndmask_b32_e64 v38, v38, v4, s[10:11]
	v_cmp_eq_u32_e64 s[12:13], 5, v52
	v_cmp_eq_u32_e64 s[14:15], 6, v52
	v_cmp_eq_u32_e64 s[16:17], 7, v52
	v_cndmask_b32_e64 v38, v38, v5, s[12:13]
	v_cndmask_b32_e64 v38, v38, v6, s[14:15]
	v_cndmask_b32_e64 v38, v38, v7, s[16:17]
	;; [unrolled: 6-line block ×4, first 2 shown]
	v_cmp_eq_u32_e64 s[30:31], 14, v52
	s_nop 1
	v_cndmask_b32_e64 v38, v38, v14, s[30:31]
	v_cndmask_b32_e64 v38, v38, v15, s[34:35]
	ds_bpermute_b32 v38, v70, v38
	s_waitcnt lgkmcnt(0)
	v_cndmask_b32_e32 v1, v1, v38, vcc
	v_cmp_eq_u32_e32 vcc, 0, v52
	v_cndmask_b32_e64 v15, v15, v38, s[34:35]
	v_cndmask_b32_e64 v14, v14, v38, s[30:31]
	v_cndmask_b32_e32 v0, v0, v38, vcc
	v_cmp_eq_u32_e32 vcc, 1, v53
	v_cndmask_b32_e64 v13, v13, v38, s[28:29]
	v_cndmask_b32_e64 v12, v12, v38, s[26:27]
	v_cndmask_b32_e64 v11, v11, v38, s[24:25]
	v_cndmask_b32_e64 v10, v10, v38, s[22:23]
	v_cndmask_b32_e64 v9, v9, v38, s[20:21]
	v_cndmask_b32_e64 v8, v8, v38, s[18:19]
	v_cndmask_b32_e64 v7, v7, v38, s[16:17]
	v_cndmask_b32_e64 v6, v6, v38, s[14:15]
	v_cndmask_b32_e64 v5, v5, v38, s[12:13]
	v_cndmask_b32_e64 v4, v4, v38, s[10:11]
	v_cndmask_b32_e64 v3, v3, v38, s[8:9]
	v_cndmask_b32_e64 v2, v2, v38, s[6:7]
	v_cndmask_b32_e32 v38, v0, v1, vcc
	v_cmp_eq_u32_e64 s[6:7], 2, v53
	v_cmp_eq_u32_e64 s[8:9], 3, v53
	v_cmp_eq_u32_e64 s[10:11], 4, v53
	v_cndmask_b32_e64 v38, v38, v2, s[6:7]
	v_cndmask_b32_e64 v38, v38, v3, s[8:9]
	v_cndmask_b32_e64 v38, v38, v4, s[10:11]
	v_cmp_eq_u32_e64 s[12:13], 5, v53
	v_cmp_eq_u32_e64 s[14:15], 6, v53
	v_cmp_eq_u32_e64 s[16:17], 7, v53
	v_cndmask_b32_e64 v38, v38, v5, s[12:13]
	v_cndmask_b32_e64 v38, v38, v6, s[14:15]
	v_cndmask_b32_e64 v38, v38, v7, s[16:17]
	v_cmp_eq_u32_e64 s[18:19], 8, v53
	v_cmp_eq_u32_e64 s[20:21], 9, v53
	v_cmp_eq_u32_e64 s[22:23], 10, v53
	v_cndmask_b32_e64 v38, v38, v8, s[18:19]
	v_cndmask_b32_e64 v38, v38, v9, s[20:21]
	v_cndmask_b32_e64 v38, v38, v10, s[22:23]
	v_cmp_eq_u32_e64 s[24:25], 11, v53
	v_cmp_eq_u32_e64 s[26:27], 12, v53
	v_cmp_eq_u32_e64 s[28:29], 13, v53
	v_cndmask_b32_e64 v38, v38, v11, s[24:25]
	v_cndmask_b32_e64 v38, v38, v12, s[26:27]
	v_cndmask_b32_e64 v38, v38, v13, s[28:29]
	v_cmp_eq_u32_e64 s[30:31], 14, v53
	v_cmp_eq_u32_e64 s[34:35], 15, v53
	s_nop 0
	v_cndmask_b32_e64 v38, v38, v14, s[30:31]
	v_cndmask_b32_e64 v38, v38, v15, s[34:35]
	ds_bpermute_b32 v38, v70, v38
	s_waitcnt lgkmcnt(0)
	v_cndmask_b32_e32 v1, v1, v38, vcc
	v_cmp_eq_u32_e32 vcc, 0, v53
	v_cndmask_b32_e64 v15, v15, v38, s[34:35]
	v_cndmask_b32_e64 v14, v14, v38, s[30:31]
	v_cndmask_b32_e32 v0, v0, v38, vcc
	v_cmp_eq_u32_e32 vcc, 1, v54
	v_cndmask_b32_e64 v13, v13, v38, s[28:29]
	v_cndmask_b32_e64 v12, v12, v38, s[26:27]
	v_cndmask_b32_e64 v11, v11, v38, s[24:25]
	v_cndmask_b32_e64 v10, v10, v38, s[22:23]
	v_cndmask_b32_e64 v9, v9, v38, s[20:21]
	v_cndmask_b32_e64 v8, v8, v38, s[18:19]
	v_cndmask_b32_e64 v7, v7, v38, s[16:17]
	v_cndmask_b32_e64 v6, v6, v38, s[14:15]
	v_cndmask_b32_e64 v5, v5, v38, s[12:13]
	v_cndmask_b32_e64 v4, v4, v38, s[10:11]
	v_cndmask_b32_e64 v3, v3, v38, s[8:9]
	v_cndmask_b32_e64 v2, v2, v38, s[6:7]
	v_cndmask_b32_e32 v38, v0, v1, vcc
	v_cmp_eq_u32_e64 s[6:7], 2, v54
	v_cmp_eq_u32_e64 s[8:9], 3, v54
	v_cmp_eq_u32_e64 s[10:11], 4, v54
	v_cndmask_b32_e64 v38, v38, v2, s[6:7]
	v_cndmask_b32_e64 v38, v38, v3, s[8:9]
	v_cndmask_b32_e64 v38, v38, v4, s[10:11]
	v_cmp_eq_u32_e64 s[12:13], 5, v54
	v_cmp_eq_u32_e64 s[14:15], 6, v54
	v_cmp_eq_u32_e64 s[16:17], 7, v54
	v_cndmask_b32_e64 v38, v38, v5, s[12:13]
	v_cndmask_b32_e64 v38, v38, v6, s[14:15]
	v_cndmask_b32_e64 v38, v38, v7, s[16:17]
	v_cmp_eq_u32_e64 s[18:19], 8, v54
	v_cmp_eq_u32_e64 s[20:21], 9, v54
	v_cmp_eq_u32_e64 s[22:23], 10, v54
	v_cndmask_b32_e64 v38, v38, v8, s[18:19]
	v_cndmask_b32_e64 v38, v38, v9, s[20:21]
	v_cndmask_b32_e64 v38, v38, v10, s[22:23]
	v_cmp_eq_u32_e64 s[24:25], 11, v54
	v_cmp_eq_u32_e64 s[26:27], 12, v54
	v_cmp_eq_u32_e64 s[28:29], 13, v54
	v_cndmask_b32_e64 v38, v38, v11, s[24:25]
	v_cndmask_b32_e64 v38, v38, v12, s[26:27]
	v_cndmask_b32_e64 v38, v38, v13, s[28:29]
	v_cmp_eq_u32_e64 s[30:31], 14, v54
	;; [unrolled: 50-line block ×4, first 2 shown]
	v_cmp_eq_u32_e64 s[34:35], 15, v56
	s_nop 0
	v_cndmask_b32_e64 v38, v38, v14, s[30:31]
	v_cndmask_b32_e64 v38, v38, v15, s[34:35]
	ds_bpermute_b32 v38, v70, v38
	s_waitcnt lgkmcnt(0)
	v_cndmask_b32_e32 v1, v1, v38, vcc
	v_cmp_eq_u32_e32 vcc, 0, v56
	v_cndmask_b32_e64 v15, v15, v38, s[34:35]
	v_cndmask_b32_e64 v14, v14, v38, s[30:31]
	;; [unrolled: 1-line block ×14, first 2 shown]
	v_cndmask_b32_e32 v38, v0, v38, vcc
	v_cmp_eq_u32_e32 vcc, 1, v57
	v_cmp_eq_u32_e64 s[6:7], 2, v57
	v_cmp_eq_u32_e64 s[8:9], 3, v57
	v_cndmask_b32_e32 v0, v38, v1, vcc
	v_cndmask_b32_e64 v0, v0, v73, s[6:7]
	v_cndmask_b32_e64 v0, v0, v72, s[8:9]
	v_cmp_eq_u32_e64 s[10:11], 4, v57
	v_cmp_eq_u32_e64 s[12:13], 5, v57
	v_cmp_eq_u32_e64 s[14:15], 6, v57
	v_cndmask_b32_e64 v0, v0, v45, s[10:11]
	v_cndmask_b32_e64 v0, v0, v44, s[12:13]
	v_cndmask_b32_e64 v0, v0, v43, s[14:15]
	v_cmp_eq_u32_e64 s[16:17], 7, v57
	v_cmp_eq_u32_e64 s[18:19], 8, v57
	v_cmp_eq_u32_e64 s[20:21], 9, v57
	v_cndmask_b32_e64 v0, v0, v42, s[16:17]
	;; [unrolled: 6-line block ×4, first 2 shown]
	v_cndmask_b32_e64 v0, v0, v14, s[30:31]
	v_cndmask_b32_e64 v0, v0, v15, s[34:35]
	ds_bpermute_b32 v74, v70, v0
	s_waitcnt lgkmcnt(0)
	v_cndmask_b32_e32 v0, v1, v74, vcc
	v_cmp_eq_u32_e32 vcc, 0, v57
	v_cndmask_b32_e64 v4, v15, v74, s[34:35]
	v_cndmask_b32_e64 v15, v73, v74, s[6:7]
	v_cndmask_b32_e32 v1, v38, v74, vcc
	v_cmp_eq_u32_e32 vcc, 1, v58
	v_cndmask_b32_e64 v5, v14, v74, s[30:31]
	v_cndmask_b32_e64 v14, v72, v74, s[8:9]
	;; [unrolled: 4-line block ×7, first 2 shown]
	v_cndmask_b32_e32 v38, v38, v13, vcc
	v_cmp_eq_u32_e32 vcc, 7, v58
	s_nop 1
	v_cndmask_b32_e32 v38, v38, v12, vcc
	v_cmp_eq_u32_e32 vcc, 8, v58
	s_nop 1
	;; [unrolled: 3-line block ×9, first 2 shown]
	v_cndmask_b32_e32 v38, v38, v4, vcc
	ds_bpermute_b32 v38, v70, v38
	v_cmp_lt_i32_e32 vcc, s74, v59
	s_and_saveexec_b64 s[60:61], vcc
	s_cbranch_execz .LBB162_29
; %bb.21:                               ;   in Loop: Header=BB162_7 Depth=1
	s_mul_i32 s6, s72, s37
	s_ashr_i32 s7, s6, 31
	s_lshl_b64 s[6:7], s[6:7], 1
	v_cmp_eq_u32_e64 s[30:31], 1, v58
	s_add_u32 s8, s48, s6
	s_addc_u32 s9, s49, s7
	s_waitcnt lgkmcnt(0)
	v_cndmask_b32_e64 v0, v0, v38, s[30:31]
	v_cmp_eq_u32_e64 s[30:31], 0, v58
	s_ashr_i32 s55, s54, 31
	s_lshl_b64 s[6:7], s[54:55], 1
	v_cndmask_b32_e64 v1, v1, v38, s[30:31]
	v_cvt_f16_f32_e32 v39, v1
	v_cvt_f16_f32_sdwa v41, v0 dst_sel:WORD_1 dst_unused:UNUSED_PAD src0_sel:DWORD
	s_add_u32 s34, s8, s6
	s_addc_u32 s35, s9, s7
	v_cmp_eq_u32_e64 s[8:9], 15, v58
	v_cmp_eq_u32_e64 s[10:11], 14, v58
	;; [unrolled: 1-line block ×10, first 2 shown]
	v_cmp_eq_u32_e32 vcc, 5, v58
	v_cmp_eq_u32_e64 s[6:7], 4, v58
	v_cmp_eq_u32_e64 s[28:29], 3, v58
	;; [unrolled: 1-line block ×3, first 2 shown]
	v_lshl_add_u64 v[0:1], s[34:35], 0, v[16:17]
	v_cmp_lt_i32_e64 s[34:35], s74, v60
	v_lshl_add_u64 v[42:43], v[18:19], 1, v[0:1]
	v_or_b32_e32 v39, v41, v39
	;;#ASMSTART
	global_atomic_pk_add_f16 v[42:43], v39, off
	
	;;#ASMEND
	s_and_b64 exec, exec, s[34:35]
	s_cbranch_execz .LBB162_29
; %bb.22:                               ;   in Loop: Header=BB162_7 Depth=1
	v_cndmask_b32_e64 v14, v14, v38, s[28:29]
	v_cndmask_b32_e64 v15, v15, v38, s[30:31]
	v_cvt_f16_f32_e32 v39, v15
	v_cvt_f16_f32_sdwa v41, v14 dst_sel:WORD_1 dst_unused:UNUSED_PAD src0_sel:DWORD
	v_cndmask_b32_e64 v4, v4, v38, s[8:9]
	v_cndmask_b32_e64 v5, v5, v38, s[10:11]
	;; [unrolled: 1-line block ×10, first 2 shown]
	v_cndmask_b32_e32 v2, v2, v38, vcc
	v_cndmask_b32_e64 v3, v3, v38, s[6:7]
	v_cmp_lt_i32_e32 vcc, s74, v61
	v_lshl_add_u64 v[14:15], v[20:21], 1, v[0:1]
	v_or_b32_e32 v38, v41, v39
	;;#ASMSTART
	global_atomic_pk_add_f16 v[14:15], v38, off
	
	;;#ASMEND
	s_and_b64 exec, exec, vcc
	s_cbranch_execz .LBB162_29
; %bb.23:                               ;   in Loop: Header=BB162_7 Depth=1
	v_cvt_f16_f32_e32 v14, v3
	v_cvt_f16_f32_sdwa v15, v2 dst_sel:WORD_1 dst_unused:UNUSED_PAD src0_sel:DWORD
	v_cmp_lt_i32_e32 vcc, s74, v62
	v_lshl_add_u64 v[2:3], v[22:23], 1, v[0:1]
	v_or_b32_e32 v14, v15, v14
	;;#ASMSTART
	global_atomic_pk_add_f16 v[2:3], v14, off
	
	;;#ASMEND
	s_and_b64 exec, exec, vcc
	s_cbranch_execz .LBB162_29
; %bb.24:                               ;   in Loop: Header=BB162_7 Depth=1
	v_cvt_f16_f32_e32 v13, v13
	v_cvt_f16_f32_sdwa v12, v12 dst_sel:WORD_1 dst_unused:UNUSED_PAD src0_sel:DWORD
	;; [unrolled: 12-line block ×6, first 2 shown]
	v_lshl_add_u64 v[0:1], v[32:33], 1, v[0:1]
	v_or_b32_e32 v2, v3, v2
	;;#ASMSTART
	global_atomic_pk_add_f16 v[0:1], v2, off
	
	;;#ASMEND
.LBB162_29:                             ;   in Loop: Header=BB162_7 Depth=1
	s_or_b64 exec, exec, s[60:61]
	v_subrev_u32_e32 v71, s75, v71
.LBB162_30:                             ;   in Loop: Header=BB162_7 Depth=1
	s_or_b64 exec, exec, s[58:59]
.LBB162_31:                             ;   in Loop: Header=BB162_7 Depth=1
	s_andn2_saveexec_b64 s[6:7], s[56:57]
	s_cbranch_execz .LBB162_40
; %bb.32:                               ;   in Loop: Header=BB162_7 Depth=1
	v_cmp_gt_i32_e32 vcc, s75, v71
	s_and_saveexec_b64 s[8:9], vcc
	s_cbranch_execz .LBB162_39
; %bb.33:                               ;   in Loop: Header=BB162_7 Depth=1
	s_mul_i32 s10, s54, s39
	s_ashr_i32 s11, s10, 31
	s_waitcnt lgkmcnt(0)
	s_add_u32 s10, s46, s10
	s_addc_u32 s11, s47, s11
	s_ashr_i32 s12, s73, 31
	s_add_u32 s10, s10, s73
	s_addc_u32 s11, s11, s12
	v_lshl_add_u64 v[0:1], s[10:11], 0, v[36:37]
	v_lshl_add_u64 v[8:9], v[0:1], 0, v[34:35]
	s_mov_b64 s[10:11], 0
	s_branch .LBB162_35
.LBB162_34:                             ;   in Loop: Header=BB162_35 Depth=2
	s_or_b64 exec, exec, s[12:13]
	v_lshl_add_u32 v12, v10, 11, v67
	;;#ASMSTART
	s_waitcnt vmcnt(1)
	;;#ASMEND
	ds_write2_b32 v12, v4, v5 offset1:32
	ds_write2_b32 v12, v6, v7 offset0:64 offset1:96
	v_add_u32_e32 v4, 0x400, v12
	v_add_u32_e32 v71, s42, v71
	;;#ASMSTART
	s_waitcnt vmcnt(0)
	;;#ASMEND
	ds_write2_b32 v4, v0, v1 offset1:32
	ds_write2_b32 v4, v2, v3 offset0:64 offset1:96
	v_add_u32_e32 v0, 1, v47
	v_add_u32_e32 v40, s42, v10
	v_cmp_le_i32_e32 vcc, s75, v71
	ds_write_b32 v11, v0 offset:40
	v_add_u32_e32 v0, 2, v47
	s_or_b64 s[10:11], vcc, s[10:11]
	v_cmp_lt_i32_e32 vcc, 4, v40
	s_nop 1
	v_cndmask_b32_e32 v47, v47, v0, vcc
	s_andn2_b64 exec, exec, s[10:11]
	s_cbranch_execz .LBB162_38
.LBB162_35:                             ;   Parent Loop BB162_7 Depth=1
                                        ; =>  This Loop Header: Depth=2
                                        ;       Child Loop BB162_37 Depth 3
	v_cmp_gt_i32_e32 vcc, 5, v40
	s_nop 1
	v_cndmask_b32_e64 v0, -5, 0, vcc
	v_add_u32_e32 v10, v0, v40
	v_lshlrev_b32_e32 v0, 6, v71
	v_ashrrev_i32_e32 v1, 31, v0
	v_lshl_add_u64 v[0:1], v[8:9], 0, v[0:1]
	v_lshlrev_b32_e32 v11, 2, v10
	;;#ASMSTART
	global_load_dwordx4 v[4:7], v[0:1], off offset:0   sc0 sc1 nt  
	global_load_dwordx4 v[0:3], v[0:1], off offset:32  sc0 sc1 nt  
	
	;;#ASMEND
	ds_read_b32 v12, v11 offset:30760
	v_add_u32_e32 v11, 0x7800, v11
	s_waitcnt lgkmcnt(0)
	v_cmp_ne_u32_e32 vcc, v12, v47
	s_and_saveexec_b64 s[12:13], vcc
	s_cbranch_execz .LBB162_34
; %bb.36:                               ;   in Loop: Header=BB162_35 Depth=2
	s_mov_b64 s[14:15], 0
.LBB162_37:                             ;   Parent Loop BB162_7 Depth=1
                                        ;     Parent Loop BB162_35 Depth=2
                                        ; =>    This Inner Loop Header: Depth=3
	;;#ASMSTART
	s_sleep 0
	;;#ASMEND
	ds_read_b32 v12, v11 offset:40
	s_waitcnt lgkmcnt(0)
	v_cmp_eq_u32_e32 vcc, v12, v47
	s_or_b64 s[14:15], vcc, s[14:15]
	s_andn2_b64 exec, exec, s[14:15]
	s_cbranch_execnz .LBB162_37
	s_branch .LBB162_34
.LBB162_38:                             ;   in Loop: Header=BB162_7 Depth=1
	s_or_b64 exec, exec, s[10:11]
.LBB162_39:                             ;   in Loop: Header=BB162_7 Depth=1
	s_or_b64 exec, exec, s[8:9]
	v_subrev_u32_e32 v71, s75, v71
.LBB162_40:                             ;   in Loop: Header=BB162_7 Depth=1
	s_or_b64 exec, exec, s[6:7]
.LBB162_41:                             ;   in Loop: Header=BB162_7 Depth=1
	s_andn2_saveexec_b64 s[6:7], s[52:53]
	s_cbranch_execz .LBB162_6
; %bb.42:                               ;   in Loop: Header=BB162_7 Depth=1
	s_lshl_b32 s16, s75, 1
	v_cmp_gt_i32_e32 vcc, s16, v71
	s_and_saveexec_b64 s[8:9], vcc
	s_cbranch_execz .LBB162_5
; %bb.43:                               ;   in Loop: Header=BB162_7 Depth=1
	s_mul_i32 s72, s72, s38
	s_max_i32 s12, s74, 0
	s_ashr_i32 s10, s72, 31
	s_waitcnt lgkmcnt(0)
	s_add_u32 s11, s44, s72
	v_add_u32_e32 v2, s12, v48
	s_addc_u32 s13, s45, s10
	s_ashr_i32 s14, s73, 31
	v_cmp_gt_u32_e32 vcc, 64, v2
	s_add_u32 s10, s11, s73
	s_addc_u32 s11, s13, s14
	v_cndmask_b32_e32 v0, 0, v68, vcc
	v_ashrrev_i32_e32 v1, 31, v0
	v_lshl_add_u64 v[0:1], s[10:11], 0, v[0:1]
	v_lshl_add_u64 v[8:9], v[0:1], 0, v[34:35]
	v_sub_u32_e32 v10, 63, v2
	s_mov_b64 s[10:11], 0
	s_branch .LBB162_45
.LBB162_44:                             ;   in Loop: Header=BB162_45 Depth=2
	s_or_b64 exec, exec, s[12:13]
	v_lshl_or_b32 v13, v11, 11, v69
	;;#ASMSTART
	s_waitcnt vmcnt(1)
	;;#ASMEND
	ds_write2_b32 v13, v4, v5 offset1:32
	ds_write2_b32 v13, v6, v7 offset0:64 offset1:96
	v_add_u32_e32 v4, 0x400, v13
	v_add_u32_e32 v71, s41, v71
	;;#ASMSTART
	s_waitcnt vmcnt(0)
	;;#ASMEND
	ds_write2_b32 v4, v0, v1 offset1:32
	ds_write2_b32 v4, v2, v3 offset0:64 offset1:96
	v_add_u32_e32 v0, 1, v47
	v_add_u32_e32 v40, s41, v11
	v_cmp_le_i32_e32 vcc, s16, v71
	ds_write_b32 v12, v0
	v_add_u32_e32 v0, 2, v47
	s_or_b64 s[10:11], vcc, s[10:11]
	v_cmp_lt_i32_e32 vcc, 9, v40
	s_nop 1
	v_cndmask_b32_e32 v47, v47, v0, vcc
	s_andn2_b64 exec, exec, s[10:11]
	s_cbranch_execz .LBB162_4
.LBB162_45:                             ;   Parent Loop BB162_7 Depth=1
                                        ; =>  This Loop Header: Depth=2
                                        ;       Child Loop BB162_47 Depth 3
	v_cmp_gt_i32_e32 vcc, 10, v40
	s_nop 1
	v_cndmask_b32_e64 v0, -10, 0, vcc
	v_add_u32_e32 v11, v0, v40
	v_lshrrev_b32_e32 v0, 31, v71
	v_add_u32_e32 v0, v71, v0
	v_and_b32_e32 v1, 0x7fffffe, v0
	v_sub_u32_e32 v1, v71, v1
	v_lshlrev_b32_e32 v1, 5, v1
	v_cmp_le_i32_e32 vcc, v1, v10
	v_lshlrev_b32_e32 v0, 5, v0
	v_and_b32_e32 v0, 0xffffffc0, v0
	v_cndmask_b32_e32 v2, 0, v1, vcc
	v_ashrrev_i32_e32 v1, 31, v0
	v_mul_lo_u32 v2, v2, s38
	v_lshl_add_u64 v[0:1], v[8:9], 0, v[0:1]
	v_ashrrev_i32_e32 v3, 31, v2
	v_lshl_add_u64 v[0:1], v[0:1], 0, v[2:3]
	v_lshlrev_b32_e32 v12, 2, v11
	;;#ASMSTART
	global_load_dwordx4 v[4:7], v[0:1], off offset:0   
	global_load_dwordx4 v[0:3], v[0:1], off offset:32  
	
	;;#ASMEND
	ds_read_b32 v13, v12 offset:30720
	v_add_u32_e32 v12, 0x7800, v12
	s_waitcnt lgkmcnt(0)
	v_cmp_ne_u32_e32 vcc, v13, v47
	s_and_saveexec_b64 s[12:13], vcc
	s_cbranch_execz .LBB162_44
; %bb.46:                               ;   in Loop: Header=BB162_45 Depth=2
	s_mov_b64 s[14:15], 0
.LBB162_47:                             ;   Parent Loop BB162_7 Depth=1
                                        ;     Parent Loop BB162_45 Depth=2
                                        ; =>    This Inner Loop Header: Depth=3
	;;#ASMSTART
	s_sleep 0
	;;#ASMEND
	ds_read_b32 v13, v12
	s_waitcnt lgkmcnt(0)
	v_cmp_eq_u32_e32 vcc, v13, v47
	s_or_b64 s[14:15], vcc, s[14:15]
	s_andn2_b64 exec, exec, s[14:15]
	s_cbranch_execnz .LBB162_47
	s_branch .LBB162_44
.LBB162_48:
	s_endpgm
	.section	.rodata,"a",@progbits
	.p2align	6, 0x0
	.amdhsa_kernel _Z19_skinny_gemm_kernelILi2ELi1ELi5ELi32ELi4EEvPKhS1_P6__halfPKfiiiiiiii
		.amdhsa_group_segment_fixed_size 30780
		.amdhsa_private_segment_fixed_size 0
		.amdhsa_kernarg_size 64
		.amdhsa_user_sgpr_count 2
		.amdhsa_user_sgpr_dispatch_ptr 0
		.amdhsa_user_sgpr_queue_ptr 0
		.amdhsa_user_sgpr_kernarg_segment_ptr 1
		.amdhsa_user_sgpr_dispatch_id 0
		.amdhsa_user_sgpr_kernarg_preload_length 0
		.amdhsa_user_sgpr_kernarg_preload_offset 0
		.amdhsa_user_sgpr_private_segment_size 0
		.amdhsa_uses_dynamic_stack 0
		.amdhsa_enable_private_segment 0
		.amdhsa_system_sgpr_workgroup_id_x 1
		.amdhsa_system_sgpr_workgroup_id_y 0
		.amdhsa_system_sgpr_workgroup_id_z 0
		.amdhsa_system_sgpr_workgroup_info 0
		.amdhsa_system_vgpr_workitem_id 0
		.amdhsa_next_free_vgpr 79
		.amdhsa_next_free_sgpr 76
		.amdhsa_accum_offset 80
		.amdhsa_reserve_vcc 1
		.amdhsa_float_round_mode_32 0
		.amdhsa_float_round_mode_16_64 0
		.amdhsa_float_denorm_mode_32 3
		.amdhsa_float_denorm_mode_16_64 3
		.amdhsa_dx10_clamp 1
		.amdhsa_ieee_mode 1
		.amdhsa_fp16_overflow 0
		.amdhsa_tg_split 0
		.amdhsa_exception_fp_ieee_invalid_op 0
		.amdhsa_exception_fp_denorm_src 0
		.amdhsa_exception_fp_ieee_div_zero 0
		.amdhsa_exception_fp_ieee_overflow 0
		.amdhsa_exception_fp_ieee_underflow 0
		.amdhsa_exception_fp_ieee_inexact 0
		.amdhsa_exception_int_div_zero 0
	.end_amdhsa_kernel
	.section	.text._Z19_skinny_gemm_kernelILi2ELi1ELi5ELi32ELi4EEvPKhS1_P6__halfPKfiiiiiiii,"axG",@progbits,_Z19_skinny_gemm_kernelILi2ELi1ELi5ELi32ELi4EEvPKhS1_P6__halfPKfiiiiiiii,comdat
.Lfunc_end162:
	.size	_Z19_skinny_gemm_kernelILi2ELi1ELi5ELi32ELi4EEvPKhS1_P6__halfPKfiiiiiiii, .Lfunc_end162-_Z19_skinny_gemm_kernelILi2ELi1ELi5ELi32ELi4EEvPKhS1_P6__halfPKfiiiiiiii
                                        ; -- End function
	.set _Z19_skinny_gemm_kernelILi2ELi1ELi5ELi32ELi4EEvPKhS1_P6__halfPKfiiiiiiii.num_vgpr, 79
	.set _Z19_skinny_gemm_kernelILi2ELi1ELi5ELi32ELi4EEvPKhS1_P6__halfPKfiiiiiiii.num_agpr, 0
	.set _Z19_skinny_gemm_kernelILi2ELi1ELi5ELi32ELi4EEvPKhS1_P6__halfPKfiiiiiiii.numbered_sgpr, 76
	.set _Z19_skinny_gemm_kernelILi2ELi1ELi5ELi32ELi4EEvPKhS1_P6__halfPKfiiiiiiii.num_named_barrier, 0
	.set _Z19_skinny_gemm_kernelILi2ELi1ELi5ELi32ELi4EEvPKhS1_P6__halfPKfiiiiiiii.private_seg_size, 0
	.set _Z19_skinny_gemm_kernelILi2ELi1ELi5ELi32ELi4EEvPKhS1_P6__halfPKfiiiiiiii.uses_vcc, 1
	.set _Z19_skinny_gemm_kernelILi2ELi1ELi5ELi32ELi4EEvPKhS1_P6__halfPKfiiiiiiii.uses_flat_scratch, 0
	.set _Z19_skinny_gemm_kernelILi2ELi1ELi5ELi32ELi4EEvPKhS1_P6__halfPKfiiiiiiii.has_dyn_sized_stack, 0
	.set _Z19_skinny_gemm_kernelILi2ELi1ELi5ELi32ELi4EEvPKhS1_P6__halfPKfiiiiiiii.has_recursion, 0
	.set _Z19_skinny_gemm_kernelILi2ELi1ELi5ELi32ELi4EEvPKhS1_P6__halfPKfiiiiiiii.has_indirect_call, 0
	.section	.AMDGPU.csdata,"",@progbits
; Kernel info:
; codeLenInByte = 6040
; TotalNumSgprs: 82
; NumVgprs: 79
; NumAgprs: 0
; TotalNumVgprs: 79
; ScratchSize: 0
; MemoryBound: 0
; FloatMode: 240
; IeeeMode: 1
; LDSByteSize: 30780 bytes/workgroup (compile time only)
; SGPRBlocks: 10
; VGPRBlocks: 9
; NumSGPRsForWavesPerEU: 82
; NumVGPRsForWavesPerEU: 79
; AccumOffset: 80
; Occupancy: 6
; WaveLimiterHint : 0
; COMPUTE_PGM_RSRC2:SCRATCH_EN: 0
; COMPUTE_PGM_RSRC2:USER_SGPR: 2
; COMPUTE_PGM_RSRC2:TRAP_HANDLER: 0
; COMPUTE_PGM_RSRC2:TGID_X_EN: 1
; COMPUTE_PGM_RSRC2:TGID_Y_EN: 0
; COMPUTE_PGM_RSRC2:TGID_Z_EN: 0
; COMPUTE_PGM_RSRC2:TIDIG_COMP_CNT: 0
; COMPUTE_PGM_RSRC3_GFX90A:ACCUM_OFFSET: 19
; COMPUTE_PGM_RSRC3_GFX90A:TG_SPLIT: 0
	.section	.text._Z19_skinny_gemm_kernelILi2ELi1ELi5ELi32ELi8EEvPKhS1_P6__halfPKfiiiiiiii,"axG",@progbits,_Z19_skinny_gemm_kernelILi2ELi1ELi5ELi32ELi8EEvPKhS1_P6__halfPKfiiiiiiii,comdat
	.protected	_Z19_skinny_gemm_kernelILi2ELi1ELi5ELi32ELi8EEvPKhS1_P6__halfPKfiiiiiiii ; -- Begin function _Z19_skinny_gemm_kernelILi2ELi1ELi5ELi32ELi8EEvPKhS1_P6__halfPKfiiiiiiii
	.globl	_Z19_skinny_gemm_kernelILi2ELi1ELi5ELi32ELi8EEvPKhS1_P6__halfPKfiiiiiiii
	.p2align	8
	.type	_Z19_skinny_gemm_kernelILi2ELi1ELi5ELi32ELi8EEvPKhS1_P6__halfPKfiiiiiiii,@function
_Z19_skinny_gemm_kernelILi2ELi1ELi5ELi32ELi8EEvPKhS1_P6__halfPKfiiiiiiii: ; @_Z19_skinny_gemm_kernelILi2ELi1ELi5ELi32ELi8EEvPKhS1_P6__halfPKfiiiiiiii
; %bb.0:
	v_cmp_gt_u32_e32 vcc, 15, v0
	s_and_saveexec_b64 s[4:5], vcc
; %bb.1:
	v_lshlrev_b32_e32 v1, 2, v0
	v_mov_b32_e32 v2, 0
	ds_write_b32 v1, v2 offset:61440
; %bb.2:
	s_or_b64 exec, exec, s[4:5]
	s_load_dwordx8 s[36:43], s[0:1], 0x20
	s_waitcnt lgkmcnt(0)
	s_barrier
	s_add_i32 s3, s36, 63
	s_ashr_i32 s5, s3, 31
	s_add_i32 s4, s37, 31
	s_lshr_b32 s5, s5, 26
	s_ashr_i32 s6, s4, 31
	s_add_i32 s3, s3, s5
	s_ashr_i32 s33, s3, 6
	s_lshr_b32 s3, s6, 27
	s_add_i32 s4, s4, s3
	s_ashr_i32 s62, s4, 5
	s_mul_i32 s3, s62, s33
	s_mul_i32 s3, s3, s40
	s_add_i32 s4, s3, 0x12f
	s_mul_hi_i32 s4, s4, 0x6bca1af3
	s_lshr_b32 s5, s4, 31
	s_ashr_i32 s4, s4, 7
	s_add_i32 s4, s4, s5
	s_add_i32 s5, s2, 1
	s_mul_i32 s5, s4, s5
	v_cvt_f64_i32_e32 v[2:3], s3
	v_cvt_f64_u32_e32 v[4:5], s5
	v_min_f64 v[2:3], v[2:3], v[4:5]
	v_cvt_i32_f64_e32 v54, v[2:3]
	s_mul_i32 s63, s4, s2
	v_cmp_ge_i32_e32 vcc, s63, v54
	s_cbranch_vccnz .LBB163_48
; %bb.3:
	v_lshrrev_b32_e32 v1, 6, v0
	s_add_i32 s4, s42, s41
	s_load_dwordx8 s[44:51], s[0:1], 0x0
	v_cmp_le_i32_e64 s[0:1], s4, v1
	v_mov_b32_e32 v2, s41
	v_cmp_le_i32_e64 s[2:3], s41, v1
	v_mov_b32_e32 v3, s42
	v_cndmask_b32_e64 v3, 0, v3, s[0:1]
	v_cndmask_b32_e64 v2, 0, v2, s[2:3]
	s_abs_i32 s5, s40
	v_add_u32_e32 v2, v2, v3
	v_cvt_f32_u32_e32 v3, s5
	v_sub_u32_e32 v40, v1, v2
	s_ashr_i32 s6, s38, 31
	s_lshr_b32 s6, s6, 25
	v_rcp_iflag_f32_e32 v2, v3
	s_sub_i32 s9, 0, s5
	s_add_i32 s6, s38, s6
	s_ashr_i32 s6, s6, 7
	v_mul_f32_e32 v2, 0x4f7ffffe, v2
	v_cvt_u32_f32_e32 v2, v2
	s_abs_i32 s8, s6
	s_xor_b32 s7, s6, s40
	s_ashr_i32 s7, s7, 31
	v_readfirstlane_b32 s10, v2
	s_mul_i32 s9, s9, s10
	s_mul_hi_u32 s9, s10, s9
	s_add_i32 s10, s10, s9
	s_mul_hi_u32 s9, s8, s10
	s_mul_i32 s10, s9, s5
	s_sub_i32 s8, s8, s10
	s_add_i32 s10, s9, 1
	s_sub_i32 s11, s8, s5
	s_cmp_ge_u32 s8, s5
	s_cselect_b32 s9, s10, s9
	s_cselect_b32 s8, s11, s8
	s_add_i32 s10, s9, 1
	s_cmp_ge_u32 s8, s5
	s_cselect_b32 s5, s10, s9
	s_xor_b32 s5, s5, s7
	s_sub_i32 s64, s5, s7
	s_add_i32 s40, s40, -1
	s_mul_i32 s5, s64, s40
	s_add_i32 s4, s4, s43
	v_and_b32_e32 v56, 31, v0
	v_lshrrev_b32_e32 v2, 3, v0
	s_sub_i32 s65, s6, s5
	v_cmp_gt_i32_e64 s[4:5], s4, v1
	v_lshlrev_b32_e32 v1, 2, v56
	v_and_b32_e32 v3, 4, v2
	v_and_b32_e32 v5, 1, v0
	v_lshlrev_b32_e32 v2, 6, v3
	v_or_b32_e32 v4, 0xa000, v1
	v_or_b32_e32 v3, v3, v5
	v_or_b32_e32 v57, v1, v2
	v_or_b32_e32 v58, v4, v2
	v_lshlrev_b32_e32 v2, 1, v5
	v_or_b32_e32 v5, 2, v3
	v_sub_u32_e32 v68, 32, v5
	v_or_b32_e32 v5, 8, v3
	v_sub_u32_e32 v69, 32, v5
	;; [unrolled: 2-line block ×5, first 2 shown]
	v_mul_lo_u32 v18, s37, v3
	v_sub_u32_e32 v72, 32, v5
	v_or_b32_e32 v5, 24, v3
	v_or_b32_e32 v3, 26, v3
	v_sub_u32_e32 v74, 32, v3
	v_lshrrev_b32_e32 v3, 1, v0
	s_abs_i32 s66, s33
	v_and_b32_e32 v34, 16, v3
	v_cvt_f32_u32_e32 v3, s66
	v_sub_u32_e32 v2, v0, v2
	v_add_u32_e32 v2, 1, v2
	v_and_b32_e32 v6, 63, v2
	v_bitop3_b32 v59, v0, 1, v0 bitop3:0xc
	v_bitop3_b32 v60, v0, 3, 1 bitop3:0x6c
	;; [unrolled: 1-line block ×8, first 2 shown]
	v_and_b32_e32 v2, 30, v0
	v_lshlrev_b32_e32 v0, 4, v0
	v_and_b32_e32 v0, 0x200, v0
	v_rcp_iflag_f32_e32 v3, v3
	s_abs_i32 s67, s62
	v_or_b32_e32 v77, v1, v0
	v_cvt_f32_u32_e32 v1, s67
	s_lshl_b32 s6, s37, 1
	v_add_u32_e32 v20, s6, v18
	s_mul_i32 s7, s37, 6
	v_or_b32_e32 v75, v4, v0
	v_mul_f32_e32 v0, 0x4f7ffffe, v3
	v_add_u32_e32 v22, s7, v20
	v_cvt_u32_f32_e32 v0, v0
	v_rcp_iflag_f32_e32 v1, v1
	v_add_u32_e32 v24, s6, v22
	v_add_u32_e32 v26, s7, v24
	;; [unrolled: 1-line block ×4, first 2 shown]
	v_readfirstlane_b32 s7, v0
	v_mul_f32_e32 v0, 0x4f7ffffe, v1
	v_cvt_u32_f32_e32 v0, v0
	v_add_u32_e32 v32, s6, v30
	s_sub_i32 s6, 0, s66
	s_mul_i32 s6, s6, s7
	s_mul_hi_u32 s6, s7, s6
	s_add_i32 s69, s7, s6
	s_sub_i32 s6, 0, s67
	v_readfirstlane_b32 s7, v0
	v_mbcnt_lo_u32_b32 v0, -1, 0
	s_mul_i32 s6, s6, s7
	v_mbcnt_hi_u32_b32 v0, -1, v0
	v_mov_b32_e32 v17, 0
	v_mul_lo_u32 v36, s39, v56
	s_mul_hi_u32 s6, s7, s6
	v_and_or_b32 v0, v0, 64, v6
	v_cndmask_b32_e64 v55, 0, 1, s[0:1]
	v_ashrrev_i32_e32 v19, 31, v18
	v_ashrrev_i32_e32 v21, 31, v20
	v_ashrrev_i32_e32 v23, 31, v22
	v_ashrrev_i32_e32 v25, 31, v24
	v_ashrrev_i32_e32 v27, 31, v26
	v_ashrrev_i32_e32 v29, 31, v28
	v_sub_u32_e32 v73, 32, v5
	v_ashrrev_i32_e32 v31, 31, v30
	v_ashrrev_i32_e32 v33, 31, v32
	;; [unrolled: 1-line block ×3, first 2 shown]
	v_mov_b32_e32 v35, v17
	v_mul_lo_u32 v76, s38, v56
	s_ashr_i32 s68, s33, 31
	s_ashr_i32 s70, s62, 31
	s_add_i32 s71, s7, s6
	v_lshlrev_b32_e32 v16, 1, v2
	v_lshlrev_b32_e32 v78, 2, v0
	v_mov_b32_e32 v79, v40
	s_branch .LBB163_7
.LBB163_4:                              ;   in Loop: Header=BB163_7 Depth=1
	s_or_b64 exec, exec, s[10:11]
.LBB163_5:                              ;   in Loop: Header=BB163_7 Depth=1
	s_or_b64 exec, exec, s[8:9]
	v_subrev_u32_e32 v79, s16, v79
.LBB163_6:                              ;   in Loop: Header=BB163_7 Depth=1
	s_or_b64 exec, exec, s[6:7]
	s_add_i32 s63, s63, 1
	v_cmp_ge_i32_e32 vcc, s63, v54
	s_cbranch_vccnz .LBB163_48
.LBB163_7:                              ; =>This Loop Header: Depth=1
                                        ;     Child Loop BB163_13 Depth 2
                                        ;       Child Loop BB163_15 Depth 3
                                        ;       Child Loop BB163_18 Depth 3
                                        ;     Child Loop BB163_35 Depth 2
                                        ;       Child Loop BB163_37 Depth 3
                                        ;     Child Loop BB163_45 Depth 2
                                        ;       Child Loop BB163_47 Depth 3
	s_abs_i32 s7, s63
	s_mul_hi_u32 s8, s7, s69
	s_mul_i32 s9, s8, s66
	s_ashr_i32 s6, s63, 31
	s_sub_i32 s7, s7, s9
	s_xor_b32 s6, s6, s68
	s_add_i32 s9, s8, 1
	s_sub_i32 s10, s7, s66
	s_cmp_ge_u32 s7, s66
	s_cselect_b32 s8, s9, s8
	s_cselect_b32 s7, s10, s7
	s_add_i32 s9, s8, 1
	s_cmp_ge_u32 s7, s66
	s_cselect_b32 s7, s9, s8
	s_xor_b32 s7, s7, s6
	s_sub_i32 s6, s7, s6
	s_abs_i32 s8, s6
	s_mul_i32 s7, s6, s33
	s_mul_hi_u32 s9, s8, s71
	s_sub_i32 s7, s63, s7
	s_mul_i32 s10, s9, s67
	s_lshl_b32 s72, s7, 6
	s_ashr_i32 s7, s6, 31
	s_sub_i32 s8, s8, s10
	s_xor_b32 s7, s7, s70
	s_add_i32 s10, s9, 1
	s_sub_i32 s11, s8, s67
	s_cmp_ge_u32 s8, s67
	s_cselect_b32 s9, s10, s9
	s_cselect_b32 s8, s11, s8
	s_add_i32 s10, s9, 1
	s_cmp_ge_u32 s8, s67
	s_cselect_b32 s8, s10, s9
	s_xor_b32 s8, s8, s7
	s_sub_i32 s7, s8, s7
	s_mul_i32 s8, s7, s64
	s_lshl_b32 s73, s8, 7
	s_cmp_eq_u32 s7, s40
	s_cselect_b32 s75, s65, s64
	s_sub_i32 s74, s72, s36
	s_add_i32 s74, s74, 64
	s_and_saveexec_b64 s[8:9], s[2:3]
	s_xor_b64 s[52:53], exec, s[8:9]
	s_cbranch_execz .LBB163_41
; %bb.8:                                ;   in Loop: Header=BB163_7 Depth=1
	s_mul_i32 s7, s7, s62
	s_sub_i32 s6, s6, s7
	s_lshl_b32 s6, s6, 5
	s_sub_i32 s14, s6, s37
	s_add_i32 s14, s14, 32
	s_max_i32 s7, s14, 0
	s_sub_i32 s54, s6, s7
	s_and_saveexec_b64 s[6:7], s[0:1]
	s_xor_b64 s[56:57], exec, s[6:7]
	s_cbranch_execz .LBB163_31
; %bb.9:                                ;   in Loop: Header=BB163_7 Depth=1
	s_and_saveexec_b64 s[58:59], s[4:5]
	s_cbranch_execz .LBB163_30
; %bb.10:                               ;   in Loop: Header=BB163_7 Depth=1
	s_waitcnt lgkmcnt(0)
	global_load_dword v80, v17, s[50:51]
	v_mov_b32_e32 v15, 0
	v_cmp_gt_i32_e32 vcc, s75, v79
	v_mov_b32_e32 v14, v15
	v_mov_b32_e32 v13, v15
	;; [unrolled: 1-line block ×15, first 2 shown]
	s_and_saveexec_b64 s[6:7], vcc
	s_cbranch_execz .LBB163_20
; %bb.11:                               ;   in Loop: Header=BB163_7 Depth=1
	v_mov_b32_e32 v0, 0
	s_mov_b64 s[8:9], 0
	v_mov_b32_e32 v1, v0
	v_mov_b32_e32 v2, v0
	;; [unrolled: 1-line block ×15, first 2 shown]
	s_branch .LBB163_13
.LBB163_12:                             ;   in Loop: Header=BB163_13 Depth=2
	s_or_b64 exec, exec, s[10:11]
	v_add_u32_e32 v86, v58, v84
	ds_read2_b32 v[84:85], v86 offset1:32
	v_add_u32_e32 v79, s43, v79
	s_waitcnt lgkmcnt(0)
	v_mfma_f32_32x32x16_fp8_fp8 v[0:15], v[52:53], v[84:85], v[0:15]
	ds_read2_b32 v[52:53], v86 offset0:128 offset1:160
	s_waitcnt lgkmcnt(0)
	v_mfma_f32_32x32x16_fp8_fp8 v[0:15], v[50:51], v[52:53], v[0:15]
	v_add_u32_e32 v52, 0x400, v86
	ds_read2_b32 v[50:51], v52 offset1:32
	s_waitcnt lgkmcnt(0)
	v_mfma_f32_32x32x16_fp8_fp8 v[0:15], v[48:49], v[50:51], v[0:15]
	ds_read2_b32 v[48:49], v52 offset0:128 offset1:160
	s_waitcnt lgkmcnt(0)
	v_mfma_f32_32x32x16_fp8_fp8 v[0:15], v[46:47], v[48:49], v[0:15]
	v_add_u32_e32 v48, 0x800, v86
	ds_read2_b32 v[46:47], v48 offset1:32
	;; [unrolled: 7-line block ×3, first 2 shown]
	ds_read2_b32 v[44:45], v44 offset0:128 offset1:160
	ds_write_b32 v82, v83 offset:61444
	s_waitcnt lgkmcnt(2)
	v_mfma_f32_32x32x16_fp8_fp8 v[0:15], v[40:41], v[42:43], v[0:15]
	v_add_u32_e32 v40, s43, v81
	v_add_u32_e32 v41, 2, v55
	v_cmp_lt_i32_e32 vcc, 4, v40
	s_nop 1
	v_cndmask_b32_e32 v55, v55, v41, vcc
	v_cmp_le_i32_e32 vcc, s75, v79
	s_waitcnt lgkmcnt(1)
	v_mfma_f32_32x32x16_fp8_fp8 v[0:15], v[38:39], v[44:45], v[0:15]
	s_or_b64 s[8:9], vcc, s[8:9]
	s_andn2_b64 exec, exec, s[8:9]
	s_cbranch_execz .LBB163_19
.LBB163_13:                             ;   Parent Loop BB163_7 Depth=1
                                        ; =>  This Loop Header: Depth=2
                                        ;       Child Loop BB163_15 Depth 3
                                        ;       Child Loop BB163_18 Depth 3
	v_cmp_gt_i32_e32 vcc, 5, v40
	s_nop 1
	v_cndmask_b32_e64 v38, -5, 0, vcc
	v_add_u32_e32 v81, v38, v40
	v_lshlrev_b32_e32 v82, 3, v81
	ds_read_b32 v38, v82 offset:61440
	s_waitcnt lgkmcnt(0)
	v_cmp_ne_u32_e32 vcc, v38, v55
	s_and_saveexec_b64 s[10:11], vcc
	s_cbranch_execz .LBB163_16
; %bb.14:                               ;   in Loop: Header=BB163_13 Depth=2
	s_mov_b64 s[12:13], 0
.LBB163_15:                             ;   Parent Loop BB163_7 Depth=1
                                        ;     Parent Loop BB163_13 Depth=2
                                        ; =>    This Inner Loop Header: Depth=3
	;;#ASMSTART
	s_sleep 0
	;;#ASMEND
	ds_read_b32 v38, v82 offset:61440
	s_waitcnt lgkmcnt(0)
	v_cmp_eq_u32_e32 vcc, v38, v55
	s_or_b64 s[12:13], vcc, s[12:13]
	s_andn2_b64 exec, exec, s[12:13]
	s_cbranch_execnz .LBB163_15
.LBB163_16:                             ;   in Loop: Header=BB163_13 Depth=2
	s_or_b64 exec, exec, s[10:11]
	v_lshlrev_b32_e32 v84, 12, v81
	v_or_b32_e32 v38, v57, v84
	v_add_u32_e32 v39, 0x400, v38
	ds_read2_b32 v[52:53], v38 offset1:32
	ds_read2_b32 v[50:51], v38 offset0:128 offset1:160
	ds_read2_b32 v[48:49], v39 offset1:32
	ds_read2_b32 v[46:47], v39 offset0:128 offset1:160
	v_add_u32_e32 v39, 0x800, v38
	v_add_u32_e32 v38, 0xc00, v38
	ds_read2_b32 v[44:45], v39 offset1:32
	ds_read2_b32 v[42:43], v39 offset0:128 offset1:160
	ds_read2_b32 v[40:41], v38 offset1:32
	ds_read_b32 v85, v82 offset:61444
	ds_read2_b32 v[38:39], v38 offset0:128 offset1:160
	v_add_u32_e32 v83, 1, v55
	ds_write_b32 v82, v83 offset:61440
	s_waitcnt lgkmcnt(2)
	v_cmp_ne_u32_e32 vcc, v85, v55
	s_and_saveexec_b64 s[10:11], vcc
	s_cbranch_execz .LBB163_12
; %bb.17:                               ;   in Loop: Header=BB163_13 Depth=2
	s_mov_b64 s[12:13], 0
.LBB163_18:                             ;   Parent Loop BB163_7 Depth=1
                                        ;     Parent Loop BB163_13 Depth=2
                                        ; =>    This Inner Loop Header: Depth=3
	;;#ASMSTART
	s_sleep 0
	;;#ASMEND
	ds_read_b32 v85, v82 offset:61444
	s_waitcnt lgkmcnt(0)
	v_cmp_eq_u32_e32 vcc, v85, v55
	s_or_b64 s[12:13], vcc, s[12:13]
	s_andn2_b64 exec, exec, s[12:13]
	s_cbranch_execnz .LBB163_18
	s_branch .LBB163_12
.LBB163_19:                             ;   in Loop: Header=BB163_7 Depth=1
	s_or_b64 exec, exec, s[8:9]
.LBB163_20:                             ;   in Loop: Header=BB163_7 Depth=1
	s_or_b64 exec, exec, s[6:7]
	v_cmp_le_i32_e32 vcc, s14, v56
	v_cmp_eq_u32_e64 s[6:7], 3, v59
	v_cmp_eq_u32_e64 s[8:9], 4, v59
	s_waitcnt vmcnt(0)
	v_cndmask_b32_e32 v38, 0, v80, vcc
	s_nop 1
	v_pk_mul_f32 v[0:1], v[38:39], v[0:1] op_sel_hi:[0,1]
	v_cmp_eq_u32_e32 vcc, 1, v59
	v_pk_mul_f32 v[14:15], v[38:39], v[14:15] op_sel_hi:[0,1]
	v_pk_mul_f32 v[12:13], v[38:39], v[12:13] op_sel_hi:[0,1]
	;; [unrolled: 1-line block ×7, first 2 shown]
	v_cndmask_b32_e32 v38, v0, v1, vcc
	v_cmp_eq_u32_e32 vcc, 2, v59
	v_cmp_eq_u32_e64 s[10:11], 5, v59
	v_cmp_eq_u32_e64 s[12:13], 6, v59
	v_cndmask_b32_e32 v38, v38, v2, vcc
	v_cndmask_b32_e64 v38, v38, v3, s[6:7]
	v_cndmask_b32_e64 v38, v38, v4, s[8:9]
	;; [unrolled: 1-line block ×4, first 2 shown]
	v_cmp_eq_u32_e64 s[14:15], 7, v59
	v_cmp_eq_u32_e64 s[16:17], 8, v59
	v_cmp_eq_u32_e64 s[18:19], 9, v59
	v_cndmask_b32_e64 v38, v38, v7, s[14:15]
	v_cndmask_b32_e64 v38, v38, v8, s[16:17]
	v_cndmask_b32_e64 v38, v38, v9, s[18:19]
	v_cmp_eq_u32_e64 s[20:21], 10, v59
	v_cmp_eq_u32_e64 s[22:23], 11, v59
	v_cmp_eq_u32_e64 s[24:25], 12, v59
	v_cndmask_b32_e64 v38, v38, v10, s[20:21]
	v_cndmask_b32_e64 v38, v38, v11, s[22:23]
	v_cndmask_b32_e64 v38, v38, v12, s[24:25]
	;; [unrolled: 6-line block ×3, first 2 shown]
	ds_bpermute_b32 v38, v78, v38
	v_cmp_eq_u32_e64 s[34:35], 15, v60
	s_waitcnt lgkmcnt(0)
	v_cndmask_b32_e32 v2, v2, v38, vcc
	v_cmp_ne_u32_e32 vcc, 0, v59
	v_cndmask_b32_e64 v15, v15, v38, s[30:31]
	v_cndmask_b32_e64 v14, v14, v38, s[28:29]
	v_cndmask_b32_e32 v1, v1, v38, vcc
	v_cmp_eq_u32_e32 vcc, 0, v59
	v_cndmask_b32_e64 v13, v13, v38, s[26:27]
	v_cndmask_b32_e64 v12, v12, v38, s[24:25]
	v_cndmask_b32_e32 v0, v0, v38, vcc
	v_cmp_eq_u32_e32 vcc, 1, v60
	v_cndmask_b32_e64 v11, v11, v38, s[22:23]
	v_cndmask_b32_e64 v10, v10, v38, s[20:21]
	;; [unrolled: 1-line block ×9, first 2 shown]
	v_cndmask_b32_e32 v38, v0, v1, vcc
	v_cmp_eq_u32_e64 s[6:7], 2, v60
	v_cmp_eq_u32_e64 s[8:9], 3, v60
	v_cmp_eq_u32_e64 s[10:11], 4, v60
	v_cndmask_b32_e64 v38, v38, v2, s[6:7]
	v_cndmask_b32_e64 v38, v38, v3, s[8:9]
	v_cndmask_b32_e64 v38, v38, v4, s[10:11]
	v_cmp_eq_u32_e64 s[12:13], 5, v60
	v_cmp_eq_u32_e64 s[14:15], 6, v60
	v_cmp_eq_u32_e64 s[16:17], 7, v60
	v_cndmask_b32_e64 v38, v38, v5, s[12:13]
	v_cndmask_b32_e64 v38, v38, v6, s[14:15]
	v_cndmask_b32_e64 v38, v38, v7, s[16:17]
	;; [unrolled: 6-line block ×4, first 2 shown]
	v_cmp_eq_u32_e64 s[30:31], 14, v60
	s_nop 1
	v_cndmask_b32_e64 v38, v38, v14, s[30:31]
	v_cndmask_b32_e64 v38, v38, v15, s[34:35]
	ds_bpermute_b32 v38, v78, v38
	s_waitcnt lgkmcnt(0)
	v_cndmask_b32_e32 v1, v1, v38, vcc
	v_cmp_eq_u32_e32 vcc, 0, v60
	v_cndmask_b32_e64 v15, v15, v38, s[34:35]
	v_cndmask_b32_e64 v14, v14, v38, s[30:31]
	v_cndmask_b32_e32 v0, v0, v38, vcc
	v_cmp_eq_u32_e32 vcc, 1, v61
	v_cndmask_b32_e64 v13, v13, v38, s[28:29]
	v_cndmask_b32_e64 v12, v12, v38, s[26:27]
	v_cndmask_b32_e64 v11, v11, v38, s[24:25]
	v_cndmask_b32_e64 v10, v10, v38, s[22:23]
	v_cndmask_b32_e64 v9, v9, v38, s[20:21]
	v_cndmask_b32_e64 v8, v8, v38, s[18:19]
	v_cndmask_b32_e64 v7, v7, v38, s[16:17]
	v_cndmask_b32_e64 v6, v6, v38, s[14:15]
	v_cndmask_b32_e64 v5, v5, v38, s[12:13]
	v_cndmask_b32_e64 v4, v4, v38, s[10:11]
	v_cndmask_b32_e64 v3, v3, v38, s[8:9]
	v_cndmask_b32_e64 v2, v2, v38, s[6:7]
	v_cndmask_b32_e32 v38, v0, v1, vcc
	v_cmp_eq_u32_e64 s[6:7], 2, v61
	v_cmp_eq_u32_e64 s[8:9], 3, v61
	v_cmp_eq_u32_e64 s[10:11], 4, v61
	v_cndmask_b32_e64 v38, v38, v2, s[6:7]
	v_cndmask_b32_e64 v38, v38, v3, s[8:9]
	v_cndmask_b32_e64 v38, v38, v4, s[10:11]
	v_cmp_eq_u32_e64 s[12:13], 5, v61
	v_cmp_eq_u32_e64 s[14:15], 6, v61
	v_cmp_eq_u32_e64 s[16:17], 7, v61
	v_cndmask_b32_e64 v38, v38, v5, s[12:13]
	v_cndmask_b32_e64 v38, v38, v6, s[14:15]
	v_cndmask_b32_e64 v38, v38, v7, s[16:17]
	v_cmp_eq_u32_e64 s[18:19], 8, v61
	v_cmp_eq_u32_e64 s[20:21], 9, v61
	v_cmp_eq_u32_e64 s[22:23], 10, v61
	v_cndmask_b32_e64 v38, v38, v8, s[18:19]
	v_cndmask_b32_e64 v38, v38, v9, s[20:21]
	v_cndmask_b32_e64 v38, v38, v10, s[22:23]
	v_cmp_eq_u32_e64 s[24:25], 11, v61
	v_cmp_eq_u32_e64 s[26:27], 12, v61
	v_cmp_eq_u32_e64 s[28:29], 13, v61
	v_cndmask_b32_e64 v38, v38, v11, s[24:25]
	v_cndmask_b32_e64 v38, v38, v12, s[26:27]
	v_cndmask_b32_e64 v38, v38, v13, s[28:29]
	v_cmp_eq_u32_e64 s[30:31], 14, v61
	v_cmp_eq_u32_e64 s[34:35], 15, v61
	s_nop 0
	v_cndmask_b32_e64 v38, v38, v14, s[30:31]
	v_cndmask_b32_e64 v38, v38, v15, s[34:35]
	ds_bpermute_b32 v38, v78, v38
	s_waitcnt lgkmcnt(0)
	v_cndmask_b32_e32 v1, v1, v38, vcc
	v_cmp_eq_u32_e32 vcc, 0, v61
	v_cndmask_b32_e64 v15, v15, v38, s[34:35]
	v_cndmask_b32_e64 v14, v14, v38, s[30:31]
	v_cndmask_b32_e32 v0, v0, v38, vcc
	v_cmp_eq_u32_e32 vcc, 1, v62
	v_cndmask_b32_e64 v13, v13, v38, s[28:29]
	v_cndmask_b32_e64 v12, v12, v38, s[26:27]
	v_cndmask_b32_e64 v11, v11, v38, s[24:25]
	v_cndmask_b32_e64 v10, v10, v38, s[22:23]
	v_cndmask_b32_e64 v9, v9, v38, s[20:21]
	v_cndmask_b32_e64 v8, v8, v38, s[18:19]
	v_cndmask_b32_e64 v7, v7, v38, s[16:17]
	v_cndmask_b32_e64 v6, v6, v38, s[14:15]
	v_cndmask_b32_e64 v5, v5, v38, s[12:13]
	v_cndmask_b32_e64 v4, v4, v38, s[10:11]
	v_cndmask_b32_e64 v3, v3, v38, s[8:9]
	v_cndmask_b32_e64 v2, v2, v38, s[6:7]
	v_cndmask_b32_e32 v38, v0, v1, vcc
	v_cmp_eq_u32_e64 s[6:7], 2, v62
	v_cmp_eq_u32_e64 s[8:9], 3, v62
	v_cmp_eq_u32_e64 s[10:11], 4, v62
	v_cndmask_b32_e64 v38, v38, v2, s[6:7]
	v_cndmask_b32_e64 v38, v38, v3, s[8:9]
	v_cndmask_b32_e64 v38, v38, v4, s[10:11]
	v_cmp_eq_u32_e64 s[12:13], 5, v62
	v_cmp_eq_u32_e64 s[14:15], 6, v62
	v_cmp_eq_u32_e64 s[16:17], 7, v62
	v_cndmask_b32_e64 v38, v38, v5, s[12:13]
	v_cndmask_b32_e64 v38, v38, v6, s[14:15]
	v_cndmask_b32_e64 v38, v38, v7, s[16:17]
	v_cmp_eq_u32_e64 s[18:19], 8, v62
	v_cmp_eq_u32_e64 s[20:21], 9, v62
	v_cmp_eq_u32_e64 s[22:23], 10, v62
	v_cndmask_b32_e64 v38, v38, v8, s[18:19]
	v_cndmask_b32_e64 v38, v38, v9, s[20:21]
	v_cndmask_b32_e64 v38, v38, v10, s[22:23]
	v_cmp_eq_u32_e64 s[24:25], 11, v62
	v_cmp_eq_u32_e64 s[26:27], 12, v62
	v_cmp_eq_u32_e64 s[28:29], 13, v62
	v_cndmask_b32_e64 v38, v38, v11, s[24:25]
	v_cndmask_b32_e64 v38, v38, v12, s[26:27]
	v_cndmask_b32_e64 v38, v38, v13, s[28:29]
	v_cmp_eq_u32_e64 s[30:31], 14, v62
	;; [unrolled: 50-line block ×4, first 2 shown]
	v_cmp_eq_u32_e64 s[34:35], 15, v64
	s_nop 0
	v_cndmask_b32_e64 v38, v38, v14, s[30:31]
	v_cndmask_b32_e64 v38, v38, v15, s[34:35]
	ds_bpermute_b32 v38, v78, v38
	s_waitcnt lgkmcnt(0)
	v_cndmask_b32_e32 v1, v1, v38, vcc
	v_cmp_eq_u32_e32 vcc, 0, v64
	v_cndmask_b32_e64 v15, v15, v38, s[34:35]
	v_cndmask_b32_e64 v14, v14, v38, s[30:31]
	;; [unrolled: 1-line block ×14, first 2 shown]
	v_cndmask_b32_e32 v38, v0, v38, vcc
	v_cmp_eq_u32_e32 vcc, 1, v65
	v_cmp_eq_u32_e64 s[6:7], 2, v65
	v_cmp_eq_u32_e64 s[8:9], 3, v65
	v_cndmask_b32_e32 v0, v38, v1, vcc
	v_cndmask_b32_e64 v0, v0, v47, s[6:7]
	v_cndmask_b32_e64 v0, v0, v46, s[8:9]
	v_cmp_eq_u32_e64 s[10:11], 4, v65
	v_cmp_eq_u32_e64 s[12:13], 5, v65
	v_cmp_eq_u32_e64 s[14:15], 6, v65
	v_cndmask_b32_e64 v0, v0, v45, s[10:11]
	v_cndmask_b32_e64 v0, v0, v44, s[12:13]
	v_cndmask_b32_e64 v0, v0, v43, s[14:15]
	v_cmp_eq_u32_e64 s[16:17], 7, v65
	v_cmp_eq_u32_e64 s[18:19], 8, v65
	v_cmp_eq_u32_e64 s[20:21], 9, v65
	v_cndmask_b32_e64 v0, v0, v42, s[16:17]
	;; [unrolled: 6-line block ×4, first 2 shown]
	v_cndmask_b32_e64 v0, v0, v14, s[30:31]
	v_cndmask_b32_e64 v0, v0, v15, s[34:35]
	ds_bpermute_b32 v48, v78, v0
	s_waitcnt lgkmcnt(0)
	v_cndmask_b32_e32 v0, v1, v48, vcc
	v_cmp_eq_u32_e32 vcc, 0, v65
	v_cndmask_b32_e64 v4, v15, v48, s[34:35]
	v_cndmask_b32_e64 v15, v47, v48, s[6:7]
	v_cndmask_b32_e32 v1, v38, v48, vcc
	v_cmp_eq_u32_e32 vcc, 1, v66
	v_cndmask_b32_e64 v5, v14, v48, s[30:31]
	v_cndmask_b32_e64 v14, v46, v48, s[8:9]
	;; [unrolled: 4-line block ×7, first 2 shown]
	v_cndmask_b32_e32 v38, v38, v13, vcc
	v_cmp_eq_u32_e32 vcc, 7, v66
	s_nop 1
	v_cndmask_b32_e32 v38, v38, v12, vcc
	v_cmp_eq_u32_e32 vcc, 8, v66
	s_nop 1
	;; [unrolled: 3-line block ×9, first 2 shown]
	v_cndmask_b32_e32 v38, v38, v4, vcc
	ds_bpermute_b32 v38, v78, v38
	v_cmp_lt_i32_e32 vcc, s74, v67
	s_and_saveexec_b64 s[60:61], vcc
	s_cbranch_execz .LBB163_29
; %bb.21:                               ;   in Loop: Header=BB163_7 Depth=1
	s_mul_i32 s6, s72, s37
	s_ashr_i32 s7, s6, 31
	s_lshl_b64 s[6:7], s[6:7], 1
	v_cmp_eq_u32_e64 s[30:31], 1, v66
	s_add_u32 s8, s48, s6
	s_addc_u32 s9, s49, s7
	s_waitcnt lgkmcnt(0)
	v_cndmask_b32_e64 v0, v0, v38, s[30:31]
	v_cmp_eq_u32_e64 s[30:31], 0, v66
	s_ashr_i32 s55, s54, 31
	s_lshl_b64 s[6:7], s[54:55], 1
	v_cndmask_b32_e64 v1, v1, v38, s[30:31]
	v_cvt_f16_f32_e32 v39, v1
	v_cvt_f16_f32_sdwa v41, v0 dst_sel:WORD_1 dst_unused:UNUSED_PAD src0_sel:DWORD
	s_add_u32 s34, s8, s6
	s_addc_u32 s35, s9, s7
	v_cmp_eq_u32_e64 s[8:9], 15, v66
	v_cmp_eq_u32_e64 s[10:11], 14, v66
	v_cmp_eq_u32_e64 s[12:13], 13, v66
	v_cmp_eq_u32_e64 s[14:15], 12, v66
	v_cmp_eq_u32_e64 s[16:17], 11, v66
	v_cmp_eq_u32_e64 s[18:19], 10, v66
	v_cmp_eq_u32_e64 s[20:21], 9, v66
	v_cmp_eq_u32_e64 s[22:23], 8, v66
	v_cmp_eq_u32_e64 s[24:25], 7, v66
	v_cmp_eq_u32_e64 s[26:27], 6, v66
	v_cmp_eq_u32_e32 vcc, 5, v66
	v_cmp_eq_u32_e64 s[6:7], 4, v66
	v_cmp_eq_u32_e64 s[28:29], 3, v66
	v_cmp_eq_u32_e64 s[30:31], 2, v66
	v_lshl_add_u64 v[0:1], s[34:35], 0, v[16:17]
	v_cmp_lt_i32_e64 s[34:35], s74, v68
	v_lshl_add_u64 v[42:43], v[18:19], 1, v[0:1]
	v_or_b32_e32 v39, v41, v39
	;;#ASMSTART
	global_atomic_pk_add_f16 v[42:43], v39, off
	
	;;#ASMEND
	s_and_b64 exec, exec, s[34:35]
	s_cbranch_execz .LBB163_29
; %bb.22:                               ;   in Loop: Header=BB163_7 Depth=1
	v_cndmask_b32_e64 v14, v14, v38, s[28:29]
	v_cndmask_b32_e64 v15, v15, v38, s[30:31]
	v_cvt_f16_f32_e32 v39, v15
	v_cvt_f16_f32_sdwa v41, v14 dst_sel:WORD_1 dst_unused:UNUSED_PAD src0_sel:DWORD
	v_cndmask_b32_e64 v4, v4, v38, s[8:9]
	v_cndmask_b32_e64 v5, v5, v38, s[10:11]
	;; [unrolled: 1-line block ×10, first 2 shown]
	v_cndmask_b32_e32 v2, v2, v38, vcc
	v_cndmask_b32_e64 v3, v3, v38, s[6:7]
	v_cmp_lt_i32_e32 vcc, s74, v69
	v_lshl_add_u64 v[14:15], v[20:21], 1, v[0:1]
	v_or_b32_e32 v38, v41, v39
	;;#ASMSTART
	global_atomic_pk_add_f16 v[14:15], v38, off
	
	;;#ASMEND
	s_and_b64 exec, exec, vcc
	s_cbranch_execz .LBB163_29
; %bb.23:                               ;   in Loop: Header=BB163_7 Depth=1
	v_cvt_f16_f32_e32 v14, v3
	v_cvt_f16_f32_sdwa v15, v2 dst_sel:WORD_1 dst_unused:UNUSED_PAD src0_sel:DWORD
	v_cmp_lt_i32_e32 vcc, s74, v70
	v_lshl_add_u64 v[2:3], v[22:23], 1, v[0:1]
	v_or_b32_e32 v14, v15, v14
	;;#ASMSTART
	global_atomic_pk_add_f16 v[2:3], v14, off
	
	;;#ASMEND
	s_and_b64 exec, exec, vcc
	s_cbranch_execz .LBB163_29
; %bb.24:                               ;   in Loop: Header=BB163_7 Depth=1
	v_cvt_f16_f32_e32 v13, v13
	v_cvt_f16_f32_sdwa v12, v12 dst_sel:WORD_1 dst_unused:UNUSED_PAD src0_sel:DWORD
	;; [unrolled: 12-line block ×6, first 2 shown]
	v_lshl_add_u64 v[0:1], v[32:33], 1, v[0:1]
	v_or_b32_e32 v2, v3, v2
	;;#ASMSTART
	global_atomic_pk_add_f16 v[0:1], v2, off
	
	;;#ASMEND
.LBB163_29:                             ;   in Loop: Header=BB163_7 Depth=1
	s_or_b64 exec, exec, s[60:61]
	v_subrev_u32_e32 v79, s75, v79
.LBB163_30:                             ;   in Loop: Header=BB163_7 Depth=1
	s_or_b64 exec, exec, s[58:59]
.LBB163_31:                             ;   in Loop: Header=BB163_7 Depth=1
	s_andn2_saveexec_b64 s[6:7], s[56:57]
	s_cbranch_execz .LBB163_40
; %bb.32:                               ;   in Loop: Header=BB163_7 Depth=1
	v_cmp_gt_i32_e32 vcc, s75, v79
	s_and_saveexec_b64 s[8:9], vcc
	s_cbranch_execz .LBB163_39
; %bb.33:                               ;   in Loop: Header=BB163_7 Depth=1
	s_mul_i32 s10, s54, s39
	s_ashr_i32 s11, s10, 31
	s_waitcnt lgkmcnt(0)
	s_add_u32 s10, s46, s10
	s_addc_u32 s11, s47, s11
	s_ashr_i32 s12, s73, 31
	s_add_u32 s10, s10, s73
	s_addc_u32 s11, s11, s12
	v_lshl_add_u64 v[0:1], s[10:11], 0, v[36:37]
	v_lshl_add_u64 v[38:39], v[0:1], 0, v[34:35]
	s_mov_b64 s[10:11], 0
	s_branch .LBB163_35
.LBB163_34:                             ;   in Loop: Header=BB163_35 Depth=2
	s_or_b64 exec, exec, s[12:13]
	v_lshl_add_u32 v42, v40, 12, v75
	;;#ASMSTART
	s_waitcnt vmcnt(3)
	;;#ASMEND
	ds_write2_b32 v42, v12, v13 offset1:32
	ds_write2_b32 v42, v14, v15 offset0:64 offset1:96
	v_add_u32_e32 v12, 0x400, v42
	;;#ASMSTART
	s_waitcnt vmcnt(2)
	;;#ASMEND
	ds_write2_b32 v12, v8, v9 offset1:32
	ds_write2_b32 v12, v10, v11 offset0:64 offset1:96
	v_add_u32_e32 v8, 0x800, v42
	;; [unrolled: 6-line block ×3, first 2 shown]
	v_add_u32_e32 v79, s42, v79
	;;#ASMSTART
	s_waitcnt vmcnt(0)
	;;#ASMEND
	ds_write2_b32 v4, v0, v1 offset1:32
	ds_write2_b32 v4, v2, v3 offset0:64 offset1:96
	v_add_u32_e32 v0, 1, v55
	v_add_u32_e32 v40, s42, v40
	v_cmp_le_i32_e32 vcc, s75, v79
	ds_write_b32 v41, v0 offset:40
	v_add_u32_e32 v0, 2, v55
	s_or_b64 s[10:11], vcc, s[10:11]
	v_cmp_lt_i32_e32 vcc, 4, v40
	s_nop 1
	v_cndmask_b32_e32 v55, v55, v0, vcc
	s_andn2_b64 exec, exec, s[10:11]
	s_cbranch_execz .LBB163_38
.LBB163_35:                             ;   Parent Loop BB163_7 Depth=1
                                        ; =>  This Loop Header: Depth=2
                                        ;       Child Loop BB163_37 Depth 3
	v_cmp_gt_i32_e32 vcc, 5, v40
	s_nop 1
	v_cndmask_b32_e64 v0, -5, 0, vcc
	v_add_u32_e32 v40, v0, v40
	v_lshlrev_b32_e32 v0, 7, v79
	v_ashrrev_i32_e32 v1, 31, v0
	v_lshl_add_u64 v[0:1], v[38:39], 0, v[0:1]
	v_lshlrev_b32_e32 v41, 2, v40
	;;#ASMSTART
	global_load_dwordx4 v[12:15], v[0:1], off offset:0   sc0 sc1 nt  
	global_load_dwordx4 v[8:11], v[0:1], off offset:32  sc0 sc1 nt  
	global_load_dwordx4 v[4:7], v[0:1], off offset:64  sc0 sc1 nt  
	;; [unrolled: 1-line block ×3, first 2 shown]
	
	;;#ASMEND
	ds_read_b32 v42, v41 offset:61480
	v_add_u32_e32 v41, 0xf000, v41
	s_waitcnt lgkmcnt(0)
	v_cmp_ne_u32_e32 vcc, v42, v55
	s_and_saveexec_b64 s[12:13], vcc
	s_cbranch_execz .LBB163_34
; %bb.36:                               ;   in Loop: Header=BB163_35 Depth=2
	s_mov_b64 s[14:15], 0
.LBB163_37:                             ;   Parent Loop BB163_7 Depth=1
                                        ;     Parent Loop BB163_35 Depth=2
                                        ; =>    This Inner Loop Header: Depth=3
	;;#ASMSTART
	s_sleep 0
	;;#ASMEND
	ds_read_b32 v42, v41 offset:40
	s_waitcnt lgkmcnt(0)
	v_cmp_eq_u32_e32 vcc, v42, v55
	s_or_b64 s[14:15], vcc, s[14:15]
	s_andn2_b64 exec, exec, s[14:15]
	s_cbranch_execnz .LBB163_37
	s_branch .LBB163_34
.LBB163_38:                             ;   in Loop: Header=BB163_7 Depth=1
	s_or_b64 exec, exec, s[10:11]
.LBB163_39:                             ;   in Loop: Header=BB163_7 Depth=1
	s_or_b64 exec, exec, s[8:9]
	v_subrev_u32_e32 v79, s75, v79
.LBB163_40:                             ;   in Loop: Header=BB163_7 Depth=1
	s_or_b64 exec, exec, s[6:7]
.LBB163_41:                             ;   in Loop: Header=BB163_7 Depth=1
	s_andn2_saveexec_b64 s[6:7], s[52:53]
	s_cbranch_execz .LBB163_6
; %bb.42:                               ;   in Loop: Header=BB163_7 Depth=1
	s_lshl_b32 s16, s75, 1
	v_cmp_gt_i32_e32 vcc, s16, v79
	s_and_saveexec_b64 s[8:9], vcc
	s_cbranch_execz .LBB163_5
; %bb.43:                               ;   in Loop: Header=BB163_7 Depth=1
	s_mul_i32 s72, s72, s38
	s_max_i32 s12, s74, 0
	s_ashr_i32 s10, s72, 31
	s_waitcnt lgkmcnt(0)
	s_add_u32 s11, s44, s72
	v_add_u32_e32 v2, s12, v56
	s_addc_u32 s13, s45, s10
	s_ashr_i32 s14, s73, 31
	v_cmp_gt_u32_e32 vcc, 64, v2
	s_add_u32 s10, s11, s73
	s_addc_u32 s11, s13, s14
	v_cndmask_b32_e32 v0, 0, v76, vcc
	v_ashrrev_i32_e32 v1, 31, v0
	v_lshl_add_u64 v[0:1], s[10:11], 0, v[0:1]
	v_lshl_add_u64 v[38:39], v[0:1], 0, v[34:35]
	v_sub_u32_e32 v41, 63, v2
	s_mov_b64 s[10:11], 0
	s_branch .LBB163_45
.LBB163_44:                             ;   in Loop: Header=BB163_45 Depth=2
	s_or_b64 exec, exec, s[12:13]
	v_lshl_or_b32 v43, v40, 12, v77
	;;#ASMSTART
	s_waitcnt vmcnt(3)
	;;#ASMEND
	ds_write2_b32 v43, v12, v13 offset1:32
	ds_write2_b32 v43, v14, v15 offset0:64 offset1:96
	v_add_u32_e32 v12, 0x400, v43
	;;#ASMSTART
	s_waitcnt vmcnt(2)
	;;#ASMEND
	ds_write2_b32 v12, v8, v9 offset1:32
	ds_write2_b32 v12, v10, v11 offset0:64 offset1:96
	v_add_u32_e32 v8, 0x800, v43
	;; [unrolled: 6-line block ×3, first 2 shown]
	v_add_u32_e32 v79, s41, v79
	;;#ASMSTART
	s_waitcnt vmcnt(0)
	;;#ASMEND
	ds_write2_b32 v4, v0, v1 offset1:32
	ds_write2_b32 v4, v2, v3 offset0:64 offset1:96
	v_add_u32_e32 v0, 1, v55
	v_add_u32_e32 v40, s41, v40
	v_cmp_le_i32_e32 vcc, s16, v79
	ds_write_b32 v42, v0
	v_add_u32_e32 v0, 2, v55
	s_or_b64 s[10:11], vcc, s[10:11]
	v_cmp_lt_i32_e32 vcc, 9, v40
	s_nop 1
	v_cndmask_b32_e32 v55, v55, v0, vcc
	s_andn2_b64 exec, exec, s[10:11]
	s_cbranch_execz .LBB163_4
.LBB163_45:                             ;   Parent Loop BB163_7 Depth=1
                                        ; =>  This Loop Header: Depth=2
                                        ;       Child Loop BB163_47 Depth 3
	v_cmp_gt_i32_e32 vcc, 10, v40
	s_nop 1
	v_cndmask_b32_e64 v0, -10, 0, vcc
	v_add_u32_e32 v40, v0, v40
	v_lshrrev_b32_e32 v0, 31, v79
	v_add_u32_e32 v0, v79, v0
	v_and_b32_e32 v1, 0x7fffffe, v0
	v_sub_u32_e32 v1, v79, v1
	v_lshlrev_b32_e32 v1, 5, v1
	v_cmp_le_i32_e32 vcc, v1, v41
	v_lshlrev_b32_e32 v0, 6, v0
	v_and_b32_e32 v0, 0xffffff80, v0
	v_cndmask_b32_e32 v2, 0, v1, vcc
	v_ashrrev_i32_e32 v1, 31, v0
	v_mul_lo_u32 v2, v2, s38
	v_lshl_add_u64 v[0:1], v[38:39], 0, v[0:1]
	v_ashrrev_i32_e32 v3, 31, v2
	v_lshl_add_u64 v[0:1], v[0:1], 0, v[2:3]
	v_lshlrev_b32_e32 v42, 2, v40
	;;#ASMSTART
	global_load_dwordx4 v[12:15], v[0:1], off offset:0   
	global_load_dwordx4 v[8:11], v[0:1], off offset:32  
	;; [unrolled: 1-line block ×4, first 2 shown]
	
	;;#ASMEND
	ds_read_b32 v43, v42 offset:61440
	v_add_u32_e32 v42, 0xf000, v42
	s_waitcnt lgkmcnt(0)
	v_cmp_ne_u32_e32 vcc, v43, v55
	s_and_saveexec_b64 s[12:13], vcc
	s_cbranch_execz .LBB163_44
; %bb.46:                               ;   in Loop: Header=BB163_45 Depth=2
	s_mov_b64 s[14:15], 0
.LBB163_47:                             ;   Parent Loop BB163_7 Depth=1
                                        ;     Parent Loop BB163_45 Depth=2
                                        ; =>    This Inner Loop Header: Depth=3
	;;#ASMSTART
	s_sleep 0
	;;#ASMEND
	ds_read_b32 v43, v42
	s_waitcnt lgkmcnt(0)
	v_cmp_eq_u32_e32 vcc, v43, v55
	s_or_b64 s[14:15], vcc, s[14:15]
	s_andn2_b64 exec, exec, s[14:15]
	s_cbranch_execnz .LBB163_47
	s_branch .LBB163_44
.LBB163_48:
	s_endpgm
	.section	.rodata,"a",@progbits
	.p2align	6, 0x0
	.amdhsa_kernel _Z19_skinny_gemm_kernelILi2ELi1ELi5ELi32ELi8EEvPKhS1_P6__halfPKfiiiiiiii
		.amdhsa_group_segment_fixed_size 61500
		.amdhsa_private_segment_fixed_size 0
		.amdhsa_kernarg_size 64
		.amdhsa_user_sgpr_count 2
		.amdhsa_user_sgpr_dispatch_ptr 0
		.amdhsa_user_sgpr_queue_ptr 0
		.amdhsa_user_sgpr_kernarg_segment_ptr 1
		.amdhsa_user_sgpr_dispatch_id 0
		.amdhsa_user_sgpr_kernarg_preload_length 0
		.amdhsa_user_sgpr_kernarg_preload_offset 0
		.amdhsa_user_sgpr_private_segment_size 0
		.amdhsa_uses_dynamic_stack 0
		.amdhsa_enable_private_segment 0
		.amdhsa_system_sgpr_workgroup_id_x 1
		.amdhsa_system_sgpr_workgroup_id_y 0
		.amdhsa_system_sgpr_workgroup_id_z 0
		.amdhsa_system_sgpr_workgroup_info 0
		.amdhsa_system_vgpr_workitem_id 0
		.amdhsa_next_free_vgpr 87
		.amdhsa_next_free_sgpr 76
		.amdhsa_accum_offset 88
		.amdhsa_reserve_vcc 1
		.amdhsa_float_round_mode_32 0
		.amdhsa_float_round_mode_16_64 0
		.amdhsa_float_denorm_mode_32 3
		.amdhsa_float_denorm_mode_16_64 3
		.amdhsa_dx10_clamp 1
		.amdhsa_ieee_mode 1
		.amdhsa_fp16_overflow 0
		.amdhsa_tg_split 0
		.amdhsa_exception_fp_ieee_invalid_op 0
		.amdhsa_exception_fp_denorm_src 0
		.amdhsa_exception_fp_ieee_div_zero 0
		.amdhsa_exception_fp_ieee_overflow 0
		.amdhsa_exception_fp_ieee_underflow 0
		.amdhsa_exception_fp_ieee_inexact 0
		.amdhsa_exception_int_div_zero 0
	.end_amdhsa_kernel
	.section	.text._Z19_skinny_gemm_kernelILi2ELi1ELi5ELi32ELi8EEvPKhS1_P6__halfPKfiiiiiiii,"axG",@progbits,_Z19_skinny_gemm_kernelILi2ELi1ELi5ELi32ELi8EEvPKhS1_P6__halfPKfiiiiiiii,comdat
.Lfunc_end163:
	.size	_Z19_skinny_gemm_kernelILi2ELi1ELi5ELi32ELi8EEvPKhS1_P6__halfPKfiiiiiiii, .Lfunc_end163-_Z19_skinny_gemm_kernelILi2ELi1ELi5ELi32ELi8EEvPKhS1_P6__halfPKfiiiiiiii
                                        ; -- End function
	.set _Z19_skinny_gemm_kernelILi2ELi1ELi5ELi32ELi8EEvPKhS1_P6__halfPKfiiiiiiii.num_vgpr, 87
	.set _Z19_skinny_gemm_kernelILi2ELi1ELi5ELi32ELi8EEvPKhS1_P6__halfPKfiiiiiiii.num_agpr, 0
	.set _Z19_skinny_gemm_kernelILi2ELi1ELi5ELi32ELi8EEvPKhS1_P6__halfPKfiiiiiiii.numbered_sgpr, 76
	.set _Z19_skinny_gemm_kernelILi2ELi1ELi5ELi32ELi8EEvPKhS1_P6__halfPKfiiiiiiii.num_named_barrier, 0
	.set _Z19_skinny_gemm_kernelILi2ELi1ELi5ELi32ELi8EEvPKhS1_P6__halfPKfiiiiiiii.private_seg_size, 0
	.set _Z19_skinny_gemm_kernelILi2ELi1ELi5ELi32ELi8EEvPKhS1_P6__halfPKfiiiiiiii.uses_vcc, 1
	.set _Z19_skinny_gemm_kernelILi2ELi1ELi5ELi32ELi8EEvPKhS1_P6__halfPKfiiiiiiii.uses_flat_scratch, 0
	.set _Z19_skinny_gemm_kernelILi2ELi1ELi5ELi32ELi8EEvPKhS1_P6__halfPKfiiiiiiii.has_dyn_sized_stack, 0
	.set _Z19_skinny_gemm_kernelILi2ELi1ELi5ELi32ELi8EEvPKhS1_P6__halfPKfiiiiiiii.has_recursion, 0
	.set _Z19_skinny_gemm_kernelILi2ELi1ELi5ELi32ELi8EEvPKhS1_P6__halfPKfiiiiiiii.has_indirect_call, 0
	.section	.AMDGPU.csdata,"",@progbits
; Kernel info:
; codeLenInByte = 6408
; TotalNumSgprs: 82
; NumVgprs: 87
; NumAgprs: 0
; TotalNumVgprs: 87
; ScratchSize: 0
; MemoryBound: 0
; FloatMode: 240
; IeeeMode: 1
; LDSByteSize: 61500 bytes/workgroup (compile time only)
; SGPRBlocks: 10
; VGPRBlocks: 10
; NumSGPRsForWavesPerEU: 82
; NumVGPRsForWavesPerEU: 87
; AccumOffset: 88
; Occupancy: 5
; WaveLimiterHint : 0
; COMPUTE_PGM_RSRC2:SCRATCH_EN: 0
; COMPUTE_PGM_RSRC2:USER_SGPR: 2
; COMPUTE_PGM_RSRC2:TRAP_HANDLER: 0
; COMPUTE_PGM_RSRC2:TGID_X_EN: 1
; COMPUTE_PGM_RSRC2:TGID_Y_EN: 0
; COMPUTE_PGM_RSRC2:TGID_Z_EN: 0
; COMPUTE_PGM_RSRC2:TIDIG_COMP_CNT: 0
; COMPUTE_PGM_RSRC3_GFX90A:ACCUM_OFFSET: 21
; COMPUTE_PGM_RSRC3_GFX90A:TG_SPLIT: 0
	.section	.text._Z19_skinny_gemm_kernelILi2ELi1ELi6ELi16ELi4EEvPKhS1_P6__halfPKfiiiiiiii,"axG",@progbits,_Z19_skinny_gemm_kernelILi2ELi1ELi6ELi16ELi4EEvPKhS1_P6__halfPKfiiiiiiii,comdat
	.protected	_Z19_skinny_gemm_kernelILi2ELi1ELi6ELi16ELi4EEvPKhS1_P6__halfPKfiiiiiiii ; -- Begin function _Z19_skinny_gemm_kernelILi2ELi1ELi6ELi16ELi4EEvPKhS1_P6__halfPKfiiiiiiii
	.globl	_Z19_skinny_gemm_kernelILi2ELi1ELi6ELi16ELi4EEvPKhS1_P6__halfPKfiiiiiiii
	.p2align	8
	.type	_Z19_skinny_gemm_kernelILi2ELi1ELi6ELi16ELi4EEvPKhS1_P6__halfPKfiiiiiiii,@function
_Z19_skinny_gemm_kernelILi2ELi1ELi6ELi16ELi4EEvPKhS1_P6__halfPKfiiiiiiii: ; @_Z19_skinny_gemm_kernelILi2ELi1ELi6ELi16ELi4EEvPKhS1_P6__halfPKfiiiiiiii
; %bb.0:
	v_cmp_gt_u32_e32 vcc, 18, v0
	v_lshlrev_b32_e32 v1, 2, v0
	s_and_saveexec_b64 s[4:5], vcc
; %bb.1:
	v_mov_b32_e32 v2, 0
	ds_write_b32 v1, v2 offset:36864
; %bb.2:
	s_or_b64 exec, exec, s[4:5]
	s_load_dwordx8 s[12:19], s[0:1], 0x20
	s_waitcnt lgkmcnt(0)
	s_barrier
	s_add_i32 s3, s12, 31
	s_ashr_i32 s5, s3, 31
	s_add_i32 s4, s13, 15
	s_lshr_b32 s5, s5, 27
	s_ashr_i32 s6, s4, 31
	s_add_i32 s3, s3, s5
	s_ashr_i32 s33, s3, 5
	s_lshr_b32 s3, s6, 28
	s_add_i32 s4, s4, s3
	s_ashr_i32 s42, s4, 4
	s_mul_i32 s3, s42, s33
	s_mul_i32 s3, s3, s16
	s_add_i32 s4, s3, 0x12f
	s_mul_hi_i32 s4, s4, 0x6bca1af3
	s_lshr_b32 s5, s4, 31
	s_ashr_i32 s4, s4, 7
	s_add_i32 s4, s4, s5
	s_add_i32 s5, s2, 1
	s_mul_i32 s5, s4, s5
	v_cvt_f64_i32_e32 v[2:3], s3
	v_cvt_f64_u32_e32 v[4:5], s5
	v_min_f64 v[2:3], v[2:3], v[4:5]
	v_cvt_i32_f64_e32 v9, v[2:3]
	s_mul_i32 s43, s4, s2
	v_cmp_ge_i32_e32 vcc, s43, v9
	s_cbranch_vccnz .LBB164_47
; %bb.3:
	v_lshrrev_b32_e32 v2, 6, v0
	s_add_i32 s4, s18, s17
	s_load_dwordx8 s[20:27], s[0:1], 0x0
	v_cmp_le_i32_e64 s[0:1], s4, v2
	v_mov_b32_e32 v3, s17
	v_cmp_le_i32_e64 s[2:3], s17, v2
	v_mov_b32_e32 v4, s18
	v_cndmask_b32_e64 v4, 0, v4, s[0:1]
	v_cndmask_b32_e64 v3, 0, v3, s[2:3]
	s_abs_i32 s5, s16
	v_add_u32_e32 v3, v3, v4
	v_cvt_f32_u32_e32 v4, s5
	v_sub_u32_e32 v22, v2, v3
	s_ashr_i32 s6, s14, 31
	s_lshr_b32 s6, s6, 25
	v_rcp_iflag_f32_e32 v3, v4
	s_sub_i32 s9, 0, s5
	s_add_i32 s6, s14, s6
	s_ashr_i32 s6, s6, 7
	v_mul_f32_e32 v3, 0x4f7ffffe, v3
	v_cvt_u32_f32_e32 v3, v3
	s_abs_i32 s8, s6
	s_xor_b32 s7, s6, s16
	s_ashr_i32 s7, s7, 31
	v_readfirstlane_b32 s10, v3
	s_mul_i32 s9, s9, s10
	s_mul_hi_u32 s9, s10, s9
	s_add_i32 s10, s10, s9
	s_mul_hi_u32 s9, s8, s10
	s_mul_i32 s10, s9, s5
	s_sub_i32 s8, s8, s10
	s_add_i32 s10, s9, 1
	s_sub_i32 s11, s8, s5
	s_cmp_ge_u32 s8, s5
	s_cselect_b32 s9, s10, s9
	s_cselect_b32 s8, s11, s8
	s_add_i32 s10, s9, 1
	s_cmp_ge_u32 s8, s5
	s_cselect_b32 s5, s10, s9
	s_xor_b32 s5, s5, s7
	s_sub_i32 s44, s5, s7
	s_add_i32 s16, s16, -1
	s_mul_i32 s5, s44, s16
	s_add_i32 s4, s4, s19
	s_sub_i32 s45, s6, s5
	v_cmp_gt_i32_e64 s[4:5], s4, v2
	v_lshlrev_b32_e32 v2, 1, v0
	v_lshlrev_b32_e32 v3, 4, v0
	v_and_b32_e32 v1, 60, v1
	v_and_b32_e32 v2, 64, v2
	;; [unrolled: 1-line block ×3, first 2 shown]
	v_or3_b32 v27, v1, v2, v4
	v_and_b32_e32 v1, 1, v0
	v_lshrrev_b32_e32 v4, 2, v0
	s_abs_i32 s46, s33
	v_and_or_b32 v31, v4, 12, v1
	v_cvt_f32_u32_e32 v4, s46
	v_lshlrev_b32_e32 v2, 1, v1
	v_and_b32_e32 v8, 14, v0
	v_sub_u32_e32 v2, v0, v2
	v_bitop3_b32 v29, v0, 1, v0 bitop3:0xc
	v_bitop3_b32 v30, v0, 3, 1 bitop3:0x6c
	v_and_b32_e32 v14, 48, v3
	v_bfe_u32 v33, v0, 2, 4
	v_and_b32_e32 v1, 60, v0
	v_lshlrev_b32_e32 v3, 8, v0
	v_lshlrev_b32_e32 v0, 6, v0
	v_and_b32_e32 v3, 0x200, v3
	v_and_b32_e32 v0, 64, v0
	v_rcp_iflag_f32_e32 v4, v4
	s_abs_i32 s47, s42
	v_or3_b32 v34, v1, v3, v0
	v_cvt_f32_u32_e32 v1, s47
	v_mul_f32_e32 v0, 0x4f7ffffe, v4
	v_cvt_u32_f32_e32 v0, v0
	v_mad_u64_u32 v[10:11], s[6:7], s13, v31, v[8:9]
	v_rcp_iflag_f32_e32 v1, v1
	v_readfirstlane_b32 s7, v0
	s_sub_i32 s6, 0, s46
	s_mul_i32 s6, s6, s7
	v_mul_f32_e32 v0, 0x4f7ffffe, v1
	v_cvt_u32_f32_e32 v0, v0
	s_mul_hi_u32 s6, s7, s6
	v_add_u32_e32 v2, 1, v2
	s_add_i32 s49, s7, s6
	s_sub_i32 s6, 0, s47
	v_readfirstlane_b32 s7, v0
	v_mbcnt_lo_u32_b32 v0, -1, 0
	v_and_b32_e32 v2, 63, v2
	s_mul_i32 s6, s6, s7
	v_mbcnt_hi_u32_b32 v0, -1, v0
	v_lshl_add_u32 v12, s13, 4, v10
	v_mul_lo_u32 v16, s15, v33
	s_mul_hi_u32 s6, s7, s6
	v_and_or_b32 v0, v0, 64, v2
	v_cndmask_b32_e64 v26, 0, 1, s[0:1]
	v_or_b32_e32 v28, 0x6000, v27
	s_ashr_i32 s11, s13, 31
	s_mov_b32 s10, s13
	v_ashrrev_i32_e32 v11, 31, v10
	v_or_b32_e32 v32, 16, v31
	v_ashrrev_i32_e32 v13, 31, v12
	v_ashrrev_i32_e32 v17, 31, v16
	v_mov_b32_e32 v15, 0
	v_or_b32_e32 v35, 0x6000, v34
	v_mul_lo_u32 v36, s14, v33
	s_ashr_i32 s48, s33, 31
	s_ashr_i32 s50, s42, 31
	s_add_i32 s51, s7, s6
	v_lshlrev_b32_e32 v37, 2, v0
	v_mov_b32_e32 v38, v22
	s_branch .LBB164_7
.LBB164_4:                              ;   in Loop: Header=BB164_7 Depth=1
	s_or_b64 exec, exec, s[28:29]
.LBB164_5:                              ;   in Loop: Header=BB164_7 Depth=1
	s_or_b64 exec, exec, s[8:9]
	v_subrev_u32_e32 v38, s36, v38
.LBB164_6:                              ;   in Loop: Header=BB164_7 Depth=1
	s_or_b64 exec, exec, s[6:7]
	s_add_i32 s43, s43, 1
	v_cmp_ge_i32_e32 vcc, s43, v9
	s_cbranch_vccnz .LBB164_47
.LBB164_7:                              ; =>This Loop Header: Depth=1
                                        ;     Child Loop BB164_13 Depth 2
                                        ;       Child Loop BB164_15 Depth 3
                                        ;       Child Loop BB164_18 Depth 3
	;; [unrolled: 1-line block ×3, first 2 shown]
                                        ;     Child Loop BB164_34 Depth 2
                                        ;       Child Loop BB164_36 Depth 3
                                        ;     Child Loop BB164_44 Depth 2
                                        ;       Child Loop BB164_46 Depth 3
	s_abs_i32 s7, s43
	s_mul_hi_u32 s8, s7, s49
	s_mul_i32 s9, s8, s46
	s_ashr_i32 s6, s43, 31
	s_sub_i32 s7, s7, s9
	s_xor_b32 s6, s6, s48
	s_add_i32 s9, s8, 1
	s_sub_i32 s28, s7, s46
	s_cmp_ge_u32 s7, s46
	s_cselect_b32 s8, s9, s8
	s_cselect_b32 s7, s28, s7
	s_add_i32 s9, s8, 1
	s_cmp_ge_u32 s7, s46
	s_cselect_b32 s7, s9, s8
	s_xor_b32 s7, s7, s6
	s_sub_i32 s6, s7, s6
	s_abs_i32 s8, s6
	s_mul_i32 s7, s6, s33
	s_mul_hi_u32 s9, s8, s51
	s_sub_i32 s7, s43, s7
	s_mul_i32 s28, s9, s47
	s_lshl_b32 s52, s7, 5
	s_ashr_i32 s7, s6, 31
	s_sub_i32 s8, s8, s28
	s_xor_b32 s7, s7, s50
	s_add_i32 s28, s9, 1
	s_sub_i32 s29, s8, s47
	s_cmp_ge_u32 s8, s47
	s_cselect_b32 s9, s28, s9
	s_cselect_b32 s8, s29, s8
	s_add_i32 s28, s9, 1
	s_cmp_ge_u32 s8, s47
	s_cselect_b32 s8, s28, s9
	s_xor_b32 s8, s8, s7
	s_sub_i32 s7, s8, s7
	s_mul_i32 s8, s7, s44
	s_lshl_b32 s53, s8, 7
	s_cmp_eq_u32 s7, s16
	s_cselect_b32 s55, s45, s44
	s_sub_i32 s8, s52, s12
	s_add_i32 s8, s8, 32
	s_max_i32 s54, s8, 0
	s_and_saveexec_b64 s[8:9], s[2:3]
	s_xor_b64 s[28:29], exec, s[8:9]
	s_cbranch_execz .LBB164_40
; %bb.8:                                ;   in Loop: Header=BB164_7 Depth=1
	s_mul_i32 s7, s7, s42
	s_sub_i32 s6, s6, s7
	s_lshl_b32 s6, s6, 4
	s_sub_i32 s31, s6, s13
	s_add_i32 s31, s31, 16
	s_max_i32 s7, s31, 0
	s_sub_i32 s30, s6, s7
	s_and_saveexec_b64 s[6:7], s[0:1]
	s_xor_b64 s[34:35], exec, s[6:7]
	s_cbranch_execz .LBB164_30
; %bb.9:                                ;   in Loop: Header=BB164_7 Depth=1
	s_and_saveexec_b64 s[36:37], s[4:5]
	s_cbranch_execz .LBB164_29
; %bb.10:                               ;   in Loop: Header=BB164_7 Depth=1
	s_waitcnt lgkmcnt(0)
	global_load_dword v39, v15, s[26:27]
	v_mov_b32_e32 v7, 0
	v_cmp_gt_i32_e32 vcc, s55, v38
	v_mov_b32_e32 v6, v7
	v_mov_b32_e32 v5, v7
	;; [unrolled: 1-line block ×7, first 2 shown]
	s_and_saveexec_b64 s[6:7], vcc
	s_cbranch_execz .LBB164_23
; %bb.11:                               ;   in Loop: Header=BB164_7 Depth=1
	v_mov_b32_e32 v0, 0
	s_mov_b64 s[8:9], 0
	v_mov_b32_e32 v1, v0
	v_mov_b32_e32 v2, v0
	;; [unrolled: 1-line block ×7, first 2 shown]
	s_branch .LBB164_13
.LBB164_12:                             ;   in Loop: Header=BB164_13 Depth=2
	s_or_b64 exec, exec, s[38:39]
	v_add_u32_e32 v43, v27, v43
	v_add_u32_e32 v46, 0x800, v43
	ds_read2_b32 v[44:45], v46 offset1:32
	ds_read2_b32 v[46:47], v46 offset0:128 offset1:160
	v_add_u32_e32 v43, 0xc00, v43
	v_add_u32_e32 v38, s19, v38
	v_cmp_le_i32_e32 vcc, s55, v38
	s_waitcnt lgkmcnt(1)
	v_mfma_f32_16x16x32_fp8_fp8 v[0:3], v[44:45], v[22:23], v[0:3]
	ds_read2_b32 v[44:45], v43 offset1:32
	v_add_u32_e32 v22, s19, v40
	v_add_u32_e32 v23, 2, v26
	s_waitcnt lgkmcnt(1)
	v_mfma_f32_16x16x32_fp8_fp8 v[0:3], v[46:47], v[24:25], v[0:3]
	ds_read2_b32 v[24:25], v43 offset0:128 offset1:160
	s_or_b64 s[8:9], vcc, s[8:9]
	v_cmp_lt_i32_e32 vcc, 5, v22
	;;#ASMSTART
	s_waitcnt lgkmcnt(0)
	;;#ASMEND
	s_waitcnt lgkmcnt(1)
	v_mfma_f32_16x16x32_fp8_fp8 v[0:3], v[44:45], v[20:21], v[0:3]
	v_cndmask_b32_e32 v26, v26, v23, vcc
	ds_write_b32 v42, v41 offset:36868
	s_waitcnt lgkmcnt(1)
	v_mfma_f32_16x16x32_fp8_fp8 v[0:3], v[24:25], v[18:19], v[0:3]
	s_andn2_b64 exec, exec, s[8:9]
	s_cbranch_execz .LBB164_22
.LBB164_13:                             ;   Parent Loop BB164_7 Depth=1
                                        ; =>  This Loop Header: Depth=2
                                        ;       Child Loop BB164_15 Depth 3
                                        ;       Child Loop BB164_18 Depth 3
	;; [unrolled: 1-line block ×3, first 2 shown]
	v_cmp_gt_i32_e32 vcc, 6, v22
	s_nop 1
	v_cndmask_b32_e64 v18, -6, 0, vcc
	v_add_u32_e32 v40, v18, v22
	v_lshlrev_b32_e32 v18, 2, v40
	ds_read_b32 v19, v18 offset:36912
	v_add_u32_e32 v42, 0x9000, v18
	s_waitcnt lgkmcnt(0)
	v_cmp_ne_u32_e32 vcc, v19, v26
	s_and_saveexec_b64 s[38:39], vcc
	s_cbranch_execz .LBB164_16
; %bb.14:                               ;   in Loop: Header=BB164_13 Depth=2
	s_mov_b64 s[40:41], 0
.LBB164_15:                             ;   Parent Loop BB164_7 Depth=1
                                        ;     Parent Loop BB164_13 Depth=2
                                        ; =>    This Inner Loop Header: Depth=3
	;;#ASMSTART
	s_sleep 0
	;;#ASMEND
	ds_read_b32 v18, v42 offset:48
	s_waitcnt lgkmcnt(0)
	v_cmp_eq_u32_e32 vcc, v18, v26
	s_or_b64 s[40:41], vcc, s[40:41]
	s_andn2_b64 exec, exec, s[40:41]
	s_cbranch_execnz .LBB164_15
.LBB164_16:                             ;   in Loop: Header=BB164_13 Depth=2
	s_or_b64 exec, exec, s[38:39]
	v_lshl_add_u32 v18, v40, 11, v28
	ds_read2_b32 v[22:23], v18 offset1:32
	ds_read2_b32 v[24:25], v18 offset0:128 offset1:160
	v_add_u32_e32 v18, 0x400, v18
	v_add_u32_e32 v41, 1, v26
	ds_read2_b32 v[20:21], v18 offset1:32
	ds_read2_b32 v[18:19], v18 offset0:128 offset1:160
	;;#ASMSTART
	s_waitcnt lgkmcnt(0)
	;;#ASMEND
	ds_write_b32 v42, v41 offset:48
	v_lshlrev_b32_e32 v42, 3, v40
	ds_read_b32 v43, v42 offset:36864
	s_waitcnt lgkmcnt(0)
	v_cmp_ne_u32_e32 vcc, v43, v26
	s_and_saveexec_b64 s[38:39], vcc
	s_cbranch_execz .LBB164_19
; %bb.17:                               ;   in Loop: Header=BB164_13 Depth=2
	s_mov_b64 s[40:41], 0
.LBB164_18:                             ;   Parent Loop BB164_7 Depth=1
                                        ;     Parent Loop BB164_13 Depth=2
                                        ; =>    This Inner Loop Header: Depth=3
	;;#ASMSTART
	s_sleep 0
	;;#ASMEND
	ds_read_b32 v43, v42 offset:36864
	s_waitcnt lgkmcnt(0)
	v_cmp_eq_u32_e32 vcc, v43, v26
	s_or_b64 s[40:41], vcc, s[40:41]
	s_andn2_b64 exec, exec, s[40:41]
	s_cbranch_execnz .LBB164_18
.LBB164_19:                             ;   in Loop: Header=BB164_13 Depth=2
	s_or_b64 exec, exec, s[38:39]
	v_lshlrev_b32_e32 v43, 12, v40
	v_or_b32_e32 v48, v27, v43
	ds_read2_b32 v[44:45], v48 offset1:32
	ds_read2_b32 v[46:47], v48 offset0:128 offset1:160
	v_add_u32_e32 v48, 0x400, v48
	s_waitcnt lgkmcnt(1)
	v_mfma_f32_16x16x32_fp8_fp8 v[4:7], v[44:45], v[22:23], v[4:7]
	ds_read2_b32 v[44:45], v48 offset1:32
	s_waitcnt lgkmcnt(1)
	v_mfma_f32_16x16x32_fp8_fp8 v[4:7], v[46:47], v[24:25], v[4:7]
	ds_read2_b32 v[46:47], v48 offset0:128 offset1:160
	;;#ASMSTART
	s_waitcnt lgkmcnt(0)
	;;#ASMEND
	ds_write_b32 v42, v41 offset:36864
	s_waitcnt lgkmcnt(2)
	v_mfma_f32_16x16x32_fp8_fp8 v[4:7], v[44:45], v[20:21], v[4:7]
	ds_read_b32 v44, v42 offset:36868
	s_waitcnt lgkmcnt(0)
	v_cmp_ne_u32_e32 vcc, v44, v26
	v_mfma_f32_16x16x32_fp8_fp8 v[4:7], v[46:47], v[18:19], v[4:7]
	s_and_saveexec_b64 s[38:39], vcc
	s_cbranch_execz .LBB164_12
; %bb.20:                               ;   in Loop: Header=BB164_13 Depth=2
	s_mov_b64 s[40:41], 0
.LBB164_21:                             ;   Parent Loop BB164_7 Depth=1
                                        ;     Parent Loop BB164_13 Depth=2
                                        ; =>    This Inner Loop Header: Depth=3
	;;#ASMSTART
	s_sleep 0
	;;#ASMEND
	ds_read_b32 v44, v42 offset:36868
	s_waitcnt lgkmcnt(0)
	v_cmp_eq_u32_e32 vcc, v44, v26
	s_or_b64 s[40:41], vcc, s[40:41]
	s_andn2_b64 exec, exec, s[40:41]
	s_cbranch_execnz .LBB164_21
	s_branch .LBB164_12
.LBB164_22:                             ;   in Loop: Header=BB164_7 Depth=1
	s_or_b64 exec, exec, s[8:9]
.LBB164_23:                             ;   in Loop: Header=BB164_7 Depth=1
	s_or_b64 exec, exec, s[6:7]
	v_cmp_le_i32_e32 vcc, s31, v8
	v_cmp_eq_u32_e64 s[6:7], 3, v29
	s_waitcnt vmcnt(0)
	v_cndmask_b32_e32 v18, 0, v39, vcc
	v_pk_mul_f32 v[24:25], v[18:19], v[4:5] op_sel_hi:[0,1]
	v_cmp_eq_u32_e32 vcc, 1, v29
	v_pk_mul_f32 v[6:7], v[18:19], v[6:7] op_sel_hi:[0,1]
	v_add_u32_e32 v19, s54, v31
	v_cndmask_b32_e32 v4, v24, v25, vcc
	v_cmp_eq_u32_e32 vcc, 2, v29
	s_nop 1
	v_cndmask_b32_e32 v4, v4, v6, vcc
	v_cndmask_b32_e64 v4, v4, v7, s[6:7]
	ds_bpermute_b32 v5, v37, v4
	s_waitcnt lgkmcnt(0)
	v_cndmask_b32_e32 v6, v6, v5, vcc
	v_cmp_ne_u32_e32 vcc, 0, v29
	v_cndmask_b32_e64 v20, v7, v5, s[6:7]
	s_nop 0
	v_cndmask_b32_e32 v4, v25, v5, vcc
	v_cmp_eq_u32_e32 vcc, 0, v29
	s_nop 1
	v_cndmask_b32_e32 v5, v24, v5, vcc
	v_cmp_eq_u32_e32 vcc, 1, v30
	;; [unrolled: 3-line block ×4, first 2 shown]
	s_nop 1
	v_cndmask_b32_e32 v7, v7, v20, vcc
	ds_bpermute_b32 v7, v37, v7
	v_cmp_gt_u32_e32 vcc, 32, v19
	s_and_saveexec_b64 s[38:39], vcc
	s_cbranch_execz .LBB164_28
; %bb.24:                               ;   in Loop: Header=BB164_7 Depth=1
	v_cmp_eq_u32_e64 s[8:9], 1, v30
	v_cmp_eq_u32_e64 s[6:7], 3, v30
	v_cmp_eq_u32_e32 vcc, 2, v30
	s_waitcnt lgkmcnt(0)
	v_cndmask_b32_e64 v4, v4, v7, s[8:9]
	v_cmp_eq_u32_e64 s[8:9], 0, v30
	v_cvt_f16_f32_sdwa v23, v4 dst_sel:WORD_1 dst_unused:UNUSED_PAD src0_sel:DWORD
	s_nop 0
	v_cndmask_b32_e64 v5, v5, v7, s[8:9]
	s_mul_i32 s8, s52, s13
	s_ashr_i32 s9, s8, 31
	s_lshl_b64 s[8:9], s[8:9], 1
	s_add_u32 s40, s24, s8
	s_addc_u32 s41, s25, s9
	s_ashr_i32 s31, s30, 31
	s_lshl_b64 s[8:9], s[30:31], 1
	v_cvt_f16_f32_e32 v21, v5
	s_add_u32 s40, s40, s8
	s_addc_u32 s41, s41, s9
	v_lshl_add_u64 v[4:5], v[10:11], 1, s[40:41]
	v_cmp_gt_u32_e64 s[8:9], 30, v19
	v_or_b32_e32 v21, v23, v21
	;;#ASMSTART
	global_atomic_pk_add_f16 v[4:5], v21, off
	
	;;#ASMEND
	s_and_b64 exec, exec, s[8:9]
	s_cbranch_execz .LBB164_28
; %bb.25:                               ;   in Loop: Header=BB164_7 Depth=1
	v_mov_b32_e32 v19, v18
	v_cndmask_b32_e64 v23, v20, v7, s[6:7]
	v_mov_b32_e32 v20, v18
	v_mov_b32_e32 v21, v18
	v_pk_mul_f32 v[18:19], v[18:19], v[0:1]
	v_cmp_eq_u32_e64 s[6:7], 1, v29
	v_pk_mul_f32 v[20:21], v[20:21], v[2:3]
	v_cmp_eq_u32_e64 s[8:9], 3, v29
	v_cndmask_b32_e64 v0, v18, v19, s[6:7]
	v_cmp_eq_u32_e64 s[6:7], 2, v29
	v_cvt_f16_f32_sdwa v23, v23 dst_sel:WORD_1 dst_unused:UNUSED_PAD src0_sel:DWORD
	s_nop 0
	v_cndmask_b32_e64 v0, v0, v20, s[6:7]
	v_cndmask_b32_e64 v0, v0, v21, s[8:9]
	ds_bpermute_b32 v1, v37, v0
	v_cndmask_b32_e32 v0, v6, v7, vcc
	v_cmp_ne_u32_e32 vcc, 0, v29
	v_lshl_add_u64 v[6:7], s[10:11], 2, v[4:5]
	v_cvt_f16_f32_e32 v5, v0
	s_waitcnt lgkmcnt(0)
	v_cndmask_b32_e32 v0, v19, v1, vcc
	v_cmp_eq_u32_e32 vcc, 0, v29
	v_cndmask_b32_e64 v2, v21, v1, s[8:9]
	v_cndmask_b32_e64 v3, v20, v1, s[6:7]
	v_cndmask_b32_e32 v1, v18, v1, vcc
	v_cmp_eq_u32_e32 vcc, 1, v30
	v_or_b32_e32 v5, v23, v5
	;;#ASMSTART
	global_atomic_pk_add_f16 v[6:7], v5, off
	
	;;#ASMEND
	v_add_u32_e32 v5, s54, v32
	v_cndmask_b32_e32 v4, v1, v0, vcc
	v_cmp_eq_u32_e32 vcc, 2, v30
	s_nop 1
	v_cndmask_b32_e32 v4, v4, v3, vcc
	v_cmp_eq_u32_e32 vcc, 3, v30
	s_nop 1
	v_cndmask_b32_e32 v4, v4, v2, vcc
	ds_bpermute_b32 v4, v37, v4
	v_cmp_gt_u32_e32 vcc, 32, v5
	s_and_b64 exec, exec, vcc
	s_cbranch_execz .LBB164_28
; %bb.26:                               ;   in Loop: Header=BB164_7 Depth=1
	v_cmp_eq_u32_e32 vcc, 1, v30
	v_cmp_eq_u32_e64 s[6:7], 2, v30
	v_cmp_gt_u32_e64 s[8:9], 30, v5
	s_waitcnt lgkmcnt(0)
	v_cndmask_b32_e32 v0, v0, v4, vcc
	v_cmp_eq_u32_e32 vcc, 0, v30
	v_cvt_f16_f32_sdwa v7, v0 dst_sel:WORD_1 dst_unused:UNUSED_PAD src0_sel:DWORD
	s_nop 0
	v_cndmask_b32_e32 v1, v1, v4, vcc
	v_cvt_f16_f32_e32 v6, v1
	v_cmp_eq_u32_e32 vcc, 3, v30
	v_lshl_add_u64 v[0:1], v[12:13], 1, s[40:41]
	v_or_b32_e32 v6, v7, v6
	;;#ASMSTART
	global_atomic_pk_add_f16 v[0:1], v6, off
	
	;;#ASMEND
	s_and_b64 exec, exec, s[8:9]
	s_cbranch_execz .LBB164_28
; %bb.27:                               ;   in Loop: Header=BB164_7 Depth=1
	v_cndmask_b32_e32 v2, v2, v4, vcc
	v_cndmask_b32_e64 v3, v3, v4, s[6:7]
	v_cvt_f16_f32_sdwa v2, v2 dst_sel:WORD_1 dst_unused:UNUSED_PAD src0_sel:DWORD
	v_cvt_f16_f32_e32 v3, v3
	v_lshl_add_u64 v[0:1], s[10:11], 2, v[0:1]
	v_or_b32_e32 v2, v2, v3
	;;#ASMSTART
	global_atomic_pk_add_f16 v[0:1], v2, off
	
	;;#ASMEND
.LBB164_28:                             ;   in Loop: Header=BB164_7 Depth=1
	s_or_b64 exec, exec, s[38:39]
	v_subrev_u32_e32 v38, s55, v38
.LBB164_29:                             ;   in Loop: Header=BB164_7 Depth=1
	s_or_b64 exec, exec, s[36:37]
.LBB164_30:                             ;   in Loop: Header=BB164_7 Depth=1
	s_andn2_saveexec_b64 s[6:7], s[34:35]
	s_cbranch_execz .LBB164_39
; %bb.31:                               ;   in Loop: Header=BB164_7 Depth=1
	v_cmp_gt_i32_e32 vcc, s55, v38
	s_and_saveexec_b64 s[8:9], vcc
	s_cbranch_execz .LBB164_38
; %bb.32:                               ;   in Loop: Header=BB164_7 Depth=1
	s_mul_i32 s30, s30, s15
	s_ashr_i32 s31, s30, 31
	s_waitcnt lgkmcnt(0)
	s_add_u32 s30, s22, s30
	s_addc_u32 s31, s23, s31
	s_ashr_i32 s34, s53, 31
	s_add_u32 s30, s30, s53
	s_addc_u32 s31, s31, s34
	v_lshl_add_u64 v[0:1], s[30:31], 0, v[16:17]
	v_lshl_add_u64 v[18:19], v[0:1], 0, v[14:15]
	s_mov_b64 s[30:31], 0
	s_branch .LBB164_34
.LBB164_33:                             ;   in Loop: Header=BB164_34 Depth=2
	s_or_b64 exec, exec, s[34:35]
	v_lshl_add_u32 v22, v20, 11, v35
	;;#ASMSTART
	s_waitcnt vmcnt(1)
	;;#ASMEND
	ds_write2_b32 v22, v4, v5 offset1:32
	ds_write2_b32 v22, v6, v7 offset0:64 offset1:96
	v_add_u32_e32 v4, 0x400, v22
	v_add_u32_e32 v38, s18, v38
	;;#ASMSTART
	s_waitcnt vmcnt(0)
	;;#ASMEND
	ds_write2_b32 v4, v0, v1 offset1:32
	ds_write2_b32 v4, v2, v3 offset0:64 offset1:96
	v_add_u32_e32 v0, 1, v26
	v_add_u32_e32 v22, s18, v20
	v_cmp_le_i32_e32 vcc, s55, v38
	ds_write_b32 v21, v0 offset:48
	v_add_u32_e32 v0, 2, v26
	s_or_b64 s[30:31], vcc, s[30:31]
	v_cmp_lt_i32_e32 vcc, 5, v22
	s_nop 1
	v_cndmask_b32_e32 v26, v26, v0, vcc
	s_andn2_b64 exec, exec, s[30:31]
	s_cbranch_execz .LBB164_37
.LBB164_34:                             ;   Parent Loop BB164_7 Depth=1
                                        ; =>  This Loop Header: Depth=2
                                        ;       Child Loop BB164_36 Depth 3
	v_cmp_gt_i32_e32 vcc, 6, v22
	s_nop 1
	v_cndmask_b32_e64 v0, -6, 0, vcc
	v_add_u32_e32 v20, v0, v22
	v_lshlrev_b32_e32 v0, 7, v38
	v_ashrrev_i32_e32 v1, 31, v0
	v_lshl_add_u64 v[0:1], v[18:19], 0, v[0:1]
	v_lshlrev_b32_e32 v21, 2, v20
	;;#ASMSTART
	global_load_dwordx4 v[4:7], v[0:1], off offset:0   sc0 sc1 nt  
	global_load_dwordx4 v[0:3], v[0:1], off offset:64  sc0 sc1 nt  
	
	;;#ASMEND
	ds_read_b32 v22, v21 offset:36912
	v_add_u32_e32 v21, 0x9000, v21
	s_waitcnt lgkmcnt(0)
	v_cmp_ne_u32_e32 vcc, v22, v26
	s_and_saveexec_b64 s[34:35], vcc
	s_cbranch_execz .LBB164_33
; %bb.35:                               ;   in Loop: Header=BB164_34 Depth=2
	s_mov_b64 s[36:37], 0
.LBB164_36:                             ;   Parent Loop BB164_7 Depth=1
                                        ;     Parent Loop BB164_34 Depth=2
                                        ; =>    This Inner Loop Header: Depth=3
	;;#ASMSTART
	s_sleep 0
	;;#ASMEND
	ds_read_b32 v22, v21 offset:48
	s_waitcnt lgkmcnt(0)
	v_cmp_eq_u32_e32 vcc, v22, v26
	s_or_b64 s[36:37], vcc, s[36:37]
	s_andn2_b64 exec, exec, s[36:37]
	s_cbranch_execnz .LBB164_36
	s_branch .LBB164_33
.LBB164_37:                             ;   in Loop: Header=BB164_7 Depth=1
	s_or_b64 exec, exec, s[30:31]
.LBB164_38:                             ;   in Loop: Header=BB164_7 Depth=1
	s_or_b64 exec, exec, s[8:9]
	v_subrev_u32_e32 v38, s55, v38
.LBB164_39:                             ;   in Loop: Header=BB164_7 Depth=1
	s_or_b64 exec, exec, s[6:7]
.LBB164_40:                             ;   in Loop: Header=BB164_7 Depth=1
	s_andn2_saveexec_b64 s[6:7], s[28:29]
	s_cbranch_execz .LBB164_6
; %bb.41:                               ;   in Loop: Header=BB164_7 Depth=1
	s_lshl_b32 s36, s55, 1
	v_cmp_gt_i32_e32 vcc, s36, v38
	s_and_saveexec_b64 s[8:9], vcc
	s_cbranch_execz .LBB164_5
; %bb.42:                               ;   in Loop: Header=BB164_7 Depth=1
	s_mul_i32 s52, s52, s14
	s_ashr_i32 s28, s52, 31
	s_waitcnt lgkmcnt(0)
	s_add_u32 s29, s20, s52
	v_add_u32_e32 v2, s54, v33
	s_addc_u32 s30, s21, s28
	s_ashr_i32 s31, s53, 31
	v_cmp_gt_u32_e32 vcc, 32, v2
	s_add_u32 s28, s29, s53
	s_addc_u32 s29, s30, s31
	v_cndmask_b32_e32 v0, 0, v36, vcc
	v_ashrrev_i32_e32 v1, 31, v0
	v_lshl_add_u64 v[0:1], s[28:29], 0, v[0:1]
	v_lshl_add_u64 v[18:19], v[0:1], 0, v[14:15]
	v_sub_u32_e32 v20, 31, v2
	s_mov_b64 s[28:29], 0
	s_branch .LBB164_44
.LBB164_43:                             ;   in Loop: Header=BB164_44 Depth=2
	s_or_b64 exec, exec, s[30:31]
	v_lshl_or_b32 v23, v21, 11, v34
	;;#ASMSTART
	s_waitcnt vmcnt(1)
	;;#ASMEND
	ds_write2_b32 v23, v4, v5 offset1:32
	ds_write2_b32 v23, v6, v7 offset0:64 offset1:96
	v_add_u32_e32 v4, 0x400, v23
	;;#ASMSTART
	s_waitcnt vmcnt(0)
	;;#ASMEND
	ds_write2_b32 v4, v0, v1 offset1:32
	ds_write2_b32 v4, v2, v3 offset0:64 offset1:96
	v_add_u32_e32 v0, 1, v26
	v_add_u32_e32 v38, s17, v38
	ds_write_b32 v22, v0
	v_add_u32_e32 v22, s17, v21
	v_cmp_le_i32_e32 vcc, s36, v38
	v_add_u32_e32 v0, 2, v26
	s_or_b64 s[28:29], vcc, s[28:29]
	v_cmp_lt_i32_e32 vcc, 11, v22
	s_nop 1
	v_cndmask_b32_e32 v26, v26, v0, vcc
	s_andn2_b64 exec, exec, s[28:29]
	s_cbranch_execz .LBB164_4
.LBB164_44:                             ;   Parent Loop BB164_7 Depth=1
                                        ; =>  This Loop Header: Depth=2
                                        ;       Child Loop BB164_46 Depth 3
	v_cmp_gt_i32_e32 vcc, 12, v22
	s_nop 1
	v_cndmask_b32_e64 v0, -12, 0, vcc
	v_add_u32_e32 v21, v0, v22
	v_lshrrev_b32_e32 v0, 31, v38
	v_add_u32_e32 v0, v38, v0
	v_and_b32_e32 v1, 0xffffffe, v0
	v_sub_u32_e32 v1, v38, v1
	v_lshlrev_b32_e32 v1, 4, v1
	v_cmp_le_i32_e32 vcc, v1, v20
	v_lshlrev_b32_e32 v0, 6, v0
	v_and_b32_e32 v0, 0xffffff80, v0
	v_cndmask_b32_e32 v2, 0, v1, vcc
	v_ashrrev_i32_e32 v1, 31, v0
	v_mul_lo_u32 v2, v2, s14
	v_lshl_add_u64 v[0:1], v[18:19], 0, v[0:1]
	v_ashrrev_i32_e32 v3, 31, v2
	v_lshl_add_u64 v[0:1], v[0:1], 0, v[2:3]
	v_lshlrev_b32_e32 v22, 2, v21
	;;#ASMSTART
	global_load_dwordx4 v[4:7], v[0:1], off offset:0   
	global_load_dwordx4 v[0:3], v[0:1], off offset:64  
	
	;;#ASMEND
	ds_read_b32 v23, v22 offset:36864
	v_add_u32_e32 v22, 0x9000, v22
	s_waitcnt lgkmcnt(0)
	v_cmp_ne_u32_e32 vcc, v23, v26
	s_and_saveexec_b64 s[30:31], vcc
	s_cbranch_execz .LBB164_43
; %bb.45:                               ;   in Loop: Header=BB164_44 Depth=2
	s_mov_b64 s[34:35], 0
.LBB164_46:                             ;   Parent Loop BB164_7 Depth=1
                                        ;     Parent Loop BB164_44 Depth=2
                                        ; =>    This Inner Loop Header: Depth=3
	;;#ASMSTART
	s_sleep 0
	;;#ASMEND
	ds_read_b32 v23, v22
	s_waitcnt lgkmcnt(0)
	v_cmp_eq_u32_e32 vcc, v23, v26
	s_or_b64 s[34:35], vcc, s[34:35]
	s_andn2_b64 exec, exec, s[34:35]
	s_cbranch_execnz .LBB164_46
	s_branch .LBB164_43
.LBB164_47:
	s_endpgm
	.section	.rodata,"a",@progbits
	.p2align	6, 0x0
	.amdhsa_kernel _Z19_skinny_gemm_kernelILi2ELi1ELi6ELi16ELi4EEvPKhS1_P6__halfPKfiiiiiiii
		.amdhsa_group_segment_fixed_size 36936
		.amdhsa_private_segment_fixed_size 0
		.amdhsa_kernarg_size 64
		.amdhsa_user_sgpr_count 2
		.amdhsa_user_sgpr_dispatch_ptr 0
		.amdhsa_user_sgpr_queue_ptr 0
		.amdhsa_user_sgpr_kernarg_segment_ptr 1
		.amdhsa_user_sgpr_dispatch_id 0
		.amdhsa_user_sgpr_kernarg_preload_length 0
		.amdhsa_user_sgpr_kernarg_preload_offset 0
		.amdhsa_user_sgpr_private_segment_size 0
		.amdhsa_uses_dynamic_stack 0
		.amdhsa_enable_private_segment 0
		.amdhsa_system_sgpr_workgroup_id_x 1
		.amdhsa_system_sgpr_workgroup_id_y 0
		.amdhsa_system_sgpr_workgroup_id_z 0
		.amdhsa_system_sgpr_workgroup_info 0
		.amdhsa_system_vgpr_workitem_id 0
		.amdhsa_next_free_vgpr 49
		.amdhsa_next_free_sgpr 56
		.amdhsa_accum_offset 52
		.amdhsa_reserve_vcc 1
		.amdhsa_float_round_mode_32 0
		.amdhsa_float_round_mode_16_64 0
		.amdhsa_float_denorm_mode_32 3
		.amdhsa_float_denorm_mode_16_64 3
		.amdhsa_dx10_clamp 1
		.amdhsa_ieee_mode 1
		.amdhsa_fp16_overflow 0
		.amdhsa_tg_split 0
		.amdhsa_exception_fp_ieee_invalid_op 0
		.amdhsa_exception_fp_denorm_src 0
		.amdhsa_exception_fp_ieee_div_zero 0
		.amdhsa_exception_fp_ieee_overflow 0
		.amdhsa_exception_fp_ieee_underflow 0
		.amdhsa_exception_fp_ieee_inexact 0
		.amdhsa_exception_int_div_zero 0
	.end_amdhsa_kernel
	.section	.text._Z19_skinny_gemm_kernelILi2ELi1ELi6ELi16ELi4EEvPKhS1_P6__halfPKfiiiiiiii,"axG",@progbits,_Z19_skinny_gemm_kernelILi2ELi1ELi6ELi16ELi4EEvPKhS1_P6__halfPKfiiiiiiii,comdat
.Lfunc_end164:
	.size	_Z19_skinny_gemm_kernelILi2ELi1ELi6ELi16ELi4EEvPKhS1_P6__halfPKfiiiiiiii, .Lfunc_end164-_Z19_skinny_gemm_kernelILi2ELi1ELi6ELi16ELi4EEvPKhS1_P6__halfPKfiiiiiiii
                                        ; -- End function
	.set _Z19_skinny_gemm_kernelILi2ELi1ELi6ELi16ELi4EEvPKhS1_P6__halfPKfiiiiiiii.num_vgpr, 49
	.set _Z19_skinny_gemm_kernelILi2ELi1ELi6ELi16ELi4EEvPKhS1_P6__halfPKfiiiiiiii.num_agpr, 0
	.set _Z19_skinny_gemm_kernelILi2ELi1ELi6ELi16ELi4EEvPKhS1_P6__halfPKfiiiiiiii.numbered_sgpr, 56
	.set _Z19_skinny_gemm_kernelILi2ELi1ELi6ELi16ELi4EEvPKhS1_P6__halfPKfiiiiiiii.num_named_barrier, 0
	.set _Z19_skinny_gemm_kernelILi2ELi1ELi6ELi16ELi4EEvPKhS1_P6__halfPKfiiiiiiii.private_seg_size, 0
	.set _Z19_skinny_gemm_kernelILi2ELi1ELi6ELi16ELi4EEvPKhS1_P6__halfPKfiiiiiiii.uses_vcc, 1
	.set _Z19_skinny_gemm_kernelILi2ELi1ELi6ELi16ELi4EEvPKhS1_P6__halfPKfiiiiiiii.uses_flat_scratch, 0
	.set _Z19_skinny_gemm_kernelILi2ELi1ELi6ELi16ELi4EEvPKhS1_P6__halfPKfiiiiiiii.has_dyn_sized_stack, 0
	.set _Z19_skinny_gemm_kernelILi2ELi1ELi6ELi16ELi4EEvPKhS1_P6__halfPKfiiiiiiii.has_recursion, 0
	.set _Z19_skinny_gemm_kernelILi2ELi1ELi6ELi16ELi4EEvPKhS1_P6__halfPKfiiiiiiii.has_indirect_call, 0
	.section	.AMDGPU.csdata,"",@progbits
; Kernel info:
; codeLenInByte = 3240
; TotalNumSgprs: 62
; NumVgprs: 49
; NumAgprs: 0
; TotalNumVgprs: 49
; ScratchSize: 0
; MemoryBound: 0
; FloatMode: 240
; IeeeMode: 1
; LDSByteSize: 36936 bytes/workgroup (compile time only)
; SGPRBlocks: 7
; VGPRBlocks: 6
; NumSGPRsForWavesPerEU: 62
; NumVGPRsForWavesPerEU: 49
; AccumOffset: 52
; Occupancy: 8
; WaveLimiterHint : 0
; COMPUTE_PGM_RSRC2:SCRATCH_EN: 0
; COMPUTE_PGM_RSRC2:USER_SGPR: 2
; COMPUTE_PGM_RSRC2:TRAP_HANDLER: 0
; COMPUTE_PGM_RSRC2:TGID_X_EN: 1
; COMPUTE_PGM_RSRC2:TGID_Y_EN: 0
; COMPUTE_PGM_RSRC2:TGID_Z_EN: 0
; COMPUTE_PGM_RSRC2:TIDIG_COMP_CNT: 0
; COMPUTE_PGM_RSRC3_GFX90A:ACCUM_OFFSET: 12
; COMPUTE_PGM_RSRC3_GFX90A:TG_SPLIT: 0
	.section	.text._Z19_skinny_gemm_kernelILi2ELi1ELi6ELi32ELi4EEvPKhS1_P6__halfPKfiiiiiiii,"axG",@progbits,_Z19_skinny_gemm_kernelILi2ELi1ELi6ELi32ELi4EEvPKhS1_P6__halfPKfiiiiiiii,comdat
	.protected	_Z19_skinny_gemm_kernelILi2ELi1ELi6ELi32ELi4EEvPKhS1_P6__halfPKfiiiiiiii ; -- Begin function _Z19_skinny_gemm_kernelILi2ELi1ELi6ELi32ELi4EEvPKhS1_P6__halfPKfiiiiiiii
	.globl	_Z19_skinny_gemm_kernelILi2ELi1ELi6ELi32ELi4EEvPKhS1_P6__halfPKfiiiiiiii
	.p2align	8
	.type	_Z19_skinny_gemm_kernelILi2ELi1ELi6ELi32ELi4EEvPKhS1_P6__halfPKfiiiiiiii,@function
_Z19_skinny_gemm_kernelILi2ELi1ELi6ELi32ELi4EEvPKhS1_P6__halfPKfiiiiiiii: ; @_Z19_skinny_gemm_kernelILi2ELi1ELi6ELi32ELi4EEvPKhS1_P6__halfPKfiiiiiiii
; %bb.0:
	v_cmp_gt_u32_e32 vcc, 18, v0
	s_and_saveexec_b64 s[4:5], vcc
; %bb.1:
	v_lshlrev_b32_e32 v1, 2, v0
	v_mov_b32_e32 v2, 0
	ds_write_b32 v1, v2 offset:36864
; %bb.2:
	s_or_b64 exec, exec, s[4:5]
	s_load_dwordx8 s[36:43], s[0:1], 0x20
	s_waitcnt lgkmcnt(0)
	s_barrier
	s_add_i32 s3, s36, 63
	s_ashr_i32 s5, s3, 31
	s_add_i32 s4, s37, 31
	s_lshr_b32 s5, s5, 26
	s_ashr_i32 s6, s4, 31
	s_add_i32 s3, s3, s5
	s_ashr_i32 s33, s3, 6
	s_lshr_b32 s3, s6, 27
	s_add_i32 s4, s4, s3
	s_ashr_i32 s62, s4, 5
	s_mul_i32 s3, s62, s33
	s_mul_i32 s3, s3, s40
	s_add_i32 s4, s3, 0x12f
	s_mul_hi_i32 s4, s4, 0x6bca1af3
	s_lshr_b32 s5, s4, 31
	s_ashr_i32 s4, s4, 7
	s_add_i32 s4, s4, s5
	s_add_i32 s5, s2, 1
	s_mul_i32 s5, s4, s5
	v_cvt_f64_i32_e32 v[2:3], s3
	v_cvt_f64_u32_e32 v[4:5], s5
	v_min_f64 v[2:3], v[2:3], v[4:5]
	v_cvt_i32_f64_e32 v46, v[2:3]
	s_mul_i32 s63, s4, s2
	v_cmp_ge_i32_e32 vcc, s63, v46
	s_cbranch_vccnz .LBB165_48
; %bb.3:
	v_lshrrev_b32_e32 v1, 6, v0
	s_add_i32 s4, s42, s41
	s_load_dwordx8 s[44:51], s[0:1], 0x0
	v_cmp_le_i32_e64 s[0:1], s4, v1
	v_mov_b32_e32 v2, s41
	v_cmp_le_i32_e64 s[2:3], s41, v1
	v_mov_b32_e32 v3, s42
	v_cndmask_b32_e64 v3, 0, v3, s[0:1]
	v_cndmask_b32_e64 v2, 0, v2, s[2:3]
	s_abs_i32 s5, s40
	v_add_u32_e32 v2, v2, v3
	v_cvt_f32_u32_e32 v3, s5
	v_sub_u32_e32 v40, v1, v2
	s_ashr_i32 s6, s38, 31
	s_lshr_b32 s6, s6, 26
	v_rcp_iflag_f32_e32 v2, v3
	s_sub_i32 s9, 0, s5
	s_add_i32 s6, s38, s6
	s_ashr_i32 s6, s6, 6
	v_mul_f32_e32 v2, 0x4f7ffffe, v2
	v_cvt_u32_f32_e32 v2, v2
	s_abs_i32 s8, s6
	s_xor_b32 s7, s6, s40
	s_ashr_i32 s7, s7, 31
	v_readfirstlane_b32 s10, v2
	s_mul_i32 s9, s9, s10
	s_mul_hi_u32 s9, s10, s9
	s_add_i32 s10, s10, s9
	s_mul_hi_u32 s9, s8, s10
	s_mul_i32 s10, s9, s5
	s_sub_i32 s8, s8, s10
	s_add_i32 s10, s9, 1
	s_sub_i32 s11, s8, s5
	s_cmp_ge_u32 s8, s5
	s_cselect_b32 s9, s10, s9
	s_cselect_b32 s8, s11, s8
	s_add_i32 s10, s9, 1
	s_cmp_ge_u32 s8, s5
	s_cselect_b32 s5, s10, s9
	s_xor_b32 s5, s5, s7
	s_sub_i32 s64, s5, s7
	s_add_i32 s40, s40, -1
	s_mul_i32 s5, s64, s40
	s_add_i32 s4, s4, s43
	v_and_b32_e32 v48, 31, v0
	v_lshrrev_b32_e32 v2, 3, v0
	s_sub_i32 s65, s6, s5
	v_cmp_gt_i32_e64 s[4:5], s4, v1
	v_lshlrev_b32_e32 v1, 2, v48
	v_and_b32_e32 v3, 4, v2
	v_and_b32_e32 v5, 1, v0
	v_lshlrev_b32_e32 v2, 6, v3
	v_or_b32_e32 v4, 0x6000, v1
	v_or_b32_e32 v3, v3, v5
	;; [unrolled: 1-line block ×4, first 2 shown]
	v_lshlrev_b32_e32 v2, 1, v5
	v_or_b32_e32 v5, 2, v3
	v_sub_u32_e32 v60, 32, v5
	v_or_b32_e32 v5, 8, v3
	v_sub_u32_e32 v61, 32, v5
	;; [unrolled: 2-line block ×5, first 2 shown]
	v_mul_lo_u32 v18, s37, v3
	v_sub_u32_e32 v64, 32, v5
	v_or_b32_e32 v5, 24, v3
	v_or_b32_e32 v3, 26, v3
	v_sub_u32_e32 v66, 32, v3
	v_lshrrev_b32_e32 v3, 1, v0
	s_abs_i32 s66, s33
	v_and_b32_e32 v34, 16, v3
	v_cvt_f32_u32_e32 v3, s66
	v_sub_u32_e32 v2, v0, v2
	v_add_u32_e32 v2, 1, v2
	v_and_b32_e32 v6, 63, v2
	v_bitop3_b32 v51, v0, 1, v0 bitop3:0xc
	v_bitop3_b32 v52, v0, 3, 1 bitop3:0x6c
	;; [unrolled: 1-line block ×8, first 2 shown]
	v_and_b32_e32 v2, 30, v0
	v_lshlrev_b32_e32 v0, 4, v0
	v_and_b32_e32 v0, 0x200, v0
	v_rcp_iflag_f32_e32 v3, v3
	s_abs_i32 s67, s62
	v_or_b32_e32 v69, v1, v0
	v_cvt_f32_u32_e32 v1, s67
	s_lshl_b32 s6, s37, 1
	v_add_u32_e32 v20, s6, v18
	s_mul_i32 s7, s37, 6
	v_or_b32_e32 v67, v4, v0
	v_mul_f32_e32 v0, 0x4f7ffffe, v3
	v_add_u32_e32 v22, s7, v20
	v_cvt_u32_f32_e32 v0, v0
	v_rcp_iflag_f32_e32 v1, v1
	v_add_u32_e32 v24, s6, v22
	v_add_u32_e32 v26, s7, v24
	v_add_u32_e32 v28, s6, v26
	v_add_u32_e32 v30, s7, v28
	v_readfirstlane_b32 s7, v0
	v_mul_f32_e32 v0, 0x4f7ffffe, v1
	v_cvt_u32_f32_e32 v0, v0
	v_add_u32_e32 v32, s6, v30
	s_sub_i32 s6, 0, s66
	s_mul_i32 s6, s6, s7
	s_mul_hi_u32 s6, s7, s6
	s_add_i32 s69, s7, s6
	s_sub_i32 s6, 0, s67
	v_readfirstlane_b32 s7, v0
	v_mbcnt_lo_u32_b32 v0, -1, 0
	s_mul_i32 s6, s6, s7
	v_mbcnt_hi_u32_b32 v0, -1, v0
	v_mov_b32_e32 v17, 0
	v_mul_lo_u32 v36, s39, v48
	s_mul_hi_u32 s6, s7, s6
	v_and_or_b32 v0, v0, 64, v6
	v_cndmask_b32_e64 v47, 0, 1, s[0:1]
	v_ashrrev_i32_e32 v19, 31, v18
	v_ashrrev_i32_e32 v21, 31, v20
	;; [unrolled: 1-line block ×6, first 2 shown]
	v_sub_u32_e32 v65, 32, v5
	v_ashrrev_i32_e32 v31, 31, v30
	v_ashrrev_i32_e32 v33, 31, v32
	;; [unrolled: 1-line block ×3, first 2 shown]
	v_mov_b32_e32 v35, v17
	v_mul_lo_u32 v68, s38, v48
	s_ashr_i32 s68, s33, 31
	s_ashr_i32 s70, s62, 31
	s_add_i32 s71, s7, s6
	v_lshlrev_b32_e32 v16, 1, v2
	v_lshlrev_b32_e32 v70, 2, v0
	v_mov_b32_e32 v71, v40
	s_branch .LBB165_7
.LBB165_4:                              ;   in Loop: Header=BB165_7 Depth=1
	s_or_b64 exec, exec, s[10:11]
.LBB165_5:                              ;   in Loop: Header=BB165_7 Depth=1
	s_or_b64 exec, exec, s[8:9]
	v_subrev_u32_e32 v71, s16, v71
.LBB165_6:                              ;   in Loop: Header=BB165_7 Depth=1
	s_or_b64 exec, exec, s[6:7]
	s_add_i32 s63, s63, 1
	v_cmp_ge_i32_e32 vcc, s63, v46
	s_cbranch_vccnz .LBB165_48
.LBB165_7:                              ; =>This Loop Header: Depth=1
                                        ;     Child Loop BB165_13 Depth 2
                                        ;       Child Loop BB165_15 Depth 3
                                        ;       Child Loop BB165_18 Depth 3
                                        ;     Child Loop BB165_35 Depth 2
                                        ;       Child Loop BB165_37 Depth 3
                                        ;     Child Loop BB165_45 Depth 2
                                        ;       Child Loop BB165_47 Depth 3
	s_abs_i32 s7, s63
	s_mul_hi_u32 s8, s7, s69
	s_mul_i32 s9, s8, s66
	s_ashr_i32 s6, s63, 31
	s_sub_i32 s7, s7, s9
	s_xor_b32 s6, s6, s68
	s_add_i32 s9, s8, 1
	s_sub_i32 s10, s7, s66
	s_cmp_ge_u32 s7, s66
	s_cselect_b32 s8, s9, s8
	s_cselect_b32 s7, s10, s7
	s_add_i32 s9, s8, 1
	s_cmp_ge_u32 s7, s66
	s_cselect_b32 s7, s9, s8
	s_xor_b32 s7, s7, s6
	s_sub_i32 s6, s7, s6
	s_abs_i32 s8, s6
	s_mul_i32 s7, s6, s33
	s_mul_hi_u32 s9, s8, s71
	s_sub_i32 s7, s63, s7
	s_mul_i32 s10, s9, s67
	s_lshl_b32 s72, s7, 6
	s_ashr_i32 s7, s6, 31
	s_sub_i32 s8, s8, s10
	s_xor_b32 s7, s7, s70
	s_add_i32 s10, s9, 1
	s_sub_i32 s11, s8, s67
	s_cmp_ge_u32 s8, s67
	s_cselect_b32 s9, s10, s9
	s_cselect_b32 s8, s11, s8
	s_add_i32 s10, s9, 1
	s_cmp_ge_u32 s8, s67
	s_cselect_b32 s8, s10, s9
	s_xor_b32 s8, s8, s7
	s_sub_i32 s7, s8, s7
	s_mul_i32 s8, s7, s64
	s_lshl_b32 s73, s8, 6
	s_cmp_eq_u32 s7, s40
	s_cselect_b32 s75, s65, s64
	s_sub_i32 s74, s72, s36
	s_add_i32 s74, s74, 64
	s_and_saveexec_b64 s[8:9], s[2:3]
	s_xor_b64 s[52:53], exec, s[8:9]
	s_cbranch_execz .LBB165_41
; %bb.8:                                ;   in Loop: Header=BB165_7 Depth=1
	s_mul_i32 s7, s7, s62
	s_sub_i32 s6, s6, s7
	s_lshl_b32 s6, s6, 5
	s_sub_i32 s14, s6, s37
	s_add_i32 s14, s14, 32
	s_max_i32 s7, s14, 0
	s_sub_i32 s54, s6, s7
	s_and_saveexec_b64 s[6:7], s[0:1]
	s_xor_b64 s[56:57], exec, s[6:7]
	s_cbranch_execz .LBB165_31
; %bb.9:                                ;   in Loop: Header=BB165_7 Depth=1
	s_and_saveexec_b64 s[58:59], s[4:5]
	s_cbranch_execz .LBB165_30
; %bb.10:                               ;   in Loop: Header=BB165_7 Depth=1
	s_waitcnt lgkmcnt(0)
	global_load_dword v72, v17, s[50:51]
	v_mov_b32_e32 v15, 0
	v_cmp_gt_i32_e32 vcc, s75, v71
	v_mov_b32_e32 v14, v15
	v_mov_b32_e32 v13, v15
	v_mov_b32_e32 v12, v15
	v_mov_b32_e32 v11, v15
	v_mov_b32_e32 v10, v15
	v_mov_b32_e32 v9, v15
	v_mov_b32_e32 v8, v15
	v_mov_b32_e32 v7, v15
	v_mov_b32_e32 v6, v15
	v_mov_b32_e32 v5, v15
	v_mov_b32_e32 v4, v15
	v_mov_b32_e32 v3, v15
	v_mov_b32_e32 v2, v15
	v_mov_b32_e32 v1, v15
	v_mov_b32_e32 v0, v15
	s_and_saveexec_b64 s[6:7], vcc
	s_cbranch_execz .LBB165_20
; %bb.11:                               ;   in Loop: Header=BB165_7 Depth=1
	v_mov_b32_e32 v0, 0
	s_mov_b64 s[8:9], 0
	v_mov_b32_e32 v1, v0
	v_mov_b32_e32 v2, v0
	;; [unrolled: 1-line block ×15, first 2 shown]
	s_branch .LBB165_13
.LBB165_12:                             ;   in Loop: Header=BB165_13 Depth=2
	s_or_b64 exec, exec, s[10:11]
	v_add_u32_e32 v78, v50, v76
	ds_read2_b32 v[76:77], v78 offset1:32
	v_add_u32_e32 v71, s43, v71
	s_waitcnt lgkmcnt(0)
	v_mfma_f32_32x32x16_fp8_fp8 v[0:15], v[44:45], v[76:77], v[0:15]
	ds_read2_b32 v[44:45], v78 offset0:128 offset1:160
	s_waitcnt lgkmcnt(0)
	v_mfma_f32_32x32x16_fp8_fp8 v[0:15], v[42:43], v[44:45], v[0:15]
	v_add_u32_e32 v44, 0x400, v78
	ds_read2_b32 v[42:43], v44 offset1:32
	ds_read2_b32 v[44:45], v44 offset0:128 offset1:160
	ds_write_b32 v74, v75 offset:36868
	s_waitcnt lgkmcnt(2)
	v_mfma_f32_32x32x16_fp8_fp8 v[0:15], v[40:41], v[42:43], v[0:15]
	v_add_u32_e32 v40, s43, v73
	v_add_u32_e32 v41, 2, v47
	v_cmp_lt_i32_e32 vcc, 5, v40
	s_nop 1
	v_cndmask_b32_e32 v47, v47, v41, vcc
	v_cmp_le_i32_e32 vcc, s75, v71
	s_waitcnt lgkmcnt(1)
	v_mfma_f32_32x32x16_fp8_fp8 v[0:15], v[38:39], v[44:45], v[0:15]
	s_or_b64 s[8:9], vcc, s[8:9]
	s_andn2_b64 exec, exec, s[8:9]
	s_cbranch_execz .LBB165_19
.LBB165_13:                             ;   Parent Loop BB165_7 Depth=1
                                        ; =>  This Loop Header: Depth=2
                                        ;       Child Loop BB165_15 Depth 3
                                        ;       Child Loop BB165_18 Depth 3
	v_cmp_gt_i32_e32 vcc, 6, v40
	s_nop 1
	v_cndmask_b32_e64 v38, -6, 0, vcc
	v_add_u32_e32 v73, v38, v40
	v_lshlrev_b32_e32 v74, 3, v73
	ds_read_b32 v38, v74 offset:36864
	s_waitcnt lgkmcnt(0)
	v_cmp_ne_u32_e32 vcc, v38, v47
	s_and_saveexec_b64 s[10:11], vcc
	s_cbranch_execz .LBB165_16
; %bb.14:                               ;   in Loop: Header=BB165_13 Depth=2
	s_mov_b64 s[12:13], 0
.LBB165_15:                             ;   Parent Loop BB165_7 Depth=1
                                        ;     Parent Loop BB165_13 Depth=2
                                        ; =>    This Inner Loop Header: Depth=3
	;;#ASMSTART
	s_sleep 0
	;;#ASMEND
	ds_read_b32 v38, v74 offset:36864
	s_waitcnt lgkmcnt(0)
	v_cmp_eq_u32_e32 vcc, v38, v47
	s_or_b64 s[12:13], vcc, s[12:13]
	s_andn2_b64 exec, exec, s[12:13]
	s_cbranch_execnz .LBB165_15
.LBB165_16:                             ;   in Loop: Header=BB165_13 Depth=2
	s_or_b64 exec, exec, s[10:11]
	v_lshlrev_b32_e32 v76, 11, v73
	v_or_b32_e32 v38, v49, v76
	ds_read2_b32 v[44:45], v38 offset1:32
	ds_read2_b32 v[42:43], v38 offset0:128 offset1:160
	v_add_u32_e32 v38, 0x400, v38
	ds_read2_b32 v[40:41], v38 offset1:32
	ds_read_b32 v77, v74 offset:36868
	ds_read2_b32 v[38:39], v38 offset0:128 offset1:160
	v_add_u32_e32 v75, 1, v47
	ds_write_b32 v74, v75 offset:36864
	s_waitcnt lgkmcnt(2)
	v_cmp_ne_u32_e32 vcc, v77, v47
	s_and_saveexec_b64 s[10:11], vcc
	s_cbranch_execz .LBB165_12
; %bb.17:                               ;   in Loop: Header=BB165_13 Depth=2
	s_mov_b64 s[12:13], 0
.LBB165_18:                             ;   Parent Loop BB165_7 Depth=1
                                        ;     Parent Loop BB165_13 Depth=2
                                        ; =>    This Inner Loop Header: Depth=3
	;;#ASMSTART
	s_sleep 0
	;;#ASMEND
	ds_read_b32 v77, v74 offset:36868
	s_waitcnt lgkmcnt(0)
	v_cmp_eq_u32_e32 vcc, v77, v47
	s_or_b64 s[12:13], vcc, s[12:13]
	s_andn2_b64 exec, exec, s[12:13]
	s_cbranch_execnz .LBB165_18
	s_branch .LBB165_12
.LBB165_19:                             ;   in Loop: Header=BB165_7 Depth=1
	s_or_b64 exec, exec, s[8:9]
.LBB165_20:                             ;   in Loop: Header=BB165_7 Depth=1
	s_or_b64 exec, exec, s[6:7]
	v_cmp_le_i32_e32 vcc, s14, v48
	v_cmp_eq_u32_e64 s[6:7], 3, v51
	v_cmp_eq_u32_e64 s[8:9], 4, v51
	s_waitcnt vmcnt(0)
	v_cndmask_b32_e32 v38, 0, v72, vcc
	s_nop 1
	v_pk_mul_f32 v[0:1], v[38:39], v[0:1] op_sel_hi:[0,1]
	v_cmp_eq_u32_e32 vcc, 1, v51
	v_pk_mul_f32 v[14:15], v[38:39], v[14:15] op_sel_hi:[0,1]
	v_pk_mul_f32 v[12:13], v[38:39], v[12:13] op_sel_hi:[0,1]
	;; [unrolled: 1-line block ×7, first 2 shown]
	v_cndmask_b32_e32 v38, v0, v1, vcc
	v_cmp_eq_u32_e32 vcc, 2, v51
	v_cmp_eq_u32_e64 s[10:11], 5, v51
	v_cmp_eq_u32_e64 s[12:13], 6, v51
	v_cndmask_b32_e32 v38, v38, v2, vcc
	v_cndmask_b32_e64 v38, v38, v3, s[6:7]
	v_cndmask_b32_e64 v38, v38, v4, s[8:9]
	;; [unrolled: 1-line block ×4, first 2 shown]
	v_cmp_eq_u32_e64 s[14:15], 7, v51
	v_cmp_eq_u32_e64 s[16:17], 8, v51
	v_cmp_eq_u32_e64 s[18:19], 9, v51
	v_cndmask_b32_e64 v38, v38, v7, s[14:15]
	v_cndmask_b32_e64 v38, v38, v8, s[16:17]
	v_cndmask_b32_e64 v38, v38, v9, s[18:19]
	v_cmp_eq_u32_e64 s[20:21], 10, v51
	v_cmp_eq_u32_e64 s[22:23], 11, v51
	v_cmp_eq_u32_e64 s[24:25], 12, v51
	v_cndmask_b32_e64 v38, v38, v10, s[20:21]
	v_cndmask_b32_e64 v38, v38, v11, s[22:23]
	v_cndmask_b32_e64 v38, v38, v12, s[24:25]
	;; [unrolled: 6-line block ×3, first 2 shown]
	ds_bpermute_b32 v38, v70, v38
	v_cmp_eq_u32_e64 s[34:35], 15, v52
	s_waitcnt lgkmcnt(0)
	v_cndmask_b32_e32 v2, v2, v38, vcc
	v_cmp_ne_u32_e32 vcc, 0, v51
	v_cndmask_b32_e64 v15, v15, v38, s[30:31]
	v_cndmask_b32_e64 v14, v14, v38, s[28:29]
	v_cndmask_b32_e32 v1, v1, v38, vcc
	v_cmp_eq_u32_e32 vcc, 0, v51
	v_cndmask_b32_e64 v13, v13, v38, s[26:27]
	v_cndmask_b32_e64 v12, v12, v38, s[24:25]
	v_cndmask_b32_e32 v0, v0, v38, vcc
	v_cmp_eq_u32_e32 vcc, 1, v52
	v_cndmask_b32_e64 v11, v11, v38, s[22:23]
	v_cndmask_b32_e64 v10, v10, v38, s[20:21]
	;; [unrolled: 1-line block ×9, first 2 shown]
	v_cndmask_b32_e32 v38, v0, v1, vcc
	v_cmp_eq_u32_e64 s[6:7], 2, v52
	v_cmp_eq_u32_e64 s[8:9], 3, v52
	v_cmp_eq_u32_e64 s[10:11], 4, v52
	v_cndmask_b32_e64 v38, v38, v2, s[6:7]
	v_cndmask_b32_e64 v38, v38, v3, s[8:9]
	v_cndmask_b32_e64 v38, v38, v4, s[10:11]
	v_cmp_eq_u32_e64 s[12:13], 5, v52
	v_cmp_eq_u32_e64 s[14:15], 6, v52
	v_cmp_eq_u32_e64 s[16:17], 7, v52
	v_cndmask_b32_e64 v38, v38, v5, s[12:13]
	v_cndmask_b32_e64 v38, v38, v6, s[14:15]
	v_cndmask_b32_e64 v38, v38, v7, s[16:17]
	;; [unrolled: 6-line block ×4, first 2 shown]
	v_cmp_eq_u32_e64 s[30:31], 14, v52
	s_nop 1
	v_cndmask_b32_e64 v38, v38, v14, s[30:31]
	v_cndmask_b32_e64 v38, v38, v15, s[34:35]
	ds_bpermute_b32 v38, v70, v38
	s_waitcnt lgkmcnt(0)
	v_cndmask_b32_e32 v1, v1, v38, vcc
	v_cmp_eq_u32_e32 vcc, 0, v52
	v_cndmask_b32_e64 v15, v15, v38, s[34:35]
	v_cndmask_b32_e64 v14, v14, v38, s[30:31]
	v_cndmask_b32_e32 v0, v0, v38, vcc
	v_cmp_eq_u32_e32 vcc, 1, v53
	v_cndmask_b32_e64 v13, v13, v38, s[28:29]
	v_cndmask_b32_e64 v12, v12, v38, s[26:27]
	v_cndmask_b32_e64 v11, v11, v38, s[24:25]
	v_cndmask_b32_e64 v10, v10, v38, s[22:23]
	v_cndmask_b32_e64 v9, v9, v38, s[20:21]
	v_cndmask_b32_e64 v8, v8, v38, s[18:19]
	v_cndmask_b32_e64 v7, v7, v38, s[16:17]
	v_cndmask_b32_e64 v6, v6, v38, s[14:15]
	v_cndmask_b32_e64 v5, v5, v38, s[12:13]
	v_cndmask_b32_e64 v4, v4, v38, s[10:11]
	v_cndmask_b32_e64 v3, v3, v38, s[8:9]
	v_cndmask_b32_e64 v2, v2, v38, s[6:7]
	v_cndmask_b32_e32 v38, v0, v1, vcc
	v_cmp_eq_u32_e64 s[6:7], 2, v53
	v_cmp_eq_u32_e64 s[8:9], 3, v53
	v_cmp_eq_u32_e64 s[10:11], 4, v53
	v_cndmask_b32_e64 v38, v38, v2, s[6:7]
	v_cndmask_b32_e64 v38, v38, v3, s[8:9]
	v_cndmask_b32_e64 v38, v38, v4, s[10:11]
	v_cmp_eq_u32_e64 s[12:13], 5, v53
	v_cmp_eq_u32_e64 s[14:15], 6, v53
	v_cmp_eq_u32_e64 s[16:17], 7, v53
	v_cndmask_b32_e64 v38, v38, v5, s[12:13]
	v_cndmask_b32_e64 v38, v38, v6, s[14:15]
	v_cndmask_b32_e64 v38, v38, v7, s[16:17]
	v_cmp_eq_u32_e64 s[18:19], 8, v53
	v_cmp_eq_u32_e64 s[20:21], 9, v53
	v_cmp_eq_u32_e64 s[22:23], 10, v53
	v_cndmask_b32_e64 v38, v38, v8, s[18:19]
	v_cndmask_b32_e64 v38, v38, v9, s[20:21]
	v_cndmask_b32_e64 v38, v38, v10, s[22:23]
	v_cmp_eq_u32_e64 s[24:25], 11, v53
	v_cmp_eq_u32_e64 s[26:27], 12, v53
	v_cmp_eq_u32_e64 s[28:29], 13, v53
	v_cndmask_b32_e64 v38, v38, v11, s[24:25]
	v_cndmask_b32_e64 v38, v38, v12, s[26:27]
	v_cndmask_b32_e64 v38, v38, v13, s[28:29]
	v_cmp_eq_u32_e64 s[30:31], 14, v53
	v_cmp_eq_u32_e64 s[34:35], 15, v53
	s_nop 0
	v_cndmask_b32_e64 v38, v38, v14, s[30:31]
	v_cndmask_b32_e64 v38, v38, v15, s[34:35]
	ds_bpermute_b32 v38, v70, v38
	s_waitcnt lgkmcnt(0)
	v_cndmask_b32_e32 v1, v1, v38, vcc
	v_cmp_eq_u32_e32 vcc, 0, v53
	v_cndmask_b32_e64 v15, v15, v38, s[34:35]
	v_cndmask_b32_e64 v14, v14, v38, s[30:31]
	v_cndmask_b32_e32 v0, v0, v38, vcc
	v_cmp_eq_u32_e32 vcc, 1, v54
	v_cndmask_b32_e64 v13, v13, v38, s[28:29]
	v_cndmask_b32_e64 v12, v12, v38, s[26:27]
	v_cndmask_b32_e64 v11, v11, v38, s[24:25]
	v_cndmask_b32_e64 v10, v10, v38, s[22:23]
	v_cndmask_b32_e64 v9, v9, v38, s[20:21]
	v_cndmask_b32_e64 v8, v8, v38, s[18:19]
	v_cndmask_b32_e64 v7, v7, v38, s[16:17]
	v_cndmask_b32_e64 v6, v6, v38, s[14:15]
	v_cndmask_b32_e64 v5, v5, v38, s[12:13]
	v_cndmask_b32_e64 v4, v4, v38, s[10:11]
	v_cndmask_b32_e64 v3, v3, v38, s[8:9]
	v_cndmask_b32_e64 v2, v2, v38, s[6:7]
	v_cndmask_b32_e32 v38, v0, v1, vcc
	v_cmp_eq_u32_e64 s[6:7], 2, v54
	v_cmp_eq_u32_e64 s[8:9], 3, v54
	v_cmp_eq_u32_e64 s[10:11], 4, v54
	v_cndmask_b32_e64 v38, v38, v2, s[6:7]
	v_cndmask_b32_e64 v38, v38, v3, s[8:9]
	v_cndmask_b32_e64 v38, v38, v4, s[10:11]
	v_cmp_eq_u32_e64 s[12:13], 5, v54
	v_cmp_eq_u32_e64 s[14:15], 6, v54
	v_cmp_eq_u32_e64 s[16:17], 7, v54
	v_cndmask_b32_e64 v38, v38, v5, s[12:13]
	v_cndmask_b32_e64 v38, v38, v6, s[14:15]
	v_cndmask_b32_e64 v38, v38, v7, s[16:17]
	v_cmp_eq_u32_e64 s[18:19], 8, v54
	v_cmp_eq_u32_e64 s[20:21], 9, v54
	v_cmp_eq_u32_e64 s[22:23], 10, v54
	v_cndmask_b32_e64 v38, v38, v8, s[18:19]
	v_cndmask_b32_e64 v38, v38, v9, s[20:21]
	v_cndmask_b32_e64 v38, v38, v10, s[22:23]
	v_cmp_eq_u32_e64 s[24:25], 11, v54
	v_cmp_eq_u32_e64 s[26:27], 12, v54
	v_cmp_eq_u32_e64 s[28:29], 13, v54
	v_cndmask_b32_e64 v38, v38, v11, s[24:25]
	v_cndmask_b32_e64 v38, v38, v12, s[26:27]
	v_cndmask_b32_e64 v38, v38, v13, s[28:29]
	v_cmp_eq_u32_e64 s[30:31], 14, v54
	;; [unrolled: 50-line block ×4, first 2 shown]
	v_cmp_eq_u32_e64 s[34:35], 15, v56
	s_nop 0
	v_cndmask_b32_e64 v38, v38, v14, s[30:31]
	v_cndmask_b32_e64 v38, v38, v15, s[34:35]
	ds_bpermute_b32 v38, v70, v38
	s_waitcnt lgkmcnt(0)
	v_cndmask_b32_e32 v1, v1, v38, vcc
	v_cmp_eq_u32_e32 vcc, 0, v56
	v_cndmask_b32_e64 v15, v15, v38, s[34:35]
	v_cndmask_b32_e64 v14, v14, v38, s[30:31]
	;; [unrolled: 1-line block ×14, first 2 shown]
	v_cndmask_b32_e32 v38, v0, v38, vcc
	v_cmp_eq_u32_e32 vcc, 1, v57
	v_cmp_eq_u32_e64 s[6:7], 2, v57
	v_cmp_eq_u32_e64 s[8:9], 3, v57
	v_cndmask_b32_e32 v0, v38, v1, vcc
	v_cndmask_b32_e64 v0, v0, v73, s[6:7]
	v_cndmask_b32_e64 v0, v0, v72, s[8:9]
	v_cmp_eq_u32_e64 s[10:11], 4, v57
	v_cmp_eq_u32_e64 s[12:13], 5, v57
	v_cmp_eq_u32_e64 s[14:15], 6, v57
	v_cndmask_b32_e64 v0, v0, v45, s[10:11]
	v_cndmask_b32_e64 v0, v0, v44, s[12:13]
	v_cndmask_b32_e64 v0, v0, v43, s[14:15]
	v_cmp_eq_u32_e64 s[16:17], 7, v57
	v_cmp_eq_u32_e64 s[18:19], 8, v57
	v_cmp_eq_u32_e64 s[20:21], 9, v57
	v_cndmask_b32_e64 v0, v0, v42, s[16:17]
	;; [unrolled: 6-line block ×4, first 2 shown]
	v_cndmask_b32_e64 v0, v0, v14, s[30:31]
	v_cndmask_b32_e64 v0, v0, v15, s[34:35]
	ds_bpermute_b32 v74, v70, v0
	s_waitcnt lgkmcnt(0)
	v_cndmask_b32_e32 v0, v1, v74, vcc
	v_cmp_eq_u32_e32 vcc, 0, v57
	v_cndmask_b32_e64 v4, v15, v74, s[34:35]
	v_cndmask_b32_e64 v15, v73, v74, s[6:7]
	v_cndmask_b32_e32 v1, v38, v74, vcc
	v_cmp_eq_u32_e32 vcc, 1, v58
	v_cndmask_b32_e64 v5, v14, v74, s[30:31]
	v_cndmask_b32_e64 v14, v72, v74, s[8:9]
	;; [unrolled: 4-line block ×7, first 2 shown]
	v_cndmask_b32_e32 v38, v38, v13, vcc
	v_cmp_eq_u32_e32 vcc, 7, v58
	s_nop 1
	v_cndmask_b32_e32 v38, v38, v12, vcc
	v_cmp_eq_u32_e32 vcc, 8, v58
	s_nop 1
	;; [unrolled: 3-line block ×9, first 2 shown]
	v_cndmask_b32_e32 v38, v38, v4, vcc
	ds_bpermute_b32 v38, v70, v38
	v_cmp_lt_i32_e32 vcc, s74, v59
	s_and_saveexec_b64 s[60:61], vcc
	s_cbranch_execz .LBB165_29
; %bb.21:                               ;   in Loop: Header=BB165_7 Depth=1
	s_mul_i32 s6, s72, s37
	s_ashr_i32 s7, s6, 31
	s_lshl_b64 s[6:7], s[6:7], 1
	v_cmp_eq_u32_e64 s[30:31], 1, v58
	s_add_u32 s8, s48, s6
	s_addc_u32 s9, s49, s7
	s_waitcnt lgkmcnt(0)
	v_cndmask_b32_e64 v0, v0, v38, s[30:31]
	v_cmp_eq_u32_e64 s[30:31], 0, v58
	s_ashr_i32 s55, s54, 31
	s_lshl_b64 s[6:7], s[54:55], 1
	v_cndmask_b32_e64 v1, v1, v38, s[30:31]
	v_cvt_f16_f32_e32 v39, v1
	v_cvt_f16_f32_sdwa v41, v0 dst_sel:WORD_1 dst_unused:UNUSED_PAD src0_sel:DWORD
	s_add_u32 s34, s8, s6
	s_addc_u32 s35, s9, s7
	v_cmp_eq_u32_e64 s[8:9], 15, v58
	v_cmp_eq_u32_e64 s[10:11], 14, v58
	;; [unrolled: 1-line block ×10, first 2 shown]
	v_cmp_eq_u32_e32 vcc, 5, v58
	v_cmp_eq_u32_e64 s[6:7], 4, v58
	v_cmp_eq_u32_e64 s[28:29], 3, v58
	;; [unrolled: 1-line block ×3, first 2 shown]
	v_lshl_add_u64 v[0:1], s[34:35], 0, v[16:17]
	v_cmp_lt_i32_e64 s[34:35], s74, v60
	v_lshl_add_u64 v[42:43], v[18:19], 1, v[0:1]
	v_or_b32_e32 v39, v41, v39
	;;#ASMSTART
	global_atomic_pk_add_f16 v[42:43], v39, off
	
	;;#ASMEND
	s_and_b64 exec, exec, s[34:35]
	s_cbranch_execz .LBB165_29
; %bb.22:                               ;   in Loop: Header=BB165_7 Depth=1
	v_cndmask_b32_e64 v14, v14, v38, s[28:29]
	v_cndmask_b32_e64 v15, v15, v38, s[30:31]
	v_cvt_f16_f32_e32 v39, v15
	v_cvt_f16_f32_sdwa v41, v14 dst_sel:WORD_1 dst_unused:UNUSED_PAD src0_sel:DWORD
	v_cndmask_b32_e64 v4, v4, v38, s[8:9]
	v_cndmask_b32_e64 v5, v5, v38, s[10:11]
	v_cndmask_b32_e64 v6, v6, v38, s[12:13]
	v_cndmask_b32_e64 v7, v7, v38, s[14:15]
	v_cndmask_b32_e64 v8, v8, v38, s[16:17]
	v_cndmask_b32_e64 v9, v9, v38, s[18:19]
	v_cndmask_b32_e64 v10, v10, v38, s[20:21]
	v_cndmask_b32_e64 v11, v11, v38, s[22:23]
	v_cndmask_b32_e64 v12, v12, v38, s[24:25]
	v_cndmask_b32_e64 v13, v13, v38, s[26:27]
	v_cndmask_b32_e32 v2, v2, v38, vcc
	v_cndmask_b32_e64 v3, v3, v38, s[6:7]
	v_cmp_lt_i32_e32 vcc, s74, v61
	v_lshl_add_u64 v[14:15], v[20:21], 1, v[0:1]
	v_or_b32_e32 v38, v41, v39
	;;#ASMSTART
	global_atomic_pk_add_f16 v[14:15], v38, off
	
	;;#ASMEND
	s_and_b64 exec, exec, vcc
	s_cbranch_execz .LBB165_29
; %bb.23:                               ;   in Loop: Header=BB165_7 Depth=1
	v_cvt_f16_f32_e32 v14, v3
	v_cvt_f16_f32_sdwa v15, v2 dst_sel:WORD_1 dst_unused:UNUSED_PAD src0_sel:DWORD
	v_cmp_lt_i32_e32 vcc, s74, v62
	v_lshl_add_u64 v[2:3], v[22:23], 1, v[0:1]
	v_or_b32_e32 v14, v15, v14
	;;#ASMSTART
	global_atomic_pk_add_f16 v[2:3], v14, off
	
	;;#ASMEND
	s_and_b64 exec, exec, vcc
	s_cbranch_execz .LBB165_29
; %bb.24:                               ;   in Loop: Header=BB165_7 Depth=1
	v_cvt_f16_f32_e32 v13, v13
	v_cvt_f16_f32_sdwa v12, v12 dst_sel:WORD_1 dst_unused:UNUSED_PAD src0_sel:DWORD
	;; [unrolled: 12-line block ×6, first 2 shown]
	v_lshl_add_u64 v[0:1], v[32:33], 1, v[0:1]
	v_or_b32_e32 v2, v3, v2
	;;#ASMSTART
	global_atomic_pk_add_f16 v[0:1], v2, off
	
	;;#ASMEND
.LBB165_29:                             ;   in Loop: Header=BB165_7 Depth=1
	s_or_b64 exec, exec, s[60:61]
	v_subrev_u32_e32 v71, s75, v71
.LBB165_30:                             ;   in Loop: Header=BB165_7 Depth=1
	s_or_b64 exec, exec, s[58:59]
.LBB165_31:                             ;   in Loop: Header=BB165_7 Depth=1
	s_andn2_saveexec_b64 s[6:7], s[56:57]
	s_cbranch_execz .LBB165_40
; %bb.32:                               ;   in Loop: Header=BB165_7 Depth=1
	v_cmp_gt_i32_e32 vcc, s75, v71
	s_and_saveexec_b64 s[8:9], vcc
	s_cbranch_execz .LBB165_39
; %bb.33:                               ;   in Loop: Header=BB165_7 Depth=1
	s_mul_i32 s10, s54, s39
	s_ashr_i32 s11, s10, 31
	s_waitcnt lgkmcnt(0)
	s_add_u32 s10, s46, s10
	s_addc_u32 s11, s47, s11
	s_ashr_i32 s12, s73, 31
	s_add_u32 s10, s10, s73
	s_addc_u32 s11, s11, s12
	v_lshl_add_u64 v[0:1], s[10:11], 0, v[36:37]
	v_lshl_add_u64 v[8:9], v[0:1], 0, v[34:35]
	s_mov_b64 s[10:11], 0
	s_branch .LBB165_35
.LBB165_34:                             ;   in Loop: Header=BB165_35 Depth=2
	s_or_b64 exec, exec, s[12:13]
	v_lshl_add_u32 v12, v10, 11, v67
	;;#ASMSTART
	s_waitcnt vmcnt(1)
	;;#ASMEND
	ds_write2_b32 v12, v4, v5 offset1:32
	ds_write2_b32 v12, v6, v7 offset0:64 offset1:96
	v_add_u32_e32 v4, 0x400, v12
	v_add_u32_e32 v71, s42, v71
	;;#ASMSTART
	s_waitcnt vmcnt(0)
	;;#ASMEND
	ds_write2_b32 v4, v0, v1 offset1:32
	ds_write2_b32 v4, v2, v3 offset0:64 offset1:96
	v_add_u32_e32 v0, 1, v47
	v_add_u32_e32 v40, s42, v10
	v_cmp_le_i32_e32 vcc, s75, v71
	ds_write_b32 v11, v0 offset:48
	v_add_u32_e32 v0, 2, v47
	s_or_b64 s[10:11], vcc, s[10:11]
	v_cmp_lt_i32_e32 vcc, 5, v40
	s_nop 1
	v_cndmask_b32_e32 v47, v47, v0, vcc
	s_andn2_b64 exec, exec, s[10:11]
	s_cbranch_execz .LBB165_38
.LBB165_35:                             ;   Parent Loop BB165_7 Depth=1
                                        ; =>  This Loop Header: Depth=2
                                        ;       Child Loop BB165_37 Depth 3
	v_cmp_gt_i32_e32 vcc, 6, v40
	s_nop 1
	v_cndmask_b32_e64 v0, -6, 0, vcc
	v_add_u32_e32 v10, v0, v40
	v_lshlrev_b32_e32 v0, 6, v71
	v_ashrrev_i32_e32 v1, 31, v0
	v_lshl_add_u64 v[0:1], v[8:9], 0, v[0:1]
	v_lshlrev_b32_e32 v11, 2, v10
	;;#ASMSTART
	global_load_dwordx4 v[4:7], v[0:1], off offset:0   sc0 sc1 nt  
	global_load_dwordx4 v[0:3], v[0:1], off offset:32  sc0 sc1 nt  
	
	;;#ASMEND
	ds_read_b32 v12, v11 offset:36912
	v_add_u32_e32 v11, 0x9000, v11
	s_waitcnt lgkmcnt(0)
	v_cmp_ne_u32_e32 vcc, v12, v47
	s_and_saveexec_b64 s[12:13], vcc
	s_cbranch_execz .LBB165_34
; %bb.36:                               ;   in Loop: Header=BB165_35 Depth=2
	s_mov_b64 s[14:15], 0
.LBB165_37:                             ;   Parent Loop BB165_7 Depth=1
                                        ;     Parent Loop BB165_35 Depth=2
                                        ; =>    This Inner Loop Header: Depth=3
	;;#ASMSTART
	s_sleep 0
	;;#ASMEND
	ds_read_b32 v12, v11 offset:48
	s_waitcnt lgkmcnt(0)
	v_cmp_eq_u32_e32 vcc, v12, v47
	s_or_b64 s[14:15], vcc, s[14:15]
	s_andn2_b64 exec, exec, s[14:15]
	s_cbranch_execnz .LBB165_37
	s_branch .LBB165_34
.LBB165_38:                             ;   in Loop: Header=BB165_7 Depth=1
	s_or_b64 exec, exec, s[10:11]
.LBB165_39:                             ;   in Loop: Header=BB165_7 Depth=1
	s_or_b64 exec, exec, s[8:9]
	v_subrev_u32_e32 v71, s75, v71
.LBB165_40:                             ;   in Loop: Header=BB165_7 Depth=1
	s_or_b64 exec, exec, s[6:7]
.LBB165_41:                             ;   in Loop: Header=BB165_7 Depth=1
	s_andn2_saveexec_b64 s[6:7], s[52:53]
	s_cbranch_execz .LBB165_6
; %bb.42:                               ;   in Loop: Header=BB165_7 Depth=1
	s_lshl_b32 s16, s75, 1
	v_cmp_gt_i32_e32 vcc, s16, v71
	s_and_saveexec_b64 s[8:9], vcc
	s_cbranch_execz .LBB165_5
; %bb.43:                               ;   in Loop: Header=BB165_7 Depth=1
	s_mul_i32 s72, s72, s38
	s_max_i32 s12, s74, 0
	s_ashr_i32 s10, s72, 31
	s_waitcnt lgkmcnt(0)
	s_add_u32 s11, s44, s72
	v_add_u32_e32 v2, s12, v48
	s_addc_u32 s13, s45, s10
	s_ashr_i32 s14, s73, 31
	v_cmp_gt_u32_e32 vcc, 64, v2
	s_add_u32 s10, s11, s73
	s_addc_u32 s11, s13, s14
	v_cndmask_b32_e32 v0, 0, v68, vcc
	v_ashrrev_i32_e32 v1, 31, v0
	v_lshl_add_u64 v[0:1], s[10:11], 0, v[0:1]
	v_lshl_add_u64 v[8:9], v[0:1], 0, v[34:35]
	v_sub_u32_e32 v10, 63, v2
	s_mov_b64 s[10:11], 0
	s_branch .LBB165_45
.LBB165_44:                             ;   in Loop: Header=BB165_45 Depth=2
	s_or_b64 exec, exec, s[12:13]
	v_lshl_or_b32 v13, v11, 11, v69
	;;#ASMSTART
	s_waitcnt vmcnt(1)
	;;#ASMEND
	ds_write2_b32 v13, v4, v5 offset1:32
	ds_write2_b32 v13, v6, v7 offset0:64 offset1:96
	v_add_u32_e32 v4, 0x400, v13
	v_add_u32_e32 v71, s41, v71
	;;#ASMSTART
	s_waitcnt vmcnt(0)
	;;#ASMEND
	ds_write2_b32 v4, v0, v1 offset1:32
	ds_write2_b32 v4, v2, v3 offset0:64 offset1:96
	v_add_u32_e32 v0, 1, v47
	v_add_u32_e32 v40, s41, v11
	v_cmp_le_i32_e32 vcc, s16, v71
	ds_write_b32 v12, v0
	v_add_u32_e32 v0, 2, v47
	s_or_b64 s[10:11], vcc, s[10:11]
	v_cmp_lt_i32_e32 vcc, 11, v40
	s_nop 1
	v_cndmask_b32_e32 v47, v47, v0, vcc
	s_andn2_b64 exec, exec, s[10:11]
	s_cbranch_execz .LBB165_4
.LBB165_45:                             ;   Parent Loop BB165_7 Depth=1
                                        ; =>  This Loop Header: Depth=2
                                        ;       Child Loop BB165_47 Depth 3
	v_cmp_gt_i32_e32 vcc, 12, v40
	s_nop 1
	v_cndmask_b32_e64 v0, -12, 0, vcc
	v_add_u32_e32 v11, v0, v40
	v_lshrrev_b32_e32 v0, 31, v71
	v_add_u32_e32 v0, v71, v0
	v_and_b32_e32 v1, 0x7fffffe, v0
	v_sub_u32_e32 v1, v71, v1
	v_lshlrev_b32_e32 v1, 5, v1
	v_cmp_le_i32_e32 vcc, v1, v10
	v_lshlrev_b32_e32 v0, 5, v0
	v_and_b32_e32 v0, 0xffffffc0, v0
	v_cndmask_b32_e32 v2, 0, v1, vcc
	v_ashrrev_i32_e32 v1, 31, v0
	v_mul_lo_u32 v2, v2, s38
	v_lshl_add_u64 v[0:1], v[8:9], 0, v[0:1]
	v_ashrrev_i32_e32 v3, 31, v2
	v_lshl_add_u64 v[0:1], v[0:1], 0, v[2:3]
	v_lshlrev_b32_e32 v12, 2, v11
	;;#ASMSTART
	global_load_dwordx4 v[4:7], v[0:1], off offset:0   
	global_load_dwordx4 v[0:3], v[0:1], off offset:32  
	
	;;#ASMEND
	ds_read_b32 v13, v12 offset:36864
	v_add_u32_e32 v12, 0x9000, v12
	s_waitcnt lgkmcnt(0)
	v_cmp_ne_u32_e32 vcc, v13, v47
	s_and_saveexec_b64 s[12:13], vcc
	s_cbranch_execz .LBB165_44
; %bb.46:                               ;   in Loop: Header=BB165_45 Depth=2
	s_mov_b64 s[14:15], 0
.LBB165_47:                             ;   Parent Loop BB165_7 Depth=1
                                        ;     Parent Loop BB165_45 Depth=2
                                        ; =>    This Inner Loop Header: Depth=3
	;;#ASMSTART
	s_sleep 0
	;;#ASMEND
	ds_read_b32 v13, v12
	s_waitcnt lgkmcnt(0)
	v_cmp_eq_u32_e32 vcc, v13, v47
	s_or_b64 s[14:15], vcc, s[14:15]
	s_andn2_b64 exec, exec, s[14:15]
	s_cbranch_execnz .LBB165_47
	s_branch .LBB165_44
.LBB165_48:
	s_endpgm
	.section	.rodata,"a",@progbits
	.p2align	6, 0x0
	.amdhsa_kernel _Z19_skinny_gemm_kernelILi2ELi1ELi6ELi32ELi4EEvPKhS1_P6__halfPKfiiiiiiii
		.amdhsa_group_segment_fixed_size 36936
		.amdhsa_private_segment_fixed_size 0
		.amdhsa_kernarg_size 64
		.amdhsa_user_sgpr_count 2
		.amdhsa_user_sgpr_dispatch_ptr 0
		.amdhsa_user_sgpr_queue_ptr 0
		.amdhsa_user_sgpr_kernarg_segment_ptr 1
		.amdhsa_user_sgpr_dispatch_id 0
		.amdhsa_user_sgpr_kernarg_preload_length 0
		.amdhsa_user_sgpr_kernarg_preload_offset 0
		.amdhsa_user_sgpr_private_segment_size 0
		.amdhsa_uses_dynamic_stack 0
		.amdhsa_enable_private_segment 0
		.amdhsa_system_sgpr_workgroup_id_x 1
		.amdhsa_system_sgpr_workgroup_id_y 0
		.amdhsa_system_sgpr_workgroup_id_z 0
		.amdhsa_system_sgpr_workgroup_info 0
		.amdhsa_system_vgpr_workitem_id 0
		.amdhsa_next_free_vgpr 79
		.amdhsa_next_free_sgpr 76
		.amdhsa_accum_offset 80
		.amdhsa_reserve_vcc 1
		.amdhsa_float_round_mode_32 0
		.amdhsa_float_round_mode_16_64 0
		.amdhsa_float_denorm_mode_32 3
		.amdhsa_float_denorm_mode_16_64 3
		.amdhsa_dx10_clamp 1
		.amdhsa_ieee_mode 1
		.amdhsa_fp16_overflow 0
		.amdhsa_tg_split 0
		.amdhsa_exception_fp_ieee_invalid_op 0
		.amdhsa_exception_fp_denorm_src 0
		.amdhsa_exception_fp_ieee_div_zero 0
		.amdhsa_exception_fp_ieee_overflow 0
		.amdhsa_exception_fp_ieee_underflow 0
		.amdhsa_exception_fp_ieee_inexact 0
		.amdhsa_exception_int_div_zero 0
	.end_amdhsa_kernel
	.section	.text._Z19_skinny_gemm_kernelILi2ELi1ELi6ELi32ELi4EEvPKhS1_P6__halfPKfiiiiiiii,"axG",@progbits,_Z19_skinny_gemm_kernelILi2ELi1ELi6ELi32ELi4EEvPKhS1_P6__halfPKfiiiiiiii,comdat
.Lfunc_end165:
	.size	_Z19_skinny_gemm_kernelILi2ELi1ELi6ELi32ELi4EEvPKhS1_P6__halfPKfiiiiiiii, .Lfunc_end165-_Z19_skinny_gemm_kernelILi2ELi1ELi6ELi32ELi4EEvPKhS1_P6__halfPKfiiiiiiii
                                        ; -- End function
	.set _Z19_skinny_gemm_kernelILi2ELi1ELi6ELi32ELi4EEvPKhS1_P6__halfPKfiiiiiiii.num_vgpr, 79
	.set _Z19_skinny_gemm_kernelILi2ELi1ELi6ELi32ELi4EEvPKhS1_P6__halfPKfiiiiiiii.num_agpr, 0
	.set _Z19_skinny_gemm_kernelILi2ELi1ELi6ELi32ELi4EEvPKhS1_P6__halfPKfiiiiiiii.numbered_sgpr, 76
	.set _Z19_skinny_gemm_kernelILi2ELi1ELi6ELi32ELi4EEvPKhS1_P6__halfPKfiiiiiiii.num_named_barrier, 0
	.set _Z19_skinny_gemm_kernelILi2ELi1ELi6ELi32ELi4EEvPKhS1_P6__halfPKfiiiiiiii.private_seg_size, 0
	.set _Z19_skinny_gemm_kernelILi2ELi1ELi6ELi32ELi4EEvPKhS1_P6__halfPKfiiiiiiii.uses_vcc, 1
	.set _Z19_skinny_gemm_kernelILi2ELi1ELi6ELi32ELi4EEvPKhS1_P6__halfPKfiiiiiiii.uses_flat_scratch, 0
	.set _Z19_skinny_gemm_kernelILi2ELi1ELi6ELi32ELi4EEvPKhS1_P6__halfPKfiiiiiiii.has_dyn_sized_stack, 0
	.set _Z19_skinny_gemm_kernelILi2ELi1ELi6ELi32ELi4EEvPKhS1_P6__halfPKfiiiiiiii.has_recursion, 0
	.set _Z19_skinny_gemm_kernelILi2ELi1ELi6ELi32ELi4EEvPKhS1_P6__halfPKfiiiiiiii.has_indirect_call, 0
	.section	.AMDGPU.csdata,"",@progbits
; Kernel info:
; codeLenInByte = 6040
; TotalNumSgprs: 82
; NumVgprs: 79
; NumAgprs: 0
; TotalNumVgprs: 79
; ScratchSize: 0
; MemoryBound: 0
; FloatMode: 240
; IeeeMode: 1
; LDSByteSize: 36936 bytes/workgroup (compile time only)
; SGPRBlocks: 10
; VGPRBlocks: 9
; NumSGPRsForWavesPerEU: 82
; NumVGPRsForWavesPerEU: 79
; AccumOffset: 80
; Occupancy: 6
; WaveLimiterHint : 0
; COMPUTE_PGM_RSRC2:SCRATCH_EN: 0
; COMPUTE_PGM_RSRC2:USER_SGPR: 2
; COMPUTE_PGM_RSRC2:TRAP_HANDLER: 0
; COMPUTE_PGM_RSRC2:TGID_X_EN: 1
; COMPUTE_PGM_RSRC2:TGID_Y_EN: 0
; COMPUTE_PGM_RSRC2:TGID_Z_EN: 0
; COMPUTE_PGM_RSRC2:TIDIG_COMP_CNT: 0
; COMPUTE_PGM_RSRC3_GFX90A:ACCUM_OFFSET: 19
; COMPUTE_PGM_RSRC3_GFX90A:TG_SPLIT: 0
	.section	.text._Z19_skinny_gemm_kernelILi2ELi2ELi1ELi16ELi4EEvPKhS1_P6__halfPKfiiiiiiii,"axG",@progbits,_Z19_skinny_gemm_kernelILi2ELi2ELi1ELi16ELi4EEvPKhS1_P6__halfPKfiiiiiiii,comdat
	.protected	_Z19_skinny_gemm_kernelILi2ELi2ELi1ELi16ELi4EEvPKhS1_P6__halfPKfiiiiiiii ; -- Begin function _Z19_skinny_gemm_kernelILi2ELi2ELi1ELi16ELi4EEvPKhS1_P6__halfPKfiiiiiiii
	.globl	_Z19_skinny_gemm_kernelILi2ELi2ELi1ELi16ELi4EEvPKhS1_P6__halfPKfiiiiiiii
	.p2align	8
	.type	_Z19_skinny_gemm_kernelILi2ELi2ELi1ELi16ELi4EEvPKhS1_P6__halfPKfiiiiiiii,@function
_Z19_skinny_gemm_kernelILi2ELi2ELi1ELi16ELi4EEvPKhS1_P6__halfPKfiiiiiiii: ; @_Z19_skinny_gemm_kernelILi2ELi2ELi1ELi16ELi4EEvPKhS1_P6__halfPKfiiiiiiii
; %bb.0:
	v_cmp_gt_u32_e32 vcc, 4, v0
	v_lshlrev_b32_e32 v1, 2, v0
	s_and_saveexec_b64 s[4:5], vcc
; %bb.1:
	v_mov_b32_e32 v2, 0
	ds_write_b32 v1, v2 offset:8192
; %bb.2:
	s_or_b64 exec, exec, s[4:5]
	s_load_dwordx8 s[16:23], s[0:1], 0x20
	s_waitcnt lgkmcnt(0)
	s_barrier
	s_add_i32 s3, s16, 31
	s_ashr_i32 s5, s3, 31
	s_add_i32 s4, s17, 31
	s_lshr_b32 s5, s5, 27
	s_ashr_i32 s6, s4, 31
	s_add_i32 s3, s3, s5
	s_ashr_i32 s33, s3, 5
	s_lshr_b32 s3, s6, 27
	s_add_i32 s4, s4, s3
	s_ashr_i32 s48, s4, 5
	s_mul_i32 s3, s48, s33
	s_mul_i32 s3, s3, s20
	s_add_i32 s4, s3, 0x12f
	s_mul_hi_i32 s4, s4, 0x6bca1af3
	s_lshr_b32 s5, s4, 31
	s_ashr_i32 s4, s4, 7
	s_add_i32 s4, s4, s5
	s_add_i32 s5, s2, 1
	s_mul_i32 s5, s4, s5
	v_cvt_f64_i32_e32 v[2:3], s3
	v_cvt_f64_u32_e32 v[4:5], s5
	v_min_f64 v[2:3], v[2:3], v[4:5]
	v_cvt_i32_f64_e32 v17, v[2:3]
	s_mul_i32 s49, s4, s2
	v_cmp_ge_i32_e32 vcc, s49, v17
	s_cbranch_vccnz .LBB166_50
; %bb.3:
	v_lshrrev_b32_e32 v2, 6, v0
	s_add_i32 s4, s22, s21
	s_load_dwordx8 s[24:31], s[0:1], 0x0
	v_cmp_le_i32_e64 s[0:1], s4, v2
	v_mov_b32_e32 v3, s21
	v_cmp_le_i32_e64 s[2:3], s21, v2
	v_mov_b32_e32 v4, s22
	v_cndmask_b32_e64 v4, 0, v4, s[0:1]
	v_cndmask_b32_e64 v3, 0, v3, s[2:3]
	s_abs_i32 s5, s20
	v_add_u32_e32 v3, v3, v4
	v_cvt_f32_u32_e32 v4, s5
	v_sub_u32_e32 v28, v2, v3
	s_ashr_i32 s6, s18, 31
	s_lshr_b32 s6, s6, 25
	v_rcp_iflag_f32_e32 v3, v4
	s_sub_i32 s9, 0, s5
	s_add_i32 s6, s18, s6
	s_ashr_i32 s6, s6, 7
	v_mul_f32_e32 v3, 0x4f7ffffe, v3
	v_cvt_u32_f32_e32 v3, v3
	s_abs_i32 s8, s6
	s_xor_b32 s7, s6, s20
	s_ashr_i32 s7, s7, 31
	v_readfirstlane_b32 s10, v3
	s_mul_i32 s9, s9, s10
	s_mul_hi_u32 s9, s10, s9
	s_add_i32 s10, s10, s9
	s_mul_hi_u32 s9, s8, s10
	s_mul_i32 s10, s9, s5
	s_sub_i32 s8, s8, s10
	s_add_i32 s10, s9, 1
	s_sub_i32 s11, s8, s5
	s_cmp_ge_u32 s8, s5
	s_cselect_b32 s9, s10, s9
	s_cselect_b32 s8, s11, s8
	s_add_i32 s10, s9, 1
	s_cmp_ge_u32 s8, s5
	s_cselect_b32 s5, s10, s9
	s_xor_b32 s5, s5, s7
	s_sub_i32 s50, s5, s7
	s_add_i32 s20, s20, -1
	s_mul_i32 s5, s50, s20
	s_add_i32 s4, s4, s23
	s_sub_i32 s51, s6, s5
	v_cmp_gt_i32_e64 s[4:5], s4, v2
	v_lshlrev_b32_e32 v2, 1, v0
	v_lshlrev_b32_e32 v3, 4, v0
	s_abs_i32 s52, s33
	v_and_b32_e32 v1, 60, v1
	v_and_b32_e32 v2, 64, v2
	;; [unrolled: 1-line block ×4, first 2 shown]
	v_cvt_f32_u32_e32 v3, s52
	v_or3_b32 v47, v1, v2, v4
	v_and_b32_e32 v1, 1, v0
	v_lshlrev_b32_e32 v2, 1, v1
	v_lshrrev_b32_e32 v4, 2, v0
	v_and_b32_e32 v16, 14, v0
	v_sub_u32_e32 v2, v0, v2
	v_bitop3_b32 v48, v0, 1, v0 bitop3:0xc
	v_bitop3_b32 v49, v0, 3, 1 bitop3:0x6c
	v_and_or_b32 v50, v4, 12, v1
	v_bfe_u32 v51, v0, 2, 4
	v_and_b32_e32 v1, 60, v0
	v_lshlrev_b32_e32 v4, 8, v0
	v_lshlrev_b32_e32 v0, 6, v0
	v_and_b32_e32 v4, 0x200, v4
	v_rcp_iflag_f32_e32 v3, v3
	v_and_b32_e32 v0, 64, v0
	s_abs_i32 s54, s48
	v_or3_b32 v52, v1, v4, v0
	v_cvt_f32_u32_e32 v1, s54
	v_mul_f32_e32 v0, 0x4f7ffffe, v3
	v_cvt_u32_f32_e32 v0, v0
	v_mad_u64_u32 v[18:19], s[6:7], s17, v50, v[16:17]
	v_rcp_iflag_f32_e32 v1, v1
	v_readfirstlane_b32 s7, v0
	s_sub_i32 s6, 0, s52
	s_mul_i32 s6, s6, s7
	v_mul_f32_e32 v0, 0x4f7ffffe, v1
	v_cvt_u32_f32_e32 v0, v0
	s_mul_hi_u32 s6, s7, s6
	v_add_u32_e32 v2, 1, v2
	s_add_i32 s56, s7, s6
	s_sub_i32 s6, 0, s54
	v_readfirstlane_b32 s7, v0
	v_mbcnt_lo_u32_b32 v0, -1, 0
	v_and_b32_e32 v2, 63, v2
	s_mul_i32 s6, s6, s7
	v_mbcnt_hi_u32_b32 v0, -1, v0
	v_lshl_add_u32 v20, s17, 4, v18
	v_mul_lo_u32 v24, s19, v51
	s_mul_hi_u32 s6, s7, s6
	v_and_or_b32 v0, v0, 64, v2
	v_cndmask_b32_e64 v46, 0, 1, s[0:1]
	s_ashr_i32 s35, s17, 31
	s_mov_b32 s34, s17
	v_ashrrev_i32_e32 v19, 31, v18
	v_ashrrev_i32_e32 v21, 31, v20
	;; [unrolled: 1-line block ×3, first 2 shown]
	v_mov_b32_e32 v23, 0
	s_lshl_b32 s53, s19, 4
	s_ashr_i32 s55, s33, 31
	s_ashr_i32 s57, s48, 31
	s_add_i32 s58, s7, s6
	v_lshlrev_b32_e32 v53, 2, v0
	v_mov_b32_e32 v54, v28
	s_branch .LBB166_7
.LBB166_4:                              ;   in Loop: Header=BB166_7 Depth=1
	s_or_b64 exec, exec, s[10:11]
.LBB166_5:                              ;   in Loop: Header=BB166_7 Depth=1
	s_or_b64 exec, exec, s[8:9]
	v_subrev_u32_e32 v54, s36, v54
.LBB166_6:                              ;   in Loop: Header=BB166_7 Depth=1
	s_or_b64 exec, exec, s[6:7]
	s_add_i32 s49, s49, 1
	v_cmp_ge_i32_e32 vcc, s49, v17
	s_cbranch_vccnz .LBB166_50
.LBB166_7:                              ; =>This Loop Header: Depth=1
                                        ;     Child Loop BB166_13 Depth 2
                                        ;       Child Loop BB166_15 Depth 3
                                        ;       Child Loop BB166_18 Depth 3
	;; [unrolled: 1-line block ×4, first 2 shown]
                                        ;     Child Loop BB166_37 Depth 2
                                        ;       Child Loop BB166_39 Depth 3
                                        ;     Child Loop BB166_47 Depth 2
                                        ;       Child Loop BB166_49 Depth 3
	s_abs_i32 s7, s49
	s_mul_hi_u32 s8, s7, s56
	s_mul_i32 s9, s8, s52
	s_ashr_i32 s6, s49, 31
	s_sub_i32 s7, s7, s9
	s_xor_b32 s6, s6, s55
	s_add_i32 s9, s8, 1
	s_sub_i32 s10, s7, s52
	s_cmp_ge_u32 s7, s52
	s_cselect_b32 s8, s9, s8
	s_cselect_b32 s7, s10, s7
	s_add_i32 s9, s8, 1
	s_cmp_ge_u32 s7, s52
	s_cselect_b32 s7, s9, s8
	s_xor_b32 s7, s7, s6
	s_sub_i32 s6, s7, s6
	s_abs_i32 s8, s6
	s_mul_i32 s7, s6, s33
	s_mul_hi_u32 s9, s8, s58
	s_sub_i32 s7, s49, s7
	s_mul_i32 s10, s9, s54
	s_lshl_b32 s59, s7, 5
	s_ashr_i32 s7, s6, 31
	s_sub_i32 s8, s8, s10
	s_xor_b32 s7, s7, s57
	s_add_i32 s10, s9, 1
	s_sub_i32 s11, s8, s54
	s_cmp_ge_u32 s8, s54
	s_cselect_b32 s9, s10, s9
	s_cselect_b32 s8, s11, s8
	s_add_i32 s10, s9, 1
	s_cmp_ge_u32 s8, s54
	s_cselect_b32 s8, s10, s9
	s_xor_b32 s8, s8, s7
	s_sub_i32 s7, s8, s7
	s_mul_i32 s8, s7, s50
	s_lshl_b32 s60, s8, 7
	s_cmp_eq_u32 s7, s20
	s_cselect_b32 s62, s51, s50
	s_sub_i32 s8, s59, s16
	s_add_i32 s8, s8, 32
	s_max_i32 s61, s8, 0
	s_and_saveexec_b64 s[8:9], s[2:3]
	s_xor_b64 s[36:37], exec, s[8:9]
	s_cbranch_execz .LBB166_43
; %bb.8:                                ;   in Loop: Header=BB166_7 Depth=1
	s_mul_i32 s7, s7, s48
	s_sub_i32 s6, s6, s7
	s_lshl_b32 s6, s6, 5
	s_sub_i32 s14, s6, s17
	s_add_i32 s14, s14, 32
	s_max_i32 s7, s14, 0
	s_sub_i32 s38, s6, s7
	s_and_saveexec_b64 s[6:7], s[0:1]
	s_xor_b64 s[40:41], exec, s[6:7]
	s_cbranch_execz .LBB166_33
; %bb.9:                                ;   in Loop: Header=BB166_7 Depth=1
	s_and_saveexec_b64 s[42:43], s[4:5]
	s_cbranch_execz .LBB166_32
; %bb.10:                               ;   in Loop: Header=BB166_7 Depth=1
	s_waitcnt lgkmcnt(0)
	global_load_dword v55, v23, s[30:31]
	v_mov_b32_e32 v15, 0
	v_cmp_gt_i32_e32 vcc, s62, v54
	v_mov_b32_e32 v14, v15
	v_mov_b32_e32 v13, v15
	;; [unrolled: 1-line block ×15, first 2 shown]
	s_and_saveexec_b64 s[6:7], vcc
	s_cbranch_execz .LBB166_26
; %bb.11:                               ;   in Loop: Header=BB166_7 Depth=1
	v_mov_b32_e32 v0, 0
	s_mov_b64 s[8:9], 0
	v_mov_b32_e32 v1, v0
	v_mov_b32_e32 v2, v0
	;; [unrolled: 1-line block ×15, first 2 shown]
	s_branch .LBB166_13
.LBB166_12:                             ;   in Loop: Header=BB166_13 Depth=2
	s_or_b64 exec, exec, s[10:11]
	v_add_u32_e32 v34, 0x800, v58
	ds_read2_b32 v[28:29], v34 offset1:32
	v_add_u32_e32 v58, 0xc00, v58
	v_add_u32_e32 v54, s23, v54
	s_waitcnt lgkmcnt(0)
	v_mfma_f32_16x16x32_fp8_fp8 v[8:11], v[26:27], v[28:29], v[8:11]
	ds_read2_b32 v[26:27], v34 offset0:128 offset1:160
	ds_read2_b32 v[34:35], v58 offset1:32
	v_mfma_f32_16x16x32_fp8_fp8 v[0:3], v[42:43], v[28:29], v[0:3]
	v_add_u32_e32 v28, s23, v56
	v_cmp_lt_i32_e32 vcc, 0, v28
	s_waitcnt lgkmcnt(1)
	v_mfma_f32_16x16x32_fp8_fp8 v[8:11], v[36:37], v[26:27], v[8:11]
	ds_read2_b32 v[36:37], v58 offset0:128 offset1:160
	;;#ASMSTART
	s_waitcnt lgkmcnt(0)
	;;#ASMEND
	ds_write_b32 v57, v59 offset:8204
	v_mfma_f32_16x16x32_fp8_fp8 v[0:3], v[44:45], v[26:27], v[0:3]
	v_add_u32_e32 v26, 2, v46
	v_cndmask_b32_e32 v46, v46, v26, vcc
	v_cmp_le_i32_e32 vcc, s62, v54
	s_waitcnt lgkmcnt(2)
	v_mfma_f32_16x16x32_fp8_fp8 v[8:11], v[38:39], v[34:35], v[8:11]
	s_or_b64 s[8:9], vcc, s[8:9]
	v_mfma_f32_16x16x32_fp8_fp8 v[0:3], v[32:33], v[34:35], v[0:3]
	s_waitcnt lgkmcnt(1)
	v_mfma_f32_16x16x32_fp8_fp8 v[8:11], v[40:41], v[36:37], v[8:11]
	v_mfma_f32_16x16x32_fp8_fp8 v[0:3], v[30:31], v[36:37], v[0:3]
	s_andn2_b64 exec, exec, s[8:9]
	s_cbranch_execz .LBB166_25
.LBB166_13:                             ;   Parent Loop BB166_7 Depth=1
                                        ; =>  This Loop Header: Depth=2
                                        ;       Child Loop BB166_15 Depth 3
                                        ;       Child Loop BB166_18 Depth 3
	;; [unrolled: 1-line block ×4, first 2 shown]
	v_cmp_lt_i32_e32 vcc, 0, v28
	s_nop 1
	v_subbrev_co_u32_e32 v56, vcc, 0, v28, vcc
	v_lshlrev_b32_e32 v57, 3, v56
	ds_read_b32 v26, v57 offset:8200
	s_waitcnt lgkmcnt(0)
	v_cmp_ne_u32_e32 vcc, v26, v46
	s_and_saveexec_b64 s[10:11], vcc
	s_cbranch_execz .LBB166_16
; %bb.14:                               ;   in Loop: Header=BB166_13 Depth=2
	s_mov_b64 s[12:13], 0
.LBB166_15:                             ;   Parent Loop BB166_7 Depth=1
                                        ;     Parent Loop BB166_13 Depth=2
                                        ; =>    This Inner Loop Header: Depth=3
	;;#ASMSTART
	s_sleep 0
	;;#ASMEND
	ds_read_b32 v26, v57 offset:8200
	s_waitcnt lgkmcnt(0)
	v_cmp_eq_u32_e32 vcc, v26, v46
	s_or_b64 s[12:13], vcc, s[12:13]
	s_andn2_b64 exec, exec, s[12:13]
	s_cbranch_execnz .LBB166_15
.LBB166_16:                             ;   in Loop: Header=BB166_13 Depth=2
	s_or_b64 exec, exec, s[10:11]
	v_lshlrev_b32_e32 v26, 12, v56
	v_or_b32_e32 v27, 0x1000, v47
	v_add_u32_e32 v58, v27, v26
	v_add_u32_e32 v27, 0x400, v58
	ds_read2_b32 v[32:33], v58 offset1:32
	ds_read2_b32 v[30:31], v58 offset0:128 offset1:160
	ds_read2_b32 v[34:35], v27 offset1:32
	ds_read2_b32 v[28:29], v27 offset0:128 offset1:160
	;;#ASMSTART
	s_waitcnt lgkmcnt(0)
	;;#ASMEND
	ds_read_b32 v27, v57 offset:8192
	v_add_u32_e32 v59, 1, v46
	ds_write_b32 v57, v59 offset:8200
	s_waitcnt lgkmcnt(1)
	v_cmp_ne_u32_e32 vcc, v27, v46
	s_and_saveexec_b64 s[10:11], vcc
	s_cbranch_execz .LBB166_19
; %bb.17:                               ;   in Loop: Header=BB166_13 Depth=2
	s_mov_b64 s[12:13], 0
.LBB166_18:                             ;   Parent Loop BB166_7 Depth=1
                                        ;     Parent Loop BB166_13 Depth=2
                                        ; =>    This Inner Loop Header: Depth=3
	;;#ASMSTART
	s_sleep 0
	;;#ASMEND
	ds_read_b32 v27, v57 offset:8192
	s_waitcnt lgkmcnt(0)
	v_cmp_eq_u32_e32 vcc, v27, v46
	s_or_b64 s[12:13], vcc, s[12:13]
	s_andn2_b64 exec, exec, s[12:13]
	s_cbranch_execnz .LBB166_18
.LBB166_19:                             ;   in Loop: Header=BB166_13 Depth=2
	s_or_b64 exec, exec, s[10:11]
	v_add_u32_e32 v60, v47, v26
	ds_read2_b32 v[26:27], v60 offset1:32
	ds_read2_b32 v[36:37], v60 offset0:128 offset1:160
	v_add_u32_e32 v40, 0x400, v60
	ds_read2_b32 v[38:39], v40 offset1:32
	ds_read2_b32 v[40:41], v40 offset0:128 offset1:160
	ds_read_b32 v42, v57 offset:8196
	ds_write_b32 v57, v59 offset:8192
	s_waitcnt lgkmcnt(5)
	v_mfma_f32_16x16x32_fp8_fp8 v[12:15], v[26:27], v[32:33], v[12:15]
	s_waitcnt lgkmcnt(1)
	v_cmp_ne_u32_e32 vcc, v42, v46
	v_mfma_f32_16x16x32_fp8_fp8 v[12:15], v[36:37], v[30:31], v[12:15]
	v_mfma_f32_16x16x32_fp8_fp8 v[12:15], v[38:39], v[34:35], v[12:15]
	;; [unrolled: 1-line block ×3, first 2 shown]
	s_and_saveexec_b64 s[10:11], vcc
	s_cbranch_execz .LBB166_22
; %bb.20:                               ;   in Loop: Header=BB166_13 Depth=2
	s_mov_b64 s[12:13], 0
.LBB166_21:                             ;   Parent Loop BB166_7 Depth=1
                                        ;     Parent Loop BB166_13 Depth=2
                                        ; =>    This Inner Loop Header: Depth=3
	;;#ASMSTART
	s_sleep 0
	;;#ASMEND
	ds_read_b32 v42, v57 offset:8196
	s_waitcnt lgkmcnt(0)
	v_cmp_eq_u32_e32 vcc, v42, v46
	s_or_b64 s[12:13], vcc, s[12:13]
	s_andn2_b64 exec, exec, s[12:13]
	s_cbranch_execnz .LBB166_21
.LBB166_22:                             ;   in Loop: Header=BB166_13 Depth=2
	s_or_b64 exec, exec, s[10:11]
	v_add_u32_e32 v44, 0x800, v60
	ds_read2_b32 v[42:43], v44 offset1:32
	ds_read2_b32 v[44:45], v44 offset0:128 offset1:160
	v_add_u32_e32 v60, 0xc00, v60
	s_waitcnt lgkmcnt(1)
	v_mfma_f32_16x16x32_fp8_fp8 v[4:7], v[42:43], v[32:33], v[4:7]
	ds_read2_b32 v[32:33], v60 offset1:32
	s_waitcnt lgkmcnt(1)
	v_mfma_f32_16x16x32_fp8_fp8 v[4:7], v[44:45], v[30:31], v[4:7]
	s_waitcnt lgkmcnt(0)
	v_mfma_f32_16x16x32_fp8_fp8 v[4:7], v[32:33], v[34:35], v[4:7]
	ds_read2_b32 v[30:31], v60 offset0:128 offset1:160
	ds_read_b32 v34, v57 offset:8204
	ds_write_b32 v57, v59 offset:8196
	s_waitcnt lgkmcnt(1)
	v_cmp_ne_u32_e32 vcc, v34, v46
	v_mfma_f32_16x16x32_fp8_fp8 v[4:7], v[30:31], v[28:29], v[4:7]
	s_and_saveexec_b64 s[10:11], vcc
	s_cbranch_execz .LBB166_12
; %bb.23:                               ;   in Loop: Header=BB166_13 Depth=2
	s_mov_b64 s[12:13], 0
.LBB166_24:                             ;   Parent Loop BB166_7 Depth=1
                                        ;     Parent Loop BB166_13 Depth=2
                                        ; =>    This Inner Loop Header: Depth=3
	;;#ASMSTART
	s_sleep 0
	;;#ASMEND
	ds_read_b32 v28, v57 offset:8204
	s_waitcnt lgkmcnt(0)
	v_cmp_eq_u32_e32 vcc, v28, v46
	s_or_b64 s[12:13], vcc, s[12:13]
	s_andn2_b64 exec, exec, s[12:13]
	s_cbranch_execnz .LBB166_24
	s_branch .LBB166_12
.LBB166_25:                             ;   in Loop: Header=BB166_7 Depth=1
	s_or_b64 exec, exec, s[8:9]
.LBB166_26:                             ;   in Loop: Header=BB166_7 Depth=1
	s_or_b64 exec, exec, s[6:7]
	v_cmp_le_i32_e32 vcc, s14, v16
	v_cmp_eq_u32_e64 s[6:7], 2, v48
	v_cmp_eq_u32_e64 s[8:9], 3, v48
	s_waitcnt vmcnt(0)
	v_cndmask_b32_e32 v26, 0, v55, vcc
	v_pk_mul_f32 v[12:13], v[26:27], v[12:13] op_sel_hi:[0,1]
	v_cmp_eq_u32_e32 vcc, 1, v48
	v_pk_mul_f32 v[30:31], v[26:27], v[14:15] op_sel_hi:[0,1]
	v_cmp_eq_u32_e64 s[10:11], 0, v48
	v_cndmask_b32_e32 v14, v12, v13, vcc
	v_cndmask_b32_e64 v14, v14, v30, s[6:7]
	v_cndmask_b32_e64 v14, v14, v31, s[8:9]
	ds_bpermute_b32 v27, v53, v14
	v_cmp_eq_u32_e64 s[12:13], 1, v49
	s_waitcnt lgkmcnt(0)
	v_cndmask_b32_e64 v14, v31, v27, s[8:9]
	v_cndmask_b32_e64 v15, v30, v27, s[6:7]
	v_cndmask_b32_e32 v13, v13, v27, vcc
	v_cndmask_b32_e64 v27, v12, v27, s[10:11]
	v_or_b32_e32 v12, 16, v16
	v_cmp_le_i32_e64 s[14:15], s14, v12
	v_cndmask_b32_e64 v29, v27, v13, s[12:13]
	s_nop 0
	v_cndmask_b32_e64 v12, 0, v55, s[14:15]
	v_pk_mul_f32 v[32:33], v[12:13], v[8:9] op_sel_hi:[0,1]
	v_pk_mul_f32 v[30:31], v[12:13], v[10:11] op_sel_hi:[0,1]
	v_cndmask_b32_e32 v8, v32, v33, vcc
	v_cndmask_b32_e64 v8, v8, v30, s[6:7]
	v_cndmask_b32_e64 v8, v8, v31, s[8:9]
	ds_bpermute_b32 v9, v53, v8
	v_cmp_eq_u32_e32 vcc, 2, v49
	v_cmp_eq_u32_e64 s[14:15], 3, v49
	s_waitcnt lgkmcnt(0)
	v_cndmask_b32_e64 v11, v30, v9, s[6:7]
	v_cndmask_b32_e32 v8, v29, v15, vcc
	v_cndmask_b32_e64 v8, v8, v14, s[14:15]
	v_cmp_ne_u32_e64 s[6:7], 0, v48
	ds_bpermute_b32 v29, v53, v8
	v_cndmask_b32_e64 v10, v31, v9, s[8:9]
	v_cndmask_b32_e64 v8, v33, v9, s[6:7]
	;; [unrolled: 1-line block ×4, first 2 shown]
	v_cndmask_b32_e32 v30, v30, v11, vcc
	v_cndmask_b32_e64 v30, v30, v10, s[14:15]
	ds_bpermute_b32 v30, v53, v30
	v_add_u32_e32 v31, s61, v50
	v_cmp_gt_u32_e32 vcc, 32, v31
	s_and_saveexec_b64 s[44:45], vcc
	s_cbranch_execz .LBB166_31
; %bb.27:                               ;   in Loop: Header=BB166_7 Depth=1
	v_cmp_eq_u32_e64 s[8:9], 1, v49
	v_cmp_eq_u32_e64 s[10:11], 0, v49
	v_cmp_eq_u32_e32 vcc, 3, v49
	s_waitcnt lgkmcnt(1)
	v_cndmask_b32_e64 v13, v13, v29, s[8:9]
	s_waitcnt lgkmcnt(0)
	v_cndmask_b32_e64 v32, v8, v30, s[8:9]
	s_mul_i32 s8, s59, s17
	s_ashr_i32 s9, s8, 31
	s_lshl_b64 s[8:9], s[8:9], 1
	v_cndmask_b32_e64 v27, v27, v29, s[10:11]
	v_cndmask_b32_e64 v33, v9, v30, s[10:11]
	s_add_u32 s10, s28, s8
	s_addc_u32 s11, s29, s9
	s_ashr_i32 s39, s38, 31
	v_cvt_f16_f32_e32 v27, v27
	v_cvt_f16_f32_sdwa v13, v13 dst_sel:WORD_1 dst_unused:UNUSED_PAD src0_sel:DWORD
	s_lshl_b64 s[8:9], s[38:39], 1
	v_cvt_f16_f32_e32 v34, v33
	v_cvt_f16_f32_sdwa v35, v32 dst_sel:WORD_1 dst_unused:UNUSED_PAD src0_sel:DWORD
	s_add_u32 s46, s10, s8
	s_addc_u32 s47, s11, s9
	v_cmp_eq_u32_e64 s[6:7], 2, v49
	v_lshl_add_u64 v[8:9], v[18:19], 1, s[46:47]
	v_or_b32_e32 v13, v13, v27
	v_cmp_gt_u32_e64 s[8:9], 30, v31
	;;#ASMSTART
	global_atomic_pk_add_f16 v[8:9], v13, off
	
	;;#ASMEND
	v_lshl_add_u64 v[32:33], v[8:9], 0, 32
	v_or_b32_e32 v13, v35, v34
	;;#ASMSTART
	global_atomic_pk_add_f16 v[32:33], v13, off
	
	;;#ASMEND
	s_and_b64 exec, exec, s[8:9]
	s_cbranch_execz .LBB166_31
; %bb.28:                               ;   in Loop: Header=BB166_7 Depth=1
	v_mov_b32_e32 v27, v26
	v_cndmask_b32_e32 v14, v14, v29, vcc
	v_cndmask_b32_e64 v15, v15, v29, s[6:7]
	v_cndmask_b32_e32 v29, v10, v30, vcc
	v_cndmask_b32_e64 v30, v11, v30, s[6:7]
	v_mov_b32_e32 v10, v26
	v_mov_b32_e32 v11, v26
	v_pk_mul_f32 v[6:7], v[10:11], v[6:7]
	v_pk_mul_f32 v[10:11], v[26:27], v[4:5]
	v_cmp_eq_u32_e32 vcc, 1, v48
	v_cmp_eq_u32_e64 s[6:7], 2, v48
	v_cmp_eq_u32_e64 s[8:9], 3, v48
	v_cndmask_b32_e32 v4, v10, v11, vcc
	v_cndmask_b32_e64 v4, v4, v6, s[6:7]
	v_cndmask_b32_e64 v4, v4, v7, s[8:9]
	v_cvt_f16_f32_e32 v15, v15
	v_cvt_f16_f32_sdwa v14, v14 dst_sel:WORD_1 dst_unused:UNUSED_PAD src0_sel:DWORD
	ds_bpermute_b32 v26, v53, v4
	v_mov_b32_e32 v13, v12
	v_lshl_add_u64 v[8:9], s[34:35], 2, v[8:9]
	v_or_b32_e32 v14, v14, v15
	v_cmp_eq_u32_e64 s[10:11], 0, v48
	;;#ASMSTART
	global_atomic_pk_add_f16 v[8:9], v14, off
	
	;;#ASMEND
	v_lshl_add_u64 v[14:15], v[8:9], 0, 32
	s_waitcnt lgkmcnt(0)
	v_cndmask_b32_e64 v4, v7, v26, s[8:9]
	v_cndmask_b32_e64 v5, v6, v26, s[6:7]
	v_cndmask_b32_e32 v6, v11, v26, vcc
	v_cndmask_b32_e64 v7, v10, v26, s[10:11]
	v_mov_b32_e32 v8, v12
	v_mov_b32_e32 v9, v12
	v_pk_mul_f32 v[10:11], v[12:13], v[0:1]
	v_pk_mul_f32 v[8:9], v[8:9], v[2:3]
	v_cndmask_b32_e32 v0, v10, v11, vcc
	v_cndmask_b32_e64 v0, v0, v8, s[6:7]
	v_cndmask_b32_e64 v0, v0, v9, s[8:9]
	ds_bpermute_b32 v1, v53, v0
	v_cmp_eq_u32_e64 s[12:13], 1, v49
	v_cmp_eq_u32_e32 vcc, 2, v49
	v_cmp_eq_u32_e64 s[14:15], 3, v49
	v_cndmask_b32_e64 v26, v7, v6, s[12:13]
	v_cndmask_b32_e32 v0, v26, v5, vcc
	v_cndmask_b32_e64 v0, v0, v4, s[14:15]
	s_waitcnt lgkmcnt(0)
	v_cndmask_b32_e64 v8, v8, v1, s[6:7]
	v_cmp_ne_u32_e64 s[6:7], 0, v48
	ds_bpermute_b32 v2, v53, v0
	v_cndmask_b32_e64 v3, v9, v1, s[8:9]
	v_cndmask_b32_e64 v0, v11, v1, s[6:7]
	;; [unrolled: 1-line block ×3, first 2 shown]
	v_cvt_f16_f32_e32 v27, v30
	v_cvt_f16_f32_sdwa v29, v29 dst_sel:WORD_1 dst_unused:UNUSED_PAD src0_sel:DWORD
	v_cndmask_b32_e64 v9, v1, v0, s[12:13]
	v_cndmask_b32_e32 v9, v9, v8, vcc
	v_cndmask_b32_e64 v9, v9, v3, s[14:15]
	ds_bpermute_b32 v9, v53, v9
	v_or_b32_e32 v10, v29, v27
	;;#ASMSTART
	global_atomic_pk_add_f16 v[14:15], v10, off
	
	;;#ASMEND
	v_or_b32_e32 v10, 16, v50
	v_add_u32_e32 v10, s61, v10
	v_cmp_gt_u32_e32 vcc, 32, v10
	s_and_b64 exec, exec, vcc
	s_cbranch_execz .LBB166_31
; %bb.29:                               ;   in Loop: Header=BB166_7 Depth=1
	v_cmp_eq_u32_e64 s[8:9], 1, v49
	v_cmp_eq_u32_e64 s[10:11], 0, v49
	v_cmp_eq_u32_e32 vcc, 3, v49
	s_waitcnt lgkmcnt(1)
	v_cndmask_b32_e64 v6, v6, v2, s[8:9]
	v_cndmask_b32_e64 v7, v7, v2, s[10:11]
	s_waitcnt lgkmcnt(0)
	v_cndmask_b32_e64 v11, v0, v9, s[8:9]
	v_cndmask_b32_e64 v12, v1, v9, s[10:11]
	v_cvt_f16_f32_e32 v7, v7
	v_cvt_f16_f32_sdwa v6, v6 dst_sel:WORD_1 dst_unused:UNUSED_PAD src0_sel:DWORD
	v_cvt_f16_f32_e32 v12, v12
	v_cvt_f16_f32_sdwa v11, v11 dst_sel:WORD_1 dst_unused:UNUSED_PAD src0_sel:DWORD
	v_cmp_eq_u32_e64 s[6:7], 2, v49
	v_lshl_add_u64 v[0:1], v[20:21], 1, s[46:47]
	v_or_b32_e32 v6, v6, v7
	v_cmp_gt_u32_e64 s[8:9], 30, v10
	;;#ASMSTART
	global_atomic_pk_add_f16 v[0:1], v6, off
	
	;;#ASMEND
	v_lshl_add_u64 v[6:7], v[0:1], 0, 32
	v_or_b32_e32 v11, v11, v12
	;;#ASMSTART
	global_atomic_pk_add_f16 v[6:7], v11, off
	
	;;#ASMEND
	s_and_b64 exec, exec, s[8:9]
	s_cbranch_execz .LBB166_31
; %bb.30:                               ;   in Loop: Header=BB166_7 Depth=1
	v_cndmask_b32_e32 v4, v4, v2, vcc
	v_cndmask_b32_e64 v2, v5, v2, s[6:7]
	v_cndmask_b32_e32 v3, v3, v9, vcc
	v_cndmask_b32_e64 v5, v8, v9, s[6:7]
	v_cvt_f16_f32_e32 v2, v2
	v_cvt_f16_f32_sdwa v4, v4 dst_sel:WORD_1 dst_unused:UNUSED_PAD src0_sel:DWORD
	v_cvt_f16_f32_e32 v5, v5
	v_cvt_f16_f32_sdwa v3, v3 dst_sel:WORD_1 dst_unused:UNUSED_PAD src0_sel:DWORD
	v_lshl_add_u64 v[0:1], s[34:35], 2, v[0:1]
	v_or_b32_e32 v2, v4, v2
	;;#ASMSTART
	global_atomic_pk_add_f16 v[0:1], v2, off
	
	;;#ASMEND
	v_lshl_add_u64 v[0:1], v[0:1], 0, 32
	v_or_b32_e32 v2, v3, v5
	;;#ASMSTART
	global_atomic_pk_add_f16 v[0:1], v2, off
	
	;;#ASMEND
.LBB166_31:                             ;   in Loop: Header=BB166_7 Depth=1
	s_or_b64 exec, exec, s[44:45]
	v_subrev_u32_e32 v54, s62, v54
.LBB166_32:                             ;   in Loop: Header=BB166_7 Depth=1
	s_or_b64 exec, exec, s[42:43]
.LBB166_33:                             ;   in Loop: Header=BB166_7 Depth=1
	s_andn2_saveexec_b64 s[6:7], s[40:41]
	s_cbranch_execz .LBB166_42
; %bb.34:                               ;   in Loop: Header=BB166_7 Depth=1
	s_lshl_b32 s39, s62, 1
	v_cmp_gt_i32_e32 vcc, s39, v54
	s_and_saveexec_b64 s[8:9], vcc
	s_cbranch_execz .LBB166_41
; %bb.35:                               ;   in Loop: Header=BB166_7 Depth=1
	s_mul_i32 s10, s38, s19
	s_ashr_i32 s11, s10, 31
	s_waitcnt lgkmcnt(0)
	s_add_u32 s10, s26, s10
	s_addc_u32 s11, s27, s11
	s_ashr_i32 s12, s60, 31
	s_add_u32 s10, s10, s60
	s_addc_u32 s11, s11, s12
	v_lshl_add_u64 v[0:1], s[10:11], 0, v[24:25]
	v_lshl_add_u64 v[8:9], v[0:1], 0, v[22:23]
	s_mov_b64 s[10:11], 0
	s_branch .LBB166_37
.LBB166_36:                             ;   in Loop: Header=BB166_37 Depth=2
	s_or_b64 exec, exec, s[12:13]
	v_or_b32_e32 v12, 0x1000, v52
	v_lshl_add_u32 v12, v10, 11, v12
	;;#ASMSTART
	s_waitcnt vmcnt(1)
	;;#ASMEND
	ds_write2_b32 v12, v4, v5 offset1:32
	ds_write2_b32 v12, v6, v7 offset0:64 offset1:96
	v_add_u32_e32 v4, 0x400, v12
	v_add_u32_e32 v54, s22, v54
	;;#ASMSTART
	s_waitcnt vmcnt(0)
	;;#ASMEND
	ds_write2_b32 v4, v0, v1 offset1:32
	ds_write2_b32 v4, v2, v3 offset0:64 offset1:96
	v_add_u32_e32 v0, 1, v46
	v_add_u32_e32 v28, s22, v10
	v_cmp_le_i32_e32 vcc, s39, v54
	ds_write_b32 v11, v0 offset:8
	v_add_u32_e32 v0, 2, v46
	s_or_b64 s[10:11], vcc, s[10:11]
	v_cmp_lt_i32_e32 vcc, 1, v28
	s_nop 1
	v_cndmask_b32_e32 v46, v46, v0, vcc
	s_andn2_b64 exec, exec, s[10:11]
	s_cbranch_execz .LBB166_40
.LBB166_37:                             ;   Parent Loop BB166_7 Depth=1
                                        ; =>  This Loop Header: Depth=2
                                        ;       Child Loop BB166_39 Depth 3
	v_cmp_gt_i32_e32 vcc, 2, v28
	s_nop 1
	v_cndmask_b32_e64 v0, -2, 0, vcc
	v_add_u32_e32 v10, v0, v28
	v_lshrrev_b32_e32 v0, 31, v54
	v_add_u32_e32 v0, v54, v0
	v_and_b32_e32 v1, -2, v0
	v_lshlrev_b32_e32 v0, 6, v0
	v_sub_u32_e32 v2, v54, v1
	v_and_b32_e32 v0, 0xffffff80, v0
	v_ashrrev_i32_e32 v1, 31, v0
	v_mul_lo_u32 v2, s53, v2
	v_lshl_add_u64 v[0:1], v[8:9], 0, v[0:1]
	v_ashrrev_i32_e32 v3, 31, v2
	v_lshl_add_u64 v[0:1], v[0:1], 0, v[2:3]
	v_lshlrev_b32_e32 v11, 2, v10
	;;#ASMSTART
	global_load_dwordx4 v[4:7], v[0:1], off offset:0   sc0 sc1 nt  
	global_load_dwordx4 v[0:3], v[0:1], off offset:64  sc0 sc1 nt  
	
	;;#ASMEND
	ds_read_b32 v12, v11 offset:8200
	v_add_u32_e32 v11, 0x2000, v11
	s_waitcnt lgkmcnt(0)
	v_cmp_ne_u32_e32 vcc, v12, v46
	s_and_saveexec_b64 s[12:13], vcc
	s_cbranch_execz .LBB166_36
; %bb.38:                               ;   in Loop: Header=BB166_37 Depth=2
	s_mov_b64 s[14:15], 0
.LBB166_39:                             ;   Parent Loop BB166_7 Depth=1
                                        ;     Parent Loop BB166_37 Depth=2
                                        ; =>    This Inner Loop Header: Depth=3
	;;#ASMSTART
	s_sleep 0
	;;#ASMEND
	ds_read_b32 v12, v11 offset:8
	s_waitcnt lgkmcnt(0)
	v_cmp_eq_u32_e32 vcc, v12, v46
	s_or_b64 s[14:15], vcc, s[14:15]
	s_andn2_b64 exec, exec, s[14:15]
	s_cbranch_execnz .LBB166_39
	s_branch .LBB166_36
.LBB166_40:                             ;   in Loop: Header=BB166_7 Depth=1
	s_or_b64 exec, exec, s[10:11]
.LBB166_41:                             ;   in Loop: Header=BB166_7 Depth=1
	s_or_b64 exec, exec, s[8:9]
	v_subrev_u32_e32 v54, s39, v54
.LBB166_42:                             ;   in Loop: Header=BB166_7 Depth=1
	s_or_b64 exec, exec, s[6:7]
.LBB166_43:                             ;   in Loop: Header=BB166_7 Depth=1
	s_andn2_saveexec_b64 s[6:7], s[36:37]
	s_cbranch_execz .LBB166_6
; %bb.44:                               ;   in Loop: Header=BB166_7 Depth=1
	s_lshl_b32 s36, s62, 1
	v_cmp_gt_i32_e32 vcc, s36, v54
	s_and_saveexec_b64 s[8:9], vcc
	s_cbranch_execz .LBB166_5
; %bb.45:                               ;   in Loop: Header=BB166_7 Depth=1
	s_mul_i32 s59, s59, s18
	s_ashr_i32 s10, s59, 31
	s_waitcnt lgkmcnt(0)
	s_add_u32 s11, s24, s59
	v_add_u32_e32 v2, s61, v51
	s_addc_u32 s12, s25, s10
	s_ashr_i32 s13, s60, 31
	v_mul_lo_u32 v0, s18, v51
	v_cmp_gt_u32_e32 vcc, 32, v2
	s_add_u32 s10, s11, s60
	s_addc_u32 s11, s12, s13
	v_cndmask_b32_e32 v0, 0, v0, vcc
	v_ashrrev_i32_e32 v1, 31, v0
	v_lshl_add_u64 v[0:1], s[10:11], 0, v[0:1]
	v_lshl_add_u64 v[8:9], v[0:1], 0, v[22:23]
	v_sub_u32_e32 v10, 31, v2
	s_mov_b64 s[10:11], 0
	s_branch .LBB166_47
.LBB166_46:                             ;   in Loop: Header=BB166_47 Depth=2
	s_or_b64 exec, exec, s[12:13]
	v_lshl_or_b32 v13, v11, 11, v52
	;;#ASMSTART
	s_waitcnt vmcnt(1)
	;;#ASMEND
	ds_write2_b32 v13, v4, v5 offset1:32
	ds_write2_b32 v13, v6, v7 offset0:64 offset1:96
	v_add_u32_e32 v4, 0x400, v13
	v_add_u32_e32 v54, s21, v54
	;;#ASMSTART
	s_waitcnt vmcnt(0)
	;;#ASMEND
	ds_write2_b32 v4, v0, v1 offset1:32
	ds_write2_b32 v4, v2, v3 offset0:64 offset1:96
	v_add_u32_e32 v0, 1, v46
	v_add_u32_e32 v28, s21, v11
	v_cmp_le_i32_e32 vcc, s36, v54
	ds_write_b32 v12, v0
	v_add_u32_e32 v0, 2, v46
	s_or_b64 s[10:11], vcc, s[10:11]
	v_cmp_lt_i32_e32 vcc, 1, v28
	s_nop 1
	v_cndmask_b32_e32 v46, v46, v0, vcc
	s_andn2_b64 exec, exec, s[10:11]
	s_cbranch_execz .LBB166_4
.LBB166_47:                             ;   Parent Loop BB166_7 Depth=1
                                        ; =>  This Loop Header: Depth=2
                                        ;       Child Loop BB166_49 Depth 3
	v_cmp_gt_i32_e32 vcc, 2, v28
	s_nop 1
	v_cndmask_b32_e64 v0, -2, 0, vcc
	v_add_u32_e32 v11, v0, v28
	v_lshrrev_b32_e32 v0, 31, v54
	v_add_u32_e32 v0, v54, v0
	v_and_b32_e32 v1, 0xffffffe, v0
	v_sub_u32_e32 v1, v54, v1
	v_lshlrev_b32_e32 v1, 4, v1
	v_cmp_le_i32_e32 vcc, v1, v10
	v_lshlrev_b32_e32 v0, 6, v0
	v_and_b32_e32 v0, 0xffffff80, v0
	v_cndmask_b32_e32 v2, 0, v1, vcc
	v_ashrrev_i32_e32 v1, 31, v0
	v_mul_lo_u32 v2, v2, s18
	v_lshl_add_u64 v[0:1], v[8:9], 0, v[0:1]
	v_ashrrev_i32_e32 v3, 31, v2
	v_lshl_add_u64 v[0:1], v[0:1], 0, v[2:3]
	v_lshlrev_b32_e32 v12, 2, v11
	;;#ASMSTART
	global_load_dwordx4 v[4:7], v[0:1], off offset:0   
	global_load_dwordx4 v[0:3], v[0:1], off offset:64  
	
	;;#ASMEND
	ds_read_b32 v13, v12 offset:8192
	v_add_u32_e32 v12, 0x2000, v12
	s_waitcnt lgkmcnt(0)
	v_cmp_ne_u32_e32 vcc, v13, v46
	s_and_saveexec_b64 s[12:13], vcc
	s_cbranch_execz .LBB166_46
; %bb.48:                               ;   in Loop: Header=BB166_47 Depth=2
	s_mov_b64 s[14:15], 0
.LBB166_49:                             ;   Parent Loop BB166_7 Depth=1
                                        ;     Parent Loop BB166_47 Depth=2
                                        ; =>    This Inner Loop Header: Depth=3
	;;#ASMSTART
	s_sleep 0
	;;#ASMEND
	ds_read_b32 v13, v12
	s_waitcnt lgkmcnt(0)
	v_cmp_eq_u32_e32 vcc, v13, v46
	s_or_b64 s[14:15], vcc, s[14:15]
	s_andn2_b64 exec, exec, s[14:15]
	s_cbranch_execnz .LBB166_49
	s_branch .LBB166_46
.LBB166_50:
	s_endpgm
	.section	.rodata,"a",@progbits
	.p2align	6, 0x0
	.amdhsa_kernel _Z19_skinny_gemm_kernelILi2ELi2ELi1ELi16ELi4EEvPKhS1_P6__halfPKfiiiiiiii
		.amdhsa_group_segment_fixed_size 8208
		.amdhsa_private_segment_fixed_size 0
		.amdhsa_kernarg_size 64
		.amdhsa_user_sgpr_count 2
		.amdhsa_user_sgpr_dispatch_ptr 0
		.amdhsa_user_sgpr_queue_ptr 0
		.amdhsa_user_sgpr_kernarg_segment_ptr 1
		.amdhsa_user_sgpr_dispatch_id 0
		.amdhsa_user_sgpr_kernarg_preload_length 0
		.amdhsa_user_sgpr_kernarg_preload_offset 0
		.amdhsa_user_sgpr_private_segment_size 0
		.amdhsa_uses_dynamic_stack 0
		.amdhsa_enable_private_segment 0
		.amdhsa_system_sgpr_workgroup_id_x 1
		.amdhsa_system_sgpr_workgroup_id_y 0
		.amdhsa_system_sgpr_workgroup_id_z 0
		.amdhsa_system_sgpr_workgroup_info 0
		.amdhsa_system_vgpr_workitem_id 0
		.amdhsa_next_free_vgpr 61
		.amdhsa_next_free_sgpr 63
		.amdhsa_accum_offset 64
		.amdhsa_reserve_vcc 1
		.amdhsa_float_round_mode_32 0
		.amdhsa_float_round_mode_16_64 0
		.amdhsa_float_denorm_mode_32 3
		.amdhsa_float_denorm_mode_16_64 3
		.amdhsa_dx10_clamp 1
		.amdhsa_ieee_mode 1
		.amdhsa_fp16_overflow 0
		.amdhsa_tg_split 0
		.amdhsa_exception_fp_ieee_invalid_op 0
		.amdhsa_exception_fp_denorm_src 0
		.amdhsa_exception_fp_ieee_div_zero 0
		.amdhsa_exception_fp_ieee_overflow 0
		.amdhsa_exception_fp_ieee_underflow 0
		.amdhsa_exception_fp_ieee_inexact 0
		.amdhsa_exception_int_div_zero 0
	.end_amdhsa_kernel
	.section	.text._Z19_skinny_gemm_kernelILi2ELi2ELi1ELi16ELi4EEvPKhS1_P6__halfPKfiiiiiiii,"axG",@progbits,_Z19_skinny_gemm_kernelILi2ELi2ELi1ELi16ELi4EEvPKhS1_P6__halfPKfiiiiiiii,comdat
.Lfunc_end166:
	.size	_Z19_skinny_gemm_kernelILi2ELi2ELi1ELi16ELi4EEvPKhS1_P6__halfPKfiiiiiiii, .Lfunc_end166-_Z19_skinny_gemm_kernelILi2ELi2ELi1ELi16ELi4EEvPKhS1_P6__halfPKfiiiiiiii
                                        ; -- End function
	.set _Z19_skinny_gemm_kernelILi2ELi2ELi1ELi16ELi4EEvPKhS1_P6__halfPKfiiiiiiii.num_vgpr, 61
	.set _Z19_skinny_gemm_kernelILi2ELi2ELi1ELi16ELi4EEvPKhS1_P6__halfPKfiiiiiiii.num_agpr, 0
	.set _Z19_skinny_gemm_kernelILi2ELi2ELi1ELi16ELi4EEvPKhS1_P6__halfPKfiiiiiiii.numbered_sgpr, 63
	.set _Z19_skinny_gemm_kernelILi2ELi2ELi1ELi16ELi4EEvPKhS1_P6__halfPKfiiiiiiii.num_named_barrier, 0
	.set _Z19_skinny_gemm_kernelILi2ELi2ELi1ELi16ELi4EEvPKhS1_P6__halfPKfiiiiiiii.private_seg_size, 0
	.set _Z19_skinny_gemm_kernelILi2ELi2ELi1ELi16ELi4EEvPKhS1_P6__halfPKfiiiiiiii.uses_vcc, 1
	.set _Z19_skinny_gemm_kernelILi2ELi2ELi1ELi16ELi4EEvPKhS1_P6__halfPKfiiiiiiii.uses_flat_scratch, 0
	.set _Z19_skinny_gemm_kernelILi2ELi2ELi1ELi16ELi4EEvPKhS1_P6__halfPKfiiiiiiii.has_dyn_sized_stack, 0
	.set _Z19_skinny_gemm_kernelILi2ELi2ELi1ELi16ELi4EEvPKhS1_P6__halfPKfiiiiiiii.has_recursion, 0
	.set _Z19_skinny_gemm_kernelILi2ELi2ELi1ELi16ELi4EEvPKhS1_P6__halfPKfiiiiiiii.has_indirect_call, 0
	.section	.AMDGPU.csdata,"",@progbits
; Kernel info:
; codeLenInByte = 4020
; TotalNumSgprs: 69
; NumVgprs: 61
; NumAgprs: 0
; TotalNumVgprs: 61
; ScratchSize: 0
; MemoryBound: 0
; FloatMode: 240
; IeeeMode: 1
; LDSByteSize: 8208 bytes/workgroup (compile time only)
; SGPRBlocks: 8
; VGPRBlocks: 7
; NumSGPRsForWavesPerEU: 69
; NumVGPRsForWavesPerEU: 61
; AccumOffset: 64
; Occupancy: 8
; WaveLimiterHint : 0
; COMPUTE_PGM_RSRC2:SCRATCH_EN: 0
; COMPUTE_PGM_RSRC2:USER_SGPR: 2
; COMPUTE_PGM_RSRC2:TRAP_HANDLER: 0
; COMPUTE_PGM_RSRC2:TGID_X_EN: 1
; COMPUTE_PGM_RSRC2:TGID_Y_EN: 0
; COMPUTE_PGM_RSRC2:TGID_Z_EN: 0
; COMPUTE_PGM_RSRC2:TIDIG_COMP_CNT: 0
; COMPUTE_PGM_RSRC3_GFX90A:ACCUM_OFFSET: 15
; COMPUTE_PGM_RSRC3_GFX90A:TG_SPLIT: 0
	.section	.text._Z19_skinny_gemm_kernelILi2ELi2ELi1ELi16ELi8EEvPKhS1_P6__halfPKfiiiiiiii,"axG",@progbits,_Z19_skinny_gemm_kernelILi2ELi2ELi1ELi16ELi8EEvPKhS1_P6__halfPKfiiiiiiii,comdat
	.protected	_Z19_skinny_gemm_kernelILi2ELi2ELi1ELi16ELi8EEvPKhS1_P6__halfPKfiiiiiiii ; -- Begin function _Z19_skinny_gemm_kernelILi2ELi2ELi1ELi16ELi8EEvPKhS1_P6__halfPKfiiiiiiii
	.globl	_Z19_skinny_gemm_kernelILi2ELi2ELi1ELi16ELi8EEvPKhS1_P6__halfPKfiiiiiiii
	.p2align	8
	.type	_Z19_skinny_gemm_kernelILi2ELi2ELi1ELi16ELi8EEvPKhS1_P6__halfPKfiiiiiiii,@function
_Z19_skinny_gemm_kernelILi2ELi2ELi1ELi16ELi8EEvPKhS1_P6__halfPKfiiiiiiii: ; @_Z19_skinny_gemm_kernelILi2ELi2ELi1ELi16ELi8EEvPKhS1_P6__halfPKfiiiiiiii
; %bb.0:
	v_cmp_gt_u32_e32 vcc, 4, v0
	v_lshlrev_b32_e32 v1, 2, v0
	s_and_saveexec_b64 s[4:5], vcc
; %bb.1:
	v_mov_b32_e32 v2, 0
	ds_write_b32 v1, v2 offset:16384
; %bb.2:
	s_or_b64 exec, exec, s[4:5]
	s_load_dwordx8 s[16:23], s[0:1], 0x20
	s_waitcnt lgkmcnt(0)
	s_barrier
	s_add_i32 s3, s16, 31
	s_ashr_i32 s5, s3, 31
	s_add_i32 s4, s17, 31
	s_lshr_b32 s5, s5, 27
	s_ashr_i32 s6, s4, 31
	s_add_i32 s3, s3, s5
	s_ashr_i32 s33, s3, 5
	s_lshr_b32 s3, s6, 27
	s_add_i32 s4, s4, s3
	s_ashr_i32 s48, s4, 5
	s_mul_i32 s3, s48, s33
	s_mul_i32 s3, s3, s20
	s_add_i32 s4, s3, 0x12f
	s_mul_hi_i32 s4, s4, 0x6bca1af3
	s_lshr_b32 s5, s4, 31
	s_ashr_i32 s4, s4, 7
	s_add_i32 s4, s4, s5
	s_add_i32 s5, s2, 1
	s_mul_i32 s5, s4, s5
	v_cvt_f64_i32_e32 v[2:3], s3
	v_cvt_f64_u32_e32 v[4:5], s5
	v_min_f64 v[2:3], v[2:3], v[4:5]
	v_cvt_i32_f64_e32 v17, v[2:3]
	s_mul_i32 s49, s4, s2
	v_cmp_ge_i32_e32 vcc, s49, v17
	s_cbranch_vccnz .LBB167_50
; %bb.3:
	v_lshrrev_b32_e32 v2, 6, v0
	s_add_i32 s4, s22, s21
	s_load_dwordx8 s[24:31], s[0:1], 0x0
	v_cmp_le_i32_e64 s[0:1], s4, v2
	v_mov_b32_e32 v3, s21
	v_cmp_le_i32_e64 s[2:3], s21, v2
	v_mov_b32_e32 v4, s22
	v_cndmask_b32_e64 v4, 0, v4, s[0:1]
	v_cndmask_b32_e64 v3, 0, v3, s[2:3]
	s_abs_i32 s5, s20
	v_add_u32_e32 v3, v3, v4
	v_cvt_f32_u32_e32 v4, s5
	v_sub_u32_e32 v30, v2, v3
	s_ashr_i32 s6, s18, 31
	s_lshr_b32 s6, s6, 24
	v_rcp_iflag_f32_e32 v3, v4
	s_sub_i32 s9, 0, s5
	s_add_i32 s6, s18, s6
	s_ashr_i32 s6, s6, 8
	v_mul_f32_e32 v3, 0x4f7ffffe, v3
	v_cvt_u32_f32_e32 v3, v3
	s_abs_i32 s8, s6
	s_xor_b32 s7, s6, s20
	s_ashr_i32 s7, s7, 31
	v_readfirstlane_b32 s10, v3
	s_mul_i32 s9, s9, s10
	s_mul_hi_u32 s9, s10, s9
	s_add_i32 s10, s10, s9
	s_mul_hi_u32 s9, s8, s10
	s_mul_i32 s10, s9, s5
	s_sub_i32 s8, s8, s10
	s_add_i32 s10, s9, 1
	s_sub_i32 s11, s8, s5
	s_cmp_ge_u32 s8, s5
	s_cselect_b32 s9, s10, s9
	s_cselect_b32 s8, s11, s8
	s_add_i32 s10, s9, 1
	s_cmp_ge_u32 s8, s5
	s_cselect_b32 s5, s10, s9
	s_xor_b32 s5, s5, s7
	s_sub_i32 s50, s5, s7
	s_add_i32 s20, s20, -1
	s_mul_i32 s5, s50, s20
	s_add_i32 s4, s4, s23
	s_sub_i32 s51, s6, s5
	v_cmp_gt_i32_e64 s[4:5], s4, v2
	v_lshlrev_b32_e32 v2, 1, v0
	v_lshlrev_b32_e32 v3, 4, v0
	s_abs_i32 s52, s33
	v_and_b32_e32 v1, 60, v1
	v_and_b32_e32 v2, 64, v2
	;; [unrolled: 1-line block ×4, first 2 shown]
	v_cvt_f32_u32_e32 v3, s52
	v_or3_b32 v65, v1, v2, v4
	v_and_b32_e32 v1, 1, v0
	v_lshlrev_b32_e32 v2, 1, v1
	v_lshrrev_b32_e32 v4, 2, v0
	v_and_b32_e32 v16, 14, v0
	v_sub_u32_e32 v2, v0, v2
	v_bitop3_b32 v66, v0, 1, v0 bitop3:0xc
	v_bitop3_b32 v67, v0, 3, 1 bitop3:0x6c
	v_and_or_b32 v68, v4, 12, v1
	v_bfe_u32 v69, v0, 2, 4
	v_and_b32_e32 v1, 60, v0
	v_lshlrev_b32_e32 v4, 8, v0
	v_lshlrev_b32_e32 v0, 6, v0
	v_and_b32_e32 v4, 0x200, v4
	v_rcp_iflag_f32_e32 v3, v3
	v_and_b32_e32 v0, 64, v0
	s_abs_i32 s54, s48
	v_or3_b32 v70, v1, v4, v0
	v_cvt_f32_u32_e32 v1, s54
	v_mul_f32_e32 v0, 0x4f7ffffe, v3
	v_cvt_u32_f32_e32 v0, v0
	v_mad_u64_u32 v[18:19], s[6:7], s17, v68, v[16:17]
	v_rcp_iflag_f32_e32 v1, v1
	v_readfirstlane_b32 s7, v0
	s_sub_i32 s6, 0, s52
	s_mul_i32 s6, s6, s7
	v_mul_f32_e32 v0, 0x4f7ffffe, v1
	v_cvt_u32_f32_e32 v0, v0
	s_mul_hi_u32 s6, s7, s6
	v_add_u32_e32 v2, 1, v2
	s_add_i32 s56, s7, s6
	s_sub_i32 s6, 0, s54
	v_readfirstlane_b32 s7, v0
	v_mbcnt_lo_u32_b32 v0, -1, 0
	v_and_b32_e32 v2, 63, v2
	s_mul_i32 s6, s6, s7
	v_mbcnt_hi_u32_b32 v0, -1, v0
	v_lshl_add_u32 v20, s17, 4, v18
	v_mul_lo_u32 v24, s19, v69
	s_mul_hi_u32 s6, s7, s6
	v_and_or_b32 v0, v0, 64, v2
	v_cndmask_b32_e64 v64, 0, 1, s[0:1]
	s_ashr_i32 s35, s17, 31
	s_mov_b32 s34, s17
	v_ashrrev_i32_e32 v19, 31, v18
	v_ashrrev_i32_e32 v21, 31, v20
	;; [unrolled: 1-line block ×3, first 2 shown]
	v_mov_b32_e32 v23, 0
	s_lshl_b32 s53, s19, 4
	s_ashr_i32 s55, s33, 31
	s_ashr_i32 s57, s48, 31
	s_add_i32 s58, s7, s6
	v_lshlrev_b32_e32 v71, 2, v0
	v_mov_b32_e32 v72, v30
	s_branch .LBB167_7
.LBB167_4:                              ;   in Loop: Header=BB167_7 Depth=1
	s_or_b64 exec, exec, s[10:11]
.LBB167_5:                              ;   in Loop: Header=BB167_7 Depth=1
	s_or_b64 exec, exec, s[8:9]
	v_subrev_u32_e32 v72, s36, v72
.LBB167_6:                              ;   in Loop: Header=BB167_7 Depth=1
	s_or_b64 exec, exec, s[6:7]
	s_add_i32 s49, s49, 1
	v_cmp_ge_i32_e32 vcc, s49, v17
	s_cbranch_vccnz .LBB167_50
.LBB167_7:                              ; =>This Loop Header: Depth=1
                                        ;     Child Loop BB167_13 Depth 2
                                        ;       Child Loop BB167_15 Depth 3
                                        ;       Child Loop BB167_18 Depth 3
	;; [unrolled: 1-line block ×4, first 2 shown]
                                        ;     Child Loop BB167_37 Depth 2
                                        ;       Child Loop BB167_39 Depth 3
                                        ;     Child Loop BB167_47 Depth 2
                                        ;       Child Loop BB167_49 Depth 3
	s_abs_i32 s7, s49
	s_mul_hi_u32 s8, s7, s56
	s_mul_i32 s9, s8, s52
	s_ashr_i32 s6, s49, 31
	s_sub_i32 s7, s7, s9
	s_xor_b32 s6, s6, s55
	s_add_i32 s9, s8, 1
	s_sub_i32 s10, s7, s52
	s_cmp_ge_u32 s7, s52
	s_cselect_b32 s8, s9, s8
	s_cselect_b32 s7, s10, s7
	s_add_i32 s9, s8, 1
	s_cmp_ge_u32 s7, s52
	s_cselect_b32 s7, s9, s8
	s_xor_b32 s7, s7, s6
	s_sub_i32 s6, s7, s6
	s_abs_i32 s8, s6
	s_mul_i32 s7, s6, s33
	s_mul_hi_u32 s9, s8, s58
	s_sub_i32 s7, s49, s7
	s_mul_i32 s10, s9, s54
	s_lshl_b32 s59, s7, 5
	s_ashr_i32 s7, s6, 31
	s_sub_i32 s8, s8, s10
	s_xor_b32 s7, s7, s57
	s_add_i32 s10, s9, 1
	s_sub_i32 s11, s8, s54
	s_cmp_ge_u32 s8, s54
	s_cselect_b32 s9, s10, s9
	s_cselect_b32 s8, s11, s8
	s_add_i32 s10, s9, 1
	s_cmp_ge_u32 s8, s54
	s_cselect_b32 s8, s10, s9
	s_xor_b32 s8, s8, s7
	s_sub_i32 s7, s8, s7
	s_mul_i32 s8, s7, s50
	s_lshl_b32 s60, s8, 8
	s_cmp_eq_u32 s7, s20
	s_cselect_b32 s62, s51, s50
	s_sub_i32 s8, s59, s16
	s_add_i32 s8, s8, 32
	s_max_i32 s61, s8, 0
	s_and_saveexec_b64 s[8:9], s[2:3]
	s_xor_b64 s[36:37], exec, s[8:9]
	s_cbranch_execz .LBB167_43
; %bb.8:                                ;   in Loop: Header=BB167_7 Depth=1
	s_mul_i32 s7, s7, s48
	s_sub_i32 s6, s6, s7
	s_lshl_b32 s6, s6, 5
	s_sub_i32 s14, s6, s17
	s_add_i32 s14, s14, 32
	s_max_i32 s7, s14, 0
	s_sub_i32 s38, s6, s7
	s_and_saveexec_b64 s[6:7], s[0:1]
	s_xor_b64 s[40:41], exec, s[6:7]
	s_cbranch_execz .LBB167_33
; %bb.9:                                ;   in Loop: Header=BB167_7 Depth=1
	s_and_saveexec_b64 s[42:43], s[4:5]
	s_cbranch_execz .LBB167_32
; %bb.10:                               ;   in Loop: Header=BB167_7 Depth=1
	s_waitcnt lgkmcnt(0)
	global_load_dword v73, v23, s[30:31]
	v_mov_b32_e32 v15, 0
	v_cmp_gt_i32_e32 vcc, s62, v72
	v_mov_b32_e32 v14, v15
	v_mov_b32_e32 v13, v15
	;; [unrolled: 1-line block ×15, first 2 shown]
	s_and_saveexec_b64 s[6:7], vcc
	s_cbranch_execz .LBB167_26
; %bb.11:                               ;   in Loop: Header=BB167_7 Depth=1
	v_mov_b32_e32 v0, 0
	s_mov_b64 s[8:9], 0
	v_mov_b32_e32 v1, v0
	v_mov_b32_e32 v2, v0
	;; [unrolled: 1-line block ×15, first 2 shown]
	s_branch .LBB167_13
.LBB167_12:                             ;   in Loop: Header=BB167_13 Depth=2
	s_or_b64 exec, exec, s[10:11]
	v_add_u32_e32 v38, 0x1000, v76
	ds_read2_b32 v[36:37], v38 offset1:32
	v_add_u32_e32 v42, 0x1400, v76
	v_add_u32_e32 v72, s23, v72
	s_waitcnt lgkmcnt(0)
	v_mfma_f32_16x16x32_fp8_fp8 v[8:11], v[26:27], v[36:37], v[8:11]
	ds_read2_b32 v[26:27], v38 offset0:128 offset1:160
	ds_read2_b32 v[38:39], v42 offset1:32
	ds_read2_b32 v[42:43], v42 offset0:128 offset1:160
	v_mfma_f32_16x16x32_fp8_fp8 v[0:3], v[58:59], v[36:37], v[0:3]
	s_waitcnt lgkmcnt(2)
	v_mfma_f32_16x16x32_fp8_fp8 v[8:11], v[44:45], v[26:27], v[8:11]
	v_mfma_f32_16x16x32_fp8_fp8 v[0:3], v[30:31], v[26:27], v[0:3]
	v_add_u32_e32 v30, s23, v74
	v_add_u32_e32 v26, 2, v64
	v_cmp_lt_i32_e32 vcc, 0, v30
	s_waitcnt lgkmcnt(1)
	v_mfma_f32_16x16x32_fp8_fp8 v[8:11], v[50:51], v[38:39], v[8:11]
	v_add_u32_e32 v50, 0x1800, v76
	ds_read2_b32 v[44:45], v50 offset1:32
	v_cndmask_b32_e32 v64, v64, v26, vcc
	v_mfma_f32_16x16x32_fp8_fp8 v[0:3], v[60:61], v[38:39], v[0:3]
	v_cmp_le_i32_e32 vcc, s62, v72
	s_or_b64 s[8:9], vcc, s[8:9]
	s_waitcnt lgkmcnt(1)
	v_mfma_f32_16x16x32_fp8_fp8 v[8:11], v[46:47], v[42:43], v[8:11]
	ds_read2_b32 v[46:47], v50 offset0:128 offset1:160
	v_add_u32_e32 v50, 0x1c00, v76
	v_mfma_f32_16x16x32_fp8_fp8 v[0:3], v[34:35], v[42:43], v[0:3]
	s_waitcnt lgkmcnt(1)
	v_mfma_f32_16x16x32_fp8_fp8 v[8:11], v[52:53], v[44:45], v[8:11]
	v_mfma_f32_16x16x32_fp8_fp8 v[0:3], v[62:63], v[44:45], v[0:3]
	s_waitcnt lgkmcnt(0)
	v_mfma_f32_16x16x32_fp8_fp8 v[8:11], v[48:49], v[46:47], v[8:11]
	ds_read2_b32 v[48:49], v50 offset1:32
	ds_read2_b32 v[50:51], v50 offset0:128 offset1:160
	;;#ASMSTART
	s_waitcnt lgkmcnt(0)
	;;#ASMEND
	v_mfma_f32_16x16x32_fp8_fp8 v[0:3], v[40:41], v[46:47], v[0:3]
	ds_write_b32 v75, v77 offset:16396
	s_waitcnt lgkmcnt(2)
	v_mfma_f32_16x16x32_fp8_fp8 v[8:11], v[54:55], v[48:49], v[8:11]
	v_mfma_f32_16x16x32_fp8_fp8 v[0:3], v[32:33], v[48:49], v[0:3]
	s_waitcnt lgkmcnt(1)
	v_mfma_f32_16x16x32_fp8_fp8 v[8:11], v[56:57], v[50:51], v[8:11]
	v_mfma_f32_16x16x32_fp8_fp8 v[0:3], v[28:29], v[50:51], v[0:3]
	s_andn2_b64 exec, exec, s[8:9]
	s_cbranch_execz .LBB167_25
.LBB167_13:                             ;   Parent Loop BB167_7 Depth=1
                                        ; =>  This Loop Header: Depth=2
                                        ;       Child Loop BB167_15 Depth 3
                                        ;       Child Loop BB167_18 Depth 3
	;; [unrolled: 1-line block ×4, first 2 shown]
	v_cmp_lt_i32_e32 vcc, 0, v30
	s_nop 1
	v_subbrev_co_u32_e32 v74, vcc, 0, v30, vcc
	v_lshlrev_b32_e32 v75, 3, v74
	ds_read_b32 v26, v75 offset:16392
	s_waitcnt lgkmcnt(0)
	v_cmp_ne_u32_e32 vcc, v26, v64
	s_and_saveexec_b64 s[10:11], vcc
	s_cbranch_execz .LBB167_16
; %bb.14:                               ;   in Loop: Header=BB167_13 Depth=2
	s_mov_b64 s[12:13], 0
.LBB167_15:                             ;   Parent Loop BB167_7 Depth=1
                                        ;     Parent Loop BB167_13 Depth=2
                                        ; =>    This Inner Loop Header: Depth=3
	;;#ASMSTART
	s_sleep 0
	;;#ASMEND
	ds_read_b32 v26, v75 offset:16392
	s_waitcnt lgkmcnt(0)
	v_cmp_eq_u32_e32 vcc, v26, v64
	s_or_b64 s[12:13], vcc, s[12:13]
	s_andn2_b64 exec, exec, s[12:13]
	s_cbranch_execnz .LBB167_15
.LBB167_16:                             ;   in Loop: Header=BB167_13 Depth=2
	s_or_b64 exec, exec, s[10:11]
	v_lshlrev_b32_e32 v26, 13, v74
	v_or_b32_e32 v27, 0x2000, v65
	v_add_u32_e32 v76, v27, v26
	v_add_u32_e32 v27, 0x400, v76
	ds_read2_b32 v[30:31], v76 offset1:32
	ds_read2_b32 v[28:29], v76 offset0:128 offset1:160
	ds_read2_b32 v[34:35], v27 offset1:32
	ds_read2_b32 v[32:33], v27 offset0:128 offset1:160
	v_add_u32_e32 v27, 0x800, v76
	ds_read2_b32 v[40:41], v27 offset1:32
	ds_read2_b32 v[38:39], v27 offset0:128 offset1:160
	v_add_u32_e32 v27, 0xc00, v76
	ds_read2_b32 v[42:43], v27 offset1:32
	ds_read2_b32 v[36:37], v27 offset0:128 offset1:160
	;;#ASMSTART
	s_waitcnt lgkmcnt(0)
	;;#ASMEND
	ds_read_b32 v27, v75 offset:16384
	v_add_u32_e32 v77, 1, v64
	ds_write_b32 v75, v77 offset:16392
	s_waitcnt lgkmcnt(1)
	v_cmp_ne_u32_e32 vcc, v27, v64
	s_and_saveexec_b64 s[10:11], vcc
	s_cbranch_execz .LBB167_19
; %bb.17:                               ;   in Loop: Header=BB167_13 Depth=2
	s_mov_b64 s[12:13], 0
.LBB167_18:                             ;   Parent Loop BB167_7 Depth=1
                                        ;     Parent Loop BB167_13 Depth=2
                                        ; =>    This Inner Loop Header: Depth=3
	;;#ASMSTART
	s_sleep 0
	;;#ASMEND
	ds_read_b32 v27, v75 offset:16384
	s_waitcnt lgkmcnt(0)
	v_cmp_eq_u32_e32 vcc, v27, v64
	s_or_b64 s[12:13], vcc, s[12:13]
	s_andn2_b64 exec, exec, s[12:13]
	s_cbranch_execnz .LBB167_18
.LBB167_19:                             ;   in Loop: Header=BB167_13 Depth=2
	s_or_b64 exec, exec, s[10:11]
	v_add_u32_e32 v78, v65, v26
	ds_read2_b32 v[26:27], v78 offset1:32
	ds_read2_b32 v[44:45], v78 offset0:128 offset1:160
	v_add_u32_e32 v46, 0x400, v78
	ds_read2_b32 v[50:51], v46 offset1:32
	ds_read2_b32 v[46:47], v46 offset0:128 offset1:160
	;; [unrolled: 3-line block ×3, first 2 shown]
	v_add_u32_e32 v56, 0xc00, v78
	s_waitcnt lgkmcnt(5)
	v_mfma_f32_16x16x32_fp8_fp8 v[12:15], v[26:27], v[30:31], v[12:15]
	ds_read2_b32 v[54:55], v56 offset1:32
	ds_read2_b32 v[56:57], v56 offset0:128 offset1:160
	ds_read_b32 v58, v75 offset:16388
	ds_write_b32 v75, v77 offset:16384
	s_waitcnt lgkmcnt(8)
	v_mfma_f32_16x16x32_fp8_fp8 v[12:15], v[44:45], v[28:29], v[12:15]
	s_waitcnt lgkmcnt(1)
	v_cmp_ne_u32_e32 vcc, v58, v64
	v_mfma_f32_16x16x32_fp8_fp8 v[12:15], v[50:51], v[34:35], v[12:15]
	v_mfma_f32_16x16x32_fp8_fp8 v[12:15], v[46:47], v[32:33], v[12:15]
	;; [unrolled: 1-line block ×6, first 2 shown]
	s_and_saveexec_b64 s[10:11], vcc
	s_cbranch_execz .LBB167_22
; %bb.20:                               ;   in Loop: Header=BB167_13 Depth=2
	s_mov_b64 s[12:13], 0
.LBB167_21:                             ;   Parent Loop BB167_7 Depth=1
                                        ;     Parent Loop BB167_13 Depth=2
                                        ; =>    This Inner Loop Header: Depth=3
	;;#ASMSTART
	s_sleep 0
	;;#ASMEND
	ds_read_b32 v58, v75 offset:16388
	s_waitcnt lgkmcnt(0)
	v_cmp_eq_u32_e32 vcc, v58, v64
	s_or_b64 s[12:13], vcc, s[12:13]
	s_andn2_b64 exec, exec, s[12:13]
	s_cbranch_execnz .LBB167_21
.LBB167_22:                             ;   in Loop: Header=BB167_13 Depth=2
	s_or_b64 exec, exec, s[10:11]
	v_add_u32_e32 v60, 0x1000, v78
	ds_read2_b32 v[58:59], v60 offset1:32
	v_add_u32_e32 v62, 0x1400, v78
	s_waitcnt lgkmcnt(0)
	v_mfma_f32_16x16x32_fp8_fp8 v[4:7], v[58:59], v[30:31], v[4:7]
	ds_read2_b32 v[30:31], v60 offset0:128 offset1:160
	ds_read2_b32 v[60:61], v62 offset1:32
	s_waitcnt lgkmcnt(1)
	v_mfma_f32_16x16x32_fp8_fp8 v[4:7], v[30:31], v[28:29], v[4:7]
	v_add_u32_e32 v28, 0x1800, v78
	s_waitcnt lgkmcnt(0)
	v_mfma_f32_16x16x32_fp8_fp8 v[4:7], v[60:61], v[34:35], v[4:7]
	ds_read2_b32 v[34:35], v62 offset0:128 offset1:160
	ds_read2_b32 v[62:63], v28 offset1:32
	s_waitcnt lgkmcnt(1)
	v_mfma_f32_16x16x32_fp8_fp8 v[4:7], v[34:35], v[32:33], v[4:7]
	s_waitcnt lgkmcnt(0)
	v_mfma_f32_16x16x32_fp8_fp8 v[4:7], v[62:63], v[40:41], v[4:7]
	ds_read2_b32 v[40:41], v28 offset0:128 offset1:160
	v_add_u32_e32 v28, 0x1c00, v78
	ds_read2_b32 v[32:33], v28 offset1:32
	s_waitcnt lgkmcnt(1)
	v_mfma_f32_16x16x32_fp8_fp8 v[4:7], v[40:41], v[38:39], v[4:7]
	ds_read2_b32 v[28:29], v28 offset0:128 offset1:160
	ds_read_b32 v38, v75 offset:16396
	ds_write_b32 v75, v77 offset:16388
	s_waitcnt lgkmcnt(1)
	v_cmp_ne_u32_e32 vcc, v38, v64
	v_mfma_f32_16x16x32_fp8_fp8 v[4:7], v[32:33], v[42:43], v[4:7]
	v_mfma_f32_16x16x32_fp8_fp8 v[4:7], v[28:29], v[36:37], v[4:7]
	s_and_saveexec_b64 s[10:11], vcc
	s_cbranch_execz .LBB167_12
; %bb.23:                               ;   in Loop: Header=BB167_13 Depth=2
	s_mov_b64 s[12:13], 0
.LBB167_24:                             ;   Parent Loop BB167_7 Depth=1
                                        ;     Parent Loop BB167_13 Depth=2
                                        ; =>    This Inner Loop Header: Depth=3
	;;#ASMSTART
	s_sleep 0
	;;#ASMEND
	ds_read_b32 v36, v75 offset:16396
	s_waitcnt lgkmcnt(0)
	v_cmp_eq_u32_e32 vcc, v36, v64
	s_or_b64 s[12:13], vcc, s[12:13]
	s_andn2_b64 exec, exec, s[12:13]
	s_cbranch_execnz .LBB167_24
	s_branch .LBB167_12
.LBB167_25:                             ;   in Loop: Header=BB167_7 Depth=1
	s_or_b64 exec, exec, s[8:9]
.LBB167_26:                             ;   in Loop: Header=BB167_7 Depth=1
	s_or_b64 exec, exec, s[6:7]
	v_cmp_le_i32_e32 vcc, s14, v16
	v_cmp_eq_u32_e64 s[6:7], 2, v66
	v_cmp_eq_u32_e64 s[8:9], 3, v66
	s_waitcnt vmcnt(0)
	v_cndmask_b32_e32 v26, 0, v73, vcc
	v_pk_mul_f32 v[12:13], v[26:27], v[12:13] op_sel_hi:[0,1]
	v_cmp_eq_u32_e32 vcc, 1, v66
	v_pk_mul_f32 v[28:29], v[26:27], v[14:15] op_sel_hi:[0,1]
	v_cmp_eq_u32_e64 s[10:11], 0, v66
	v_cndmask_b32_e32 v14, v12, v13, vcc
	v_cndmask_b32_e64 v14, v14, v28, s[6:7]
	v_cndmask_b32_e64 v14, v14, v29, s[8:9]
	ds_bpermute_b32 v27, v71, v14
	v_cmp_eq_u32_e64 s[12:13], 1, v67
	v_add_u32_e32 v31, s61, v68
	s_waitcnt lgkmcnt(0)
	v_cndmask_b32_e64 v14, v29, v27, s[8:9]
	v_cndmask_b32_e64 v15, v28, v27, s[6:7]
	v_cndmask_b32_e32 v13, v13, v27, vcc
	v_cndmask_b32_e64 v27, v12, v27, s[10:11]
	v_or_b32_e32 v12, 16, v16
	v_cmp_le_i32_e64 s[14:15], s14, v12
	v_cndmask_b32_e64 v28, v27, v13, s[12:13]
	s_nop 0
	v_cndmask_b32_e64 v12, 0, v73, s[14:15]
	v_pk_mul_f32 v[34:35], v[12:13], v[8:9] op_sel_hi:[0,1]
	v_pk_mul_f32 v[32:33], v[12:13], v[10:11] op_sel_hi:[0,1]
	v_cndmask_b32_e32 v8, v34, v35, vcc
	v_cndmask_b32_e64 v8, v8, v32, s[6:7]
	v_cndmask_b32_e64 v8, v8, v33, s[8:9]
	ds_bpermute_b32 v9, v71, v8
	v_cmp_eq_u32_e32 vcc, 2, v67
	v_cmp_eq_u32_e64 s[14:15], 3, v67
	s_waitcnt lgkmcnt(0)
	v_cndmask_b32_e64 v11, v32, v9, s[6:7]
	v_cndmask_b32_e32 v8, v28, v15, vcc
	v_cndmask_b32_e64 v8, v8, v14, s[14:15]
	v_cmp_ne_u32_e64 s[6:7], 0, v66
	ds_bpermute_b32 v28, v71, v8
	v_cndmask_b32_e64 v10, v33, v9, s[8:9]
	v_cndmask_b32_e64 v8, v35, v9, s[6:7]
	;; [unrolled: 1-line block ×4, first 2 shown]
	v_cndmask_b32_e32 v29, v29, v11, vcc
	v_cndmask_b32_e64 v29, v29, v10, s[14:15]
	ds_bpermute_b32 v29, v71, v29
	v_cmp_gt_u32_e32 vcc, 32, v31
	s_and_saveexec_b64 s[44:45], vcc
	s_cbranch_execz .LBB167_31
; %bb.27:                               ;   in Loop: Header=BB167_7 Depth=1
	v_cmp_eq_u32_e64 s[8:9], 1, v67
	v_cmp_eq_u32_e64 s[10:11], 0, v67
	v_cmp_eq_u32_e32 vcc, 3, v67
	s_waitcnt lgkmcnt(1)
	v_cndmask_b32_e64 v13, v13, v28, s[8:9]
	s_waitcnt lgkmcnt(0)
	v_cndmask_b32_e64 v32, v8, v29, s[8:9]
	s_mul_i32 s8, s59, s17
	s_ashr_i32 s9, s8, 31
	s_lshl_b64 s[8:9], s[8:9], 1
	v_cndmask_b32_e64 v27, v27, v28, s[10:11]
	v_cndmask_b32_e64 v33, v9, v29, s[10:11]
	s_add_u32 s10, s28, s8
	s_addc_u32 s11, s29, s9
	s_ashr_i32 s39, s38, 31
	v_cvt_f16_f32_e32 v27, v27
	v_cvt_f16_f32_sdwa v13, v13 dst_sel:WORD_1 dst_unused:UNUSED_PAD src0_sel:DWORD
	s_lshl_b64 s[8:9], s[38:39], 1
	v_cvt_f16_f32_e32 v34, v33
	v_cvt_f16_f32_sdwa v35, v32 dst_sel:WORD_1 dst_unused:UNUSED_PAD src0_sel:DWORD
	s_add_u32 s46, s10, s8
	s_addc_u32 s47, s11, s9
	v_cmp_eq_u32_e64 s[6:7], 2, v67
	v_lshl_add_u64 v[8:9], v[18:19], 1, s[46:47]
	v_or_b32_e32 v13, v13, v27
	v_cmp_gt_u32_e64 s[8:9], 30, v31
	;;#ASMSTART
	global_atomic_pk_add_f16 v[8:9], v13, off
	
	;;#ASMEND
	v_lshl_add_u64 v[32:33], v[8:9], 0, 32
	v_or_b32_e32 v13, v35, v34
	;;#ASMSTART
	global_atomic_pk_add_f16 v[32:33], v13, off
	
	;;#ASMEND
	s_and_b64 exec, exec, s[8:9]
	s_cbranch_execz .LBB167_31
; %bb.28:                               ;   in Loop: Header=BB167_7 Depth=1
	v_mov_b32_e32 v27, v26
	v_cndmask_b32_e32 v14, v14, v28, vcc
	v_cndmask_b32_e64 v15, v15, v28, s[6:7]
	v_cndmask_b32_e32 v28, v10, v29, vcc
	v_cndmask_b32_e64 v29, v11, v29, s[6:7]
	v_mov_b32_e32 v10, v26
	v_mov_b32_e32 v11, v26
	v_pk_mul_f32 v[6:7], v[10:11], v[6:7]
	v_pk_mul_f32 v[10:11], v[26:27], v[4:5]
	v_cmp_eq_u32_e32 vcc, 1, v66
	v_cmp_eq_u32_e64 s[6:7], 2, v66
	v_cmp_eq_u32_e64 s[8:9], 3, v66
	v_cndmask_b32_e32 v4, v10, v11, vcc
	v_cndmask_b32_e64 v4, v4, v6, s[6:7]
	v_cndmask_b32_e64 v4, v4, v7, s[8:9]
	v_cvt_f16_f32_e32 v15, v15
	v_cvt_f16_f32_sdwa v14, v14 dst_sel:WORD_1 dst_unused:UNUSED_PAD src0_sel:DWORD
	ds_bpermute_b32 v26, v71, v4
	v_mov_b32_e32 v13, v12
	v_lshl_add_u64 v[8:9], s[34:35], 2, v[8:9]
	v_or_b32_e32 v14, v14, v15
	v_cmp_eq_u32_e64 s[10:11], 0, v66
	;;#ASMSTART
	global_atomic_pk_add_f16 v[8:9], v14, off
	
	;;#ASMEND
	v_lshl_add_u64 v[14:15], v[8:9], 0, 32
	s_waitcnt lgkmcnt(0)
	v_cndmask_b32_e64 v4, v7, v26, s[8:9]
	v_cndmask_b32_e64 v5, v6, v26, s[6:7]
	v_cndmask_b32_e32 v6, v11, v26, vcc
	v_cndmask_b32_e64 v7, v10, v26, s[10:11]
	v_mov_b32_e32 v8, v12
	v_mov_b32_e32 v9, v12
	v_pk_mul_f32 v[10:11], v[12:13], v[0:1]
	v_pk_mul_f32 v[8:9], v[8:9], v[2:3]
	v_cndmask_b32_e32 v0, v10, v11, vcc
	v_cndmask_b32_e64 v0, v0, v8, s[6:7]
	v_cndmask_b32_e64 v0, v0, v9, s[8:9]
	ds_bpermute_b32 v1, v71, v0
	v_cmp_eq_u32_e64 s[12:13], 1, v67
	v_cmp_eq_u32_e32 vcc, 2, v67
	v_cmp_eq_u32_e64 s[14:15], 3, v67
	v_cndmask_b32_e64 v26, v7, v6, s[12:13]
	v_cndmask_b32_e32 v0, v26, v5, vcc
	v_cndmask_b32_e64 v0, v0, v4, s[14:15]
	s_waitcnt lgkmcnt(0)
	v_cndmask_b32_e64 v8, v8, v1, s[6:7]
	v_cmp_ne_u32_e64 s[6:7], 0, v66
	ds_bpermute_b32 v2, v71, v0
	v_cndmask_b32_e64 v3, v9, v1, s[8:9]
	v_cndmask_b32_e64 v0, v11, v1, s[6:7]
	;; [unrolled: 1-line block ×3, first 2 shown]
	v_cvt_f16_f32_e32 v27, v29
	v_cvt_f16_f32_sdwa v28, v28 dst_sel:WORD_1 dst_unused:UNUSED_PAD src0_sel:DWORD
	v_cndmask_b32_e64 v9, v1, v0, s[12:13]
	v_cndmask_b32_e32 v9, v9, v8, vcc
	v_cndmask_b32_e64 v9, v9, v3, s[14:15]
	ds_bpermute_b32 v9, v71, v9
	v_or_b32_e32 v10, v28, v27
	;;#ASMSTART
	global_atomic_pk_add_f16 v[14:15], v10, off
	
	;;#ASMEND
	v_or_b32_e32 v10, 16, v68
	v_add_u32_e32 v10, s61, v10
	v_cmp_gt_u32_e32 vcc, 32, v10
	s_and_b64 exec, exec, vcc
	s_cbranch_execz .LBB167_31
; %bb.29:                               ;   in Loop: Header=BB167_7 Depth=1
	v_cmp_eq_u32_e64 s[8:9], 1, v67
	v_cmp_eq_u32_e64 s[10:11], 0, v67
	v_cmp_eq_u32_e32 vcc, 3, v67
	s_waitcnt lgkmcnt(1)
	v_cndmask_b32_e64 v6, v6, v2, s[8:9]
	v_cndmask_b32_e64 v7, v7, v2, s[10:11]
	s_waitcnt lgkmcnt(0)
	v_cndmask_b32_e64 v11, v0, v9, s[8:9]
	v_cndmask_b32_e64 v12, v1, v9, s[10:11]
	v_cvt_f16_f32_e32 v7, v7
	v_cvt_f16_f32_sdwa v6, v6 dst_sel:WORD_1 dst_unused:UNUSED_PAD src0_sel:DWORD
	v_cvt_f16_f32_e32 v12, v12
	v_cvt_f16_f32_sdwa v11, v11 dst_sel:WORD_1 dst_unused:UNUSED_PAD src0_sel:DWORD
	v_cmp_eq_u32_e64 s[6:7], 2, v67
	v_lshl_add_u64 v[0:1], v[20:21], 1, s[46:47]
	v_or_b32_e32 v6, v6, v7
	v_cmp_gt_u32_e64 s[8:9], 30, v10
	;;#ASMSTART
	global_atomic_pk_add_f16 v[0:1], v6, off
	
	;;#ASMEND
	v_lshl_add_u64 v[6:7], v[0:1], 0, 32
	v_or_b32_e32 v11, v11, v12
	;;#ASMSTART
	global_atomic_pk_add_f16 v[6:7], v11, off
	
	;;#ASMEND
	s_and_b64 exec, exec, s[8:9]
	s_cbranch_execz .LBB167_31
; %bb.30:                               ;   in Loop: Header=BB167_7 Depth=1
	v_cndmask_b32_e32 v4, v4, v2, vcc
	v_cndmask_b32_e64 v2, v5, v2, s[6:7]
	v_cndmask_b32_e32 v3, v3, v9, vcc
	v_cndmask_b32_e64 v5, v8, v9, s[6:7]
	v_cvt_f16_f32_e32 v2, v2
	v_cvt_f16_f32_sdwa v4, v4 dst_sel:WORD_1 dst_unused:UNUSED_PAD src0_sel:DWORD
	v_cvt_f16_f32_e32 v5, v5
	v_cvt_f16_f32_sdwa v3, v3 dst_sel:WORD_1 dst_unused:UNUSED_PAD src0_sel:DWORD
	v_lshl_add_u64 v[0:1], s[34:35], 2, v[0:1]
	v_or_b32_e32 v2, v4, v2
	;;#ASMSTART
	global_atomic_pk_add_f16 v[0:1], v2, off
	
	;;#ASMEND
	v_lshl_add_u64 v[0:1], v[0:1], 0, 32
	v_or_b32_e32 v2, v3, v5
	;;#ASMSTART
	global_atomic_pk_add_f16 v[0:1], v2, off
	
	;;#ASMEND
.LBB167_31:                             ;   in Loop: Header=BB167_7 Depth=1
	s_or_b64 exec, exec, s[44:45]
	v_subrev_u32_e32 v72, s62, v72
.LBB167_32:                             ;   in Loop: Header=BB167_7 Depth=1
	s_or_b64 exec, exec, s[42:43]
.LBB167_33:                             ;   in Loop: Header=BB167_7 Depth=1
	s_andn2_saveexec_b64 s[6:7], s[40:41]
	s_cbranch_execz .LBB167_42
; %bb.34:                               ;   in Loop: Header=BB167_7 Depth=1
	s_lshl_b32 s39, s62, 1
	v_cmp_gt_i32_e32 vcc, s39, v72
	s_and_saveexec_b64 s[8:9], vcc
	s_cbranch_execz .LBB167_41
; %bb.35:                               ;   in Loop: Header=BB167_7 Depth=1
	s_mul_i32 s10, s38, s19
	s_ashr_i32 s11, s10, 31
	s_waitcnt lgkmcnt(0)
	s_add_u32 s10, s26, s10
	s_addc_u32 s11, s27, s11
	s_ashr_i32 s12, s60, 31
	s_add_u32 s10, s10, s60
	s_addc_u32 s11, s11, s12
	v_lshl_add_u64 v[0:1], s[10:11], 0, v[24:25]
	v_lshl_add_u64 v[26:27], v[0:1], 0, v[22:23]
	s_mov_b64 s[10:11], 0
	s_branch .LBB167_37
.LBB167_36:                             ;   in Loop: Header=BB167_37 Depth=2
	s_or_b64 exec, exec, s[12:13]
	v_or_b32_e32 v30, 0x2000, v70
	v_lshl_add_u32 v30, v28, 12, v30
	;;#ASMSTART
	s_waitcnt vmcnt(3)
	;;#ASMEND
	ds_write2_b32 v30, v12, v13 offset1:32
	ds_write2_b32 v30, v14, v15 offset0:64 offset1:96
	v_add_u32_e32 v12, 0x400, v30
	;;#ASMSTART
	s_waitcnt vmcnt(2)
	;;#ASMEND
	ds_write2_b32 v12, v8, v9 offset1:32
	ds_write2_b32 v12, v10, v11 offset0:64 offset1:96
	v_add_u32_e32 v8, 0x800, v30
	;;#ASMSTART
	s_waitcnt vmcnt(1)
	;;#ASMEND
	ds_write2_b32 v8, v4, v5 offset1:32
	ds_write2_b32 v8, v6, v7 offset0:64 offset1:96
	v_add_u32_e32 v4, 0xc00, v30
	v_add_u32_e32 v72, s22, v72
	;;#ASMSTART
	s_waitcnt vmcnt(0)
	;;#ASMEND
	ds_write2_b32 v4, v0, v1 offset1:32
	ds_write2_b32 v4, v2, v3 offset0:64 offset1:96
	v_add_u32_e32 v0, 1, v64
	v_add_u32_e32 v30, s22, v28
	v_cmp_le_i32_e32 vcc, s39, v72
	ds_write_b32 v29, v0 offset:8
	v_add_u32_e32 v0, 2, v64
	s_or_b64 s[10:11], vcc, s[10:11]
	v_cmp_lt_i32_e32 vcc, 1, v30
	s_nop 1
	v_cndmask_b32_e32 v64, v64, v0, vcc
	s_andn2_b64 exec, exec, s[10:11]
	s_cbranch_execz .LBB167_40
.LBB167_37:                             ;   Parent Loop BB167_7 Depth=1
                                        ; =>  This Loop Header: Depth=2
                                        ;       Child Loop BB167_39 Depth 3
	v_cmp_gt_i32_e32 vcc, 2, v30
	s_nop 1
	v_cndmask_b32_e64 v0, -2, 0, vcc
	v_add_u32_e32 v28, v0, v30
	v_lshrrev_b32_e32 v0, 31, v72
	v_add_u32_e32 v0, v72, v0
	v_and_b32_e32 v1, -2, v0
	v_lshlrev_b32_e32 v0, 7, v0
	v_sub_u32_e32 v2, v72, v1
	v_and_b32_e32 v0, 0xffffff00, v0
	v_ashrrev_i32_e32 v1, 31, v0
	v_mul_lo_u32 v2, s53, v2
	v_lshl_add_u64 v[0:1], v[26:27], 0, v[0:1]
	v_ashrrev_i32_e32 v3, 31, v2
	v_lshl_add_u64 v[0:1], v[0:1], 0, v[2:3]
	v_lshlrev_b32_e32 v29, 2, v28
	;;#ASMSTART
	global_load_dwordx4 v[12:15], v[0:1], off offset:0    sc0 sc1 nt  
	global_load_dwordx4 v[8:11], v[0:1], off offset:64   sc0 sc1 nt  
	global_load_dwordx4 v[4:7], v[0:1], off offset:128  sc0 sc1 nt  
	global_load_dwordx4 v[0:3], v[0:1], off offset:192  sc0 sc1 nt  
	
	;;#ASMEND
	ds_read_b32 v30, v29 offset:16392
	v_add_u32_e32 v29, 0x4000, v29
	s_waitcnt lgkmcnt(0)
	v_cmp_ne_u32_e32 vcc, v30, v64
	s_and_saveexec_b64 s[12:13], vcc
	s_cbranch_execz .LBB167_36
; %bb.38:                               ;   in Loop: Header=BB167_37 Depth=2
	s_mov_b64 s[14:15], 0
.LBB167_39:                             ;   Parent Loop BB167_7 Depth=1
                                        ;     Parent Loop BB167_37 Depth=2
                                        ; =>    This Inner Loop Header: Depth=3
	;;#ASMSTART
	s_sleep 0
	;;#ASMEND
	ds_read_b32 v30, v29 offset:8
	s_waitcnt lgkmcnt(0)
	v_cmp_eq_u32_e32 vcc, v30, v64
	s_or_b64 s[14:15], vcc, s[14:15]
	s_andn2_b64 exec, exec, s[14:15]
	s_cbranch_execnz .LBB167_39
	s_branch .LBB167_36
.LBB167_40:                             ;   in Loop: Header=BB167_7 Depth=1
	s_or_b64 exec, exec, s[10:11]
.LBB167_41:                             ;   in Loop: Header=BB167_7 Depth=1
	s_or_b64 exec, exec, s[8:9]
	v_subrev_u32_e32 v72, s39, v72
.LBB167_42:                             ;   in Loop: Header=BB167_7 Depth=1
	s_or_b64 exec, exec, s[6:7]
.LBB167_43:                             ;   in Loop: Header=BB167_7 Depth=1
	s_andn2_saveexec_b64 s[6:7], s[36:37]
	s_cbranch_execz .LBB167_6
; %bb.44:                               ;   in Loop: Header=BB167_7 Depth=1
	s_lshl_b32 s36, s62, 1
	v_cmp_gt_i32_e32 vcc, s36, v72
	s_and_saveexec_b64 s[8:9], vcc
	s_cbranch_execz .LBB167_5
; %bb.45:                               ;   in Loop: Header=BB167_7 Depth=1
	s_mul_i32 s59, s59, s18
	s_ashr_i32 s10, s59, 31
	s_waitcnt lgkmcnt(0)
	s_add_u32 s11, s24, s59
	v_add_u32_e32 v2, s61, v69
	s_addc_u32 s12, s25, s10
	s_ashr_i32 s13, s60, 31
	v_mul_lo_u32 v0, s18, v69
	v_cmp_gt_u32_e32 vcc, 32, v2
	s_add_u32 s10, s11, s60
	s_addc_u32 s11, s12, s13
	v_cndmask_b32_e32 v0, 0, v0, vcc
	v_ashrrev_i32_e32 v1, 31, v0
	v_lshl_add_u64 v[0:1], s[10:11], 0, v[0:1]
	v_lshl_add_u64 v[26:27], v[0:1], 0, v[22:23]
	v_sub_u32_e32 v28, 31, v2
	s_mov_b64 s[10:11], 0
	s_branch .LBB167_47
.LBB167_46:                             ;   in Loop: Header=BB167_47 Depth=2
	s_or_b64 exec, exec, s[12:13]
	v_lshl_or_b32 v31, v29, 12, v70
	;;#ASMSTART
	s_waitcnt vmcnt(3)
	;;#ASMEND
	ds_write2_b32 v31, v12, v13 offset1:32
	ds_write2_b32 v31, v14, v15 offset0:64 offset1:96
	v_add_u32_e32 v12, 0x400, v31
	;;#ASMSTART
	s_waitcnt vmcnt(2)
	;;#ASMEND
	ds_write2_b32 v12, v8, v9 offset1:32
	ds_write2_b32 v12, v10, v11 offset0:64 offset1:96
	v_add_u32_e32 v8, 0x800, v31
	;; [unrolled: 6-line block ×4, first 2 shown]
	v_add_u32_e32 v72, s21, v72
	ds_write_b32 v30, v0
	v_add_u32_e32 v30, s21, v29
	v_cmp_le_i32_e32 vcc, s36, v72
	v_add_u32_e32 v0, 2, v64
	s_or_b64 s[10:11], vcc, s[10:11]
	v_cmp_lt_i32_e32 vcc, 1, v30
	s_nop 1
	v_cndmask_b32_e32 v64, v64, v0, vcc
	s_andn2_b64 exec, exec, s[10:11]
	s_cbranch_execz .LBB167_4
.LBB167_47:                             ;   Parent Loop BB167_7 Depth=1
                                        ; =>  This Loop Header: Depth=2
                                        ;       Child Loop BB167_49 Depth 3
	v_cmp_gt_i32_e32 vcc, 2, v30
	s_nop 1
	v_cndmask_b32_e64 v0, -2, 0, vcc
	v_add_u32_e32 v29, v0, v30
	v_lshrrev_b32_e32 v0, 31, v72
	v_add_u32_e32 v0, v72, v0
	v_and_b32_e32 v1, 0xffffffe, v0
	v_sub_u32_e32 v1, v72, v1
	v_lshlrev_b32_e32 v1, 4, v1
	v_cmp_le_i32_e32 vcc, v1, v28
	v_lshlrev_b32_e32 v0, 7, v0
	v_and_b32_e32 v0, 0xffffff00, v0
	v_cndmask_b32_e32 v2, 0, v1, vcc
	v_ashrrev_i32_e32 v1, 31, v0
	v_mul_lo_u32 v2, v2, s18
	v_lshl_add_u64 v[0:1], v[26:27], 0, v[0:1]
	v_ashrrev_i32_e32 v3, 31, v2
	v_lshl_add_u64 v[0:1], v[0:1], 0, v[2:3]
	v_lshlrev_b32_e32 v30, 2, v29
	;;#ASMSTART
	global_load_dwordx4 v[12:15], v[0:1], off offset:0    
	global_load_dwordx4 v[8:11], v[0:1], off offset:64   
	global_load_dwordx4 v[4:7], v[0:1], off offset:128  
	global_load_dwordx4 v[0:3], v[0:1], off offset:192  
	
	;;#ASMEND
	ds_read_b32 v31, v30 offset:16384
	v_add_u32_e32 v30, 0x4000, v30
	s_waitcnt lgkmcnt(0)
	v_cmp_ne_u32_e32 vcc, v31, v64
	s_and_saveexec_b64 s[12:13], vcc
	s_cbranch_execz .LBB167_46
; %bb.48:                               ;   in Loop: Header=BB167_47 Depth=2
	s_mov_b64 s[14:15], 0
.LBB167_49:                             ;   Parent Loop BB167_7 Depth=1
                                        ;     Parent Loop BB167_47 Depth=2
                                        ; =>    This Inner Loop Header: Depth=3
	;;#ASMSTART
	s_sleep 0
	;;#ASMEND
	ds_read_b32 v31, v30
	s_waitcnt lgkmcnt(0)
	v_cmp_eq_u32_e32 vcc, v31, v64
	s_or_b64 s[14:15], vcc, s[14:15]
	s_andn2_b64 exec, exec, s[14:15]
	s_cbranch_execnz .LBB167_49
	s_branch .LBB167_46
.LBB167_50:
	s_endpgm
	.section	.rodata,"a",@progbits
	.p2align	6, 0x0
	.amdhsa_kernel _Z19_skinny_gemm_kernelILi2ELi2ELi1ELi16ELi8EEvPKhS1_P6__halfPKfiiiiiiii
		.amdhsa_group_segment_fixed_size 16400
		.amdhsa_private_segment_fixed_size 0
		.amdhsa_kernarg_size 64
		.amdhsa_user_sgpr_count 2
		.amdhsa_user_sgpr_dispatch_ptr 0
		.amdhsa_user_sgpr_queue_ptr 0
		.amdhsa_user_sgpr_kernarg_segment_ptr 1
		.amdhsa_user_sgpr_dispatch_id 0
		.amdhsa_user_sgpr_kernarg_preload_length 0
		.amdhsa_user_sgpr_kernarg_preload_offset 0
		.amdhsa_user_sgpr_private_segment_size 0
		.amdhsa_uses_dynamic_stack 0
		.amdhsa_enable_private_segment 0
		.amdhsa_system_sgpr_workgroup_id_x 1
		.amdhsa_system_sgpr_workgroup_id_y 0
		.amdhsa_system_sgpr_workgroup_id_z 0
		.amdhsa_system_sgpr_workgroup_info 0
		.amdhsa_system_vgpr_workitem_id 0
		.amdhsa_next_free_vgpr 79
		.amdhsa_next_free_sgpr 63
		.amdhsa_accum_offset 80
		.amdhsa_reserve_vcc 1
		.amdhsa_float_round_mode_32 0
		.amdhsa_float_round_mode_16_64 0
		.amdhsa_float_denorm_mode_32 3
		.amdhsa_float_denorm_mode_16_64 3
		.amdhsa_dx10_clamp 1
		.amdhsa_ieee_mode 1
		.amdhsa_fp16_overflow 0
		.amdhsa_tg_split 0
		.amdhsa_exception_fp_ieee_invalid_op 0
		.amdhsa_exception_fp_denorm_src 0
		.amdhsa_exception_fp_ieee_div_zero 0
		.amdhsa_exception_fp_ieee_overflow 0
		.amdhsa_exception_fp_ieee_underflow 0
		.amdhsa_exception_fp_ieee_inexact 0
		.amdhsa_exception_int_div_zero 0
	.end_amdhsa_kernel
	.section	.text._Z19_skinny_gemm_kernelILi2ELi2ELi1ELi16ELi8EEvPKhS1_P6__halfPKfiiiiiiii,"axG",@progbits,_Z19_skinny_gemm_kernelILi2ELi2ELi1ELi16ELi8EEvPKhS1_P6__halfPKfiiiiiiii,comdat
.Lfunc_end167:
	.size	_Z19_skinny_gemm_kernelILi2ELi2ELi1ELi16ELi8EEvPKhS1_P6__halfPKfiiiiiiii, .Lfunc_end167-_Z19_skinny_gemm_kernelILi2ELi2ELi1ELi16ELi8EEvPKhS1_P6__halfPKfiiiiiiii
                                        ; -- End function
	.set _Z19_skinny_gemm_kernelILi2ELi2ELi1ELi16ELi8EEvPKhS1_P6__halfPKfiiiiiiii.num_vgpr, 79
	.set _Z19_skinny_gemm_kernelILi2ELi2ELi1ELi16ELi8EEvPKhS1_P6__halfPKfiiiiiiii.num_agpr, 0
	.set _Z19_skinny_gemm_kernelILi2ELi2ELi1ELi16ELi8EEvPKhS1_P6__halfPKfiiiiiiii.numbered_sgpr, 63
	.set _Z19_skinny_gemm_kernelILi2ELi2ELi1ELi16ELi8EEvPKhS1_P6__halfPKfiiiiiiii.num_named_barrier, 0
	.set _Z19_skinny_gemm_kernelILi2ELi2ELi1ELi16ELi8EEvPKhS1_P6__halfPKfiiiiiiii.private_seg_size, 0
	.set _Z19_skinny_gemm_kernelILi2ELi2ELi1ELi16ELi8EEvPKhS1_P6__halfPKfiiiiiiii.uses_vcc, 1
	.set _Z19_skinny_gemm_kernelILi2ELi2ELi1ELi16ELi8EEvPKhS1_P6__halfPKfiiiiiiii.uses_flat_scratch, 0
	.set _Z19_skinny_gemm_kernelILi2ELi2ELi1ELi16ELi8EEvPKhS1_P6__halfPKfiiiiiiii.has_dyn_sized_stack, 0
	.set _Z19_skinny_gemm_kernelILi2ELi2ELi1ELi16ELi8EEvPKhS1_P6__halfPKfiiiiiiii.has_recursion, 0
	.set _Z19_skinny_gemm_kernelILi2ELi2ELi1ELi16ELi8EEvPKhS1_P6__halfPKfiiiiiiii.has_indirect_call, 0
	.section	.AMDGPU.csdata,"",@progbits
; Kernel info:
; codeLenInByte = 4596
; TotalNumSgprs: 69
; NumVgprs: 79
; NumAgprs: 0
; TotalNumVgprs: 79
; ScratchSize: 0
; MemoryBound: 0
; FloatMode: 240
; IeeeMode: 1
; LDSByteSize: 16400 bytes/workgroup (compile time only)
; SGPRBlocks: 8
; VGPRBlocks: 9
; NumSGPRsForWavesPerEU: 69
; NumVGPRsForWavesPerEU: 79
; AccumOffset: 80
; Occupancy: 6
; WaveLimiterHint : 0
; COMPUTE_PGM_RSRC2:SCRATCH_EN: 0
; COMPUTE_PGM_RSRC2:USER_SGPR: 2
; COMPUTE_PGM_RSRC2:TRAP_HANDLER: 0
; COMPUTE_PGM_RSRC2:TGID_X_EN: 1
; COMPUTE_PGM_RSRC2:TGID_Y_EN: 0
; COMPUTE_PGM_RSRC2:TGID_Z_EN: 0
; COMPUTE_PGM_RSRC2:TIDIG_COMP_CNT: 0
; COMPUTE_PGM_RSRC3_GFX90A:ACCUM_OFFSET: 19
; COMPUTE_PGM_RSRC3_GFX90A:TG_SPLIT: 0
	.section	.text._Z19_skinny_gemm_kernelILi2ELi2ELi1ELi32ELi4EEvPKhS1_P6__halfPKfiiiiiiii,"axG",@progbits,_Z19_skinny_gemm_kernelILi2ELi2ELi1ELi32ELi4EEvPKhS1_P6__halfPKfiiiiiiii,comdat
	.protected	_Z19_skinny_gemm_kernelILi2ELi2ELi1ELi32ELi4EEvPKhS1_P6__halfPKfiiiiiiii ; -- Begin function _Z19_skinny_gemm_kernelILi2ELi2ELi1ELi32ELi4EEvPKhS1_P6__halfPKfiiiiiiii
	.globl	_Z19_skinny_gemm_kernelILi2ELi2ELi1ELi32ELi4EEvPKhS1_P6__halfPKfiiiiiiii
	.p2align	8
	.type	_Z19_skinny_gemm_kernelILi2ELi2ELi1ELi32ELi4EEvPKhS1_P6__halfPKfiiiiiiii,@function
_Z19_skinny_gemm_kernelILi2ELi2ELi1ELi32ELi4EEvPKhS1_P6__halfPKfiiiiiiii: ; @_Z19_skinny_gemm_kernelILi2ELi2ELi1ELi32ELi4EEvPKhS1_P6__halfPKfiiiiiiii
; %bb.0:
	v_cmp_gt_u32_e32 vcc, 4, v0
	s_and_saveexec_b64 s[4:5], vcc
; %bb.1:
	v_lshlrev_b32_e32 v1, 2, v0
	v_mov_b32_e32 v2, 0
	ds_write_b32 v1, v2 offset:8192
; %bb.2:
	s_or_b64 exec, exec, s[4:5]
	s_load_dwordx8 s[16:23], s[0:1], 0x20
	s_waitcnt lgkmcnt(0)
	s_barrier
	s_add_i32 s3, s16, 63
	s_ashr_i32 s5, s3, 31
	s_add_i32 s4, s17, 63
	s_lshr_b32 s5, s5, 26
	s_ashr_i32 s6, s4, 31
	s_add_i32 s3, s3, s5
	s_ashr_i32 s11, s3, 6
	s_lshr_b32 s3, s6, 26
	s_add_i32 s4, s4, s3
	s_ashr_i32 s12, s4, 6
	s_mul_i32 s3, s12, s11
	s_mul_i32 s3, s3, s20
	s_add_i32 s4, s3, 0x12f
	s_mul_hi_i32 s4, s4, 0x6bca1af3
	s_lshr_b32 s5, s4, 31
	s_ashr_i32 s4, s4, 7
	s_add_i32 s4, s4, s5
	s_add_i32 s5, s2, 1
	s_mul_i32 s5, s4, s5
	v_cvt_f64_i32_e32 v[2:3], s3
	v_cvt_f64_u32_e32 v[4:5], s5
	v_min_f64 v[2:3], v[2:3], v[4:5]
	v_cvt_i32_f64_e32 v62, v[2:3]
	s_mul_i32 s33, s4, s2
	v_cmp_ge_i32_e32 vcc, s33, v62
	s_cbranch_vccnz .LBB168_51
; %bb.3:
	s_load_dwordx8 s[44:51], s[0:1], 0x0
	v_lshrrev_b32_e32 v1, 6, v0
	s_add_i32 s0, s22, s21
	v_cmp_le_i32_e64 s[14:15], s0, v1
	v_mov_b32_e32 v2, s21
	v_cmp_le_i32_e64 s[24:25], s21, v1
	v_mov_b32_e32 v3, s22
	v_cndmask_b32_e64 v3, 0, v3, s[14:15]
	v_cndmask_b32_e64 v2, 0, v2, s[24:25]
	s_abs_i32 s1, s20
	v_add_u32_e32 v2, v2, v3
	v_cvt_f32_u32_e32 v3, s1
	v_sub_u32_e32 v56, v1, v2
	s_ashr_i32 s2, s18, 31
	s_lshr_b32 s2, s2, 26
	v_rcp_iflag_f32_e32 v2, v3
	s_sub_i32 s5, 0, s1
	s_add_i32 s2, s18, s2
	s_ashr_i32 s2, s2, 6
	v_mul_f32_e32 v2, 0x4f7ffffe, v2
	v_cvt_u32_f32_e32 v2, v2
	s_abs_i32 s4, s2
	s_xor_b32 s3, s2, s20
	s_ashr_i32 s3, s3, 31
	v_readfirstlane_b32 s6, v2
	s_mul_i32 s5, s5, s6
	s_mul_hi_u32 s5, s6, s5
	s_add_i32 s6, s6, s5
	s_mul_hi_u32 s5, s4, s6
	s_mul_i32 s6, s5, s1
	s_sub_i32 s4, s4, s6
	s_add_i32 s6, s5, 1
	s_sub_i32 s7, s4, s1
	s_cmp_ge_u32 s4, s1
	s_cselect_b32 s5, s6, s5
	s_cselect_b32 s4, s7, s4
	s_add_i32 s6, s5, 1
	s_cmp_ge_u32 s4, s1
	s_cselect_b32 s1, s6, s5
	s_add_i32 s0, s0, s23
	v_and_b32_e32 v64, 31, v0
	v_lshrrev_b32_e32 v2, 3, v0
	v_cmp_gt_i32_e64 s[28:29], s0, v1
	v_lshlrev_b32_e32 v1, 2, v64
	v_and_b32_e32 v3, 4, v2
	v_and_b32_e32 v5, 1, v0
	v_lshlrev_b32_e32 v2, 6, v3
	v_or_b32_e32 v4, 0x1000, v1
	v_or_b32_e32 v3, v3, v5
	;; [unrolled: 1-line block ×4, first 2 shown]
	v_lshlrev_b32_e32 v2, 1, v5
	v_or_b32_e32 v5, 2, v3
	v_sub_u32_e32 v77, 32, v5
	v_or_b32_e32 v5, 8, v3
	v_sub_u32_e32 v78, 32, v5
	;; [unrolled: 2-line block ×5, first 2 shown]
	v_mul_lo_u32 v34, s17, v3
	v_sub_u32_e32 v81, 32, v5
	v_or_b32_e32 v5, 24, v3
	v_or_b32_e32 v3, 26, v3
                                        ; implicit-def: $vgpr99 : SGPR spill to VGPR lane
	s_add_i32 s26, s20, -1
	v_sub_u32_e32 v83, 32, v3
	v_lshrrev_b32_e32 v3, 1, v0
	s_abs_i32 s20, s11
	v_writelane_b32 v99, s11, 0
	v_and_b32_e32 v50, 16, v3
	v_cvt_f32_u32_e32 v3, s20
	v_writelane_b32 v99, s12, 1
	v_sub_u32_e32 v2, v0, v2
	s_waitcnt lgkmcnt(0)
	v_writelane_b32 v99, s44, 2
	v_add_u32_e32 v2, 1, v2
	v_and_b32_e32 v6, 63, v2
	v_writelane_b32 v99, s45, 3
	v_bitop3_b32 v67, v0, 1, v0 bitop3:0xc
	v_bitop3_b32 v68, v0, 3, 1 bitop3:0x6c
	;; [unrolled: 1-line block ×8, first 2 shown]
	v_and_b32_e32 v2, 30, v0
	v_lshlrev_b32_e32 v0, 4, v0
	v_writelane_b32 v99, s46, 4
	v_and_b32_e32 v0, 0x200, v0
	v_rcp_iflag_f32_e32 v3, v3
	s_abs_i32 s98, s12
	v_writelane_b32 v99, s47, 5
	s_xor_b32 s1, s1, s3
	v_or_b32_e32 v86, v1, v0
	v_cvt_f32_u32_e32 v1, s98
	v_writelane_b32 v99, s48, 6
	s_sub_i32 s13, s1, s3
	v_writelane_b32 v99, s49, 7
	s_mul_i32 s1, s13, s26
	s_lshl_b32 s0, s17, 1
	v_writelane_b32 v99, s50, 8
	s_sub_i32 s27, s2, s1
	v_add_u32_e32 v36, s0, v34
	s_mul_i32 s1, s17, 6
	v_or_b32_e32 v84, v4, v0
	v_mul_f32_e32 v0, 0x4f7ffffe, v3
	v_writelane_b32 v99, s51, 9
	v_cndmask_b32_e64 v63, 0, 1, s[14:15]
	v_add_u32_e32 v38, s1, v36
	v_cvt_u32_f32_e32 v0, v0
	v_rcp_iflag_f32_e32 v1, v1
	v_writelane_b32 v99, s14, 10
	v_add_u32_e32 v40, s0, v38
	v_add_u32_e32 v42, s1, v40
	v_writelane_b32 v99, s15, 11
	v_writelane_b32 v99, s24, 12
	v_add_u32_e32 v44, s0, v42
	v_add_u32_e32 v46, s1, v44
	v_writelane_b32 v99, s25, 13
	v_readfirstlane_b32 s1, v0
	v_mul_f32_e32 v0, 0x4f7ffffe, v1
	v_writelane_b32 v99, s13, 14
	v_cvt_u32_f32_e32 v0, v0
	v_writelane_b32 v99, s26, 15
	v_add_u32_e32 v48, s0, v46
	s_sub_i32 s0, 0, s20
	v_writelane_b32 v99, s27, 16
	s_mul_i32 s0, s0, s1
	v_writelane_b32 v99, s28, 17
	s_lshl_b32 s30, s19, 5
	s_mul_hi_u32 s0, s1, s0
	v_writelane_b32 v99, s29, 18
	s_ashr_i32 s31, s11, 31
	s_add_i32 s34, s1, s0
	s_sub_i32 s0, 0, s98
	v_readfirstlane_b32 s1, v0
	v_mbcnt_lo_u32_b32 v0, -1, 0
	v_writelane_b32 v99, s30, 19
	s_mul_i32 s0, s0, s1
	v_mbcnt_hi_u32_b32 v0, -1, v0
	v_writelane_b32 v99, s31, 20
	v_mov_b32_e32 v33, 0
	v_mul_lo_u32 v52, s19, v64
	s_ashr_i32 s35, s12, 31
	s_mul_hi_u32 s0, s1, s0
	v_and_or_b32 v0, v0, 64, v6
	v_writelane_b32 v99, s34, 21
	v_or_b32_e32 v75, 32, v64
	v_ashrrev_i32_e32 v35, 31, v34
	v_ashrrev_i32_e32 v37, 31, v36
	;; [unrolled: 1-line block ×6, first 2 shown]
	v_sub_u32_e32 v82, 32, v5
	v_ashrrev_i32_e32 v47, 31, v46
	v_ashrrev_i32_e32 v49, 31, v48
	;; [unrolled: 1-line block ×3, first 2 shown]
	v_mov_b32_e32 v51, v33
	v_mul_lo_u32 v85, s18, v64
	s_add_i32 s36, s1, s0
	v_lshlrev_b32_e32 v32, 1, v2
	v_lshlrev_b32_e32 v87, 2, v0
	v_mov_b32_e32 v88, v56
	v_writelane_b32 v99, s35, 22
	v_writelane_b32 v99, s36, 23
	s_branch .LBB168_7
.LBB168_4:                              ;   in Loop: Header=BB168_7 Depth=1
	s_or_b64 exec, exec, s[4:5]
.LBB168_5:                              ;   in Loop: Header=BB168_7 Depth=1
	s_or_b64 exec, exec, s[2:3]
	v_subrev_u32_e32 v88, s10, v88
.LBB168_6:                              ;   in Loop: Header=BB168_7 Depth=1
	s_or_b64 exec, exec, s[0:1]
	s_add_i32 s33, s33, 1
	v_cmp_ge_i32_e32 vcc, s33, v62
	s_cbranch_vccnz .LBB168_51
.LBB168_7:                              ; =>This Loop Header: Depth=1
                                        ;     Child Loop BB168_13 Depth 2
                                        ;       Child Loop BB168_15 Depth 3
                                        ;       Child Loop BB168_18 Depth 3
	;; [unrolled: 1-line block ×3, first 2 shown]
                                        ;     Child Loop BB168_38 Depth 2
                                        ;       Child Loop BB168_40 Depth 3
                                        ;     Child Loop BB168_48 Depth 2
                                        ;       Child Loop BB168_50 Depth 3
	s_abs_i32 s1, s33
	s_mul_hi_u32 s2, s1, s34
	s_mul_i32 s3, s2, s20
	s_ashr_i32 s0, s33, 31
	s_sub_i32 s1, s1, s3
	s_xor_b32 s0, s0, s31
	s_add_i32 s3, s2, 1
	s_sub_i32 s4, s1, s20
	s_cmp_ge_u32 s1, s20
	s_cselect_b32 s2, s3, s2
	s_cselect_b32 s1, s4, s1
	s_add_i32 s3, s2, 1
	s_cmp_ge_u32 s1, s20
	s_cselect_b32 s1, s3, s2
	s_xor_b32 s1, s1, s0
	s_sub_i32 s0, s1, s0
	s_abs_i32 s2, s0
	s_mul_i32 s1, s0, s11
	s_mul_hi_u32 s3, s2, s36
	s_sub_i32 s1, s33, s1
	s_mul_i32 s4, s3, s98
	s_lshl_b32 s52, s1, 6
	s_ashr_i32 s1, s0, 31
	s_sub_i32 s2, s2, s4
	s_xor_b32 s1, s1, s35
	s_add_i32 s4, s3, 1
	s_sub_i32 s5, s2, s98
	s_cmp_ge_u32 s2, s98
	s_cselect_b32 s3, s4, s3
	s_cselect_b32 s2, s5, s2
	s_add_i32 s4, s3, 1
	s_cmp_ge_u32 s2, s98
	s_cselect_b32 s2, s4, s3
	s_xor_b32 s2, s2, s1
	s_sub_i32 s1, s2, s1
	s_mul_i32 s2, s1, s13
	s_lshl_b32 s37, s2, 6
	s_cmp_eq_u32 s1, s26
	s_cselect_b32 s99, s27, s13
	s_sub_i32 s2, s52, s16
	s_add_i32 s53, s2, 64
	s_and_saveexec_b64 s[2:3], s[24:25]
	s_xor_b64 s[38:39], exec, s[2:3]
	s_cbranch_execz .LBB168_44
; %bb.8:                                ;   in Loop: Header=BB168_7 Depth=1
	s_mul_i32 s1, s1, s12
	s_sub_i32 s0, s0, s1
	s_lshl_b32 s0, s0, 6
	s_sub_i32 s90, s0, s17
	s_add_i32 s90, s90, 64
	s_max_i32 s1, s90, 0
	s_sub_i32 s54, s0, s1
	s_and_saveexec_b64 s[0:1], s[14:15]
	s_xor_b64 s[4:5], exec, s[0:1]
	s_cbranch_execz .LBB168_34
; %bb.9:                                ;   in Loop: Header=BB168_7 Depth=1
	s_and_saveexec_b64 s[2:3], s[28:29]
	s_cbranch_execz .LBB168_33
; %bb.10:                               ;   in Loop: Header=BB168_7 Depth=1
	global_load_dword v89, v33, s[50:51]
	v_writelane_b32 v99, s2, 24
	v_mov_b32_e32 v31, 0
	v_cmp_gt_i32_e32 vcc, s99, v88
	v_writelane_b32 v99, s3, 25
	v_writelane_b32 v99, s4, 26
	v_mov_b32_e32 v30, v31
	v_mov_b32_e32 v29, v31
	;; [unrolled: 1-line block ×12, first 2 shown]
	s_waitcnt lgkmcnt(1)
	v_mov_b32_e32 v18, v31
	v_mov_b32_e32 v17, v31
	;; [unrolled: 1-line block ×19, first 2 shown]
	v_writelane_b32 v99, s5, 27
	s_and_saveexec_b64 s[0:1], vcc
	s_cbranch_execz .LBB168_23
; %bb.11:                               ;   in Loop: Header=BB168_7 Depth=1
	v_mov_b32_e32 v0, 0
	s_mov_b64 s[2:3], 0
	v_mov_b32_e32 v1, v0
	v_mov_b32_e32 v2, v0
	;; [unrolled: 1-line block ×31, first 2 shown]
	s_branch .LBB168_13
.LBB168_12:                             ;   in Loop: Header=BB168_13 Depth=2
	s_or_b64 exec, exec, s[4:5]
	v_add_u32_e32 v96, 0x800, v93
	ds_read2_b32 v[94:95], v96 offset1:32
	v_add_u32_e32 v88, s23, v88
	s_waitcnt lgkmcnt(0)
	v_mfma_f32_32x32x16_fp8_fp8 v[0:15], v[60:61], v[94:95], v[0:15]
	ds_read2_b32 v[60:61], v96 offset0:128 offset1:160
	s_waitcnt lgkmcnt(0)
	v_mfma_f32_32x32x16_fp8_fp8 v[0:15], v[58:59], v[60:61], v[0:15]
	v_add_u32_e32 v60, 0xc00, v93
	ds_read2_b32 v[58:59], v60 offset1:32
	ds_read2_b32 v[60:61], v60 offset0:128 offset1:160
	ds_write_b32 v91, v92 offset:8204
	s_waitcnt lgkmcnt(2)
	v_mfma_f32_32x32x16_fp8_fp8 v[0:15], v[56:57], v[58:59], v[0:15]
	v_add_u32_e32 v56, s23, v90
	v_add_u32_e32 v57, 2, v63
	v_cmp_lt_i32_e32 vcc, 0, v56
	s_nop 1
	v_cndmask_b32_e32 v63, v63, v57, vcc
	v_cmp_le_i32_e32 vcc, s99, v88
	s_waitcnt lgkmcnt(1)
	v_mfma_f32_32x32x16_fp8_fp8 v[0:15], v[54:55], v[60:61], v[0:15]
	s_or_b64 s[2:3], vcc, s[2:3]
	s_andn2_b64 exec, exec, s[2:3]
	s_cbranch_execz .LBB168_22
.LBB168_13:                             ;   Parent Loop BB168_7 Depth=1
                                        ; =>  This Loop Header: Depth=2
                                        ;       Child Loop BB168_15 Depth 3
                                        ;       Child Loop BB168_18 Depth 3
	;; [unrolled: 1-line block ×3, first 2 shown]
	v_cmp_lt_i32_e32 vcc, 0, v56
	s_nop 1
	v_subbrev_co_u32_e32 v90, vcc, 0, v56, vcc
	v_lshlrev_b32_e32 v91, 4, v90
	ds_read_b32 v54, v91 offset:8192
	s_waitcnt lgkmcnt(0)
	v_cmp_ne_u32_e32 vcc, v54, v63
	s_and_saveexec_b64 s[4:5], vcc
	s_cbranch_execz .LBB168_16
; %bb.14:                               ;   in Loop: Header=BB168_13 Depth=2
	s_mov_b64 s[6:7], 0
.LBB168_15:                             ;   Parent Loop BB168_7 Depth=1
                                        ;     Parent Loop BB168_13 Depth=2
                                        ; =>    This Inner Loop Header: Depth=3
	;;#ASMSTART
	s_sleep 0
	;;#ASMEND
	ds_read_b32 v54, v91 offset:8192
	s_waitcnt lgkmcnt(0)
	v_cmp_eq_u32_e32 vcc, v54, v63
	s_or_b64 s[6:7], vcc, s[6:7]
	s_andn2_b64 exec, exec, s[6:7]
	s_cbranch_execnz .LBB168_15
.LBB168_16:                             ;   in Loop: Header=BB168_13 Depth=2
	s_or_b64 exec, exec, s[4:5]
	v_lshl_or_b32 v54, v90, 11, v65
	ds_read2_b32 v[60:61], v54 offset1:32
	ds_read2_b32 v[58:59], v54 offset0:128 offset1:160
	v_add_u32_e32 v54, 0x400, v54
	ds_read2_b32 v[56:57], v54 offset1:32
	ds_read_b32 v93, v91 offset:8196
	ds_read2_b32 v[54:55], v54 offset0:128 offset1:160
	v_add_u32_e32 v92, 1, v63
	ds_write_b32 v91, v92 offset:8192
	s_waitcnt lgkmcnt(2)
	v_cmp_ne_u32_e32 vcc, v93, v63
	s_and_saveexec_b64 s[4:5], vcc
	s_cbranch_execz .LBB168_19
; %bb.17:                               ;   in Loop: Header=BB168_13 Depth=2
	s_mov_b64 s[6:7], 0
.LBB168_18:                             ;   Parent Loop BB168_7 Depth=1
                                        ;     Parent Loop BB168_13 Depth=2
                                        ; =>    This Inner Loop Header: Depth=3
	;;#ASMSTART
	s_sleep 0
	;;#ASMEND
	ds_read_b32 v93, v91 offset:8196
	s_waitcnt lgkmcnt(0)
	v_cmp_eq_u32_e32 vcc, v93, v63
	s_or_b64 s[6:7], vcc, s[6:7]
	s_andn2_b64 exec, exec, s[6:7]
	s_cbranch_execnz .LBB168_18
.LBB168_19:                             ;   in Loop: Header=BB168_13 Depth=2
	s_or_b64 exec, exec, s[4:5]
	v_lshlrev_b32_e32 v93, 12, v90
	v_add_u32_e32 v93, v66, v93
	ds_read2_b32 v[94:95], v93 offset1:32
	v_add_u32_e32 v96, 0x400, v93
	ds_write_b32 v91, v92 offset:8196
	s_waitcnt lgkmcnt(1)
	v_mfma_f32_32x32x16_fp8_fp8 v[16:31], v[60:61], v[94:95], v[16:31]
	ds_read2_b32 v[94:95], v93 offset0:128 offset1:160
	s_waitcnt lgkmcnt(0)
	v_mfma_f32_32x32x16_fp8_fp8 v[16:31], v[58:59], v[94:95], v[16:31]
	ds_read2_b32 v[94:95], v96 offset1:32
	s_waitcnt lgkmcnt(0)
	v_mfma_f32_32x32x16_fp8_fp8 v[16:31], v[56:57], v[94:95], v[16:31]
	ds_read2_b32 v[94:95], v96 offset0:128 offset1:160
	ds_read_b32 v96, v91 offset:8204
	s_waitcnt lgkmcnt(0)
	v_cmp_ne_u32_e32 vcc, v96, v63
	v_mfma_f32_32x32x16_fp8_fp8 v[16:31], v[54:55], v[94:95], v[16:31]
	s_and_saveexec_b64 s[4:5], vcc
	s_cbranch_execz .LBB168_12
; %bb.20:                               ;   in Loop: Header=BB168_13 Depth=2
	s_mov_b64 s[6:7], 0
.LBB168_21:                             ;   Parent Loop BB168_7 Depth=1
                                        ;     Parent Loop BB168_13 Depth=2
                                        ; =>    This Inner Loop Header: Depth=3
	;;#ASMSTART
	s_sleep 0
	;;#ASMEND
	ds_read_b32 v94, v91 offset:8204
	s_waitcnt lgkmcnt(0)
	v_cmp_eq_u32_e32 vcc, v94, v63
	s_or_b64 s[6:7], vcc, s[6:7]
	s_andn2_b64 exec, exec, s[6:7]
	s_cbranch_execnz .LBB168_21
	s_branch .LBB168_12
.LBB168_22:                             ;   in Loop: Header=BB168_7 Depth=1
	s_or_b64 exec, exec, s[2:3]
.LBB168_23:                             ;   in Loop: Header=BB168_7 Depth=1
	v_writelane_b32 v99, s54, 28
	s_nop 1
	v_writelane_b32 v99, s55, 29
	v_writelane_b32 v99, s38, 30
	s_nop 1
	v_writelane_b32 v99, s39, 31
	v_writelane_b32 v99, s53, 32
	;; [unrolled: 1-line block ×4, first 2 shown]
	s_or_b64 exec, exec, s[0:1]
	v_cmp_le_i32_e32 vcc, s90, v64
	v_cmp_eq_u32_e64 s[86:87], 1, v67
	v_cmp_eq_u32_e64 s[50:51], 2, v67
	s_waitcnt vmcnt(0)
	v_cndmask_b32_e32 v54, 0, v89, vcc
	v_pk_mul_f32 v[16:17], v[54:55], v[16:17] op_sel_hi:[0,1]
	v_pk_mul_f32 v[30:31], v[54:55], v[30:31] op_sel_hi:[0,1]
	;; [unrolled: 1-line block ×8, first 2 shown]
	v_cndmask_b32_e64 v54, v16, v17, s[86:87]
	v_cndmask_b32_e64 v54, v54, v18, s[50:51]
	v_cmp_eq_u32_e64 s[52:53], 3, v67
	v_cmp_eq_u32_e64 s[56:57], 4, v67
	v_cmp_eq_u32_e64 s[60:61], 5, v67
	v_cndmask_b32_e64 v54, v54, v19, s[52:53]
	v_cndmask_b32_e64 v54, v54, v20, s[56:57]
	v_cndmask_b32_e64 v54, v54, v21, s[60:61]
	v_cmp_eq_u32_e64 s[64:65], 6, v67
	v_cmp_eq_u32_e64 s[68:69], 7, v67
	v_cmp_eq_u32_e64 s[72:73], 8, v67
	v_cndmask_b32_e64 v54, v54, v22, s[64:65]
	;; [unrolled: 6-line block ×5, first 2 shown]
	ds_bpermute_b32 v54, v87, v54
	v_cmp_eq_u32_e64 s[26:27], 2, v68
	v_cmp_eq_u32_e64 s[28:29], 3, v68
	;; [unrolled: 1-line block ×4, first 2 shown]
	s_waitcnt lgkmcnt(0)
	v_cndmask_b32_e64 v17, v17, v54, s[86:87]
	v_cndmask_b32_e64 v16, v16, v54, s[70:71]
	;; [unrolled: 1-line block ×12, first 2 shown]
	v_cmp_eq_u32_e64 s[36:37], 6, v68
	v_cndmask_b32_e64 v57, v23, v54, s[68:69]
	v_cmp_eq_u32_e64 s[38:39], 7, v68
	v_cndmask_b32_e64 v18, v18, v58, s[36:37]
	v_cndmask_b32_e64 v55, v24, v54, s[72:73]
	v_cndmask_b32_e64 v18, v18, v57, s[38:39]
	v_cmp_eq_u32_e64 s[42:43], 8, v68
	v_cndmask_b32_e64 v25, v25, v54, s[74:75]
	v_cmp_eq_u32_e64 s[44:45], 9, v68
	v_cndmask_b32_e64 v18, v18, v55, s[42:43]
	v_cndmask_b32_e64 v26, v26, v54, s[76:77]
	v_cndmask_b32_e64 v18, v18, v25, s[44:45]
	;; [unrolled: 6-line block ×4, first 2 shown]
	v_cmp_eq_u32_e64 s[62:63], 14, v68
	v_cndmask_b32_e64 v31, v31, v54, s[88:89]
	v_cmp_eq_u32_e64 s[66:67], 15, v68
	v_cndmask_b32_e64 v18, v18, v30, s[62:63]
	v_cmp_le_i32_e64 s[90:91], s90, v75
	v_cndmask_b32_e64 v18, v18, v31, s[66:67]
	ds_bpermute_b32 v54, v87, v18
	v_cmp_eq_u32_e64 s[40:41], 0, v68
	v_cmp_eq_u32_e64 s[2:3], 1, v69
	;; [unrolled: 1-line block ×4, first 2 shown]
	s_waitcnt lgkmcnt(0)
	v_cndmask_b32_e64 v22, v27, v54, s[48:49]
	v_cndmask_b32_e64 v27, v58, v54, s[36:37]
	;; [unrolled: 1-line block ×3, first 2 shown]
	v_pk_mul_f32 v[0:1], v[58:59], v[0:1] op_sel_hi:[0,1]
	v_cndmask_b32_e64 v24, v25, v54, s[44:45]
	v_cndmask_b32_e64 v25, v55, v54, s[42:43]
	v_pk_mul_f32 v[2:3], v[58:59], v[2:3] op_sel_hi:[0,1]
	v_cndmask_b32_e64 v55, v0, v1, s[86:87]
	v_cndmask_b32_e64 v55, v55, v2, s[50:51]
	;; [unrolled: 3-line block ×6, first 2 shown]
	v_cndmask_b32_e64 v17, v17, v54, s[24:25]
	v_cndmask_b32_e64 v16, v16, v54, s[40:41]
	v_pk_mul_f32 v[12:13], v[58:59], v[12:13] op_sel_hi:[0,1]
	v_cndmask_b32_e64 v55, v55, v11, s[78:79]
	v_cndmask_b32_e64 v18, v31, v54, s[66:67]
	;; [unrolled: 1-line block ×14, first 2 shown]
	v_pk_mul_f32 v[14:15], v[58:59], v[14:15] op_sel_hi:[0,1]
	v_cndmask_b32_e64 v55, v55, v13, s[82:83]
	v_cndmask_b32_e64 v54, v54, v30, s[8:9]
	v_cmp_eq_u32_e64 s[10:11], 4, v69
	v_cndmask_b32_e64 v55, v55, v14, s[84:85]
	v_cmp_eq_u32_e64 s[12:13], 5, v69
	v_cndmask_b32_e64 v54, v54, v29, s[10:11]
	v_cndmask_b32_e64 v55, v55, v15, s[88:89]
	;; [unrolled: 1-line block ×3, first 2 shown]
	v_cmp_eq_u32_e64 s[14:15], 6, v69
	ds_bpermute_b32 v55, v87, v55
	v_cmp_eq_u32_e64 s[96:97], 7, v69
	v_cndmask_b32_e64 v54, v54, v27, s[14:15]
	v_cmp_eq_u32_e64 s[4:5], 8, v69
	v_cndmask_b32_e64 v54, v54, v26, s[96:97]
	v_cmp_eq_u32_e32 vcc, 9, v69
	v_cndmask_b32_e64 v54, v54, v25, s[4:5]
	v_cmp_eq_u32_e64 s[0:1], 10, v69
	v_cndmask_b32_e32 v54, v54, v24, vcc
	v_cmp_eq_u32_e64 s[86:87], 11, v69
	v_cndmask_b32_e64 v54, v54, v23, s[0:1]
	s_waitcnt lgkmcnt(0)
	v_cndmask_b32_e64 v2, v2, v55, s[50:51]
	v_cmp_ne_u32_e64 s[50:51], 0, v67
	v_cndmask_b32_e64 v54, v54, v22, s[86:87]
	v_cmp_eq_u32_e64 s[90:91], 12, v69
	v_cndmask_b32_e64 v1, v1, v55, s[50:51]
	v_cndmask_b32_e64 v0, v0, v55, s[70:71]
	;; [unrolled: 1-line block ×4, first 2 shown]
	v_cmp_eq_u32_e64 s[88:89], 13, v69
	v_cndmask_b32_e64 v14, v14, v55, s[84:85]
	v_cndmask_b32_e64 v13, v13, v55, s[82:83]
	;; [unrolled: 1-line block ×14, first 2 shown]
	v_cmp_eq_u32_e64 s[84:85], 14, v69
	v_cndmask_b32_e64 v55, v55, v2, s[26:27]
	v_cmp_eq_u32_e64 s[82:83], 15, v69
	v_cndmask_b32_e64 v54, v54, v19, s[84:85]
	v_cndmask_b32_e64 v55, v55, v3, s[28:29]
	;; [unrolled: 1-line block ×4, first 2 shown]
	ds_bpermute_b32 v54, v87, v54
	v_cndmask_b32_e64 v55, v55, v5, s[34:35]
	v_cndmask_b32_e64 v55, v55, v6, s[36:37]
	;; [unrolled: 1-line block ×4, first 2 shown]
	v_cmp_eq_u32_e64 s[80:81], 0, v69
	v_cndmask_b32_e64 v55, v55, v9, s[44:45]
	s_waitcnt lgkmcnt(0)
	v_cndmask_b32_e64 v17, v17, v54, s[2:3]
	v_cndmask_b32_e64 v16, v16, v54, s[80:81]
	v_cmp_eq_u32_e64 s[78:79], 1, v70
	v_cndmask_b32_e64 v55, v55, v10, s[46:47]
	v_cndmask_b32_e64 v18, v18, v54, s[82:83]
	;; [unrolled: 1-line block ×7, first 2 shown]
	v_cndmask_b32_e32 v24, v24, v54, vcc
	v_cndmask_b32_e64 v25, v25, v54, s[4:5]
	v_cndmask_b32_e64 v26, v26, v54, s[96:97]
	;; [unrolled: 1-line block ×8, first 2 shown]
	v_cmp_eq_u32_e64 s[76:77], 2, v70
	v_cndmask_b32_e64 v55, v55, v11, s[48:49]
	v_cmp_eq_u32_e64 s[74:75], 3, v70
	v_cndmask_b32_e64 v54, v54, v31, s[76:77]
	v_cndmask_b32_e64 v55, v55, v12, s[54:55]
	;; [unrolled: 1-line block ×3, first 2 shown]
	v_cmp_eq_u32_e64 s[72:73], 4, v70
	v_cndmask_b32_e64 v55, v55, v13, s[58:59]
	v_cmp_eq_u32_e64 s[68:69], 5, v70
	v_cndmask_b32_e64 v54, v54, v29, s[72:73]
	v_cndmask_b32_e64 v55, v55, v14, s[62:63]
	;; [unrolled: 1-line block ×3, first 2 shown]
	v_cmp_eq_u32_e64 s[64:65], 6, v70
	v_cndmask_b32_e64 v55, v55, v15, s[66:67]
	v_cmp_eq_u32_e64 s[60:61], 7, v70
	v_cndmask_b32_e64 v54, v54, v27, s[64:65]
	ds_bpermute_b32 v55, v87, v55
	v_cndmask_b32_e64 v54, v54, v26, s[60:61]
	v_cmp_eq_u32_e64 s[56:57], 8, v70
	v_cmp_eq_u32_e64 s[52:53], 9, v70
	;; [unrolled: 1-line block ×3, first 2 shown]
	v_cndmask_b32_e64 v54, v54, v25, s[56:57]
	v_cndmask_b32_e64 v54, v54, v24, s[52:53]
	;; [unrolled: 1-line block ×3, first 2 shown]
	v_cmp_eq_u32_e64 s[70:71], 11, v70
	s_waitcnt lgkmcnt(0)
	v_cndmask_b32_e64 v15, v15, v55, s[66:67]
	v_cmp_eq_u32_e64 s[66:67], 12, v70
	v_cndmask_b32_e64 v54, v54, v22, s[70:71]
	v_cndmask_b32_e64 v14, v14, v55, s[62:63]
	;; [unrolled: 1-line block ×3, first 2 shown]
	v_cmp_eq_u32_e64 s[62:63], 13, v70
	v_cndmask_b32_e64 v1, v1, v55, s[24:25]
	v_cndmask_b32_e64 v0, v0, v55, s[40:41]
	;; [unrolled: 1-line block ×4, first 2 shown]
	v_cmp_eq_u32_e64 s[92:93], 14, v70
	v_cndmask_b32_e64 v12, v12, v55, s[54:55]
	v_cndmask_b32_e64 v11, v11, v55, s[48:49]
	v_cndmask_b32_e64 v10, v10, v55, s[46:47]
	v_cndmask_b32_e64 v9, v9, v55, s[44:45]
	v_cndmask_b32_e64 v8, v8, v55, s[42:43]
	v_cndmask_b32_e64 v7, v7, v55, s[38:39]
	v_cndmask_b32_e64 v6, v6, v55, s[36:37]
	v_cndmask_b32_e64 v5, v5, v55, s[34:35]
	v_cndmask_b32_e64 v4, v4, v55, s[30:31]
	v_cndmask_b32_e64 v3, v3, v55, s[28:29]
	v_cndmask_b32_e64 v2, v2, v55, s[26:27]
	v_cndmask_b32_e64 v55, v0, v1, s[2:3]
	v_cndmask_b32_e64 v54, v54, v19, s[92:93]
	v_cmp_eq_u32_e64 s[94:95], 15, v70
	v_cndmask_b32_e64 v55, v55, v2, s[6:7]
	v_cndmask_b32_e64 v55, v55, v3, s[8:9]
	;; [unrolled: 1-line block ×3, first 2 shown]
	ds_bpermute_b32 v54, v87, v54
	v_cndmask_b32_e64 v55, v55, v4, s[10:11]
	v_cndmask_b32_e64 v55, v55, v5, s[12:13]
	;; [unrolled: 1-line block ×4, first 2 shown]
	v_cmp_eq_u32_e64 s[48:49], 0, v70
	v_cndmask_b32_e64 v55, v55, v8, s[4:5]
	s_waitcnt lgkmcnt(0)
	v_cndmask_b32_e64 v17, v17, v54, s[78:79]
	v_cndmask_b32_e64 v16, v16, v54, s[48:49]
	v_cmp_eq_u32_e64 s[46:47], 1, v71
	v_cndmask_b32_e32 v55, v55, v9, vcc
	v_cndmask_b32_e64 v18, v18, v54, s[94:95]
	v_cndmask_b32_e64 v19, v19, v54, s[92:93]
	;; [unrolled: 1-line block ×15, first 2 shown]
	v_cmp_eq_u32_e64 s[44:45], 2, v71
	v_cndmask_b32_e64 v55, v55, v10, s[0:1]
	v_cmp_eq_u32_e64 s[42:43], 3, v71
	v_cndmask_b32_e64 v54, v54, v31, s[44:45]
	v_cndmask_b32_e64 v55, v55, v11, s[86:87]
	v_cndmask_b32_e64 v54, v54, v30, s[42:43]
	v_cmp_eq_u32_e64 s[38:39], 4, v71
	v_cndmask_b32_e64 v55, v55, v12, s[90:91]
	v_cmp_eq_u32_e64 s[36:37], 5, v71
	v_cndmask_b32_e64 v54, v54, v29, s[38:39]
	v_cndmask_b32_e64 v55, v55, v13, s[88:89]
	v_cndmask_b32_e64 v54, v54, v28, s[36:37]
	;; [unrolled: 6-line block ×3, first 2 shown]
	v_cmp_eq_u32_e64 s[28:29], 8, v71
	ds_bpermute_b32 v55, v87, v55
	v_cmp_eq_u32_e64 s[26:27], 9, v71
	v_cndmask_b32_e64 v54, v54, v25, s[28:29]
	v_cmp_eq_u32_e64 s[24:25], 10, v71
	v_cndmask_b32_e64 v54, v54, v24, s[26:27]
	;; [unrolled: 2-line block ×4, first 2 shown]
	s_waitcnt lgkmcnt(0)
	v_cndmask_b32_e64 v15, v15, v55, s[82:83]
	v_cndmask_b32_e64 v54, v54, v21, s[58:59]
	v_cmp_eq_u32_e64 s[82:83], 13, v71
	v_cndmask_b32_e64 v14, v14, v55, s[84:85]
	v_cmp_eq_u32_e64 s[84:85], 14, v71
	v_cndmask_b32_e64 v54, v54, v20, s[82:83]
	v_cndmask_b32_e64 v1, v1, v55, s[2:3]
	;; [unrolled: 1-line block ×6, first 2 shown]
	v_cmp_eq_u32_e64 s[90:91], 15, v71
	v_cndmask_b32_e64 v11, v11, v55, s[86:87]
	v_cndmask_b32_e64 v10, v10, v55, s[0:1]
	v_cndmask_b32_e32 v9, v9, v55, vcc
	v_cndmask_b32_e64 v8, v8, v55, s[4:5]
	v_cndmask_b32_e64 v7, v7, v55, s[96:97]
	;; [unrolled: 1-line block ×10, first 2 shown]
	ds_bpermute_b32 v54, v87, v54
	v_cndmask_b32_e64 v55, v55, v3, s[74:75]
	v_cndmask_b32_e64 v55, v55, v4, s[72:73]
	;; [unrolled: 1-line block ×3, first 2 shown]
	v_cmp_eq_u32_e64 s[54:55], 0, v71
	v_cndmask_b32_e64 v55, v55, v6, s[64:65]
	v_cndmask_b32_e64 v55, v55, v7, s[60:61]
	v_writelane_b32 v99, s54, 35
	s_waitcnt lgkmcnt(0)
	v_cndmask_b32_e64 v17, v17, v54, s[46:47]
	v_cndmask_b32_e64 v55, v55, v8, s[56:57]
	v_writelane_b32 v99, s55, 36
	v_cndmask_b32_e64 v16, v16, v54, s[54:55]
	v_cmp_eq_u32_e64 s[54:55], 1, v72
	v_cndmask_b32_e64 v18, v18, v54, s[90:91]
	v_cndmask_b32_e64 v19, v19, v54, s[84:85]
	;; [unrolled: 1-line block ×15, first 2 shown]
	v_cmp_eq_u32_e64 s[0:1], 2, v72
	v_cndmask_b32_e64 v55, v55, v9, s[52:53]
	v_cmp_eq_u32_e64 s[4:5], 3, v72
	v_cndmask_b32_e64 v54, v54, v31, s[0:1]
	v_cndmask_b32_e64 v55, v55, v10, s[50:51]
	v_cndmask_b32_e64 v54, v54, v30, s[4:5]
	v_cmp_eq_u32_e64 s[96:97], 4, v72
	v_cndmask_b32_e64 v55, v55, v11, s[70:71]
	v_cmp_eq_u32_e64 s[14:15], 5, v72
	v_cndmask_b32_e64 v54, v54, v29, s[96:97]
	v_cndmask_b32_e64 v55, v55, v12, s[66:67]
	v_cndmask_b32_e64 v54, v54, v28, s[14:15]
	;; [unrolled: 6-line block ×3, first 2 shown]
	v_cmp_eq_u32_e64 s[8:9], 8, v72
	v_cndmask_b32_e64 v55, v55, v15, s[94:95]
	v_cmp_eq_u32_e64 s[6:7], 9, v72
	v_cndmask_b32_e64 v54, v54, v25, s[8:9]
	ds_bpermute_b32 v55, v87, v55
	v_cndmask_b32_e64 v54, v54, v24, s[6:7]
	v_cmp_eq_u32_e32 vcc, 10, v72
	v_cmp_eq_u32_e64 s[80:81], 11, v72
	v_cmp_eq_u32_e64 s[86:87], 12, v72
	v_cndmask_b32_e32 v54, v54, v23, vcc
	v_cndmask_b32_e64 v54, v54, v22, s[80:81]
	v_cndmask_b32_e64 v54, v54, v21, s[86:87]
	v_cmp_eq_u32_e64 s[88:89], 13, v72
	s_waitcnt lgkmcnt(0)
	v_cndmask_b32_e64 v13, v13, v55, s[62:63]
	v_cmp_eq_u32_e64 s[62:63], 14, v72
	v_cndmask_b32_e64 v54, v54, v20, s[88:89]
	v_cndmask_b32_e64 v12, v12, v55, s[66:67]
	;; [unrolled: 1-line block ×3, first 2 shown]
	v_cmp_eq_u32_e64 s[66:67], 15, v72
	v_cndmask_b32_e64 v57, v11, v55, s[70:71]
	v_cmp_eq_u32_e64 s[70:71], 0, v72
	v_cndmask_b32_e64 v54, v54, v18, s[66:67]
	ds_bpermute_b32 v54, v87, v54
	v_cndmask_b32_e64 v15, v15, v55, s[94:95]
	v_cndmask_b32_e64 v14, v14, v55, s[92:93]
	;; [unrolled: 1-line block ×4, first 2 shown]
	s_waitcnt lgkmcnt(0)
	v_cndmask_b32_e64 v18, v18, v54, s[66:67]
	v_cndmask_b32_e64 v19, v19, v54, s[62:63]
	;; [unrolled: 1-line block ×5, first 2 shown]
	v_cndmask_b32_e32 v23, v23, v54, vcc
	v_cndmask_b32_e64 v24, v24, v54, s[6:7]
	v_cndmask_b32_e64 v25, v25, v54, s[8:9]
	;; [unrolled: 1-line block ×28, first 2 shown]
	v_cmp_eq_u32_e64 s[50:51], 1, v73
	v_cndmask_b32_e64 v0, v0, v54, s[24:25]
	v_cmp_eq_u32_e64 s[52:53], 2, v73
	v_cndmask_b32_e64 v10, v16, v17, s[50:51]
	v_cndmask_b32_e64 v0, v0, v57, s[40:41]
	v_cndmask_b32_e64 v9, v10, v31, s[52:53]
	v_cmp_eq_u32_e64 s[56:57], 3, v73
	v_cndmask_b32_e64 v0, v0, v12, s[58:59]
	v_cmp_eq_u32_e64 s[60:61], 4, v73
	v_cndmask_b32_e64 v8, v9, v30, s[56:57]
	v_cndmask_b32_e64 v0, v0, v13, s[82:83]
	v_cndmask_b32_e64 v7, v8, v29, s[60:61]
	;; [unrolled: 6-line block ×3, first 2 shown]
	v_cmp_eq_u32_e64 s[72:73], 7, v73
	ds_bpermute_b32 v94, v87, v0
	v_cmp_eq_u32_e64 s[74:75], 8, v73
	v_cndmask_b32_e64 v4, v5, v26, s[72:73]
	v_cmp_eq_u32_e64 s[76:77], 9, v73
	v_cndmask_b32_e64 v3, v4, v25, s[74:75]
	;; [unrolled: 2-line block ×4, first 2 shown]
	s_waitcnt lgkmcnt(0)
	v_cndmask_b32_e64 v95, v15, v94, s[90:91]
	v_cndmask_b32_e64 v0, v0, v22, s[78:79]
	v_cmp_eq_u32_e64 s[90:91], 12, v73
	v_cndmask_b32_e64 v96, v14, v94, s[84:85]
	v_cmp_eq_u32_e64 s[84:85], 13, v73
	v_cndmask_b32_e64 v0, v0, v21, s[90:91]
	v_cndmask_b32_e64 v97, v13, v94, s[82:83]
	;; [unrolled: 1-line block ×3, first 2 shown]
	v_cmp_eq_u32_e64 s[82:83], 14, v73
	v_cndmask_b32_e64 v98, v12, v94, s[58:59]
	v_cmp_eq_u32_e64 s[58:59], 15, v73
	v_cndmask_b32_e64 v0, v0, v19, s[82:83]
	v_readlane_b32 s2, v99, 35
	v_cndmask_b32_e64 v0, v0, v18, s[58:59]
	ds_bpermute_b32 v1, v87, v0
	v_readlane_b32 s3, v99, 36
	s_waitcnt lgkmcnt(0)
	v_cndmask_b32_e64 v11, v27, v1, s[68:69]
	v_cndmask_b32_e64 v12, v28, v1, s[64:65]
	;; [unrolled: 1-line block ×4, first 2 shown]
	s_mov_b64 s[2:3], s[54:55]
	v_cndmask_b32_e64 v10, v26, v1, s[72:73]
	v_cndmask_b32_e64 v13, v29, v1, s[60:61]
	;; [unrolled: 1-line block ×25, first 2 shown]
	v_cmp_eq_u32_e64 s[40:41], 0, v73
	v_cndmask_b32_e64 v19, v58, v94, s[26:27]
	v_cndmask_b32_e64 v29, v29, v20, s[8:9]
	;; [unrolled: 1-line block ×8, first 2 shown]
	v_cndmask_b32_e32 v29, v29, v16, vcc
	v_cndmask_b32_e64 v29, v29, v17, s[80:81]
	v_cndmask_b32_e64 v29, v29, v98, s[86:87]
	v_cndmask_b32_e64 v29, v29, v97, s[88:89]
	v_cndmask_b32_e64 v29, v29, v96, s[62:63]
	v_cndmask_b32_e64 v29, v29, v95, s[66:67]
	ds_bpermute_b32 v29, v87, v29
	v_cmp_eq_u32_e64 s[24:25], 1, v74
	v_cmp_eq_u32_e64 s[26:27], 2, v74
	v_cmp_eq_u32_e64 s[28:29], 3, v74
	v_cndmask_b32_e64 v18, v1, v0, s[24:25]
	s_waitcnt lgkmcnt(0)
	v_cndmask_b32_e64 v92, v27, v29, s[2:3]
	v_cndmask_b32_e64 v93, v28, v29, s[70:71]
	;; [unrolled: 1-line block ×18, first 2 shown]
	v_cndmask_b32_e32 v16, v16, v29, vcc
	v_cndmask_b32_e64 v19, v19, v57, s[76:77]
	v_cndmask_b32_e64 v17, v17, v29, s[80:81]
	;; [unrolled: 1-line block ×12, first 2 shown]
	ds_bpermute_b32 v94, v87, v19
	v_cndmask_b32_e64 v18, v18, v15, s[26:27]
	v_cndmask_b32_e64 v18, v18, v14, s[28:29]
	v_cmp_eq_u32_e64 s[30:31], 4, v74
	v_cmp_eq_u32_e64 s[34:35], 5, v74
	s_waitcnt lgkmcnt(0)
	v_cndmask_b32_e64 v23, v17, v94, s[78:79]
	v_cndmask_b32_e64 v24, v16, v94, s[48:49]
	;; [unrolled: 1-line block ×18, first 2 shown]
	v_cmp_eq_u32_e64 s[36:37], 6, v74
	v_cndmask_b32_e64 v28, v60, v94, s[68:69]
	v_cndmask_b32_e64 v55, v55, v29, s[34:35]
	v_cndmask_b32_e64 v18, v18, v11, s[36:37]
	v_cmp_eq_u32_e64 s[38:39], 7, v74
	v_cndmask_b32_e64 v27, v59, v94, s[72:73]
	v_cndmask_b32_e64 v55, v55, v28, s[36:37]
	v_cndmask_b32_e64 v18, v18, v10, s[38:39]
	;; [unrolled: 4-line block ×4, first 2 shown]
	v_cmp_eq_u32_e64 s[46:47], 10, v74
	v_cndmask_b32_e64 v55, v55, v25, s[44:45]
	v_cmp_eq_u32_e64 s[54:55], 11, v74
	v_cndmask_b32_e64 v18, v18, v7, s[46:47]
	v_cndmask_b32_e64 v55, v55, v24, s[46:47]
	v_cndmask_b32_e64 v18, v18, v6, s[54:55]
	v_cmp_eq_u32_e64 s[66:67], 12, v74
	v_cndmask_b32_e64 v55, v55, v23, s[54:55]
	v_cmp_eq_u32_e64 s[62:63], 13, v74
	v_cndmask_b32_e64 v18, v18, v5, s[66:67]
	v_cndmask_b32_e64 v55, v55, v22, s[66:67]
	;; [unrolled: 1-line block ×3, first 2 shown]
	v_cmp_eq_u32_e32 vcc, 14, v74
	v_cndmask_b32_e64 v55, v55, v21, s[62:63]
	v_cmp_eq_u32_e64 s[6:7], 15, v74
	v_cndmask_b32_e32 v18, v18, v3, vcc
	v_cndmask_b32_e32 v55, v55, v20, vcc
	v_cndmask_b32_e64 v18, v18, v2, s[6:7]
	v_cndmask_b32_e64 v55, v55, v19, s[6:7]
	ds_bpermute_b32 v18, v87, v18
	ds_bpermute_b32 v58, v87, v55
	v_readlane_b32 s53, v99, 32
	s_nop 1
	v_cmp_lt_i32_e32 vcc, s53, v76
	s_and_saveexec_b64 s[40:41], vcc
	v_readlane_b32 s44, v99, 2
	v_readlane_b32 s45, v99, 3
	;; [unrolled: 1-line block ×11, first 2 shown]
	s_cbranch_execz .LBB168_32
; %bb.24:                               ;   in Loop: Header=BB168_7 Depth=1
	s_mul_i32 s0, s52, s17
	s_ashr_i32 s1, s0, 31
	s_lshl_b64 s[0:1], s[0:1], 1
	s_add_u32 s2, s48, s0
	v_cmp_eq_u32_e64 s[34:35], 1, v74
	v_cmp_eq_u32_e64 s[36:37], 0, v74
	s_addc_u32 s3, s49, s1
	s_ashr_i32 s55, s54, 31
	s_waitcnt lgkmcnt(1)
	v_cndmask_b32_e64 v55, v0, v18, s[34:35]
	v_cndmask_b32_e64 v57, v1, v18, s[36:37]
	s_lshl_b64 s[0:1], s[54:55], 1
	s_waitcnt lgkmcnt(0)
	v_cndmask_b32_e64 v59, v16, v58, s[34:35]
	v_cndmask_b32_e64 v60, v17, v58, s[36:37]
	v_cvt_f16_f32_e32 v57, v57
	v_cvt_f16_f32_sdwa v55, v55 dst_sel:WORD_1 dst_unused:UNUSED_PAD src0_sel:DWORD
	s_add_u32 s42, s2, s0
	v_cvt_f16_f32_e32 v60, v60
	v_cvt_f16_f32_sdwa v59, v59 dst_sel:WORD_1 dst_unused:UNUSED_PAD src0_sel:DWORD
	s_addc_u32 s43, s3, s1
	v_lshl_add_u64 v[0:1], s[42:43], 0, v[32:33]
	v_cmp_eq_u32_e32 vcc, 15, v74
	v_cmp_eq_u32_e64 s[6:7], 14, v74
	v_cmp_eq_u32_e64 s[8:9], 13, v74
	;; [unrolled: 1-line block ×13, first 2 shown]
	v_lshl_add_u64 v[16:17], v[34:35], 1, v[0:1]
	v_or_b32_e32 v55, v55, v57
	v_cmp_lt_i32_e64 s[34:35], s53, v77
	;;#ASMSTART
	global_atomic_pk_add_f16 v[16:17], v55, off
	
	;;#ASMEND
	v_lshl_add_u64 v[16:17], v[16:17], 0, 64
	v_or_b32_e32 v55, v59, v60
	;;#ASMSTART
	global_atomic_pk_add_f16 v[16:17], v55, off
	
	;;#ASMEND
	s_and_b64 exec, exec, s[34:35]
	s_cbranch_execz .LBB168_32
; %bb.25:                               ;   in Loop: Header=BB168_7 Depth=1
	v_cndmask_b32_e32 v2, v2, v18, vcc
	v_cndmask_b32_e64 v3, v3, v18, s[6:7]
	v_cndmask_b32_e64 v16, v4, v18, s[8:9]
	;; [unrolled: 1-line block ×19, first 2 shown]
	v_cvt_f16_f32_e32 v22, v18
	v_cvt_f16_f32_sdwa v23, v92 dst_sel:WORD_1 dst_unused:UNUSED_PAD src0_sel:DWORD
	v_cvt_f16_f32_e32 v21, v21
	v_cvt_f16_f32_sdwa v20, v20 dst_sel:WORD_1 dst_unused:UNUSED_PAD src0_sel:DWORD
	v_cndmask_b32_e32 v4, v19, v58, vcc
	v_cndmask_b32_e64 v9, v24, v58, s[14:15]
	v_cndmask_b32_e64 v10, v25, v58, s[0:1]
	;; [unrolled: 1-line block ×7, first 2 shown]
	v_lshl_add_u64 v[18:19], v[36:37], 1, v[0:1]
	v_cmp_lt_i32_e32 vcc, s53, v78
	v_or_b32_e32 v22, v23, v22
	;;#ASMSTART
	global_atomic_pk_add_f16 v[18:19], v22, off
	
	;;#ASMEND
	v_lshl_add_u64 v[18:19], v[18:19], 0, 64
	v_or_b32_e32 v20, v20, v21
	;;#ASMSTART
	global_atomic_pk_add_f16 v[18:19], v20, off
	
	;;#ASMEND
	s_and_b64 exec, exec, vcc
	s_cbranch_execz .LBB168_32
; %bb.26:                               ;   in Loop: Header=BB168_7 Depth=1
	v_cvt_f16_f32_e32 v20, v91
	v_cvt_f16_f32_sdwa v21, v90 dst_sel:WORD_1 dst_unused:UNUSED_PAD src0_sel:DWORD
	v_cvt_f16_f32_e32 v22, v15
	v_cvt_f16_f32_sdwa v23, v14 dst_sel:WORD_1 dst_unused:UNUSED_PAD src0_sel:DWORD
	v_lshl_add_u64 v[18:19], v[38:39], 1, v[0:1]
	v_or_b32_e32 v14, v21, v20
	v_cmp_lt_i32_e32 vcc, s53, v79
	;;#ASMSTART
	global_atomic_pk_add_f16 v[18:19], v14, off
	
	;;#ASMEND
	v_lshl_add_u64 v[14:15], v[18:19], 0, 64
	v_or_b32_e32 v18, v23, v22
	;;#ASMSTART
	global_atomic_pk_add_f16 v[14:15], v18, off
	
	;;#ASMEND
	s_and_b64 exec, exec, vcc
	s_cbranch_execz .LBB168_32
; %bb.27:                               ;   in Loop: Header=BB168_7 Depth=1
	v_cvt_f16_f32_e32 v18, v89
	v_cvt_f16_f32_sdwa v19, v61 dst_sel:WORD_1 dst_unused:UNUSED_PAD src0_sel:DWORD
	v_cvt_f16_f32_e32 v20, v13
	v_cvt_f16_f32_sdwa v21, v12 dst_sel:WORD_1 dst_unused:UNUSED_PAD src0_sel:DWORD
	v_lshl_add_u64 v[14:15], v[40:41], 1, v[0:1]
	v_or_b32_e32 v12, v19, v18
	v_cmp_lt_i32_e32 vcc, s53, v80
	;; [unrolled: 20-line block ×5, first 2 shown]
	;;#ASMSTART
	global_atomic_pk_add_f16 v[8:9], v6, off
	
	;;#ASMEND
	v_lshl_add_u64 v[6:7], v[8:9], 0, 64
	v_or_b32_e32 v8, v13, v12
	;;#ASMSTART
	global_atomic_pk_add_f16 v[6:7], v8, off
	
	;;#ASMEND
	s_and_b64 exec, exec, vcc
	s_cbranch_execz .LBB168_32
; %bb.31:                               ;   in Loop: Header=BB168_7 Depth=1
	v_cvt_f16_f32_e32 v3, v3
	v_cvt_f16_f32_sdwa v2, v2 dst_sel:WORD_1 dst_unused:UNUSED_PAD src0_sel:DWORD
	v_cvt_f16_f32_e32 v5, v5
	v_cvt_f16_f32_sdwa v4, v4 dst_sel:WORD_1 dst_unused:UNUSED_PAD src0_sel:DWORD
	v_lshl_add_u64 v[0:1], v[48:49], 1, v[0:1]
	v_or_b32_e32 v2, v2, v3
	;;#ASMSTART
	global_atomic_pk_add_f16 v[0:1], v2, off
	
	;;#ASMEND
	v_lshl_add_u64 v[0:1], v[0:1], 0, 64
	v_or_b32_e32 v2, v4, v5
	;;#ASMSTART
	global_atomic_pk_add_f16 v[0:1], v2, off
	
	;;#ASMEND
.LBB168_32:                             ;   in Loop: Header=BB168_7 Depth=1
	s_or_b64 exec, exec, s[40:41]
	v_readlane_b32 s14, v99, 10
	v_readlane_b32 s24, v99, 12
	;; [unrolled: 1-line block ×6, first 2 shown]
	v_subrev_u32_e32 v88, s99, v88
	v_readlane_b32 s11, v99, 0
	v_readlane_b32 s12, v99, 1
	;; [unrolled: 1-line block ×17, first 2 shown]
.LBB168_33:                             ;   in Loop: Header=BB168_7 Depth=1
	s_or_b64 exec, exec, s[2:3]
.LBB168_34:                             ;   in Loop: Header=BB168_7 Depth=1
	s_andn2_saveexec_b64 s[0:1], s[4:5]
	s_cbranch_execz .LBB168_43
; %bb.35:                               ;   in Loop: Header=BB168_7 Depth=1
	s_lshl_b32 s10, s99, 1
	v_cmp_gt_i32_e32 vcc, s10, v88
	s_and_saveexec_b64 s[2:3], vcc
	s_cbranch_execz .LBB168_42
; %bb.36:                               ;   in Loop: Header=BB168_7 Depth=1
	s_mul_i32 s4, s54, s19
	s_ashr_i32 s5, s4, 31
	s_add_u32 s4, s46, s4
	s_addc_u32 s5, s47, s5
	s_ashr_i32 s6, s37, 31
	s_add_u32 s4, s4, s37
	s_addc_u32 s5, s5, s6
	v_lshl_add_u64 v[0:1], s[4:5], 0, v[52:53]
	v_lshl_add_u64 v[8:9], v[0:1], 0, v[50:51]
	s_mov_b64 s[4:5], 0
	s_branch .LBB168_38
.LBB168_37:                             ;   in Loop: Header=BB168_38 Depth=2
	s_or_b64 exec, exec, s[6:7]
	v_lshl_add_u32 v12, v10, 11, v84
	;;#ASMSTART
	s_waitcnt vmcnt(1)
	;;#ASMEND
	ds_write2_b32 v12, v4, v5 offset1:32
	ds_write2_b32 v12, v6, v7 offset0:64 offset1:96
	v_add_u32_e32 v4, 0x400, v12
	v_add_u32_e32 v88, s22, v88
	;;#ASMSTART
	s_waitcnt vmcnt(0)
	;;#ASMEND
	ds_write2_b32 v4, v0, v1 offset1:32
	ds_write2_b32 v4, v2, v3 offset0:64 offset1:96
	v_add_u32_e32 v0, 1, v63
	v_add_u32_e32 v56, s22, v10
	v_cmp_le_i32_e32 vcc, s10, v88
	ds_write_b32 v11, v0 offset:8
	v_add_u32_e32 v0, 2, v63
	s_or_b64 s[4:5], vcc, s[4:5]
	v_cmp_lt_i32_e32 vcc, 1, v56
	s_nop 1
	v_cndmask_b32_e32 v63, v63, v0, vcc
	s_andn2_b64 exec, exec, s[4:5]
	s_cbranch_execz .LBB168_41
.LBB168_38:                             ;   Parent Loop BB168_7 Depth=1
                                        ; =>  This Loop Header: Depth=2
                                        ;       Child Loop BB168_40 Depth 3
	v_cmp_gt_i32_e32 vcc, 2, v56
	s_nop 1
	v_cndmask_b32_e64 v0, -2, 0, vcc
	v_add_u32_e32 v10, v0, v56
	v_lshrrev_b32_e32 v0, 31, v88
	v_add_u32_e32 v0, v88, v0
	v_and_b32_e32 v1, -2, v0
	v_lshlrev_b32_e32 v0, 5, v0
	v_sub_u32_e32 v2, v88, v1
	v_and_b32_e32 v0, 0xffffffc0, v0
	v_ashrrev_i32_e32 v1, 31, v0
	v_mul_lo_u32 v2, s30, v2
	v_lshl_add_u64 v[0:1], v[8:9], 0, v[0:1]
	v_ashrrev_i32_e32 v3, 31, v2
	v_lshl_add_u64 v[0:1], v[0:1], 0, v[2:3]
	v_lshlrev_b32_e32 v11, 2, v10
	;;#ASMSTART
	global_load_dwordx4 v[4:7], v[0:1], off offset:0   sc0 sc1 nt  
	global_load_dwordx4 v[0:3], v[0:1], off offset:32  sc0 sc1 nt  
	
	;;#ASMEND
	ds_read_b32 v12, v11 offset:8200
	v_add_u32_e32 v11, 0x2000, v11
	s_waitcnt lgkmcnt(0)
	v_cmp_ne_u32_e32 vcc, v12, v63
	s_and_saveexec_b64 s[6:7], vcc
	s_cbranch_execz .LBB168_37
; %bb.39:                               ;   in Loop: Header=BB168_38 Depth=2
	s_mov_b64 s[8:9], 0
.LBB168_40:                             ;   Parent Loop BB168_7 Depth=1
                                        ;     Parent Loop BB168_38 Depth=2
                                        ; =>    This Inner Loop Header: Depth=3
	;;#ASMSTART
	s_sleep 0
	;;#ASMEND
	ds_read_b32 v12, v11 offset:8
	s_waitcnt lgkmcnt(0)
	v_cmp_eq_u32_e32 vcc, v12, v63
	s_or_b64 s[8:9], vcc, s[8:9]
	s_andn2_b64 exec, exec, s[8:9]
	s_cbranch_execnz .LBB168_40
	s_branch .LBB168_37
.LBB168_41:                             ;   in Loop: Header=BB168_7 Depth=1
	s_or_b64 exec, exec, s[4:5]
.LBB168_42:                             ;   in Loop: Header=BB168_7 Depth=1
	s_or_b64 exec, exec, s[2:3]
	v_subrev_u32_e32 v88, s10, v88
.LBB168_43:                             ;   in Loop: Header=BB168_7 Depth=1
	s_or_b64 exec, exec, s[0:1]
.LBB168_44:                             ;   in Loop: Header=BB168_7 Depth=1
	s_andn2_saveexec_b64 s[0:1], s[38:39]
	s_cbranch_execz .LBB168_6
; %bb.45:                               ;   in Loop: Header=BB168_7 Depth=1
	s_lshl_b32 s10, s99, 1
	v_cmp_gt_i32_e32 vcc, s10, v88
	s_and_saveexec_b64 s[2:3], vcc
	s_cbranch_execz .LBB168_5
; %bb.46:                               ;   in Loop: Header=BB168_7 Depth=1
	s_mul_i32 s4, s52, s18
	s_max_i32 s6, s53, 0
	s_ashr_i32 s5, s4, 31
	s_add_u32 s4, s44, s4
	v_add_u32_e32 v2, s6, v64
	s_addc_u32 s5, s45, s5
	s_ashr_i32 s7, s37, 31
	v_cmp_gt_u32_e32 vcc, 64, v2
	s_add_u32 s4, s4, s37
	s_addc_u32 s5, s5, s7
	v_cndmask_b32_e32 v0, 0, v85, vcc
	v_ashrrev_i32_e32 v1, 31, v0
	v_lshl_add_u64 v[0:1], s[4:5], 0, v[0:1]
	v_lshl_add_u64 v[8:9], v[0:1], 0, v[50:51]
	v_sub_u32_e32 v10, 63, v2
	s_mov_b64 s[4:5], 0
	s_branch .LBB168_48
.LBB168_47:                             ;   in Loop: Header=BB168_48 Depth=2
	s_or_b64 exec, exec, s[6:7]
	v_lshl_or_b32 v13, v11, 11, v86
	;;#ASMSTART
	s_waitcnt vmcnt(1)
	;;#ASMEND
	ds_write2_b32 v13, v4, v5 offset1:32
	ds_write2_b32 v13, v6, v7 offset0:64 offset1:96
	v_add_u32_e32 v4, 0x400, v13
	v_add_u32_e32 v88, s21, v88
	;;#ASMSTART
	s_waitcnt vmcnt(0)
	;;#ASMEND
	ds_write2_b32 v4, v0, v1 offset1:32
	ds_write2_b32 v4, v2, v3 offset0:64 offset1:96
	v_add_u32_e32 v0, 1, v63
	v_add_u32_e32 v56, s21, v11
	v_cmp_le_i32_e32 vcc, s10, v88
	ds_write_b32 v12, v0
	v_add_u32_e32 v0, 2, v63
	s_or_b64 s[4:5], vcc, s[4:5]
	v_cmp_lt_i32_e32 vcc, 1, v56
	s_nop 1
	v_cndmask_b32_e32 v63, v63, v0, vcc
	s_andn2_b64 exec, exec, s[4:5]
	s_cbranch_execz .LBB168_4
.LBB168_48:                             ;   Parent Loop BB168_7 Depth=1
                                        ; =>  This Loop Header: Depth=2
                                        ;       Child Loop BB168_50 Depth 3
	v_cmp_gt_i32_e32 vcc, 2, v56
	s_nop 1
	v_cndmask_b32_e64 v0, -2, 0, vcc
	v_add_u32_e32 v11, v0, v56
	v_lshrrev_b32_e32 v0, 31, v88
	v_add_u32_e32 v0, v88, v0
	v_and_b32_e32 v1, 0x7fffffe, v0
	v_sub_u32_e32 v1, v88, v1
	v_lshlrev_b32_e32 v1, 5, v1
	v_cmp_le_i32_e32 vcc, v1, v10
	v_lshlrev_b32_e32 v0, 5, v0
	v_and_b32_e32 v0, 0xffffffc0, v0
	v_cndmask_b32_e32 v2, 0, v1, vcc
	v_ashrrev_i32_e32 v1, 31, v0
	v_mul_lo_u32 v2, v2, s18
	v_lshl_add_u64 v[0:1], v[8:9], 0, v[0:1]
	v_ashrrev_i32_e32 v3, 31, v2
	v_lshl_add_u64 v[0:1], v[0:1], 0, v[2:3]
	v_lshlrev_b32_e32 v12, 2, v11
	;;#ASMSTART
	global_load_dwordx4 v[4:7], v[0:1], off offset:0   
	global_load_dwordx4 v[0:3], v[0:1], off offset:32  
	
	;;#ASMEND
	ds_read_b32 v13, v12 offset:8192
	v_add_u32_e32 v12, 0x2000, v12
	s_waitcnt lgkmcnt(0)
	v_cmp_ne_u32_e32 vcc, v13, v63
	s_and_saveexec_b64 s[6:7], vcc
	s_cbranch_execz .LBB168_47
; %bb.49:                               ;   in Loop: Header=BB168_48 Depth=2
	s_mov_b64 s[8:9], 0
.LBB168_50:                             ;   Parent Loop BB168_7 Depth=1
                                        ;     Parent Loop BB168_48 Depth=2
                                        ; =>    This Inner Loop Header: Depth=3
	;;#ASMSTART
	s_sleep 0
	;;#ASMEND
	ds_read_b32 v13, v12
	s_waitcnt lgkmcnt(0)
	v_cmp_eq_u32_e32 vcc, v13, v63
	s_or_b64 s[8:9], vcc, s[8:9]
	s_andn2_b64 exec, exec, s[8:9]
	s_cbranch_execnz .LBB168_50
	s_branch .LBB168_47
.LBB168_51:
	s_endpgm
	.section	.rodata,"a",@progbits
	.p2align	6, 0x0
	.amdhsa_kernel _Z19_skinny_gemm_kernelILi2ELi2ELi1ELi32ELi4EEvPKhS1_P6__halfPKfiiiiiiii
		.amdhsa_group_segment_fixed_size 8208
		.amdhsa_private_segment_fixed_size 0
		.amdhsa_kernarg_size 64
		.amdhsa_user_sgpr_count 2
		.amdhsa_user_sgpr_dispatch_ptr 0
		.amdhsa_user_sgpr_queue_ptr 0
		.amdhsa_user_sgpr_kernarg_segment_ptr 1
		.amdhsa_user_sgpr_dispatch_id 0
		.amdhsa_user_sgpr_kernarg_preload_length 0
		.amdhsa_user_sgpr_kernarg_preload_offset 0
		.amdhsa_user_sgpr_private_segment_size 0
		.amdhsa_uses_dynamic_stack 0
		.amdhsa_enable_private_segment 0
		.amdhsa_system_sgpr_workgroup_id_x 1
		.amdhsa_system_sgpr_workgroup_id_y 0
		.amdhsa_system_sgpr_workgroup_id_z 0
		.amdhsa_system_sgpr_workgroup_info 0
		.amdhsa_system_vgpr_workitem_id 0
		.amdhsa_next_free_vgpr 100
		.amdhsa_next_free_sgpr 100
		.amdhsa_accum_offset 100
		.amdhsa_reserve_vcc 1
		.amdhsa_float_round_mode_32 0
		.amdhsa_float_round_mode_16_64 0
		.amdhsa_float_denorm_mode_32 3
		.amdhsa_float_denorm_mode_16_64 3
		.amdhsa_dx10_clamp 1
		.amdhsa_ieee_mode 1
		.amdhsa_fp16_overflow 0
		.amdhsa_tg_split 0
		.amdhsa_exception_fp_ieee_invalid_op 0
		.amdhsa_exception_fp_denorm_src 0
		.amdhsa_exception_fp_ieee_div_zero 0
		.amdhsa_exception_fp_ieee_overflow 0
		.amdhsa_exception_fp_ieee_underflow 0
		.amdhsa_exception_fp_ieee_inexact 0
		.amdhsa_exception_int_div_zero 0
	.end_amdhsa_kernel
	.section	.text._Z19_skinny_gemm_kernelILi2ELi2ELi1ELi32ELi4EEvPKhS1_P6__halfPKfiiiiiiii,"axG",@progbits,_Z19_skinny_gemm_kernelILi2ELi2ELi1ELi32ELi4EEvPKhS1_P6__halfPKfiiiiiiii,comdat
.Lfunc_end168:
	.size	_Z19_skinny_gemm_kernelILi2ELi2ELi1ELi32ELi4EEvPKhS1_P6__halfPKfiiiiiiii, .Lfunc_end168-_Z19_skinny_gemm_kernelILi2ELi2ELi1ELi32ELi4EEvPKhS1_P6__halfPKfiiiiiiii
                                        ; -- End function
	.set _Z19_skinny_gemm_kernelILi2ELi2ELi1ELi32ELi4EEvPKhS1_P6__halfPKfiiiiiiii.num_vgpr, 100
	.set _Z19_skinny_gemm_kernelILi2ELi2ELi1ELi32ELi4EEvPKhS1_P6__halfPKfiiiiiiii.num_agpr, 0
	.set _Z19_skinny_gemm_kernelILi2ELi2ELi1ELi32ELi4EEvPKhS1_P6__halfPKfiiiiiiii.numbered_sgpr, 100
	.set _Z19_skinny_gemm_kernelILi2ELi2ELi1ELi32ELi4EEvPKhS1_P6__halfPKfiiiiiiii.num_named_barrier, 0
	.set _Z19_skinny_gemm_kernelILi2ELi2ELi1ELi32ELi4EEvPKhS1_P6__halfPKfiiiiiiii.private_seg_size, 0
	.set _Z19_skinny_gemm_kernelILi2ELi2ELi1ELi32ELi4EEvPKhS1_P6__halfPKfiiiiiiii.uses_vcc, 1
	.set _Z19_skinny_gemm_kernelILi2ELi2ELi1ELi32ELi4EEvPKhS1_P6__halfPKfiiiiiiii.uses_flat_scratch, 0
	.set _Z19_skinny_gemm_kernelILi2ELi2ELi1ELi32ELi4EEvPKhS1_P6__halfPKfiiiiiiii.has_dyn_sized_stack, 0
	.set _Z19_skinny_gemm_kernelILi2ELi2ELi1ELi32ELi4EEvPKhS1_P6__halfPKfiiiiiiii.has_recursion, 0
	.set _Z19_skinny_gemm_kernelILi2ELi2ELi1ELi32ELi4EEvPKhS1_P6__halfPKfiiiiiiii.has_indirect_call, 0
	.section	.AMDGPU.csdata,"",@progbits
; Kernel info:
; codeLenInByte = 9640
; TotalNumSgprs: 106
; NumVgprs: 100
; NumAgprs: 0
; TotalNumVgprs: 100
; ScratchSize: 0
; MemoryBound: 0
; FloatMode: 240
; IeeeMode: 1
; LDSByteSize: 8208 bytes/workgroup (compile time only)
; SGPRBlocks: 13
; VGPRBlocks: 12
; NumSGPRsForWavesPerEU: 106
; NumVGPRsForWavesPerEU: 100
; AccumOffset: 100
; Occupancy: 4
; WaveLimiterHint : 0
; COMPUTE_PGM_RSRC2:SCRATCH_EN: 0
; COMPUTE_PGM_RSRC2:USER_SGPR: 2
; COMPUTE_PGM_RSRC2:TRAP_HANDLER: 0
; COMPUTE_PGM_RSRC2:TGID_X_EN: 1
; COMPUTE_PGM_RSRC2:TGID_Y_EN: 0
; COMPUTE_PGM_RSRC2:TGID_Z_EN: 0
; COMPUTE_PGM_RSRC2:TIDIG_COMP_CNT: 0
; COMPUTE_PGM_RSRC3_GFX90A:ACCUM_OFFSET: 24
; COMPUTE_PGM_RSRC3_GFX90A:TG_SPLIT: 0
	.section	.text._Z19_skinny_gemm_kernelILi2ELi2ELi1ELi32ELi8EEvPKhS1_P6__halfPKfiiiiiiii,"axG",@progbits,_Z19_skinny_gemm_kernelILi2ELi2ELi1ELi32ELi8EEvPKhS1_P6__halfPKfiiiiiiii,comdat
	.protected	_Z19_skinny_gemm_kernelILi2ELi2ELi1ELi32ELi8EEvPKhS1_P6__halfPKfiiiiiiii ; -- Begin function _Z19_skinny_gemm_kernelILi2ELi2ELi1ELi32ELi8EEvPKhS1_P6__halfPKfiiiiiiii
	.globl	_Z19_skinny_gemm_kernelILi2ELi2ELi1ELi32ELi8EEvPKhS1_P6__halfPKfiiiiiiii
	.p2align	8
	.type	_Z19_skinny_gemm_kernelILi2ELi2ELi1ELi32ELi8EEvPKhS1_P6__halfPKfiiiiiiii,@function
_Z19_skinny_gemm_kernelILi2ELi2ELi1ELi32ELi8EEvPKhS1_P6__halfPKfiiiiiiii: ; @_Z19_skinny_gemm_kernelILi2ELi2ELi1ELi32ELi8EEvPKhS1_P6__halfPKfiiiiiiii
; %bb.0:
	v_cmp_gt_u32_e32 vcc, 4, v0
	s_and_saveexec_b64 s[4:5], vcc
; %bb.1:
	v_lshlrev_b32_e32 v1, 2, v0
	v_mov_b32_e32 v2, 0
	ds_write_b32 v1, v2 offset:16384
; %bb.2:
	s_or_b64 exec, exec, s[4:5]
	s_load_dwordx8 s[16:23], s[0:1], 0x20
	s_waitcnt lgkmcnt(0)
	s_barrier
	s_add_i32 s3, s16, 63
	s_ashr_i32 s5, s3, 31
	s_add_i32 s4, s17, 63
	s_lshr_b32 s5, s5, 26
	s_ashr_i32 s6, s4, 31
	s_add_i32 s3, s3, s5
	s_ashr_i32 s11, s3, 6
	s_lshr_b32 s3, s6, 26
	s_add_i32 s4, s4, s3
	s_ashr_i32 s12, s4, 6
	s_mul_i32 s3, s12, s11
	s_mul_i32 s3, s3, s20
	s_add_i32 s4, s3, 0x12f
	s_mul_hi_i32 s4, s4, 0x6bca1af3
	s_lshr_b32 s5, s4, 31
	s_ashr_i32 s4, s4, 7
	s_add_i32 s4, s4, s5
	s_add_i32 s5, s2, 1
	s_mul_i32 s5, s4, s5
	v_cvt_f64_i32_e32 v[2:3], s3
	v_cvt_f64_u32_e32 v[4:5], s5
	v_min_f64 v[2:3], v[2:3], v[4:5]
	v_cvt_i32_f64_e32 v70, v[2:3]
	s_mul_i32 s33, s4, s2
	v_cmp_ge_i32_e32 vcc, s33, v70
	s_cbranch_vccnz .LBB169_51
; %bb.3:
	s_load_dwordx8 s[44:51], s[0:1], 0x0
	v_lshrrev_b32_e32 v1, 6, v0
	s_add_i32 s0, s22, s21
	v_cmp_le_i32_e64 s[14:15], s0, v1
	v_mov_b32_e32 v2, s21
	v_cmp_le_i32_e64 s[24:25], s21, v1
	v_mov_b32_e32 v3, s22
	v_cndmask_b32_e64 v3, 0, v3, s[14:15]
	v_cndmask_b32_e64 v2, 0, v2, s[24:25]
	s_abs_i32 s1, s20
	v_add_u32_e32 v2, v2, v3
	v_cvt_f32_u32_e32 v3, s1
	v_sub_u32_e32 v56, v1, v2
	s_ashr_i32 s2, s18, 31
	s_lshr_b32 s2, s2, 25
	v_rcp_iflag_f32_e32 v2, v3
	s_sub_i32 s5, 0, s1
	s_add_i32 s2, s18, s2
	s_ashr_i32 s2, s2, 7
	v_mul_f32_e32 v2, 0x4f7ffffe, v2
	v_cvt_u32_f32_e32 v2, v2
	s_abs_i32 s4, s2
	s_xor_b32 s3, s2, s20
	s_ashr_i32 s3, s3, 31
	v_readfirstlane_b32 s6, v2
	s_mul_i32 s5, s5, s6
	s_mul_hi_u32 s5, s6, s5
	s_add_i32 s6, s6, s5
	s_mul_hi_u32 s5, s4, s6
	s_mul_i32 s6, s5, s1
	s_sub_i32 s4, s4, s6
	s_add_i32 s6, s5, 1
	s_sub_i32 s7, s4, s1
	s_cmp_ge_u32 s4, s1
	s_cselect_b32 s5, s6, s5
	s_cselect_b32 s4, s7, s4
	s_add_i32 s6, s5, 1
	s_cmp_ge_u32 s4, s1
	s_cselect_b32 s1, s6, s5
	s_add_i32 s0, s0, s23
	v_and_b32_e32 v72, 31, v0
	v_lshrrev_b32_e32 v2, 3, v0
	v_cmp_gt_i32_e64 s[28:29], s0, v1
	v_lshlrev_b32_e32 v1, 2, v72
	v_and_b32_e32 v3, 4, v2
	v_and_b32_e32 v5, 1, v0
	v_lshlrev_b32_e32 v2, 6, v3
	v_or_b32_e32 v4, 0x2000, v1
	v_or_b32_e32 v3, v3, v5
	;; [unrolled: 1-line block ×4, first 2 shown]
	v_lshlrev_b32_e32 v2, 1, v5
	v_or_b32_e32 v5, 2, v3
	v_sub_u32_e32 v85, 32, v5
	v_or_b32_e32 v5, 8, v3
	v_sub_u32_e32 v86, 32, v5
	;; [unrolled: 2-line block ×3, first 2 shown]
	v_or_b32_e32 v5, 16, v3
                                        ; implicit-def: $vgpr105 : SGPR spill to VGPR lane
	v_sub_u32_e32 v88, 32, v5
	v_or_b32_e32 v5, 18, v3
	v_writelane_b32 v105, s11, 0
	v_sub_u32_e32 v84, 32, v3
	v_mul_lo_u32 v34, s17, v3
	v_sub_u32_e32 v89, 32, v5
	v_or_b32_e32 v5, 24, v3
	v_or_b32_e32 v3, 26, v3
	v_writelane_b32 v105, s12, 1
	v_sub_u32_e32 v91, 32, v3
	v_lshrrev_b32_e32 v3, 1, v0
	s_abs_i32 s30, s11
	s_waitcnt lgkmcnt(0)
	v_writelane_b32 v105, s44, 2
	v_and_b32_e32 v50, 16, v3
	v_cvt_f32_u32_e32 v3, s30
	v_writelane_b32 v105, s45, 3
	v_sub_u32_e32 v2, v0, v2
	v_writelane_b32 v105, s46, 4
	v_add_u32_e32 v2, 1, v2
	v_writelane_b32 v105, s47, 5
	v_and_b32_e32 v6, 63, v2
	v_bitop3_b32 v75, v0, 1, v0 bitop3:0xc
	v_bitop3_b32 v76, v0, 3, 1 bitop3:0x6c
	;; [unrolled: 1-line block ×8, first 2 shown]
	v_and_b32_e32 v2, 30, v0
	v_lshlrev_b32_e32 v0, 4, v0
	v_writelane_b32 v105, s48, 6
	v_and_b32_e32 v0, 0x200, v0
	v_rcp_iflag_f32_e32 v3, v3
	s_abs_i32 s34, s12
	v_writelane_b32 v105, s49, 7
	s_xor_b32 s1, s1, s3
	v_or_b32_e32 v94, v1, v0
	v_cvt_f32_u32_e32 v1, s34
	v_writelane_b32 v105, s50, 8
	s_sub_i32 s13, s1, s3
	s_add_i32 s26, s20, -1
	v_writelane_b32 v105, s51, 9
	v_cndmask_b32_e64 v71, 0, 1, s[14:15]
	s_mul_i32 s1, s13, s26
	s_lshl_b32 s0, s17, 1
	v_writelane_b32 v105, s14, 10
	s_sub_i32 s27, s2, s1
	v_add_u32_e32 v36, s0, v34
	s_mul_i32 s1, s17, 6
	v_or_b32_e32 v92, v4, v0
	v_mul_f32_e32 v0, 0x4f7ffffe, v3
	v_writelane_b32 v105, s15, 11
	v_add_u32_e32 v38, s1, v36
	v_cvt_u32_f32_e32 v0, v0
	v_rcp_iflag_f32_e32 v1, v1
	v_writelane_b32 v105, s24, 12
	v_add_u32_e32 v40, s0, v38
	v_add_u32_e32 v42, s1, v40
	v_writelane_b32 v105, s25, 13
	v_writelane_b32 v105, s13, 14
	v_add_u32_e32 v44, s0, v42
	v_writelane_b32 v105, s26, 15
	v_add_u32_e32 v46, s1, v44
	v_readfirstlane_b32 s1, v0
	v_mul_f32_e32 v0, 0x4f7ffffe, v1
	v_writelane_b32 v105, s27, 16
	v_cvt_u32_f32_e32 v0, v0
	v_writelane_b32 v105, s28, 17
	v_add_u32_e32 v48, s0, v46
	s_sub_i32 s0, 0, s30
	v_writelane_b32 v105, s29, 18
	s_lshl_b32 s31, s19, 5
	s_mul_i32 s0, s0, s1
	v_writelane_b32 v105, s30, 19
	s_mul_hi_u32 s0, s1, s0
	v_writelane_b32 v105, s31, 20
	s_ashr_i32 s35, s11, 31
	s_add_i32 s36, s1, s0
	s_sub_i32 s0, 0, s34
	v_readfirstlane_b32 s1, v0
	v_mbcnt_lo_u32_b32 v0, -1, 0
	v_writelane_b32 v105, s34, 21
	s_mul_i32 s0, s0, s1
	v_mbcnt_hi_u32_b32 v0, -1, v0
	v_writelane_b32 v105, s35, 22
	v_mov_b32_e32 v33, 0
	v_mul_lo_u32 v52, s19, v72
	s_ashr_i32 s37, s12, 31
	s_mul_hi_u32 s0, s1, s0
	v_and_or_b32 v0, v0, 64, v6
	v_writelane_b32 v105, s36, 23
	v_or_b32_e32 v83, 32, v72
	v_ashrrev_i32_e32 v35, 31, v34
	v_ashrrev_i32_e32 v37, 31, v36
	v_ashrrev_i32_e32 v39, 31, v38
	v_ashrrev_i32_e32 v41, 31, v40
	v_ashrrev_i32_e32 v43, 31, v42
	v_ashrrev_i32_e32 v45, 31, v44
	v_sub_u32_e32 v90, 32, v5
	v_ashrrev_i32_e32 v47, 31, v46
	v_ashrrev_i32_e32 v49, 31, v48
	;; [unrolled: 1-line block ×3, first 2 shown]
	v_mov_b32_e32 v51, v33
	v_mul_lo_u32 v93, s18, v72
	s_add_i32 s38, s1, s0
	v_lshlrev_b32_e32 v32, 1, v2
	v_lshlrev_b32_e32 v95, 2, v0
	v_mov_b32_e32 v96, v56
	v_writelane_b32 v105, s37, 24
	v_writelane_b32 v105, s38, 25
	s_branch .LBB169_7
.LBB169_4:                              ;   in Loop: Header=BB169_7 Depth=1
	s_or_b64 exec, exec, s[4:5]
.LBB169_5:                              ;   in Loop: Header=BB169_7 Depth=1
	s_or_b64 exec, exec, s[2:3]
	v_subrev_u32_e32 v96, s10, v96
.LBB169_6:                              ;   in Loop: Header=BB169_7 Depth=1
	s_or_b64 exec, exec, s[0:1]
	s_add_i32 s33, s33, 1
	v_cmp_ge_i32_e32 vcc, s33, v70
	s_cbranch_vccnz .LBB169_51
.LBB169_7:                              ; =>This Loop Header: Depth=1
                                        ;     Child Loop BB169_13 Depth 2
                                        ;       Child Loop BB169_15 Depth 3
                                        ;       Child Loop BB169_18 Depth 3
	;; [unrolled: 1-line block ×3, first 2 shown]
                                        ;     Child Loop BB169_38 Depth 2
                                        ;       Child Loop BB169_40 Depth 3
                                        ;     Child Loop BB169_48 Depth 2
                                        ;       Child Loop BB169_50 Depth 3
	s_abs_i32 s1, s33
	s_mul_hi_u32 s2, s1, s36
	s_mul_i32 s3, s2, s30
	s_ashr_i32 s0, s33, 31
	s_sub_i32 s1, s1, s3
	s_xor_b32 s0, s0, s35
	s_add_i32 s3, s2, 1
	s_sub_i32 s4, s1, s30
	s_cmp_ge_u32 s1, s30
	s_cselect_b32 s2, s3, s2
	s_cselect_b32 s1, s4, s1
	s_add_i32 s3, s2, 1
	s_cmp_ge_u32 s1, s30
	s_cselect_b32 s1, s3, s2
	s_xor_b32 s1, s1, s0
	s_sub_i32 s0, s1, s0
	s_abs_i32 s2, s0
	s_mul_i32 s1, s0, s11
	s_mul_hi_u32 s3, s2, s38
	s_sub_i32 s1, s33, s1
	s_mul_i32 s4, s3, s34
	s_lshl_b32 s52, s1, 6
	s_ashr_i32 s1, s0, 31
	s_sub_i32 s2, s2, s4
	s_xor_b32 s1, s1, s37
	s_add_i32 s4, s3, 1
	s_sub_i32 s5, s2, s34
	s_cmp_ge_u32 s2, s34
	s_cselect_b32 s3, s4, s3
	s_cselect_b32 s2, s5, s2
	s_add_i32 s4, s3, 1
	s_cmp_ge_u32 s2, s34
	s_cselect_b32 s2, s4, s3
	s_xor_b32 s2, s2, s1
	s_sub_i32 s1, s2, s1
	s_mul_i32 s2, s1, s13
	s_lshl_b32 s39, s2, 7
	s_cmp_eq_u32 s1, s26
	s_cselect_b32 s20, s27, s13
	s_sub_i32 s2, s52, s16
	s_add_i32 s53, s2, 64
	s_and_saveexec_b64 s[2:3], s[24:25]
	s_xor_b64 s[40:41], exec, s[2:3]
	s_cbranch_execz .LBB169_44
; %bb.8:                                ;   in Loop: Header=BB169_7 Depth=1
	s_mul_i32 s1, s1, s12
	s_sub_i32 s0, s0, s1
	s_lshl_b32 s0, s0, 6
	s_sub_i32 s90, s0, s17
	s_add_i32 s90, s90, 64
	s_max_i32 s1, s90, 0
	s_sub_i32 s54, s0, s1
	s_and_saveexec_b64 s[0:1], s[14:15]
	s_xor_b64 s[4:5], exec, s[0:1]
	s_cbranch_execz .LBB169_34
; %bb.9:                                ;   in Loop: Header=BB169_7 Depth=1
	s_and_saveexec_b64 s[2:3], s[28:29]
	s_cbranch_execz .LBB169_33
; %bb.10:                               ;   in Loop: Header=BB169_7 Depth=1
	global_load_dword v97, v33, s[50:51]
	v_writelane_b32 v105, s2, 26
	v_mov_b32_e32 v31, 0
	v_cmp_gt_i32_e32 vcc, s20, v96
	v_writelane_b32 v105, s3, 27
	v_writelane_b32 v105, s4, 28
	v_mov_b32_e32 v30, v31
	v_mov_b32_e32 v29, v31
	;; [unrolled: 1-line block ×12, first 2 shown]
	s_waitcnt lgkmcnt(1)
	v_mov_b32_e32 v18, v31
	v_mov_b32_e32 v17, v31
	;; [unrolled: 1-line block ×19, first 2 shown]
	v_writelane_b32 v105, s5, 29
	s_and_saveexec_b64 s[0:1], vcc
	s_cbranch_execz .LBB169_23
; %bb.11:                               ;   in Loop: Header=BB169_7 Depth=1
	v_mov_b32_e32 v0, 0
	s_mov_b64 s[2:3], 0
	v_mov_b32_e32 v1, v0
	v_mov_b32_e32 v2, v0
	;; [unrolled: 1-line block ×31, first 2 shown]
	s_branch .LBB169_13
.LBB169_12:                             ;   in Loop: Header=BB169_13 Depth=2
	s_or_b64 exec, exec, s[4:5]
	v_add_u32_e32 v104, 0x1000, v101
	ds_read2_b32 v[102:103], v104 offset1:32
	v_add_u32_e32 v96, s23, v96
	s_waitcnt lgkmcnt(0)
	v_mfma_f32_32x32x16_fp8_fp8 v[0:15], v[68:69], v[102:103], v[0:15]
	ds_read2_b32 v[68:69], v104 offset0:128 offset1:160
	s_waitcnt lgkmcnt(0)
	v_mfma_f32_32x32x16_fp8_fp8 v[0:15], v[66:67], v[68:69], v[0:15]
	v_add_u32_e32 v68, 0x1400, v101
	ds_read2_b32 v[66:67], v68 offset1:32
	s_waitcnt lgkmcnt(0)
	v_mfma_f32_32x32x16_fp8_fp8 v[0:15], v[64:65], v[66:67], v[0:15]
	ds_read2_b32 v[64:65], v68 offset0:128 offset1:160
	s_waitcnt lgkmcnt(0)
	v_mfma_f32_32x32x16_fp8_fp8 v[0:15], v[62:63], v[64:65], v[0:15]
	v_add_u32_e32 v64, 0x1800, v101
	ds_read2_b32 v[62:63], v64 offset1:32
	;; [unrolled: 7-line block ×3, first 2 shown]
	ds_read2_b32 v[60:61], v60 offset0:128 offset1:160
	ds_write_b32 v99, v100 offset:16396
	s_waitcnt lgkmcnt(2)
	v_mfma_f32_32x32x16_fp8_fp8 v[0:15], v[56:57], v[58:59], v[0:15]
	v_add_u32_e32 v56, s23, v98
	v_add_u32_e32 v57, 2, v71
	v_cmp_lt_i32_e32 vcc, 0, v56
	s_nop 1
	v_cndmask_b32_e32 v71, v71, v57, vcc
	v_cmp_le_i32_e32 vcc, s20, v96
	s_waitcnt lgkmcnt(1)
	v_mfma_f32_32x32x16_fp8_fp8 v[0:15], v[54:55], v[60:61], v[0:15]
	s_or_b64 s[2:3], vcc, s[2:3]
	s_andn2_b64 exec, exec, s[2:3]
	s_cbranch_execz .LBB169_22
.LBB169_13:                             ;   Parent Loop BB169_7 Depth=1
                                        ; =>  This Loop Header: Depth=2
                                        ;       Child Loop BB169_15 Depth 3
                                        ;       Child Loop BB169_18 Depth 3
	;; [unrolled: 1-line block ×3, first 2 shown]
	v_cmp_lt_i32_e32 vcc, 0, v56
	s_nop 1
	v_subbrev_co_u32_e32 v98, vcc, 0, v56, vcc
	v_lshlrev_b32_e32 v99, 4, v98
	ds_read_b32 v54, v99 offset:16384
	s_waitcnt lgkmcnt(0)
	v_cmp_ne_u32_e32 vcc, v54, v71
	s_and_saveexec_b64 s[4:5], vcc
	s_cbranch_execz .LBB169_16
; %bb.14:                               ;   in Loop: Header=BB169_13 Depth=2
	s_mov_b64 s[6:7], 0
.LBB169_15:                             ;   Parent Loop BB169_7 Depth=1
                                        ;     Parent Loop BB169_13 Depth=2
                                        ; =>    This Inner Loop Header: Depth=3
	;;#ASMSTART
	s_sleep 0
	;;#ASMEND
	ds_read_b32 v54, v99 offset:16384
	s_waitcnt lgkmcnt(0)
	v_cmp_eq_u32_e32 vcc, v54, v71
	s_or_b64 s[6:7], vcc, s[6:7]
	s_andn2_b64 exec, exec, s[6:7]
	s_cbranch_execnz .LBB169_15
.LBB169_16:                             ;   in Loop: Header=BB169_13 Depth=2
	s_or_b64 exec, exec, s[4:5]
	v_lshl_or_b32 v54, v98, 12, v73
	v_add_u32_e32 v55, 0x400, v54
	ds_read2_b32 v[68:69], v54 offset1:32
	ds_read2_b32 v[66:67], v54 offset0:128 offset1:160
	ds_read2_b32 v[64:65], v55 offset1:32
	ds_read2_b32 v[62:63], v55 offset0:128 offset1:160
	v_add_u32_e32 v55, 0x800, v54
	v_add_u32_e32 v54, 0xc00, v54
	ds_read2_b32 v[60:61], v55 offset1:32
	ds_read2_b32 v[58:59], v55 offset0:128 offset1:160
	ds_read2_b32 v[56:57], v54 offset1:32
	ds_read_b32 v101, v99 offset:16388
	ds_read2_b32 v[54:55], v54 offset0:128 offset1:160
	v_add_u32_e32 v100, 1, v71
	ds_write_b32 v99, v100 offset:16384
	s_waitcnt lgkmcnt(2)
	v_cmp_ne_u32_e32 vcc, v101, v71
	s_and_saveexec_b64 s[4:5], vcc
	s_cbranch_execz .LBB169_19
; %bb.17:                               ;   in Loop: Header=BB169_13 Depth=2
	s_mov_b64 s[6:7], 0
.LBB169_18:                             ;   Parent Loop BB169_7 Depth=1
                                        ;     Parent Loop BB169_13 Depth=2
                                        ; =>    This Inner Loop Header: Depth=3
	;;#ASMSTART
	s_sleep 0
	;;#ASMEND
	ds_read_b32 v101, v99 offset:16388
	s_waitcnt lgkmcnt(0)
	v_cmp_eq_u32_e32 vcc, v101, v71
	s_or_b64 s[6:7], vcc, s[6:7]
	s_andn2_b64 exec, exec, s[6:7]
	s_cbranch_execnz .LBB169_18
.LBB169_19:                             ;   in Loop: Header=BB169_13 Depth=2
	s_or_b64 exec, exec, s[4:5]
	v_lshlrev_b32_e32 v101, 13, v98
	v_add_u32_e32 v101, v74, v101
	ds_read2_b32 v[102:103], v101 offset1:32
	v_add_u32_e32 v104, 0x400, v101
	ds_write_b32 v99, v100 offset:16388
	s_waitcnt lgkmcnt(1)
	v_mfma_f32_32x32x16_fp8_fp8 v[16:31], v[68:69], v[102:103], v[16:31]
	ds_read2_b32 v[102:103], v101 offset0:128 offset1:160
	s_waitcnt lgkmcnt(0)
	v_mfma_f32_32x32x16_fp8_fp8 v[16:31], v[66:67], v[102:103], v[16:31]
	ds_read2_b32 v[102:103], v104 offset1:32
	s_waitcnt lgkmcnt(0)
	v_mfma_f32_32x32x16_fp8_fp8 v[16:31], v[64:65], v[102:103], v[16:31]
	ds_read2_b32 v[102:103], v104 offset0:128 offset1:160
	v_add_u32_e32 v104, 0x800, v101
	s_waitcnt lgkmcnt(0)
	v_mfma_f32_32x32x16_fp8_fp8 v[16:31], v[62:63], v[102:103], v[16:31]
	ds_read2_b32 v[102:103], v104 offset1:32
	s_waitcnt lgkmcnt(0)
	v_mfma_f32_32x32x16_fp8_fp8 v[16:31], v[60:61], v[102:103], v[16:31]
	ds_read2_b32 v[102:103], v104 offset0:128 offset1:160
	v_add_u32_e32 v104, 0xc00, v101
	s_waitcnt lgkmcnt(0)
	v_mfma_f32_32x32x16_fp8_fp8 v[16:31], v[58:59], v[102:103], v[16:31]
	ds_read2_b32 v[102:103], v104 offset1:32
	s_waitcnt lgkmcnt(0)
	v_mfma_f32_32x32x16_fp8_fp8 v[16:31], v[56:57], v[102:103], v[16:31]
	ds_read2_b32 v[102:103], v104 offset0:128 offset1:160
	ds_read_b32 v104, v99 offset:16396
	s_waitcnt lgkmcnt(0)
	v_cmp_ne_u32_e32 vcc, v104, v71
	v_mfma_f32_32x32x16_fp8_fp8 v[16:31], v[54:55], v[102:103], v[16:31]
	s_and_saveexec_b64 s[4:5], vcc
	s_cbranch_execz .LBB169_12
; %bb.20:                               ;   in Loop: Header=BB169_13 Depth=2
	s_mov_b64 s[6:7], 0
.LBB169_21:                             ;   Parent Loop BB169_7 Depth=1
                                        ;     Parent Loop BB169_13 Depth=2
                                        ; =>    This Inner Loop Header: Depth=3
	;;#ASMSTART
	s_sleep 0
	;;#ASMEND
	ds_read_b32 v102, v99 offset:16396
	s_waitcnt lgkmcnt(0)
	v_cmp_eq_u32_e32 vcc, v102, v71
	s_or_b64 s[6:7], vcc, s[6:7]
	s_andn2_b64 exec, exec, s[6:7]
	s_cbranch_execnz .LBB169_21
	s_branch .LBB169_12
.LBB169_22:                             ;   in Loop: Header=BB169_7 Depth=1
	s_or_b64 exec, exec, s[2:3]
.LBB169_23:                             ;   in Loop: Header=BB169_7 Depth=1
	v_writelane_b32 v105, s54, 30
	s_nop 1
	v_writelane_b32 v105, s55, 31
	v_writelane_b32 v105, s40, 32
	s_nop 1
	v_writelane_b32 v105, s41, 33
	v_writelane_b32 v105, s53, 34
	;; [unrolled: 1-line block ×4, first 2 shown]
	s_or_b64 exec, exec, s[0:1]
	v_cmp_le_i32_e32 vcc, s90, v72
	v_cmp_eq_u32_e64 s[86:87], 1, v75
	v_cmp_eq_u32_e64 s[50:51], 2, v75
	s_waitcnt vmcnt(0)
	v_cndmask_b32_e32 v54, 0, v97, vcc
	v_pk_mul_f32 v[16:17], v[54:55], v[16:17] op_sel_hi:[0,1]
	v_pk_mul_f32 v[30:31], v[54:55], v[30:31] op_sel_hi:[0,1]
	v_pk_mul_f32 v[28:29], v[54:55], v[28:29] op_sel_hi:[0,1]
	v_pk_mul_f32 v[26:27], v[54:55], v[26:27] op_sel_hi:[0,1]
	v_pk_mul_f32 v[24:25], v[54:55], v[24:25] op_sel_hi:[0,1]
	v_pk_mul_f32 v[22:23], v[54:55], v[22:23] op_sel_hi:[0,1]
	v_pk_mul_f32 v[20:21], v[54:55], v[20:21] op_sel_hi:[0,1]
	v_pk_mul_f32 v[18:19], v[54:55], v[18:19] op_sel_hi:[0,1]
	v_cndmask_b32_e64 v54, v16, v17, s[86:87]
	v_cndmask_b32_e64 v54, v54, v18, s[50:51]
	v_cmp_eq_u32_e64 s[52:53], 3, v75
	v_cmp_eq_u32_e64 s[56:57], 4, v75
	v_cmp_eq_u32_e64 s[60:61], 5, v75
	v_cndmask_b32_e64 v54, v54, v19, s[52:53]
	v_cndmask_b32_e64 v54, v54, v20, s[56:57]
	v_cndmask_b32_e64 v54, v54, v21, s[60:61]
	v_cmp_eq_u32_e64 s[64:65], 6, v75
	v_cmp_eq_u32_e64 s[68:69], 7, v75
	v_cmp_eq_u32_e64 s[72:73], 8, v75
	v_cndmask_b32_e64 v54, v54, v22, s[64:65]
	;; [unrolled: 6-line block ×5, first 2 shown]
	ds_bpermute_b32 v54, v95, v54
	v_cmp_eq_u32_e64 s[26:27], 2, v76
	v_cmp_eq_u32_e64 s[28:29], 3, v76
	;; [unrolled: 1-line block ×4, first 2 shown]
	s_waitcnt lgkmcnt(0)
	v_cndmask_b32_e64 v62, v17, v54, s[86:87]
	v_cndmask_b32_e64 v16, v16, v54, s[70:71]
	;; [unrolled: 1-line block ×12, first 2 shown]
	v_cmp_eq_u32_e64 s[36:37], 6, v76
	v_cndmask_b32_e64 v55, v23, v54, s[68:69]
	v_cmp_eq_u32_e64 s[38:39], 7, v76
	v_cndmask_b32_e64 v17, v17, v57, s[36:37]
	v_cndmask_b32_e64 v24, v24, v54, s[72:73]
	v_cndmask_b32_e64 v17, v17, v55, s[38:39]
	v_cmp_eq_u32_e64 s[42:43], 8, v76
	v_cndmask_b32_e64 v25, v25, v54, s[74:75]
	v_cmp_eq_u32_e64 s[44:45], 9, v76
	v_cndmask_b32_e64 v17, v17, v24, s[42:43]
	v_cndmask_b32_e64 v26, v26, v54, s[76:77]
	v_cndmask_b32_e64 v17, v17, v25, s[44:45]
	;; [unrolled: 6-line block ×4, first 2 shown]
	v_cmp_eq_u32_e64 s[62:63], 14, v76
	v_cndmask_b32_e64 v31, v31, v54, s[88:89]
	v_cmp_eq_u32_e64 s[66:67], 15, v76
	v_cndmask_b32_e64 v17, v17, v30, s[62:63]
	v_cmp_le_i32_e64 s[90:91], s90, v83
	v_cndmask_b32_e64 v17, v17, v31, s[66:67]
	ds_bpermute_b32 v54, v95, v17
	v_cmp_eq_u32_e64 s[40:41], 0, v76
	v_cmp_eq_u32_e64 s[4:5], 1, v77
	;; [unrolled: 1-line block ×4, first 2 shown]
	s_waitcnt lgkmcnt(0)
	v_cndmask_b32_e64 v21, v27, v54, s[48:49]
	v_cndmask_b32_e64 v27, v58, v54, s[34:35]
	;; [unrolled: 1-line block ×3, first 2 shown]
	v_pk_mul_f32 v[0:1], v[58:59], v[0:1] op_sel_hi:[0,1]
	v_cndmask_b32_e64 v23, v25, v54, s[44:45]
	v_cndmask_b32_e64 v25, v55, v54, s[38:39]
	v_pk_mul_f32 v[2:3], v[58:59], v[2:3] op_sel_hi:[0,1]
	v_cndmask_b32_e64 v55, v0, v1, s[86:87]
	v_cndmask_b32_e64 v55, v55, v2, s[50:51]
	;; [unrolled: 3-line block ×6, first 2 shown]
	v_cndmask_b32_e64 v17, v31, v54, s[66:67]
	v_cndmask_b32_e64 v31, v62, v54, s[24:25]
	;; [unrolled: 1-line block ×3, first 2 shown]
	v_pk_mul_f32 v[12:13], v[58:59], v[12:13] op_sel_hi:[0,1]
	v_cndmask_b32_e64 v55, v55, v11, s[78:79]
	v_cndmask_b32_e64 v18, v30, v54, s[62:63]
	;; [unrolled: 1-line block ×13, first 2 shown]
	v_pk_mul_f32 v[14:15], v[58:59], v[14:15] op_sel_hi:[0,1]
	v_cndmask_b32_e64 v55, v55, v13, s[82:83]
	v_cndmask_b32_e64 v54, v54, v29, s[8:9]
	v_cmp_eq_u32_e64 s[10:11], 4, v77
	v_cndmask_b32_e64 v55, v55, v14, s[84:85]
	v_cmp_eq_u32_e64 s[12:13], 5, v77
	v_cndmask_b32_e64 v54, v54, v28, s[10:11]
	v_cndmask_b32_e64 v55, v55, v15, s[88:89]
	;; [unrolled: 1-line block ×3, first 2 shown]
	v_cmp_eq_u32_e64 s[14:15], 6, v77
	ds_bpermute_b32 v55, v95, v55
	v_cmp_eq_u32_e64 s[96:97], 7, v77
	v_cndmask_b32_e64 v54, v54, v26, s[14:15]
	v_cmp_eq_u32_e64 s[98:99], 8, v77
	v_cndmask_b32_e64 v54, v54, v25, s[96:97]
	v_cmp_eq_u32_e32 vcc, 9, v77
	v_cndmask_b32_e64 v54, v54, v24, s[98:99]
	v_cmp_eq_u32_e64 s[0:1], 10, v77
	v_cndmask_b32_e32 v54, v54, v23, vcc
	v_cmp_eq_u32_e64 s[86:87], 11, v77
	v_cndmask_b32_e64 v54, v54, v22, s[0:1]
	s_waitcnt lgkmcnt(0)
	v_cndmask_b32_e64 v2, v2, v55, s[50:51]
	v_cmp_ne_u32_e64 s[50:51], 0, v75
	v_cndmask_b32_e64 v54, v54, v21, s[86:87]
	v_cmp_eq_u32_e64 s[90:91], 12, v77
	v_cndmask_b32_e64 v1, v1, v55, s[50:51]
	v_cndmask_b32_e64 v0, v0, v55, s[70:71]
	;; [unrolled: 1-line block ×4, first 2 shown]
	v_cmp_eq_u32_e64 s[88:89], 13, v77
	v_cndmask_b32_e64 v14, v14, v55, s[84:85]
	v_cndmask_b32_e64 v13, v13, v55, s[82:83]
	v_cndmask_b32_e64 v12, v12, v55, s[80:81]
	v_cndmask_b32_e64 v11, v11, v55, s[78:79]
	v_cndmask_b32_e64 v10, v10, v55, s[76:77]
	v_cndmask_b32_e64 v9, v9, v55, s[74:75]
	v_cndmask_b32_e64 v8, v8, v55, s[72:73]
	v_cndmask_b32_e64 v7, v7, v55, s[68:69]
	v_cndmask_b32_e64 v6, v6, v55, s[64:65]
	v_cndmask_b32_e64 v5, v5, v55, s[60:61]
	v_cndmask_b32_e64 v4, v4, v55, s[56:57]
	v_cndmask_b32_e64 v3, v3, v55, s[52:53]
	v_cndmask_b32_e64 v55, v0, v1, s[24:25]
	v_cndmask_b32_e64 v54, v54, v19, s[88:89]
	v_cmp_eq_u32_e64 s[84:85], 14, v77
	v_cndmask_b32_e64 v55, v55, v2, s[26:27]
	v_cmp_eq_u32_e64 s[82:83], 15, v77
	v_cndmask_b32_e64 v54, v54, v18, s[84:85]
	v_cndmask_b32_e64 v55, v55, v3, s[28:29]
	;; [unrolled: 1-line block ×4, first 2 shown]
	ds_bpermute_b32 v54, v95, v54
	v_cndmask_b32_e64 v55, v55, v5, s[34:35]
	v_cndmask_b32_e64 v55, v55, v6, s[36:37]
	;; [unrolled: 1-line block ×4, first 2 shown]
	v_cmp_eq_u32_e64 s[80:81], 0, v77
	v_cndmask_b32_e64 v55, v55, v9, s[44:45]
	s_waitcnt lgkmcnt(0)
	v_cndmask_b32_e64 v31, v31, v54, s[4:5]
	v_cndmask_b32_e64 v16, v16, v54, s[80:81]
	v_cmp_eq_u32_e64 s[78:79], 1, v78
	v_cndmask_b32_e64 v55, v55, v10, s[46:47]
	v_cndmask_b32_e64 v17, v17, v54, s[82:83]
	;; [unrolled: 1-line block ×7, first 2 shown]
	v_cndmask_b32_e32 v23, v23, v54, vcc
	v_cndmask_b32_e64 v24, v24, v54, s[98:99]
	v_cndmask_b32_e64 v25, v25, v54, s[96:97]
	;; [unrolled: 1-line block ×8, first 2 shown]
	v_cmp_eq_u32_e64 s[76:77], 2, v78
	v_cndmask_b32_e64 v55, v55, v11, s[48:49]
	v_cmp_eq_u32_e64 s[74:75], 3, v78
	v_cndmask_b32_e64 v54, v54, v30, s[76:77]
	v_cndmask_b32_e64 v55, v55, v12, s[54:55]
	;; [unrolled: 1-line block ×3, first 2 shown]
	v_cmp_eq_u32_e64 s[72:73], 4, v78
	v_cndmask_b32_e64 v55, v55, v13, s[58:59]
	v_cmp_eq_u32_e64 s[68:69], 5, v78
	v_cndmask_b32_e64 v54, v54, v28, s[72:73]
	v_cndmask_b32_e64 v55, v55, v14, s[62:63]
	;; [unrolled: 1-line block ×3, first 2 shown]
	v_cmp_eq_u32_e64 s[64:65], 6, v78
	v_cndmask_b32_e64 v55, v55, v15, s[66:67]
	v_cmp_eq_u32_e64 s[60:61], 7, v78
	v_cndmask_b32_e64 v54, v54, v26, s[64:65]
	ds_bpermute_b32 v55, v95, v55
	v_cndmask_b32_e64 v54, v54, v25, s[60:61]
	v_cmp_eq_u32_e64 s[56:57], 8, v78
	v_cmp_eq_u32_e64 s[52:53], 9, v78
	;; [unrolled: 1-line block ×3, first 2 shown]
	v_cndmask_b32_e64 v54, v54, v24, s[56:57]
	v_cndmask_b32_e64 v54, v54, v23, s[52:53]
	;; [unrolled: 1-line block ×3, first 2 shown]
	v_cmp_eq_u32_e64 s[70:71], 11, v78
	s_waitcnt lgkmcnt(0)
	v_cndmask_b32_e64 v15, v15, v55, s[66:67]
	v_cmp_eq_u32_e64 s[66:67], 12, v78
	v_cndmask_b32_e64 v54, v54, v21, s[70:71]
	v_cndmask_b32_e64 v14, v14, v55, s[62:63]
	;; [unrolled: 1-line block ×3, first 2 shown]
	v_cmp_eq_u32_e64 s[62:63], 13, v78
	v_cndmask_b32_e64 v1, v1, v55, s[24:25]
	v_cndmask_b32_e64 v0, v0, v55, s[40:41]
	;; [unrolled: 1-line block ×4, first 2 shown]
	v_cmp_eq_u32_e64 s[92:93], 14, v78
	v_cndmask_b32_e64 v12, v12, v55, s[54:55]
	v_cndmask_b32_e64 v11, v11, v55, s[48:49]
	;; [unrolled: 1-line block ×13, first 2 shown]
	v_cmp_eq_u32_e64 s[94:95], 15, v78
	v_cndmask_b32_e64 v55, v55, v2, s[6:7]
	v_cndmask_b32_e64 v55, v55, v3, s[8:9]
	;; [unrolled: 1-line block ×3, first 2 shown]
	ds_bpermute_b32 v54, v95, v54
	v_cndmask_b32_e64 v55, v55, v4, s[10:11]
	v_cndmask_b32_e64 v55, v55, v5, s[12:13]
	;; [unrolled: 1-line block ×4, first 2 shown]
	v_cmp_eq_u32_e64 s[48:49], 0, v78
	v_cndmask_b32_e64 v55, v55, v8, s[98:99]
	s_waitcnt lgkmcnt(0)
	v_cndmask_b32_e64 v31, v31, v54, s[78:79]
	v_cndmask_b32_e64 v16, v16, v54, s[48:49]
	v_cmp_eq_u32_e64 s[46:47], 1, v79
	v_cndmask_b32_e32 v55, v55, v9, vcc
	v_cndmask_b32_e64 v17, v17, v54, s[94:95]
	v_cndmask_b32_e64 v18, v18, v54, s[92:93]
	;; [unrolled: 1-line block ×15, first 2 shown]
	v_cmp_eq_u32_e64 s[44:45], 2, v79
	v_cndmask_b32_e64 v55, v55, v10, s[0:1]
	v_cmp_eq_u32_e64 s[42:43], 3, v79
	v_cndmask_b32_e64 v54, v54, v30, s[44:45]
	v_cndmask_b32_e64 v55, v55, v11, s[86:87]
	v_cndmask_b32_e64 v54, v54, v29, s[42:43]
	v_cmp_eq_u32_e64 s[38:39], 4, v79
	v_cndmask_b32_e64 v55, v55, v12, s[90:91]
	v_cmp_eq_u32_e64 s[36:37], 5, v79
	v_cndmask_b32_e64 v54, v54, v28, s[38:39]
	v_cndmask_b32_e64 v55, v55, v13, s[88:89]
	v_cndmask_b32_e64 v54, v54, v27, s[36:37]
	;; [unrolled: 6-line block ×3, first 2 shown]
	v_cmp_eq_u32_e64 s[28:29], 8, v79
	ds_bpermute_b32 v55, v95, v55
	v_cmp_eq_u32_e64 s[26:27], 9, v79
	v_cndmask_b32_e64 v54, v54, v24, s[28:29]
	v_cmp_eq_u32_e64 s[24:25], 10, v79
	v_cndmask_b32_e64 v54, v54, v23, s[26:27]
	;; [unrolled: 2-line block ×4, first 2 shown]
	s_waitcnt lgkmcnt(0)
	v_cndmask_b32_e64 v15, v15, v55, s[82:83]
	v_cndmask_b32_e64 v54, v54, v20, s[58:59]
	v_cmp_eq_u32_e64 s[82:83], 13, v79
	v_cndmask_b32_e64 v14, v14, v55, s[84:85]
	v_cmp_eq_u32_e64 s[84:85], 14, v79
	v_cndmask_b32_e64 v54, v54, v19, s[82:83]
	v_cndmask_b32_e64 v1, v1, v55, s[4:5]
	;; [unrolled: 1-line block ×6, first 2 shown]
	v_cmp_eq_u32_e64 s[90:91], 15, v79
	v_cndmask_b32_e64 v11, v11, v55, s[86:87]
	v_cndmask_b32_e64 v10, v10, v55, s[0:1]
	v_cndmask_b32_e32 v9, v9, v55, vcc
	v_cndmask_b32_e64 v8, v8, v55, s[98:99]
	v_cndmask_b32_e64 v7, v7, v55, s[96:97]
	;; [unrolled: 1-line block ×10, first 2 shown]
	ds_bpermute_b32 v54, v95, v54
	v_cndmask_b32_e64 v55, v55, v3, s[74:75]
	v_cndmask_b32_e64 v55, v55, v4, s[72:73]
	;; [unrolled: 1-line block ×4, first 2 shown]
	v_cmp_eq_u32_e64 s[54:55], 0, v79
	v_cndmask_b32_e64 v55, v55, v7, s[60:61]
	s_waitcnt lgkmcnt(0)
	v_cndmask_b32_e64 v31, v31, v54, s[46:47]
	v_cndmask_b32_e64 v16, v16, v54, s[54:55]
	v_cmp_eq_u32_e64 s[0:1], 1, v80
	v_cndmask_b32_e64 v55, v55, v8, s[56:57]
	v_cndmask_b32_e64 v17, v17, v54, s[90:91]
	;; [unrolled: 1-line block ×16, first 2 shown]
	v_cmp_eq_u32_e64 s[2:3], 2, v80
	v_cndmask_b32_e64 v55, v55, v9, s[52:53]
	v_cmp_eq_u32_e64 s[98:99], 3, v80
	v_cndmask_b32_e64 v54, v54, v30, s[2:3]
	v_cndmask_b32_e64 v55, v55, v10, s[50:51]
	v_cndmask_b32_e64 v54, v54, v29, s[98:99]
	v_cmp_eq_u32_e64 s[96:97], 4, v80
	v_cndmask_b32_e64 v55, v55, v11, s[70:71]
	v_cmp_eq_u32_e64 s[14:15], 5, v80
	v_cndmask_b32_e64 v54, v54, v28, s[96:97]
	v_cndmask_b32_e64 v55, v55, v12, s[66:67]
	v_cndmask_b32_e64 v54, v54, v27, s[14:15]
	;; [unrolled: 6-line block ×3, first 2 shown]
	v_cmp_eq_u32_e64 s[8:9], 8, v80
	v_cndmask_b32_e64 v55, v55, v15, s[94:95]
	v_cmp_eq_u32_e64 s[6:7], 9, v80
	v_cndmask_b32_e64 v54, v54, v24, s[8:9]
	ds_bpermute_b32 v55, v95, v55
	v_cndmask_b32_e64 v54, v54, v23, s[6:7]
	v_cmp_eq_u32_e32 vcc, 10, v80
	v_cmp_eq_u32_e64 s[80:81], 11, v80
	v_cmp_eq_u32_e64 s[86:87], 12, v80
	v_cndmask_b32_e32 v54, v54, v22, vcc
	v_cndmask_b32_e64 v54, v54, v21, s[80:81]
	v_cndmask_b32_e64 v54, v54, v20, s[86:87]
	v_cmp_eq_u32_e64 s[88:89], 13, v80
	s_waitcnt lgkmcnt(0)
	v_cndmask_b32_e64 v13, v13, v55, s[62:63]
	v_cmp_eq_u32_e64 s[62:63], 14, v80
	v_cndmask_b32_e64 v54, v54, v19, s[88:89]
	v_cndmask_b32_e64 v12, v12, v55, s[66:67]
	;; [unrolled: 1-line block ×3, first 2 shown]
	v_cmp_eq_u32_e64 s[66:67], 15, v80
	v_cndmask_b32_e64 v57, v11, v55, s[70:71]
	v_cmp_eq_u32_e64 s[70:71], 0, v80
	v_cndmask_b32_e64 v54, v54, v17, s[66:67]
	ds_bpermute_b32 v54, v95, v54
	v_cndmask_b32_e64 v15, v15, v55, s[94:95]
	v_cndmask_b32_e64 v14, v14, v55, s[92:93]
	;; [unrolled: 1-line block ×4, first 2 shown]
	s_waitcnt lgkmcnt(0)
	v_cndmask_b32_e64 v17, v17, v54, s[66:67]
	v_cndmask_b32_e64 v18, v18, v54, s[62:63]
	;; [unrolled: 1-line block ×5, first 2 shown]
	v_cndmask_b32_e32 v22, v22, v54, vcc
	v_cndmask_b32_e64 v23, v23, v54, s[6:7]
	v_cndmask_b32_e64 v24, v24, v54, s[8:9]
	v_cndmask_b32_e64 v25, v25, v54, s[10:11]
	v_cndmask_b32_e64 v26, v26, v54, s[12:13]
	v_cndmask_b32_e64 v27, v27, v54, s[14:15]
	v_cndmask_b32_e64 v28, v28, v54, s[96:97]
	v_cndmask_b32_e64 v29, v29, v54, s[98:99]
	v_cndmask_b32_e64 v30, v30, v54, s[2:3]
	v_cndmask_b32_e64 v31, v31, v54, s[0:1]
	v_cndmask_b32_e64 v16, v16, v54, s[70:71]
	v_cndmask_b32_e64 v54, v10, v55, s[50:51]
	v_cndmask_b32_e64 v60, v7, v55, s[60:61]
	v_cndmask_b32_e64 v61, v6, v55, s[64:65]
	v_cndmask_b32_e64 v62, v5, v55, s[68:69]
	v_cndmask_b32_e64 v63, v4, v55, s[72:73]
	v_cndmask_b32_e64 v64, v3, v55, s[74:75]
	v_cndmask_b32_e64 v65, v2, v55, s[76:77]
	v_cndmask_b32_e64 v66, v1, v55, s[78:79]
	v_cndmask_b32_e64 v55, v0, v55, s[48:49]
	v_cndmask_b32_e64 v0, v55, v66, s[46:47]
	v_cndmask_b32_e64 v0, v0, v65, s[44:45]
	v_cndmask_b32_e64 v0, v0, v64, s[42:43]
	v_cndmask_b32_e64 v0, v0, v63, s[38:39]
	v_cndmask_b32_e64 v0, v0, v62, s[36:37]
	v_cndmask_b32_e64 v0, v0, v61, s[34:35]
	v_cndmask_b32_e64 v0, v0, v60, s[30:31]
	v_cndmask_b32_e64 v0, v0, v59, s[28:29]
	v_cndmask_b32_e64 v0, v0, v58, s[26:27]
	v_cmp_eq_u32_e64 s[50:51], 1, v81
	v_cndmask_b32_e64 v0, v0, v54, s[24:25]
	v_cmp_eq_u32_e64 s[52:53], 2, v81
	v_cndmask_b32_e64 v10, v16, v31, s[50:51]
	v_cndmask_b32_e64 v0, v0, v57, s[40:41]
	v_cndmask_b32_e64 v9, v10, v30, s[52:53]
	v_cmp_eq_u32_e64 s[56:57], 3, v81
	v_cndmask_b32_e64 v0, v0, v12, s[58:59]
	v_cmp_eq_u32_e64 s[60:61], 4, v81
	v_cndmask_b32_e64 v8, v9, v29, s[56:57]
	v_cndmask_b32_e64 v0, v0, v13, s[82:83]
	v_cndmask_b32_e64 v7, v8, v28, s[60:61]
	;; [unrolled: 6-line block ×3, first 2 shown]
	v_cmp_eq_u32_e64 s[72:73], 7, v81
	ds_bpermute_b32 v67, v95, v0
	v_cmp_eq_u32_e64 s[74:75], 8, v81
	v_cndmask_b32_e64 v4, v5, v25, s[72:73]
	v_cmp_eq_u32_e64 s[76:77], 9, v81
	v_cndmask_b32_e64 v3, v4, v24, s[74:75]
	;; [unrolled: 2-line block ×4, first 2 shown]
	s_waitcnt lgkmcnt(0)
	v_cndmask_b32_e64 v68, v15, v67, s[90:91]
	v_cndmask_b32_e64 v0, v0, v21, s[78:79]
	v_cmp_eq_u32_e64 s[90:91], 12, v81
	v_cndmask_b32_e64 v69, v14, v67, s[84:85]
	v_cmp_eq_u32_e64 s[84:85], 13, v81
	v_cndmask_b32_e64 v0, v0, v20, s[90:91]
	v_cndmask_b32_e64 v97, v13, v67, s[82:83]
	;; [unrolled: 1-line block ×3, first 2 shown]
	v_cmp_eq_u32_e64 s[82:83], 14, v81
	v_cndmask_b32_e64 v98, v12, v67, s[58:59]
	v_cmp_eq_u32_e64 s[58:59], 15, v81
	v_cndmask_b32_e64 v0, v0, v18, s[82:83]
	s_nop 0
	v_cndmask_b32_e64 v0, v0, v17, s[58:59]
	ds_bpermute_b32 v1, v95, v0
	s_waitcnt lgkmcnt(0)
	v_cndmask_b32_e64 v12, v27, v1, s[64:65]
	v_cndmask_b32_e64 v13, v28, v1, s[60:61]
	;; [unrolled: 1-line block ×29, first 2 shown]
	v_cmp_eq_u32_e64 s[40:41], 0, v81
	v_cndmask_b32_e64 v19, v58, v67, s[26:27]
	v_cndmask_b32_e64 v29, v29, v20, s[8:9]
	;; [unrolled: 1-line block ×8, first 2 shown]
	v_cndmask_b32_e32 v29, v29, v16, vcc
	v_cndmask_b32_e64 v29, v29, v17, s[80:81]
	v_cndmask_b32_e64 v29, v29, v98, s[86:87]
	;; [unrolled: 1-line block ×5, first 2 shown]
	ds_bpermute_b32 v29, v95, v29
	v_cmp_eq_u32_e64 s[24:25], 1, v82
	v_cmp_eq_u32_e64 s[26:27], 2, v82
	;; [unrolled: 1-line block ×3, first 2 shown]
	v_cndmask_b32_e64 v18, v1, v0, s[24:25]
	s_waitcnt lgkmcnt(0)
	v_cndmask_b32_e64 v65, v27, v29, s[0:1]
	v_cndmask_b32_e64 v66, v28, v29, s[70:71]
	;; [unrolled: 1-line block ×18, first 2 shown]
	v_cndmask_b32_e32 v16, v16, v29, vcc
	v_cndmask_b32_e64 v19, v19, v57, s[76:77]
	v_cndmask_b32_e64 v17, v17, v29, s[80:81]
	v_cndmask_b32_e64 v19, v19, v16, s[48:49]
	v_cndmask_b32_e64 v55, v98, v29, s[86:87]
	v_cndmask_b32_e64 v19, v19, v17, s[78:79]
	v_cndmask_b32_e64 v54, v97, v29, s[88:89]
	v_cndmask_b32_e64 v19, v19, v55, s[90:91]
	v_cndmask_b32_e64 v31, v69, v29, s[62:63]
	v_cndmask_b32_e64 v19, v19, v54, s[84:85]
	v_cndmask_b32_e64 v30, v68, v29, s[66:67]
	v_cndmask_b32_e64 v19, v19, v31, s[82:83]
	v_cndmask_b32_e64 v19, v19, v30, s[58:59]
	ds_bpermute_b32 v67, v95, v19
	v_cndmask_b32_e64 v18, v18, v15, s[26:27]
	v_cndmask_b32_e64 v18, v18, v14, s[28:29]
	v_cmp_eq_u32_e64 s[30:31], 4, v82
	v_cmp_eq_u32_e64 s[34:35], 5, v82
	s_waitcnt lgkmcnt(0)
	v_cndmask_b32_e64 v23, v17, v67, s[78:79]
	v_cndmask_b32_e64 v24, v16, v67, s[48:49]
	;; [unrolled: 1-line block ×18, first 2 shown]
	v_cmp_eq_u32_e64 s[36:37], 6, v82
	v_cndmask_b32_e64 v28, v60, v67, s[68:69]
	v_cndmask_b32_e64 v55, v55, v29, s[34:35]
	v_cndmask_b32_e64 v18, v18, v11, s[36:37]
	v_cmp_eq_u32_e64 s[38:39], 7, v82
	v_cndmask_b32_e64 v27, v59, v67, s[72:73]
	v_cndmask_b32_e64 v55, v55, v28, s[36:37]
	v_cndmask_b32_e64 v18, v18, v10, s[38:39]
	;; [unrolled: 4-line block ×4, first 2 shown]
	v_cmp_eq_u32_e64 s[46:47], 10, v82
	v_cndmask_b32_e64 v55, v55, v25, s[44:45]
	v_cmp_eq_u32_e64 s[54:55], 11, v82
	v_cndmask_b32_e64 v18, v18, v7, s[46:47]
	v_cndmask_b32_e64 v55, v55, v24, s[46:47]
	;; [unrolled: 1-line block ×3, first 2 shown]
	v_cmp_eq_u32_e64 s[66:67], 12, v82
	v_cndmask_b32_e64 v55, v55, v23, s[54:55]
	v_cmp_eq_u32_e64 s[62:63], 13, v82
	v_cndmask_b32_e64 v18, v18, v5, s[66:67]
	v_cndmask_b32_e64 v55, v55, v22, s[66:67]
	;; [unrolled: 1-line block ×3, first 2 shown]
	v_cmp_eq_u32_e32 vcc, 14, v82
	v_cndmask_b32_e64 v55, v55, v21, s[62:63]
	v_cmp_eq_u32_e64 s[6:7], 15, v82
	v_cndmask_b32_e32 v18, v18, v3, vcc
	v_cndmask_b32_e32 v55, v55, v20, vcc
	v_cndmask_b32_e64 v18, v18, v2, s[6:7]
	v_cndmask_b32_e64 v55, v55, v19, s[6:7]
	ds_bpermute_b32 v18, v95, v18
	ds_bpermute_b32 v58, v95, v55
	v_readlane_b32 s53, v105, 34
	s_nop 1
	v_cmp_lt_i32_e32 vcc, s53, v84
	s_and_saveexec_b64 s[40:41], vcc
	v_readlane_b32 s44, v105, 2
	v_readlane_b32 s45, v105, 3
	;; [unrolled: 1-line block ×11, first 2 shown]
	s_cbranch_execz .LBB169_32
; %bb.24:                               ;   in Loop: Header=BB169_7 Depth=1
	s_mul_i32 s0, s52, s17
	s_ashr_i32 s1, s0, 31
	s_lshl_b64 s[0:1], s[0:1], 1
	s_add_u32 s2, s48, s0
	v_cmp_eq_u32_e64 s[34:35], 1, v82
	v_cmp_eq_u32_e64 s[36:37], 0, v82
	s_addc_u32 s3, s49, s1
	s_ashr_i32 s55, s54, 31
	s_waitcnt lgkmcnt(1)
	v_cndmask_b32_e64 v55, v0, v18, s[34:35]
	v_cndmask_b32_e64 v57, v1, v18, s[36:37]
	s_lshl_b64 s[0:1], s[54:55], 1
	s_waitcnt lgkmcnt(0)
	v_cndmask_b32_e64 v59, v16, v58, s[34:35]
	v_cndmask_b32_e64 v60, v17, v58, s[36:37]
	v_cvt_f16_f32_e32 v57, v57
	v_cvt_f16_f32_sdwa v55, v55 dst_sel:WORD_1 dst_unused:UNUSED_PAD src0_sel:DWORD
	s_add_u32 s42, s2, s0
	v_cvt_f16_f32_e32 v60, v60
	v_cvt_f16_f32_sdwa v59, v59 dst_sel:WORD_1 dst_unused:UNUSED_PAD src0_sel:DWORD
	s_addc_u32 s43, s3, s1
	v_lshl_add_u64 v[0:1], s[42:43], 0, v[32:33]
	v_cmp_eq_u32_e32 vcc, 15, v82
	v_cmp_eq_u32_e64 s[6:7], 14, v82
	v_cmp_eq_u32_e64 s[8:9], 13, v82
	;; [unrolled: 1-line block ×13, first 2 shown]
	v_lshl_add_u64 v[16:17], v[34:35], 1, v[0:1]
	v_or_b32_e32 v55, v55, v57
	v_cmp_lt_i32_e64 s[34:35], s53, v85
	;;#ASMSTART
	global_atomic_pk_add_f16 v[16:17], v55, off
	
	;;#ASMEND
	v_lshl_add_u64 v[16:17], v[16:17], 0, 64
	v_or_b32_e32 v55, v59, v60
	;;#ASMSTART
	global_atomic_pk_add_f16 v[16:17], v55, off
	
	;;#ASMEND
	s_and_b64 exec, exec, s[34:35]
	s_cbranch_execz .LBB169_32
; %bb.25:                               ;   in Loop: Header=BB169_7 Depth=1
	v_cndmask_b32_e32 v2, v2, v18, vcc
	v_cndmask_b32_e64 v3, v3, v18, s[6:7]
	v_cndmask_b32_e64 v16, v4, v18, s[8:9]
	;; [unrolled: 1-line block ×19, first 2 shown]
	v_cvt_f16_f32_e32 v22, v18
	v_cvt_f16_f32_sdwa v23, v65 dst_sel:WORD_1 dst_unused:UNUSED_PAD src0_sel:DWORD
	v_cvt_f16_f32_e32 v21, v21
	v_cvt_f16_f32_sdwa v20, v20 dst_sel:WORD_1 dst_unused:UNUSED_PAD src0_sel:DWORD
	v_cndmask_b32_e32 v4, v19, v58, vcc
	v_cndmask_b32_e64 v9, v24, v58, s[14:15]
	v_cndmask_b32_e64 v10, v25, v58, s[0:1]
	;; [unrolled: 1-line block ×7, first 2 shown]
	v_lshl_add_u64 v[18:19], v[36:37], 1, v[0:1]
	v_cmp_lt_i32_e32 vcc, s53, v86
	v_or_b32_e32 v22, v23, v22
	;;#ASMSTART
	global_atomic_pk_add_f16 v[18:19], v22, off
	
	;;#ASMEND
	v_lshl_add_u64 v[18:19], v[18:19], 0, 64
	v_or_b32_e32 v20, v20, v21
	;;#ASMSTART
	global_atomic_pk_add_f16 v[18:19], v20, off
	
	;;#ASMEND
	s_and_b64 exec, exec, vcc
	s_cbranch_execz .LBB169_32
; %bb.26:                               ;   in Loop: Header=BB169_7 Depth=1
	v_cvt_f16_f32_e32 v20, v64
	v_cvt_f16_f32_sdwa v21, v63 dst_sel:WORD_1 dst_unused:UNUSED_PAD src0_sel:DWORD
	v_cvt_f16_f32_e32 v22, v15
	v_cvt_f16_f32_sdwa v23, v14 dst_sel:WORD_1 dst_unused:UNUSED_PAD src0_sel:DWORD
	v_lshl_add_u64 v[18:19], v[38:39], 1, v[0:1]
	v_or_b32_e32 v14, v21, v20
	v_cmp_lt_i32_e32 vcc, s53, v87
	;;#ASMSTART
	global_atomic_pk_add_f16 v[18:19], v14, off
	
	;;#ASMEND
	v_lshl_add_u64 v[14:15], v[18:19], 0, 64
	v_or_b32_e32 v18, v23, v22
	;;#ASMSTART
	global_atomic_pk_add_f16 v[14:15], v18, off
	
	;;#ASMEND
	s_and_b64 exec, exec, vcc
	s_cbranch_execz .LBB169_32
; %bb.27:                               ;   in Loop: Header=BB169_7 Depth=1
	v_cvt_f16_f32_e32 v18, v62
	v_cvt_f16_f32_sdwa v19, v61 dst_sel:WORD_1 dst_unused:UNUSED_PAD src0_sel:DWORD
	v_cvt_f16_f32_e32 v20, v13
	v_cvt_f16_f32_sdwa v21, v12 dst_sel:WORD_1 dst_unused:UNUSED_PAD src0_sel:DWORD
	v_lshl_add_u64 v[14:15], v[40:41], 1, v[0:1]
	v_or_b32_e32 v12, v19, v18
	v_cmp_lt_i32_e32 vcc, s53, v88
	;;#ASMSTART
	global_atomic_pk_add_f16 v[14:15], v12, off
	
	;;#ASMEND
	v_lshl_add_u64 v[12:13], v[14:15], 0, 64
	v_or_b32_e32 v14, v21, v20
	;;#ASMSTART
	global_atomic_pk_add_f16 v[12:13], v14, off
	
	;;#ASMEND
	s_and_b64 exec, exec, vcc
	s_cbranch_execz .LBB169_32
; %bb.28:                               ;   in Loop: Header=BB169_7 Depth=1
	v_cvt_f16_f32_e32 v14, v60
	v_cvt_f16_f32_sdwa v15, v59 dst_sel:WORD_1 dst_unused:UNUSED_PAD src0_sel:DWORD
	v_cvt_f16_f32_e32 v18, v11
	v_cvt_f16_f32_sdwa v19, v10 dst_sel:WORD_1 dst_unused:UNUSED_PAD src0_sel:DWORD
	v_lshl_add_u64 v[12:13], v[42:43], 1, v[0:1]
	v_or_b32_e32 v10, v15, v14
	v_cmp_lt_i32_e32 vcc, s53, v89
	;;#ASMSTART
	global_atomic_pk_add_f16 v[12:13], v10, off
	
	;;#ASMEND
	v_lshl_add_u64 v[10:11], v[12:13], 0, 64
	v_or_b32_e32 v12, v19, v18
	;;#ASMSTART
	global_atomic_pk_add_f16 v[10:11], v12, off
	
	;;#ASMEND
	s_and_b64 exec, exec, vcc
	s_cbranch_execz .LBB169_32
; %bb.29:                               ;   in Loop: Header=BB169_7 Depth=1
	v_cvt_f16_f32_e32 v12, v57
	v_cvt_f16_f32_sdwa v13, v55 dst_sel:WORD_1 dst_unused:UNUSED_PAD src0_sel:DWORD
	v_cvt_f16_f32_e32 v14, v9
	v_cvt_f16_f32_sdwa v15, v8 dst_sel:WORD_1 dst_unused:UNUSED_PAD src0_sel:DWORD
	v_lshl_add_u64 v[10:11], v[44:45], 1, v[0:1]
	v_or_b32_e32 v8, v13, v12
	v_cmp_lt_i32_e32 vcc, s53, v90
	;;#ASMSTART
	global_atomic_pk_add_f16 v[10:11], v8, off
	
	;;#ASMEND
	v_lshl_add_u64 v[8:9], v[10:11], 0, 64
	v_or_b32_e32 v10, v15, v14
	;;#ASMSTART
	global_atomic_pk_add_f16 v[8:9], v10, off
	
	;;#ASMEND
	s_and_b64 exec, exec, vcc
	s_cbranch_execz .LBB169_32
; %bb.30:                               ;   in Loop: Header=BB169_7 Depth=1
	v_cvt_f16_f32_e32 v10, v17
	v_cvt_f16_f32_sdwa v11, v16 dst_sel:WORD_1 dst_unused:UNUSED_PAD src0_sel:DWORD
	v_cvt_f16_f32_e32 v12, v7
	v_cvt_f16_f32_sdwa v13, v6 dst_sel:WORD_1 dst_unused:UNUSED_PAD src0_sel:DWORD
	v_lshl_add_u64 v[8:9], v[46:47], 1, v[0:1]
	v_or_b32_e32 v6, v11, v10
	v_cmp_lt_i32_e32 vcc, s53, v91
	;;#ASMSTART
	global_atomic_pk_add_f16 v[8:9], v6, off
	
	;;#ASMEND
	v_lshl_add_u64 v[6:7], v[8:9], 0, 64
	v_or_b32_e32 v8, v13, v12
	;;#ASMSTART
	global_atomic_pk_add_f16 v[6:7], v8, off
	
	;;#ASMEND
	s_and_b64 exec, exec, vcc
	s_cbranch_execz .LBB169_32
; %bb.31:                               ;   in Loop: Header=BB169_7 Depth=1
	v_cvt_f16_f32_e32 v3, v3
	v_cvt_f16_f32_sdwa v2, v2 dst_sel:WORD_1 dst_unused:UNUSED_PAD src0_sel:DWORD
	v_cvt_f16_f32_e32 v5, v5
	v_cvt_f16_f32_sdwa v4, v4 dst_sel:WORD_1 dst_unused:UNUSED_PAD src0_sel:DWORD
	v_lshl_add_u64 v[0:1], v[48:49], 1, v[0:1]
	v_or_b32_e32 v2, v2, v3
	;;#ASMSTART
	global_atomic_pk_add_f16 v[0:1], v2, off
	
	;;#ASMEND
	v_lshl_add_u64 v[0:1], v[0:1], 0, 64
	v_or_b32_e32 v2, v4, v5
	;;#ASMSTART
	global_atomic_pk_add_f16 v[0:1], v2, off
	
	;;#ASMEND
.LBB169_32:                             ;   in Loop: Header=BB169_7 Depth=1
	s_or_b64 exec, exec, s[40:41]
	v_readlane_b32 s14, v105, 10
	v_readlane_b32 s24, v105, 12
	;; [unrolled: 1-line block ×6, first 2 shown]
	v_subrev_u32_e32 v96, s20, v96
	v_readlane_b32 s11, v105, 0
	v_readlane_b32 s12, v105, 1
	v_readlane_b32 s15, v105, 11
	v_readlane_b32 s25, v105, 13
	v_readlane_b32 s13, v105, 14
	v_readlane_b32 s26, v105, 15
	v_readlane_b32 s27, v105, 16
	v_readlane_b32 s29, v105, 18
	v_readlane_b32 s30, v105, 19
	v_readlane_b32 s31, v105, 20
	v_readlane_b32 s34, v105, 21
	v_readlane_b32 s35, v105, 22
	v_readlane_b32 s36, v105, 23
	v_readlane_b32 s37, v105, 24
	v_readlane_b32 s38, v105, 25
	v_readlane_b32 s39, v105, 35
	v_readlane_b32 s41, v105, 33
	v_readlane_b32 s5, v105, 29
	v_readlane_b32 s3, v105, 27
.LBB169_33:                             ;   in Loop: Header=BB169_7 Depth=1
	s_or_b64 exec, exec, s[2:3]
.LBB169_34:                             ;   in Loop: Header=BB169_7 Depth=1
	s_andn2_saveexec_b64 s[0:1], s[4:5]
	s_cbranch_execz .LBB169_43
; %bb.35:                               ;   in Loop: Header=BB169_7 Depth=1
	s_lshl_b32 s10, s20, 1
	v_cmp_gt_i32_e32 vcc, s10, v96
	s_and_saveexec_b64 s[2:3], vcc
	s_cbranch_execz .LBB169_42
; %bb.36:                               ;   in Loop: Header=BB169_7 Depth=1
	s_mul_i32 s4, s54, s19
	s_ashr_i32 s5, s4, 31
	s_add_u32 s4, s46, s4
	s_addc_u32 s5, s47, s5
	s_ashr_i32 s6, s39, 31
	s_add_u32 s4, s4, s39
	s_addc_u32 s5, s5, s6
	v_lshl_add_u64 v[0:1], s[4:5], 0, v[52:53]
	v_lshl_add_u64 v[16:17], v[0:1], 0, v[50:51]
	s_mov_b64 s[4:5], 0
	s_branch .LBB169_38
.LBB169_37:                             ;   in Loop: Header=BB169_38 Depth=2
	s_or_b64 exec, exec, s[6:7]
	v_lshl_add_u32 v20, v18, 12, v92
	;;#ASMSTART
	s_waitcnt vmcnt(3)
	;;#ASMEND
	ds_write2_b32 v20, v12, v13 offset1:32
	ds_write2_b32 v20, v14, v15 offset0:64 offset1:96
	v_add_u32_e32 v12, 0x400, v20
	;;#ASMSTART
	s_waitcnt vmcnt(2)
	;;#ASMEND
	ds_write2_b32 v12, v8, v9 offset1:32
	ds_write2_b32 v12, v10, v11 offset0:64 offset1:96
	v_add_u32_e32 v8, 0x800, v20
	;; [unrolled: 6-line block ×3, first 2 shown]
	v_add_u32_e32 v96, s22, v96
	;;#ASMSTART
	s_waitcnt vmcnt(0)
	;;#ASMEND
	ds_write2_b32 v4, v0, v1 offset1:32
	ds_write2_b32 v4, v2, v3 offset0:64 offset1:96
	v_add_u32_e32 v0, 1, v71
	v_add_u32_e32 v56, s22, v18
	v_cmp_le_i32_e32 vcc, s10, v96
	ds_write_b32 v19, v0 offset:8
	v_add_u32_e32 v0, 2, v71
	s_or_b64 s[4:5], vcc, s[4:5]
	v_cmp_lt_i32_e32 vcc, 1, v56
	s_nop 1
	v_cndmask_b32_e32 v71, v71, v0, vcc
	s_andn2_b64 exec, exec, s[4:5]
	s_cbranch_execz .LBB169_41
.LBB169_38:                             ;   Parent Loop BB169_7 Depth=1
                                        ; =>  This Loop Header: Depth=2
                                        ;       Child Loop BB169_40 Depth 3
	v_cmp_gt_i32_e32 vcc, 2, v56
	s_nop 1
	v_cndmask_b32_e64 v0, -2, 0, vcc
	s_waitcnt lgkmcnt(1)
	v_add_u32_e32 v18, v0, v56
	v_lshrrev_b32_e32 v0, 31, v96
	v_add_u32_e32 v0, v96, v0
	v_and_b32_e32 v1, -2, v0
	v_lshlrev_b32_e32 v0, 6, v0
	v_sub_u32_e32 v2, v96, v1
	v_and_b32_e32 v0, 0xffffff80, v0
	v_ashrrev_i32_e32 v1, 31, v0
	v_mul_lo_u32 v2, s31, v2
	v_lshl_add_u64 v[0:1], v[16:17], 0, v[0:1]
	v_ashrrev_i32_e32 v3, 31, v2
	v_lshl_add_u64 v[0:1], v[0:1], 0, v[2:3]
	v_lshlrev_b32_e32 v19, 2, v18
	;;#ASMSTART
	global_load_dwordx4 v[12:15], v[0:1], off offset:0   sc0 sc1 nt  
	global_load_dwordx4 v[8:11], v[0:1], off offset:32  sc0 sc1 nt  
	global_load_dwordx4 v[4:7], v[0:1], off offset:64  sc0 sc1 nt  
	;; [unrolled: 1-line block ×3, first 2 shown]
	
	;;#ASMEND
	ds_read_b32 v20, v19 offset:16392
	v_add_u32_e32 v19, 0x4000, v19
	s_waitcnt lgkmcnt(0)
	v_cmp_ne_u32_e32 vcc, v20, v71
	s_and_saveexec_b64 s[6:7], vcc
	s_cbranch_execz .LBB169_37
; %bb.39:                               ;   in Loop: Header=BB169_38 Depth=2
	s_mov_b64 s[8:9], 0
.LBB169_40:                             ;   Parent Loop BB169_7 Depth=1
                                        ;     Parent Loop BB169_38 Depth=2
                                        ; =>    This Inner Loop Header: Depth=3
	;;#ASMSTART
	s_sleep 0
	;;#ASMEND
	ds_read_b32 v20, v19 offset:8
	s_waitcnt lgkmcnt(0)
	v_cmp_eq_u32_e32 vcc, v20, v71
	s_or_b64 s[8:9], vcc, s[8:9]
	s_andn2_b64 exec, exec, s[8:9]
	s_cbranch_execnz .LBB169_40
	s_branch .LBB169_37
.LBB169_41:                             ;   in Loop: Header=BB169_7 Depth=1
	s_or_b64 exec, exec, s[4:5]
.LBB169_42:                             ;   in Loop: Header=BB169_7 Depth=1
	s_or_b64 exec, exec, s[2:3]
	v_subrev_u32_e32 v96, s10, v96
.LBB169_43:                             ;   in Loop: Header=BB169_7 Depth=1
	s_or_b64 exec, exec, s[0:1]
.LBB169_44:                             ;   in Loop: Header=BB169_7 Depth=1
	s_andn2_saveexec_b64 s[0:1], s[40:41]
	s_cbranch_execz .LBB169_6
; %bb.45:                               ;   in Loop: Header=BB169_7 Depth=1
	s_lshl_b32 s10, s20, 1
	v_cmp_gt_i32_e32 vcc, s10, v96
	s_and_saveexec_b64 s[2:3], vcc
	s_cbranch_execz .LBB169_5
; %bb.46:                               ;   in Loop: Header=BB169_7 Depth=1
	s_mul_i32 s4, s52, s18
	s_max_i32 s6, s53, 0
	s_ashr_i32 s5, s4, 31
	s_add_u32 s4, s44, s4
	v_add_u32_e32 v2, s6, v72
	s_addc_u32 s5, s45, s5
	s_ashr_i32 s7, s39, 31
	v_cmp_gt_u32_e32 vcc, 64, v2
	s_add_u32 s4, s4, s39
	s_addc_u32 s5, s5, s7
	v_cndmask_b32_e32 v0, 0, v93, vcc
	v_ashrrev_i32_e32 v1, 31, v0
	v_lshl_add_u64 v[0:1], s[4:5], 0, v[0:1]
	v_lshl_add_u64 v[16:17], v[0:1], 0, v[50:51]
	s_waitcnt lgkmcnt(1)
	v_sub_u32_e32 v18, 63, v2
	s_mov_b64 s[4:5], 0
	s_branch .LBB169_48
.LBB169_47:                             ;   in Loop: Header=BB169_48 Depth=2
	s_or_b64 exec, exec, s[6:7]
	v_lshl_or_b32 v21, v19, 12, v94
	;;#ASMSTART
	s_waitcnt vmcnt(3)
	;;#ASMEND
	ds_write2_b32 v21, v12, v13 offset1:32
	ds_write2_b32 v21, v14, v15 offset0:64 offset1:96
	v_add_u32_e32 v12, 0x400, v21
	;;#ASMSTART
	s_waitcnt vmcnt(2)
	;;#ASMEND
	ds_write2_b32 v12, v8, v9 offset1:32
	ds_write2_b32 v12, v10, v11 offset0:64 offset1:96
	v_add_u32_e32 v8, 0x800, v21
	;; [unrolled: 6-line block ×3, first 2 shown]
	v_add_u32_e32 v96, s21, v96
	;;#ASMSTART
	s_waitcnt vmcnt(0)
	;;#ASMEND
	ds_write2_b32 v4, v0, v1 offset1:32
	ds_write2_b32 v4, v2, v3 offset0:64 offset1:96
	v_add_u32_e32 v0, 1, v71
	v_add_u32_e32 v56, s21, v19
	v_cmp_le_i32_e32 vcc, s10, v96
	ds_write_b32 v20, v0
	v_add_u32_e32 v0, 2, v71
	s_or_b64 s[4:5], vcc, s[4:5]
	v_cmp_lt_i32_e32 vcc, 1, v56
	s_nop 1
	v_cndmask_b32_e32 v71, v71, v0, vcc
	s_andn2_b64 exec, exec, s[4:5]
	s_cbranch_execz .LBB169_4
.LBB169_48:                             ;   Parent Loop BB169_7 Depth=1
                                        ; =>  This Loop Header: Depth=2
                                        ;       Child Loop BB169_50 Depth 3
	v_cmp_gt_i32_e32 vcc, 2, v56
	s_nop 1
	v_cndmask_b32_e64 v0, -2, 0, vcc
	v_add_u32_e32 v19, v0, v56
	v_lshrrev_b32_e32 v0, 31, v96
	v_add_u32_e32 v0, v96, v0
	v_and_b32_e32 v1, 0x7fffffe, v0
	v_sub_u32_e32 v1, v96, v1
	v_lshlrev_b32_e32 v1, 5, v1
	v_cmp_le_i32_e32 vcc, v1, v18
	v_lshlrev_b32_e32 v0, 6, v0
	v_and_b32_e32 v0, 0xffffff80, v0
	v_cndmask_b32_e32 v2, 0, v1, vcc
	v_ashrrev_i32_e32 v1, 31, v0
	v_mul_lo_u32 v2, v2, s18
	v_lshl_add_u64 v[0:1], v[16:17], 0, v[0:1]
	v_ashrrev_i32_e32 v3, 31, v2
	v_lshl_add_u64 v[0:1], v[0:1], 0, v[2:3]
	v_lshlrev_b32_e32 v20, 2, v19
	;;#ASMSTART
	global_load_dwordx4 v[12:15], v[0:1], off offset:0   
	global_load_dwordx4 v[8:11], v[0:1], off offset:32  
	;; [unrolled: 1-line block ×4, first 2 shown]
	
	;;#ASMEND
	ds_read_b32 v21, v20 offset:16384
	v_add_u32_e32 v20, 0x4000, v20
	s_waitcnt lgkmcnt(0)
	v_cmp_ne_u32_e32 vcc, v21, v71
	s_and_saveexec_b64 s[6:7], vcc
	s_cbranch_execz .LBB169_47
; %bb.49:                               ;   in Loop: Header=BB169_48 Depth=2
	s_mov_b64 s[8:9], 0
.LBB169_50:                             ;   Parent Loop BB169_7 Depth=1
                                        ;     Parent Loop BB169_48 Depth=2
                                        ; =>    This Inner Loop Header: Depth=3
	;;#ASMSTART
	s_sleep 0
	;;#ASMEND
	ds_read_b32 v21, v20
	s_waitcnt lgkmcnt(0)
	v_cmp_eq_u32_e32 vcc, v21, v71
	s_or_b64 s[8:9], vcc, s[8:9]
	s_andn2_b64 exec, exec, s[8:9]
	s_cbranch_execnz .LBB169_50
	s_branch .LBB169_47
.LBB169_51:
	s_endpgm
	.section	.rodata,"a",@progbits
	.p2align	6, 0x0
	.amdhsa_kernel _Z19_skinny_gemm_kernelILi2ELi2ELi1ELi32ELi8EEvPKhS1_P6__halfPKfiiiiiiii
		.amdhsa_group_segment_fixed_size 16400
		.amdhsa_private_segment_fixed_size 0
		.amdhsa_kernarg_size 64
		.amdhsa_user_sgpr_count 2
		.amdhsa_user_sgpr_dispatch_ptr 0
		.amdhsa_user_sgpr_queue_ptr 0
		.amdhsa_user_sgpr_kernarg_segment_ptr 1
		.amdhsa_user_sgpr_dispatch_id 0
		.amdhsa_user_sgpr_kernarg_preload_length 0
		.amdhsa_user_sgpr_kernarg_preload_offset 0
		.amdhsa_user_sgpr_private_segment_size 0
		.amdhsa_uses_dynamic_stack 0
		.amdhsa_enable_private_segment 0
		.amdhsa_system_sgpr_workgroup_id_x 1
		.amdhsa_system_sgpr_workgroup_id_y 0
		.amdhsa_system_sgpr_workgroup_id_z 0
		.amdhsa_system_sgpr_workgroup_info 0
		.amdhsa_system_vgpr_workitem_id 0
		.amdhsa_next_free_vgpr 106
		.amdhsa_next_free_sgpr 100
		.amdhsa_accum_offset 108
		.amdhsa_reserve_vcc 1
		.amdhsa_float_round_mode_32 0
		.amdhsa_float_round_mode_16_64 0
		.amdhsa_float_denorm_mode_32 3
		.amdhsa_float_denorm_mode_16_64 3
		.amdhsa_dx10_clamp 1
		.amdhsa_ieee_mode 1
		.amdhsa_fp16_overflow 0
		.amdhsa_tg_split 0
		.amdhsa_exception_fp_ieee_invalid_op 0
		.amdhsa_exception_fp_denorm_src 0
		.amdhsa_exception_fp_ieee_div_zero 0
		.amdhsa_exception_fp_ieee_overflow 0
		.amdhsa_exception_fp_ieee_underflow 0
		.amdhsa_exception_fp_ieee_inexact 0
		.amdhsa_exception_int_div_zero 0
	.end_amdhsa_kernel
	.section	.text._Z19_skinny_gemm_kernelILi2ELi2ELi1ELi32ELi8EEvPKhS1_P6__halfPKfiiiiiiii,"axG",@progbits,_Z19_skinny_gemm_kernelILi2ELi2ELi1ELi32ELi8EEvPKhS1_P6__halfPKfiiiiiiii,comdat
.Lfunc_end169:
	.size	_Z19_skinny_gemm_kernelILi2ELi2ELi1ELi32ELi8EEvPKhS1_P6__halfPKfiiiiiiii, .Lfunc_end169-_Z19_skinny_gemm_kernelILi2ELi2ELi1ELi32ELi8EEvPKhS1_P6__halfPKfiiiiiiii
                                        ; -- End function
	.set _Z19_skinny_gemm_kernelILi2ELi2ELi1ELi32ELi8EEvPKhS1_P6__halfPKfiiiiiiii.num_vgpr, 106
	.set _Z19_skinny_gemm_kernelILi2ELi2ELi1ELi32ELi8EEvPKhS1_P6__halfPKfiiiiiiii.num_agpr, 0
	.set _Z19_skinny_gemm_kernelILi2ELi2ELi1ELi32ELi8EEvPKhS1_P6__halfPKfiiiiiiii.numbered_sgpr, 100
	.set _Z19_skinny_gemm_kernelILi2ELi2ELi1ELi32ELi8EEvPKhS1_P6__halfPKfiiiiiiii.num_named_barrier, 0
	.set _Z19_skinny_gemm_kernelILi2ELi2ELi1ELi32ELi8EEvPKhS1_P6__halfPKfiiiiiiii.private_seg_size, 0
	.set _Z19_skinny_gemm_kernelILi2ELi2ELi1ELi32ELi8EEvPKhS1_P6__halfPKfiiiiiiii.uses_vcc, 1
	.set _Z19_skinny_gemm_kernelILi2ELi2ELi1ELi32ELi8EEvPKhS1_P6__halfPKfiiiiiiii.uses_flat_scratch, 0
	.set _Z19_skinny_gemm_kernelILi2ELi2ELi1ELi32ELi8EEvPKhS1_P6__halfPKfiiiiiiii.has_dyn_sized_stack, 0
	.set _Z19_skinny_gemm_kernelILi2ELi2ELi1ELi32ELi8EEvPKhS1_P6__halfPKfiiiiiiii.has_recursion, 0
	.set _Z19_skinny_gemm_kernelILi2ELi2ELi1ELi32ELi8EEvPKhS1_P6__halfPKfiiiiiiii.has_indirect_call, 0
	.section	.AMDGPU.csdata,"",@progbits
; Kernel info:
; codeLenInByte = 10112
; TotalNumSgprs: 106
; NumVgprs: 106
; NumAgprs: 0
; TotalNumVgprs: 106
; ScratchSize: 0
; MemoryBound: 0
; FloatMode: 240
; IeeeMode: 1
; LDSByteSize: 16400 bytes/workgroup (compile time only)
; SGPRBlocks: 13
; VGPRBlocks: 13
; NumSGPRsForWavesPerEU: 106
; NumVGPRsForWavesPerEU: 106
; AccumOffset: 108
; Occupancy: 4
; WaveLimiterHint : 0
; COMPUTE_PGM_RSRC2:SCRATCH_EN: 0
; COMPUTE_PGM_RSRC2:USER_SGPR: 2
; COMPUTE_PGM_RSRC2:TRAP_HANDLER: 0
; COMPUTE_PGM_RSRC2:TGID_X_EN: 1
; COMPUTE_PGM_RSRC2:TGID_Y_EN: 0
; COMPUTE_PGM_RSRC2:TGID_Z_EN: 0
; COMPUTE_PGM_RSRC2:TIDIG_COMP_CNT: 0
; COMPUTE_PGM_RSRC3_GFX90A:ACCUM_OFFSET: 26
; COMPUTE_PGM_RSRC3_GFX90A:TG_SPLIT: 0
	.section	.text._Z19_skinny_gemm_kernelILi2ELi2ELi2ELi16ELi4EEvPKhS1_P6__halfPKfiiiiiiii,"axG",@progbits,_Z19_skinny_gemm_kernelILi2ELi2ELi2ELi16ELi4EEvPKhS1_P6__halfPKfiiiiiiii,comdat
	.protected	_Z19_skinny_gemm_kernelILi2ELi2ELi2ELi16ELi4EEvPKhS1_P6__halfPKfiiiiiiii ; -- Begin function _Z19_skinny_gemm_kernelILi2ELi2ELi2ELi16ELi4EEvPKhS1_P6__halfPKfiiiiiiii
	.globl	_Z19_skinny_gemm_kernelILi2ELi2ELi2ELi16ELi4EEvPKhS1_P6__halfPKfiiiiiiii
	.p2align	8
	.type	_Z19_skinny_gemm_kernelILi2ELi2ELi2ELi16ELi4EEvPKhS1_P6__halfPKfiiiiiiii,@function
_Z19_skinny_gemm_kernelILi2ELi2ELi2ELi16ELi4EEvPKhS1_P6__halfPKfiiiiiiii: ; @_Z19_skinny_gemm_kernelILi2ELi2ELi2ELi16ELi4EEvPKhS1_P6__halfPKfiiiiiiii
; %bb.0:
	v_cmp_gt_u32_e32 vcc, 8, v0
	v_lshlrev_b32_e32 v1, 2, v0
	s_and_saveexec_b64 s[4:5], vcc
; %bb.1:
	v_mov_b32_e32 v2, 0
	ds_write_b32 v1, v2 offset:16384
; %bb.2:
	s_or_b64 exec, exec, s[4:5]
	s_load_dwordx8 s[16:23], s[0:1], 0x20
	s_waitcnt lgkmcnt(0)
	s_barrier
	s_add_i32 s3, s16, 31
	s_ashr_i32 s5, s3, 31
	s_add_i32 s4, s17, 31
	s_lshr_b32 s5, s5, 27
	s_ashr_i32 s6, s4, 31
	s_add_i32 s3, s3, s5
	s_ashr_i32 s33, s3, 5
	s_lshr_b32 s3, s6, 27
	s_add_i32 s4, s4, s3
	s_ashr_i32 s48, s4, 5
	s_mul_i32 s3, s48, s33
	s_mul_i32 s3, s3, s20
	s_add_i32 s4, s3, 0x12f
	s_mul_hi_i32 s4, s4, 0x6bca1af3
	s_lshr_b32 s5, s4, 31
	s_ashr_i32 s4, s4, 7
	s_add_i32 s4, s4, s5
	s_add_i32 s5, s2, 1
	s_mul_i32 s5, s4, s5
	v_cvt_f64_i32_e32 v[2:3], s3
	v_cvt_f64_u32_e32 v[4:5], s5
	v_min_f64 v[2:3], v[2:3], v[4:5]
	v_cvt_i32_f64_e32 v17, v[2:3]
	s_mul_i32 s49, s4, s2
	v_cmp_ge_i32_e32 vcc, s49, v17
	s_cbranch_vccnz .LBB170_50
; %bb.3:
	v_lshrrev_b32_e32 v2, 6, v0
	s_add_i32 s4, s22, s21
	s_load_dwordx8 s[24:31], s[0:1], 0x0
	v_cmp_le_i32_e64 s[0:1], s4, v2
	v_mov_b32_e32 v3, s21
	v_cmp_le_i32_e64 s[2:3], s21, v2
	v_mov_b32_e32 v4, s22
	v_cndmask_b32_e64 v4, 0, v4, s[0:1]
	v_cndmask_b32_e64 v3, 0, v3, s[2:3]
	s_abs_i32 s5, s20
	v_add_u32_e32 v3, v3, v4
	v_cvt_f32_u32_e32 v4, s5
	v_sub_u32_e32 v28, v2, v3
	s_ashr_i32 s6, s18, 31
	s_lshr_b32 s6, s6, 25
	v_rcp_iflag_f32_e32 v3, v4
	s_sub_i32 s9, 0, s5
	s_add_i32 s6, s18, s6
	s_ashr_i32 s6, s6, 7
	v_mul_f32_e32 v3, 0x4f7ffffe, v3
	v_cvt_u32_f32_e32 v3, v3
	s_abs_i32 s8, s6
	s_xor_b32 s7, s6, s20
	s_ashr_i32 s7, s7, 31
	v_readfirstlane_b32 s10, v3
	s_mul_i32 s9, s9, s10
	s_mul_hi_u32 s9, s10, s9
	s_add_i32 s10, s10, s9
	s_mul_hi_u32 s9, s8, s10
	s_mul_i32 s10, s9, s5
	s_sub_i32 s8, s8, s10
	s_add_i32 s10, s9, 1
	s_sub_i32 s11, s8, s5
	s_cmp_ge_u32 s8, s5
	s_cselect_b32 s9, s10, s9
	s_cselect_b32 s8, s11, s8
	s_add_i32 s10, s9, 1
	s_cmp_ge_u32 s8, s5
	s_cselect_b32 s5, s10, s9
	s_xor_b32 s5, s5, s7
	s_sub_i32 s50, s5, s7
	s_add_i32 s20, s20, -1
	s_mul_i32 s5, s50, s20
	s_add_i32 s4, s4, s23
	s_sub_i32 s51, s6, s5
	v_cmp_gt_i32_e64 s[4:5], s4, v2
	v_lshlrev_b32_e32 v2, 1, v0
	v_lshlrev_b32_e32 v3, 4, v0
	s_abs_i32 s52, s33
	v_and_b32_e32 v1, 60, v1
	v_and_b32_e32 v2, 64, v2
	;; [unrolled: 1-line block ×4, first 2 shown]
	v_cvt_f32_u32_e32 v3, s52
	v_or3_b32 v47, v1, v2, v4
	v_and_b32_e32 v1, 1, v0
	v_lshlrev_b32_e32 v2, 1, v1
	v_lshrrev_b32_e32 v4, 2, v0
	v_and_b32_e32 v16, 14, v0
	v_sub_u32_e32 v2, v0, v2
	v_bitop3_b32 v48, v0, 1, v0 bitop3:0xc
	v_bitop3_b32 v49, v0, 3, 1 bitop3:0x6c
	v_and_or_b32 v50, v4, 12, v1
	v_bfe_u32 v51, v0, 2, 4
	v_and_b32_e32 v1, 60, v0
	v_lshlrev_b32_e32 v4, 8, v0
	v_lshlrev_b32_e32 v0, 6, v0
	v_and_b32_e32 v4, 0x200, v4
	v_rcp_iflag_f32_e32 v3, v3
	v_and_b32_e32 v0, 64, v0
	s_abs_i32 s54, s48
	v_or3_b32 v52, v1, v4, v0
	v_cvt_f32_u32_e32 v1, s54
	v_mul_f32_e32 v0, 0x4f7ffffe, v3
	v_cvt_u32_f32_e32 v0, v0
	v_mad_u64_u32 v[18:19], s[6:7], s17, v50, v[16:17]
	v_rcp_iflag_f32_e32 v1, v1
	v_readfirstlane_b32 s7, v0
	s_sub_i32 s6, 0, s52
	s_mul_i32 s6, s6, s7
	v_mul_f32_e32 v0, 0x4f7ffffe, v1
	v_cvt_u32_f32_e32 v0, v0
	s_mul_hi_u32 s6, s7, s6
	v_add_u32_e32 v2, 1, v2
	s_add_i32 s56, s7, s6
	s_sub_i32 s6, 0, s54
	v_readfirstlane_b32 s7, v0
	v_mbcnt_lo_u32_b32 v0, -1, 0
	v_and_b32_e32 v2, 63, v2
	s_mul_i32 s6, s6, s7
	v_mbcnt_hi_u32_b32 v0, -1, v0
	v_lshl_add_u32 v20, s17, 4, v18
	v_mul_lo_u32 v24, s19, v51
	s_mul_hi_u32 s6, s7, s6
	v_and_or_b32 v0, v0, 64, v2
	v_cndmask_b32_e64 v46, 0, 1, s[0:1]
	s_ashr_i32 s35, s17, 31
	s_mov_b32 s34, s17
	v_ashrrev_i32_e32 v19, 31, v18
	v_ashrrev_i32_e32 v21, 31, v20
	;; [unrolled: 1-line block ×3, first 2 shown]
	v_mov_b32_e32 v23, 0
	s_lshl_b32 s53, s19, 4
	s_ashr_i32 s55, s33, 31
	s_ashr_i32 s57, s48, 31
	s_add_i32 s58, s7, s6
	v_lshlrev_b32_e32 v53, 2, v0
	v_mov_b32_e32 v54, v28
	s_branch .LBB170_7
.LBB170_4:                              ;   in Loop: Header=BB170_7 Depth=1
	s_or_b64 exec, exec, s[10:11]
.LBB170_5:                              ;   in Loop: Header=BB170_7 Depth=1
	s_or_b64 exec, exec, s[8:9]
	v_subrev_u32_e32 v54, s36, v54
.LBB170_6:                              ;   in Loop: Header=BB170_7 Depth=1
	s_or_b64 exec, exec, s[6:7]
	s_add_i32 s49, s49, 1
	v_cmp_ge_i32_e32 vcc, s49, v17
	s_cbranch_vccnz .LBB170_50
.LBB170_7:                              ; =>This Loop Header: Depth=1
                                        ;     Child Loop BB170_13 Depth 2
                                        ;       Child Loop BB170_15 Depth 3
                                        ;       Child Loop BB170_18 Depth 3
	;; [unrolled: 1-line block ×4, first 2 shown]
                                        ;     Child Loop BB170_37 Depth 2
                                        ;       Child Loop BB170_39 Depth 3
                                        ;     Child Loop BB170_47 Depth 2
                                        ;       Child Loop BB170_49 Depth 3
	s_abs_i32 s7, s49
	s_mul_hi_u32 s8, s7, s56
	s_mul_i32 s9, s8, s52
	s_ashr_i32 s6, s49, 31
	s_sub_i32 s7, s7, s9
	s_xor_b32 s6, s6, s55
	s_add_i32 s9, s8, 1
	s_sub_i32 s10, s7, s52
	s_cmp_ge_u32 s7, s52
	s_cselect_b32 s8, s9, s8
	s_cselect_b32 s7, s10, s7
	s_add_i32 s9, s8, 1
	s_cmp_ge_u32 s7, s52
	s_cselect_b32 s7, s9, s8
	s_xor_b32 s7, s7, s6
	s_sub_i32 s6, s7, s6
	s_abs_i32 s8, s6
	s_mul_i32 s7, s6, s33
	s_mul_hi_u32 s9, s8, s58
	s_sub_i32 s7, s49, s7
	s_mul_i32 s10, s9, s54
	s_lshl_b32 s59, s7, 5
	s_ashr_i32 s7, s6, 31
	s_sub_i32 s8, s8, s10
	s_xor_b32 s7, s7, s57
	s_add_i32 s10, s9, 1
	s_sub_i32 s11, s8, s54
	s_cmp_ge_u32 s8, s54
	s_cselect_b32 s9, s10, s9
	s_cselect_b32 s8, s11, s8
	s_add_i32 s10, s9, 1
	s_cmp_ge_u32 s8, s54
	s_cselect_b32 s8, s10, s9
	s_xor_b32 s8, s8, s7
	s_sub_i32 s7, s8, s7
	s_mul_i32 s8, s7, s50
	s_lshl_b32 s60, s8, 7
	s_cmp_eq_u32 s7, s20
	s_cselect_b32 s62, s51, s50
	s_sub_i32 s8, s59, s16
	s_add_i32 s8, s8, 32
	s_max_i32 s61, s8, 0
	s_and_saveexec_b64 s[8:9], s[2:3]
	s_xor_b64 s[36:37], exec, s[8:9]
	s_cbranch_execz .LBB170_43
; %bb.8:                                ;   in Loop: Header=BB170_7 Depth=1
	s_mul_i32 s7, s7, s48
	s_sub_i32 s6, s6, s7
	s_lshl_b32 s6, s6, 5
	s_sub_i32 s14, s6, s17
	s_add_i32 s14, s14, 32
	s_max_i32 s7, s14, 0
	s_sub_i32 s38, s6, s7
	s_and_saveexec_b64 s[6:7], s[0:1]
	s_xor_b64 s[40:41], exec, s[6:7]
	s_cbranch_execz .LBB170_33
; %bb.9:                                ;   in Loop: Header=BB170_7 Depth=1
	s_and_saveexec_b64 s[42:43], s[4:5]
	s_cbranch_execz .LBB170_32
; %bb.10:                               ;   in Loop: Header=BB170_7 Depth=1
	s_waitcnt lgkmcnt(0)
	global_load_dword v55, v23, s[30:31]
	v_mov_b32_e32 v15, 0
	v_cmp_gt_i32_e32 vcc, s62, v54
	v_mov_b32_e32 v14, v15
	v_mov_b32_e32 v13, v15
	;; [unrolled: 1-line block ×15, first 2 shown]
	s_and_saveexec_b64 s[6:7], vcc
	s_cbranch_execz .LBB170_26
; %bb.11:                               ;   in Loop: Header=BB170_7 Depth=1
	v_mov_b32_e32 v0, 0
	s_mov_b64 s[8:9], 0
	v_mov_b32_e32 v1, v0
	v_mov_b32_e32 v2, v0
	;; [unrolled: 1-line block ×15, first 2 shown]
	s_branch .LBB170_13
.LBB170_12:                             ;   in Loop: Header=BB170_13 Depth=2
	s_or_b64 exec, exec, s[10:11]
	v_add_u32_e32 v34, 0x800, v58
	ds_read2_b32 v[28:29], v34 offset1:32
	v_add_u32_e32 v58, 0xc00, v58
	v_add_u32_e32 v54, s23, v54
	s_waitcnt lgkmcnt(0)
	v_mfma_f32_16x16x32_fp8_fp8 v[8:11], v[26:27], v[28:29], v[8:11]
	ds_read2_b32 v[26:27], v34 offset0:128 offset1:160
	ds_read2_b32 v[34:35], v58 offset1:32
	v_mfma_f32_16x16x32_fp8_fp8 v[0:3], v[42:43], v[28:29], v[0:3]
	v_add_u32_e32 v28, s23, v56
	v_cmp_lt_i32_e32 vcc, 1, v28
	s_waitcnt lgkmcnt(1)
	v_mfma_f32_16x16x32_fp8_fp8 v[8:11], v[36:37], v[26:27], v[8:11]
	ds_read2_b32 v[36:37], v58 offset0:128 offset1:160
	;;#ASMSTART
	s_waitcnt lgkmcnt(0)
	;;#ASMEND
	ds_write_b32 v57, v59 offset:16404
	v_mfma_f32_16x16x32_fp8_fp8 v[0:3], v[44:45], v[26:27], v[0:3]
	v_add_u32_e32 v26, 2, v46
	v_cndmask_b32_e32 v46, v46, v26, vcc
	v_cmp_le_i32_e32 vcc, s62, v54
	s_waitcnt lgkmcnt(2)
	v_mfma_f32_16x16x32_fp8_fp8 v[8:11], v[38:39], v[34:35], v[8:11]
	s_or_b64 s[8:9], vcc, s[8:9]
	v_mfma_f32_16x16x32_fp8_fp8 v[0:3], v[32:33], v[34:35], v[0:3]
	s_waitcnt lgkmcnt(1)
	v_mfma_f32_16x16x32_fp8_fp8 v[8:11], v[40:41], v[36:37], v[8:11]
	v_mfma_f32_16x16x32_fp8_fp8 v[0:3], v[30:31], v[36:37], v[0:3]
	s_andn2_b64 exec, exec, s[8:9]
	s_cbranch_execz .LBB170_25
.LBB170_13:                             ;   Parent Loop BB170_7 Depth=1
                                        ; =>  This Loop Header: Depth=2
                                        ;       Child Loop BB170_15 Depth 3
                                        ;       Child Loop BB170_18 Depth 3
	;; [unrolled: 1-line block ×4, first 2 shown]
	v_cmp_gt_i32_e32 vcc, 2, v28
	s_nop 1
	v_cndmask_b32_e64 v26, -2, 0, vcc
	v_add_u32_e32 v56, v26, v28
	v_lshlrev_b32_e32 v57, 3, v56
	ds_read_b32 v26, v57 offset:16400
	s_waitcnt lgkmcnt(0)
	v_cmp_ne_u32_e32 vcc, v26, v46
	s_and_saveexec_b64 s[10:11], vcc
	s_cbranch_execz .LBB170_16
; %bb.14:                               ;   in Loop: Header=BB170_13 Depth=2
	s_mov_b64 s[12:13], 0
.LBB170_15:                             ;   Parent Loop BB170_7 Depth=1
                                        ;     Parent Loop BB170_13 Depth=2
                                        ; =>    This Inner Loop Header: Depth=3
	;;#ASMSTART
	s_sleep 0
	;;#ASMEND
	ds_read_b32 v26, v57 offset:16400
	s_waitcnt lgkmcnt(0)
	v_cmp_eq_u32_e32 vcc, v26, v46
	s_or_b64 s[12:13], vcc, s[12:13]
	s_andn2_b64 exec, exec, s[12:13]
	s_cbranch_execnz .LBB170_15
.LBB170_16:                             ;   in Loop: Header=BB170_13 Depth=2
	s_or_b64 exec, exec, s[10:11]
	v_lshlrev_b32_e32 v26, 12, v56
	v_or_b32_e32 v27, 0x2000, v47
	v_add_u32_e32 v58, v27, v26
	v_add_u32_e32 v27, 0x400, v58
	ds_read2_b32 v[32:33], v58 offset1:32
	ds_read2_b32 v[30:31], v58 offset0:128 offset1:160
	ds_read2_b32 v[34:35], v27 offset1:32
	ds_read2_b32 v[28:29], v27 offset0:128 offset1:160
	;;#ASMSTART
	s_waitcnt lgkmcnt(0)
	;;#ASMEND
	ds_read_b32 v27, v57 offset:16384
	v_add_u32_e32 v59, 1, v46
	ds_write_b32 v57, v59 offset:16400
	s_waitcnt lgkmcnt(1)
	v_cmp_ne_u32_e32 vcc, v27, v46
	s_and_saveexec_b64 s[10:11], vcc
	s_cbranch_execz .LBB170_19
; %bb.17:                               ;   in Loop: Header=BB170_13 Depth=2
	s_mov_b64 s[12:13], 0
.LBB170_18:                             ;   Parent Loop BB170_7 Depth=1
                                        ;     Parent Loop BB170_13 Depth=2
                                        ; =>    This Inner Loop Header: Depth=3
	;;#ASMSTART
	s_sleep 0
	;;#ASMEND
	ds_read_b32 v27, v57 offset:16384
	s_waitcnt lgkmcnt(0)
	v_cmp_eq_u32_e32 vcc, v27, v46
	s_or_b64 s[12:13], vcc, s[12:13]
	s_andn2_b64 exec, exec, s[12:13]
	s_cbranch_execnz .LBB170_18
.LBB170_19:                             ;   in Loop: Header=BB170_13 Depth=2
	s_or_b64 exec, exec, s[10:11]
	v_add_u32_e32 v60, v47, v26
	ds_read2_b32 v[26:27], v60 offset1:32
	ds_read2_b32 v[36:37], v60 offset0:128 offset1:160
	v_add_u32_e32 v40, 0x400, v60
	ds_read2_b32 v[38:39], v40 offset1:32
	ds_read2_b32 v[40:41], v40 offset0:128 offset1:160
	ds_read_b32 v42, v57 offset:16388
	ds_write_b32 v57, v59 offset:16384
	s_waitcnt lgkmcnt(5)
	v_mfma_f32_16x16x32_fp8_fp8 v[12:15], v[26:27], v[32:33], v[12:15]
	s_waitcnt lgkmcnt(1)
	v_cmp_ne_u32_e32 vcc, v42, v46
	v_mfma_f32_16x16x32_fp8_fp8 v[12:15], v[36:37], v[30:31], v[12:15]
	v_mfma_f32_16x16x32_fp8_fp8 v[12:15], v[38:39], v[34:35], v[12:15]
	;; [unrolled: 1-line block ×3, first 2 shown]
	s_and_saveexec_b64 s[10:11], vcc
	s_cbranch_execz .LBB170_22
; %bb.20:                               ;   in Loop: Header=BB170_13 Depth=2
	s_mov_b64 s[12:13], 0
.LBB170_21:                             ;   Parent Loop BB170_7 Depth=1
                                        ;     Parent Loop BB170_13 Depth=2
                                        ; =>    This Inner Loop Header: Depth=3
	;;#ASMSTART
	s_sleep 0
	;;#ASMEND
	ds_read_b32 v42, v57 offset:16388
	s_waitcnt lgkmcnt(0)
	v_cmp_eq_u32_e32 vcc, v42, v46
	s_or_b64 s[12:13], vcc, s[12:13]
	s_andn2_b64 exec, exec, s[12:13]
	s_cbranch_execnz .LBB170_21
.LBB170_22:                             ;   in Loop: Header=BB170_13 Depth=2
	s_or_b64 exec, exec, s[10:11]
	v_add_u32_e32 v44, 0x800, v60
	ds_read2_b32 v[42:43], v44 offset1:32
	ds_read2_b32 v[44:45], v44 offset0:128 offset1:160
	v_add_u32_e32 v60, 0xc00, v60
	s_waitcnt lgkmcnt(1)
	v_mfma_f32_16x16x32_fp8_fp8 v[4:7], v[42:43], v[32:33], v[4:7]
	ds_read2_b32 v[32:33], v60 offset1:32
	s_waitcnt lgkmcnt(1)
	v_mfma_f32_16x16x32_fp8_fp8 v[4:7], v[44:45], v[30:31], v[4:7]
	s_waitcnt lgkmcnt(0)
	v_mfma_f32_16x16x32_fp8_fp8 v[4:7], v[32:33], v[34:35], v[4:7]
	ds_read2_b32 v[30:31], v60 offset0:128 offset1:160
	ds_read_b32 v34, v57 offset:16404
	ds_write_b32 v57, v59 offset:16388
	s_waitcnt lgkmcnt(1)
	v_cmp_ne_u32_e32 vcc, v34, v46
	v_mfma_f32_16x16x32_fp8_fp8 v[4:7], v[30:31], v[28:29], v[4:7]
	s_and_saveexec_b64 s[10:11], vcc
	s_cbranch_execz .LBB170_12
; %bb.23:                               ;   in Loop: Header=BB170_13 Depth=2
	s_mov_b64 s[12:13], 0
.LBB170_24:                             ;   Parent Loop BB170_7 Depth=1
                                        ;     Parent Loop BB170_13 Depth=2
                                        ; =>    This Inner Loop Header: Depth=3
	;;#ASMSTART
	s_sleep 0
	;;#ASMEND
	ds_read_b32 v28, v57 offset:16404
	s_waitcnt lgkmcnt(0)
	v_cmp_eq_u32_e32 vcc, v28, v46
	s_or_b64 s[12:13], vcc, s[12:13]
	s_andn2_b64 exec, exec, s[12:13]
	s_cbranch_execnz .LBB170_24
	s_branch .LBB170_12
.LBB170_25:                             ;   in Loop: Header=BB170_7 Depth=1
	s_or_b64 exec, exec, s[8:9]
.LBB170_26:                             ;   in Loop: Header=BB170_7 Depth=1
	s_or_b64 exec, exec, s[6:7]
	v_cmp_le_i32_e32 vcc, s14, v16
	v_cmp_eq_u32_e64 s[6:7], 2, v48
	v_cmp_eq_u32_e64 s[8:9], 3, v48
	s_waitcnt vmcnt(0)
	v_cndmask_b32_e32 v26, 0, v55, vcc
	v_pk_mul_f32 v[12:13], v[26:27], v[12:13] op_sel_hi:[0,1]
	v_cmp_eq_u32_e32 vcc, 1, v48
	v_pk_mul_f32 v[30:31], v[26:27], v[14:15] op_sel_hi:[0,1]
	v_cmp_eq_u32_e64 s[10:11], 0, v48
	v_cndmask_b32_e32 v14, v12, v13, vcc
	v_cndmask_b32_e64 v14, v14, v30, s[6:7]
	v_cndmask_b32_e64 v14, v14, v31, s[8:9]
	ds_bpermute_b32 v27, v53, v14
	v_cmp_eq_u32_e64 s[12:13], 1, v49
	s_waitcnt lgkmcnt(0)
	v_cndmask_b32_e64 v14, v31, v27, s[8:9]
	v_cndmask_b32_e64 v15, v30, v27, s[6:7]
	v_cndmask_b32_e32 v13, v13, v27, vcc
	v_cndmask_b32_e64 v27, v12, v27, s[10:11]
	v_or_b32_e32 v12, 16, v16
	v_cmp_le_i32_e64 s[14:15], s14, v12
	v_cndmask_b32_e64 v29, v27, v13, s[12:13]
	s_nop 0
	v_cndmask_b32_e64 v12, 0, v55, s[14:15]
	v_pk_mul_f32 v[32:33], v[12:13], v[8:9] op_sel_hi:[0,1]
	v_pk_mul_f32 v[30:31], v[12:13], v[10:11] op_sel_hi:[0,1]
	v_cndmask_b32_e32 v8, v32, v33, vcc
	v_cndmask_b32_e64 v8, v8, v30, s[6:7]
	v_cndmask_b32_e64 v8, v8, v31, s[8:9]
	ds_bpermute_b32 v9, v53, v8
	v_cmp_eq_u32_e32 vcc, 2, v49
	v_cmp_eq_u32_e64 s[14:15], 3, v49
	s_waitcnt lgkmcnt(0)
	v_cndmask_b32_e64 v11, v30, v9, s[6:7]
	v_cndmask_b32_e32 v8, v29, v15, vcc
	v_cndmask_b32_e64 v8, v8, v14, s[14:15]
	v_cmp_ne_u32_e64 s[6:7], 0, v48
	ds_bpermute_b32 v29, v53, v8
	v_cndmask_b32_e64 v10, v31, v9, s[8:9]
	v_cndmask_b32_e64 v8, v33, v9, s[6:7]
	;; [unrolled: 1-line block ×4, first 2 shown]
	v_cndmask_b32_e32 v30, v30, v11, vcc
	v_cndmask_b32_e64 v30, v30, v10, s[14:15]
	ds_bpermute_b32 v30, v53, v30
	v_add_u32_e32 v31, s61, v50
	v_cmp_gt_u32_e32 vcc, 32, v31
	s_and_saveexec_b64 s[44:45], vcc
	s_cbranch_execz .LBB170_31
; %bb.27:                               ;   in Loop: Header=BB170_7 Depth=1
	v_cmp_eq_u32_e64 s[8:9], 1, v49
	v_cmp_eq_u32_e64 s[10:11], 0, v49
	v_cmp_eq_u32_e32 vcc, 3, v49
	s_waitcnt lgkmcnt(1)
	v_cndmask_b32_e64 v13, v13, v29, s[8:9]
	s_waitcnt lgkmcnt(0)
	v_cndmask_b32_e64 v32, v8, v30, s[8:9]
	s_mul_i32 s8, s59, s17
	s_ashr_i32 s9, s8, 31
	s_lshl_b64 s[8:9], s[8:9], 1
	v_cndmask_b32_e64 v27, v27, v29, s[10:11]
	v_cndmask_b32_e64 v33, v9, v30, s[10:11]
	s_add_u32 s10, s28, s8
	s_addc_u32 s11, s29, s9
	s_ashr_i32 s39, s38, 31
	v_cvt_f16_f32_e32 v27, v27
	v_cvt_f16_f32_sdwa v13, v13 dst_sel:WORD_1 dst_unused:UNUSED_PAD src0_sel:DWORD
	s_lshl_b64 s[8:9], s[38:39], 1
	v_cvt_f16_f32_e32 v34, v33
	v_cvt_f16_f32_sdwa v35, v32 dst_sel:WORD_1 dst_unused:UNUSED_PAD src0_sel:DWORD
	s_add_u32 s46, s10, s8
	s_addc_u32 s47, s11, s9
	v_cmp_eq_u32_e64 s[6:7], 2, v49
	v_lshl_add_u64 v[8:9], v[18:19], 1, s[46:47]
	v_or_b32_e32 v13, v13, v27
	v_cmp_gt_u32_e64 s[8:9], 30, v31
	;;#ASMSTART
	global_atomic_pk_add_f16 v[8:9], v13, off
	
	;;#ASMEND
	v_lshl_add_u64 v[32:33], v[8:9], 0, 32
	v_or_b32_e32 v13, v35, v34
	;;#ASMSTART
	global_atomic_pk_add_f16 v[32:33], v13, off
	
	;;#ASMEND
	s_and_b64 exec, exec, s[8:9]
	s_cbranch_execz .LBB170_31
; %bb.28:                               ;   in Loop: Header=BB170_7 Depth=1
	v_mov_b32_e32 v27, v26
	v_cndmask_b32_e32 v14, v14, v29, vcc
	v_cndmask_b32_e64 v15, v15, v29, s[6:7]
	v_cndmask_b32_e32 v29, v10, v30, vcc
	v_cndmask_b32_e64 v30, v11, v30, s[6:7]
	v_mov_b32_e32 v10, v26
	v_mov_b32_e32 v11, v26
	v_pk_mul_f32 v[6:7], v[10:11], v[6:7]
	v_pk_mul_f32 v[10:11], v[26:27], v[4:5]
	v_cmp_eq_u32_e32 vcc, 1, v48
	v_cmp_eq_u32_e64 s[6:7], 2, v48
	v_cmp_eq_u32_e64 s[8:9], 3, v48
	v_cndmask_b32_e32 v4, v10, v11, vcc
	v_cndmask_b32_e64 v4, v4, v6, s[6:7]
	v_cndmask_b32_e64 v4, v4, v7, s[8:9]
	v_cvt_f16_f32_e32 v15, v15
	v_cvt_f16_f32_sdwa v14, v14 dst_sel:WORD_1 dst_unused:UNUSED_PAD src0_sel:DWORD
	ds_bpermute_b32 v26, v53, v4
	v_mov_b32_e32 v13, v12
	v_lshl_add_u64 v[8:9], s[34:35], 2, v[8:9]
	v_or_b32_e32 v14, v14, v15
	v_cmp_eq_u32_e64 s[10:11], 0, v48
	;;#ASMSTART
	global_atomic_pk_add_f16 v[8:9], v14, off
	
	;;#ASMEND
	v_lshl_add_u64 v[14:15], v[8:9], 0, 32
	s_waitcnt lgkmcnt(0)
	v_cndmask_b32_e64 v4, v7, v26, s[8:9]
	v_cndmask_b32_e64 v5, v6, v26, s[6:7]
	v_cndmask_b32_e32 v6, v11, v26, vcc
	v_cndmask_b32_e64 v7, v10, v26, s[10:11]
	v_mov_b32_e32 v8, v12
	v_mov_b32_e32 v9, v12
	v_pk_mul_f32 v[10:11], v[12:13], v[0:1]
	v_pk_mul_f32 v[8:9], v[8:9], v[2:3]
	v_cndmask_b32_e32 v0, v10, v11, vcc
	v_cndmask_b32_e64 v0, v0, v8, s[6:7]
	v_cndmask_b32_e64 v0, v0, v9, s[8:9]
	ds_bpermute_b32 v1, v53, v0
	v_cmp_eq_u32_e64 s[12:13], 1, v49
	v_cmp_eq_u32_e32 vcc, 2, v49
	v_cmp_eq_u32_e64 s[14:15], 3, v49
	v_cndmask_b32_e64 v26, v7, v6, s[12:13]
	v_cndmask_b32_e32 v0, v26, v5, vcc
	v_cndmask_b32_e64 v0, v0, v4, s[14:15]
	s_waitcnt lgkmcnt(0)
	v_cndmask_b32_e64 v8, v8, v1, s[6:7]
	v_cmp_ne_u32_e64 s[6:7], 0, v48
	ds_bpermute_b32 v2, v53, v0
	v_cndmask_b32_e64 v3, v9, v1, s[8:9]
	v_cndmask_b32_e64 v0, v11, v1, s[6:7]
	;; [unrolled: 1-line block ×3, first 2 shown]
	v_cvt_f16_f32_e32 v27, v30
	v_cvt_f16_f32_sdwa v29, v29 dst_sel:WORD_1 dst_unused:UNUSED_PAD src0_sel:DWORD
	v_cndmask_b32_e64 v9, v1, v0, s[12:13]
	v_cndmask_b32_e32 v9, v9, v8, vcc
	v_cndmask_b32_e64 v9, v9, v3, s[14:15]
	ds_bpermute_b32 v9, v53, v9
	v_or_b32_e32 v10, v29, v27
	;;#ASMSTART
	global_atomic_pk_add_f16 v[14:15], v10, off
	
	;;#ASMEND
	v_or_b32_e32 v10, 16, v50
	v_add_u32_e32 v10, s61, v10
	v_cmp_gt_u32_e32 vcc, 32, v10
	s_and_b64 exec, exec, vcc
	s_cbranch_execz .LBB170_31
; %bb.29:                               ;   in Loop: Header=BB170_7 Depth=1
	v_cmp_eq_u32_e64 s[8:9], 1, v49
	v_cmp_eq_u32_e64 s[10:11], 0, v49
	v_cmp_eq_u32_e32 vcc, 3, v49
	s_waitcnt lgkmcnt(1)
	v_cndmask_b32_e64 v6, v6, v2, s[8:9]
	v_cndmask_b32_e64 v7, v7, v2, s[10:11]
	s_waitcnt lgkmcnt(0)
	v_cndmask_b32_e64 v11, v0, v9, s[8:9]
	v_cndmask_b32_e64 v12, v1, v9, s[10:11]
	v_cvt_f16_f32_e32 v7, v7
	v_cvt_f16_f32_sdwa v6, v6 dst_sel:WORD_1 dst_unused:UNUSED_PAD src0_sel:DWORD
	v_cvt_f16_f32_e32 v12, v12
	v_cvt_f16_f32_sdwa v11, v11 dst_sel:WORD_1 dst_unused:UNUSED_PAD src0_sel:DWORD
	v_cmp_eq_u32_e64 s[6:7], 2, v49
	v_lshl_add_u64 v[0:1], v[20:21], 1, s[46:47]
	v_or_b32_e32 v6, v6, v7
	v_cmp_gt_u32_e64 s[8:9], 30, v10
	;;#ASMSTART
	global_atomic_pk_add_f16 v[0:1], v6, off
	
	;;#ASMEND
	v_lshl_add_u64 v[6:7], v[0:1], 0, 32
	v_or_b32_e32 v11, v11, v12
	;;#ASMSTART
	global_atomic_pk_add_f16 v[6:7], v11, off
	
	;;#ASMEND
	s_and_b64 exec, exec, s[8:9]
	s_cbranch_execz .LBB170_31
; %bb.30:                               ;   in Loop: Header=BB170_7 Depth=1
	v_cndmask_b32_e32 v4, v4, v2, vcc
	v_cndmask_b32_e64 v2, v5, v2, s[6:7]
	v_cndmask_b32_e32 v3, v3, v9, vcc
	v_cndmask_b32_e64 v5, v8, v9, s[6:7]
	v_cvt_f16_f32_e32 v2, v2
	v_cvt_f16_f32_sdwa v4, v4 dst_sel:WORD_1 dst_unused:UNUSED_PAD src0_sel:DWORD
	v_cvt_f16_f32_e32 v5, v5
	v_cvt_f16_f32_sdwa v3, v3 dst_sel:WORD_1 dst_unused:UNUSED_PAD src0_sel:DWORD
	v_lshl_add_u64 v[0:1], s[34:35], 2, v[0:1]
	v_or_b32_e32 v2, v4, v2
	;;#ASMSTART
	global_atomic_pk_add_f16 v[0:1], v2, off
	
	;;#ASMEND
	v_lshl_add_u64 v[0:1], v[0:1], 0, 32
	v_or_b32_e32 v2, v3, v5
	;;#ASMSTART
	global_atomic_pk_add_f16 v[0:1], v2, off
	
	;;#ASMEND
.LBB170_31:                             ;   in Loop: Header=BB170_7 Depth=1
	s_or_b64 exec, exec, s[44:45]
	v_subrev_u32_e32 v54, s62, v54
.LBB170_32:                             ;   in Loop: Header=BB170_7 Depth=1
	s_or_b64 exec, exec, s[42:43]
.LBB170_33:                             ;   in Loop: Header=BB170_7 Depth=1
	s_andn2_saveexec_b64 s[6:7], s[40:41]
	s_cbranch_execz .LBB170_42
; %bb.34:                               ;   in Loop: Header=BB170_7 Depth=1
	s_lshl_b32 s39, s62, 1
	v_cmp_gt_i32_e32 vcc, s39, v54
	s_and_saveexec_b64 s[8:9], vcc
	s_cbranch_execz .LBB170_41
; %bb.35:                               ;   in Loop: Header=BB170_7 Depth=1
	s_mul_i32 s10, s38, s19
	s_ashr_i32 s11, s10, 31
	s_waitcnt lgkmcnt(0)
	s_add_u32 s10, s26, s10
	s_addc_u32 s11, s27, s11
	s_ashr_i32 s12, s60, 31
	s_add_u32 s10, s10, s60
	s_addc_u32 s11, s11, s12
	v_lshl_add_u64 v[0:1], s[10:11], 0, v[24:25]
	v_lshl_add_u64 v[8:9], v[0:1], 0, v[22:23]
	s_mov_b64 s[10:11], 0
	s_branch .LBB170_37
.LBB170_36:                             ;   in Loop: Header=BB170_37 Depth=2
	s_or_b64 exec, exec, s[12:13]
	v_or_b32_e32 v12, 0x2000, v52
	v_lshl_add_u32 v12, v10, 11, v12
	;;#ASMSTART
	s_waitcnt vmcnt(1)
	;;#ASMEND
	ds_write2_b32 v12, v4, v5 offset1:32
	ds_write2_b32 v12, v6, v7 offset0:64 offset1:96
	v_add_u32_e32 v4, 0x400, v12
	v_add_u32_e32 v54, s22, v54
	;;#ASMSTART
	s_waitcnt vmcnt(0)
	;;#ASMEND
	ds_write2_b32 v4, v0, v1 offset1:32
	ds_write2_b32 v4, v2, v3 offset0:64 offset1:96
	v_add_u32_e32 v0, 1, v46
	v_add_u32_e32 v28, s22, v10
	v_cmp_le_i32_e32 vcc, s39, v54
	ds_write_b32 v11, v0 offset:16
	v_add_u32_e32 v0, 2, v46
	s_or_b64 s[10:11], vcc, s[10:11]
	v_cmp_lt_i32_e32 vcc, 3, v28
	s_nop 1
	v_cndmask_b32_e32 v46, v46, v0, vcc
	s_andn2_b64 exec, exec, s[10:11]
	s_cbranch_execz .LBB170_40
.LBB170_37:                             ;   Parent Loop BB170_7 Depth=1
                                        ; =>  This Loop Header: Depth=2
                                        ;       Child Loop BB170_39 Depth 3
	v_cmp_gt_i32_e32 vcc, 4, v28
	s_nop 1
	v_cndmask_b32_e64 v0, -4, 0, vcc
	v_add_u32_e32 v10, v0, v28
	v_lshrrev_b32_e32 v0, 31, v54
	v_add_u32_e32 v0, v54, v0
	v_and_b32_e32 v1, -2, v0
	v_lshlrev_b32_e32 v0, 6, v0
	v_sub_u32_e32 v2, v54, v1
	v_and_b32_e32 v0, 0xffffff80, v0
	v_ashrrev_i32_e32 v1, 31, v0
	v_mul_lo_u32 v2, s53, v2
	v_lshl_add_u64 v[0:1], v[8:9], 0, v[0:1]
	v_ashrrev_i32_e32 v3, 31, v2
	v_lshl_add_u64 v[0:1], v[0:1], 0, v[2:3]
	v_lshlrev_b32_e32 v11, 2, v10
	;;#ASMSTART
	global_load_dwordx4 v[4:7], v[0:1], off offset:0   sc0 sc1 nt  
	global_load_dwordx4 v[0:3], v[0:1], off offset:64  sc0 sc1 nt  
	
	;;#ASMEND
	ds_read_b32 v12, v11 offset:16400
	v_add_u32_e32 v11, 0x4000, v11
	s_waitcnt lgkmcnt(0)
	v_cmp_ne_u32_e32 vcc, v12, v46
	s_and_saveexec_b64 s[12:13], vcc
	s_cbranch_execz .LBB170_36
; %bb.38:                               ;   in Loop: Header=BB170_37 Depth=2
	s_mov_b64 s[14:15], 0
.LBB170_39:                             ;   Parent Loop BB170_7 Depth=1
                                        ;     Parent Loop BB170_37 Depth=2
                                        ; =>    This Inner Loop Header: Depth=3
	;;#ASMSTART
	s_sleep 0
	;;#ASMEND
	ds_read_b32 v12, v11 offset:16
	s_waitcnt lgkmcnt(0)
	v_cmp_eq_u32_e32 vcc, v12, v46
	s_or_b64 s[14:15], vcc, s[14:15]
	s_andn2_b64 exec, exec, s[14:15]
	s_cbranch_execnz .LBB170_39
	s_branch .LBB170_36
.LBB170_40:                             ;   in Loop: Header=BB170_7 Depth=1
	s_or_b64 exec, exec, s[10:11]
.LBB170_41:                             ;   in Loop: Header=BB170_7 Depth=1
	s_or_b64 exec, exec, s[8:9]
	v_subrev_u32_e32 v54, s39, v54
.LBB170_42:                             ;   in Loop: Header=BB170_7 Depth=1
	s_or_b64 exec, exec, s[6:7]
.LBB170_43:                             ;   in Loop: Header=BB170_7 Depth=1
	s_andn2_saveexec_b64 s[6:7], s[36:37]
	s_cbranch_execz .LBB170_6
; %bb.44:                               ;   in Loop: Header=BB170_7 Depth=1
	s_lshl_b32 s36, s62, 1
	v_cmp_gt_i32_e32 vcc, s36, v54
	s_and_saveexec_b64 s[8:9], vcc
	s_cbranch_execz .LBB170_5
; %bb.45:                               ;   in Loop: Header=BB170_7 Depth=1
	s_mul_i32 s59, s59, s18
	s_ashr_i32 s10, s59, 31
	s_waitcnt lgkmcnt(0)
	s_add_u32 s11, s24, s59
	v_add_u32_e32 v2, s61, v51
	s_addc_u32 s12, s25, s10
	s_ashr_i32 s13, s60, 31
	v_mul_lo_u32 v0, s18, v51
	v_cmp_gt_u32_e32 vcc, 32, v2
	s_add_u32 s10, s11, s60
	s_addc_u32 s11, s12, s13
	v_cndmask_b32_e32 v0, 0, v0, vcc
	v_ashrrev_i32_e32 v1, 31, v0
	v_lshl_add_u64 v[0:1], s[10:11], 0, v[0:1]
	v_lshl_add_u64 v[8:9], v[0:1], 0, v[22:23]
	v_sub_u32_e32 v10, 31, v2
	s_mov_b64 s[10:11], 0
	s_branch .LBB170_47
.LBB170_46:                             ;   in Loop: Header=BB170_47 Depth=2
	s_or_b64 exec, exec, s[12:13]
	v_lshl_or_b32 v13, v11, 11, v52
	;;#ASMSTART
	s_waitcnt vmcnt(1)
	;;#ASMEND
	ds_write2_b32 v13, v4, v5 offset1:32
	ds_write2_b32 v13, v6, v7 offset0:64 offset1:96
	v_add_u32_e32 v4, 0x400, v13
	v_add_u32_e32 v54, s21, v54
	;;#ASMSTART
	s_waitcnt vmcnt(0)
	;;#ASMEND
	ds_write2_b32 v4, v0, v1 offset1:32
	ds_write2_b32 v4, v2, v3 offset0:64 offset1:96
	v_add_u32_e32 v0, 1, v46
	v_add_u32_e32 v28, s21, v11
	v_cmp_le_i32_e32 vcc, s36, v54
	ds_write_b32 v12, v0
	v_add_u32_e32 v0, 2, v46
	s_or_b64 s[10:11], vcc, s[10:11]
	v_cmp_lt_i32_e32 vcc, 3, v28
	s_nop 1
	v_cndmask_b32_e32 v46, v46, v0, vcc
	s_andn2_b64 exec, exec, s[10:11]
	s_cbranch_execz .LBB170_4
.LBB170_47:                             ;   Parent Loop BB170_7 Depth=1
                                        ; =>  This Loop Header: Depth=2
                                        ;       Child Loop BB170_49 Depth 3
	v_cmp_gt_i32_e32 vcc, 4, v28
	s_nop 1
	v_cndmask_b32_e64 v0, -4, 0, vcc
	v_add_u32_e32 v11, v0, v28
	v_lshrrev_b32_e32 v0, 31, v54
	v_add_u32_e32 v0, v54, v0
	v_and_b32_e32 v1, 0xffffffe, v0
	v_sub_u32_e32 v1, v54, v1
	v_lshlrev_b32_e32 v1, 4, v1
	v_cmp_le_i32_e32 vcc, v1, v10
	v_lshlrev_b32_e32 v0, 6, v0
	v_and_b32_e32 v0, 0xffffff80, v0
	v_cndmask_b32_e32 v2, 0, v1, vcc
	v_ashrrev_i32_e32 v1, 31, v0
	v_mul_lo_u32 v2, v2, s18
	v_lshl_add_u64 v[0:1], v[8:9], 0, v[0:1]
	v_ashrrev_i32_e32 v3, 31, v2
	v_lshl_add_u64 v[0:1], v[0:1], 0, v[2:3]
	v_lshlrev_b32_e32 v12, 2, v11
	;;#ASMSTART
	global_load_dwordx4 v[4:7], v[0:1], off offset:0   
	global_load_dwordx4 v[0:3], v[0:1], off offset:64  
	
	;;#ASMEND
	ds_read_b32 v13, v12 offset:16384
	v_add_u32_e32 v12, 0x4000, v12
	s_waitcnt lgkmcnt(0)
	v_cmp_ne_u32_e32 vcc, v13, v46
	s_and_saveexec_b64 s[12:13], vcc
	s_cbranch_execz .LBB170_46
; %bb.48:                               ;   in Loop: Header=BB170_47 Depth=2
	s_mov_b64 s[14:15], 0
.LBB170_49:                             ;   Parent Loop BB170_7 Depth=1
                                        ;     Parent Loop BB170_47 Depth=2
                                        ; =>    This Inner Loop Header: Depth=3
	;;#ASMSTART
	s_sleep 0
	;;#ASMEND
	ds_read_b32 v13, v12
	s_waitcnt lgkmcnt(0)
	v_cmp_eq_u32_e32 vcc, v13, v46
	s_or_b64 s[14:15], vcc, s[14:15]
	s_andn2_b64 exec, exec, s[14:15]
	s_cbranch_execnz .LBB170_49
	s_branch .LBB170_46
.LBB170_50:
	s_endpgm
	.section	.rodata,"a",@progbits
	.p2align	6, 0x0
	.amdhsa_kernel _Z19_skinny_gemm_kernelILi2ELi2ELi2ELi16ELi4EEvPKhS1_P6__halfPKfiiiiiiii
		.amdhsa_group_segment_fixed_size 16416
		.amdhsa_private_segment_fixed_size 0
		.amdhsa_kernarg_size 64
		.amdhsa_user_sgpr_count 2
		.amdhsa_user_sgpr_dispatch_ptr 0
		.amdhsa_user_sgpr_queue_ptr 0
		.amdhsa_user_sgpr_kernarg_segment_ptr 1
		.amdhsa_user_sgpr_dispatch_id 0
		.amdhsa_user_sgpr_kernarg_preload_length 0
		.amdhsa_user_sgpr_kernarg_preload_offset 0
		.amdhsa_user_sgpr_private_segment_size 0
		.amdhsa_uses_dynamic_stack 0
		.amdhsa_enable_private_segment 0
		.amdhsa_system_sgpr_workgroup_id_x 1
		.amdhsa_system_sgpr_workgroup_id_y 0
		.amdhsa_system_sgpr_workgroup_id_z 0
		.amdhsa_system_sgpr_workgroup_info 0
		.amdhsa_system_vgpr_workitem_id 0
		.amdhsa_next_free_vgpr 61
		.amdhsa_next_free_sgpr 63
		.amdhsa_accum_offset 64
		.amdhsa_reserve_vcc 1
		.amdhsa_float_round_mode_32 0
		.amdhsa_float_round_mode_16_64 0
		.amdhsa_float_denorm_mode_32 3
		.amdhsa_float_denorm_mode_16_64 3
		.amdhsa_dx10_clamp 1
		.amdhsa_ieee_mode 1
		.amdhsa_fp16_overflow 0
		.amdhsa_tg_split 0
		.amdhsa_exception_fp_ieee_invalid_op 0
		.amdhsa_exception_fp_denorm_src 0
		.amdhsa_exception_fp_ieee_div_zero 0
		.amdhsa_exception_fp_ieee_overflow 0
		.amdhsa_exception_fp_ieee_underflow 0
		.amdhsa_exception_fp_ieee_inexact 0
		.amdhsa_exception_int_div_zero 0
	.end_amdhsa_kernel
	.section	.text._Z19_skinny_gemm_kernelILi2ELi2ELi2ELi16ELi4EEvPKhS1_P6__halfPKfiiiiiiii,"axG",@progbits,_Z19_skinny_gemm_kernelILi2ELi2ELi2ELi16ELi4EEvPKhS1_P6__halfPKfiiiiiiii,comdat
.Lfunc_end170:
	.size	_Z19_skinny_gemm_kernelILi2ELi2ELi2ELi16ELi4EEvPKhS1_P6__halfPKfiiiiiiii, .Lfunc_end170-_Z19_skinny_gemm_kernelILi2ELi2ELi2ELi16ELi4EEvPKhS1_P6__halfPKfiiiiiiii
                                        ; -- End function
	.set _Z19_skinny_gemm_kernelILi2ELi2ELi2ELi16ELi4EEvPKhS1_P6__halfPKfiiiiiiii.num_vgpr, 61
	.set _Z19_skinny_gemm_kernelILi2ELi2ELi2ELi16ELi4EEvPKhS1_P6__halfPKfiiiiiiii.num_agpr, 0
	.set _Z19_skinny_gemm_kernelILi2ELi2ELi2ELi16ELi4EEvPKhS1_P6__halfPKfiiiiiiii.numbered_sgpr, 63
	.set _Z19_skinny_gemm_kernelILi2ELi2ELi2ELi16ELi4EEvPKhS1_P6__halfPKfiiiiiiii.num_named_barrier, 0
	.set _Z19_skinny_gemm_kernelILi2ELi2ELi2ELi16ELi4EEvPKhS1_P6__halfPKfiiiiiiii.private_seg_size, 0
	.set _Z19_skinny_gemm_kernelILi2ELi2ELi2ELi16ELi4EEvPKhS1_P6__halfPKfiiiiiiii.uses_vcc, 1
	.set _Z19_skinny_gemm_kernelILi2ELi2ELi2ELi16ELi4EEvPKhS1_P6__halfPKfiiiiiiii.uses_flat_scratch, 0
	.set _Z19_skinny_gemm_kernelILi2ELi2ELi2ELi16ELi4EEvPKhS1_P6__halfPKfiiiiiiii.has_dyn_sized_stack, 0
	.set _Z19_skinny_gemm_kernelILi2ELi2ELi2ELi16ELi4EEvPKhS1_P6__halfPKfiiiiiiii.has_recursion, 0
	.set _Z19_skinny_gemm_kernelILi2ELi2ELi2ELi16ELi4EEvPKhS1_P6__halfPKfiiiiiiii.has_indirect_call, 0
	.section	.AMDGPU.csdata,"",@progbits
; Kernel info:
; codeLenInByte = 4028
; TotalNumSgprs: 69
; NumVgprs: 61
; NumAgprs: 0
; TotalNumVgprs: 61
; ScratchSize: 0
; MemoryBound: 0
; FloatMode: 240
; IeeeMode: 1
; LDSByteSize: 16416 bytes/workgroup (compile time only)
; SGPRBlocks: 8
; VGPRBlocks: 7
; NumSGPRsForWavesPerEU: 69
; NumVGPRsForWavesPerEU: 61
; AccumOffset: 64
; Occupancy: 8
; WaveLimiterHint : 0
; COMPUTE_PGM_RSRC2:SCRATCH_EN: 0
; COMPUTE_PGM_RSRC2:USER_SGPR: 2
; COMPUTE_PGM_RSRC2:TRAP_HANDLER: 0
; COMPUTE_PGM_RSRC2:TGID_X_EN: 1
; COMPUTE_PGM_RSRC2:TGID_Y_EN: 0
; COMPUTE_PGM_RSRC2:TGID_Z_EN: 0
; COMPUTE_PGM_RSRC2:TIDIG_COMP_CNT: 0
; COMPUTE_PGM_RSRC3_GFX90A:ACCUM_OFFSET: 15
; COMPUTE_PGM_RSRC3_GFX90A:TG_SPLIT: 0
	.section	.text._Z19_skinny_gemm_kernelILi2ELi2ELi2ELi16ELi8EEvPKhS1_P6__halfPKfiiiiiiii,"axG",@progbits,_Z19_skinny_gemm_kernelILi2ELi2ELi2ELi16ELi8EEvPKhS1_P6__halfPKfiiiiiiii,comdat
	.protected	_Z19_skinny_gemm_kernelILi2ELi2ELi2ELi16ELi8EEvPKhS1_P6__halfPKfiiiiiiii ; -- Begin function _Z19_skinny_gemm_kernelILi2ELi2ELi2ELi16ELi8EEvPKhS1_P6__halfPKfiiiiiiii
	.globl	_Z19_skinny_gemm_kernelILi2ELi2ELi2ELi16ELi8EEvPKhS1_P6__halfPKfiiiiiiii
	.p2align	8
	.type	_Z19_skinny_gemm_kernelILi2ELi2ELi2ELi16ELi8EEvPKhS1_P6__halfPKfiiiiiiii,@function
_Z19_skinny_gemm_kernelILi2ELi2ELi2ELi16ELi8EEvPKhS1_P6__halfPKfiiiiiiii: ; @_Z19_skinny_gemm_kernelILi2ELi2ELi2ELi16ELi8EEvPKhS1_P6__halfPKfiiiiiiii
; %bb.0:
	v_cmp_gt_u32_e32 vcc, 8, v0
	v_lshlrev_b32_e32 v1, 2, v0
	s_and_saveexec_b64 s[4:5], vcc
; %bb.1:
	v_mov_b32_e32 v2, 0
	ds_write_b32 v1, v2 offset:32768
; %bb.2:
	s_or_b64 exec, exec, s[4:5]
	s_load_dwordx8 s[16:23], s[0:1], 0x20
	s_waitcnt lgkmcnt(0)
	s_barrier
	s_add_i32 s3, s16, 31
	s_ashr_i32 s5, s3, 31
	s_add_i32 s4, s17, 31
	s_lshr_b32 s5, s5, 27
	s_ashr_i32 s6, s4, 31
	s_add_i32 s3, s3, s5
	s_ashr_i32 s33, s3, 5
	s_lshr_b32 s3, s6, 27
	s_add_i32 s4, s4, s3
	s_ashr_i32 s48, s4, 5
	s_mul_i32 s3, s48, s33
	s_mul_i32 s3, s3, s20
	s_add_i32 s4, s3, 0x12f
	s_mul_hi_i32 s4, s4, 0x6bca1af3
	s_lshr_b32 s5, s4, 31
	s_ashr_i32 s4, s4, 7
	s_add_i32 s4, s4, s5
	s_add_i32 s5, s2, 1
	s_mul_i32 s5, s4, s5
	v_cvt_f64_i32_e32 v[2:3], s3
	v_cvt_f64_u32_e32 v[4:5], s5
	v_min_f64 v[2:3], v[2:3], v[4:5]
	v_cvt_i32_f64_e32 v17, v[2:3]
	s_mul_i32 s49, s4, s2
	v_cmp_ge_i32_e32 vcc, s49, v17
	s_cbranch_vccnz .LBB171_50
; %bb.3:
	v_lshrrev_b32_e32 v2, 6, v0
	s_add_i32 s4, s22, s21
	s_load_dwordx8 s[24:31], s[0:1], 0x0
	v_cmp_le_i32_e64 s[0:1], s4, v2
	v_mov_b32_e32 v3, s21
	v_cmp_le_i32_e64 s[2:3], s21, v2
	v_mov_b32_e32 v4, s22
	v_cndmask_b32_e64 v4, 0, v4, s[0:1]
	v_cndmask_b32_e64 v3, 0, v3, s[2:3]
	s_abs_i32 s5, s20
	v_add_u32_e32 v3, v3, v4
	v_cvt_f32_u32_e32 v4, s5
	v_sub_u32_e32 v30, v2, v3
	s_ashr_i32 s6, s18, 31
	s_lshr_b32 s6, s6, 24
	v_rcp_iflag_f32_e32 v3, v4
	s_sub_i32 s9, 0, s5
	s_add_i32 s6, s18, s6
	s_ashr_i32 s6, s6, 8
	v_mul_f32_e32 v3, 0x4f7ffffe, v3
	v_cvt_u32_f32_e32 v3, v3
	s_abs_i32 s8, s6
	s_xor_b32 s7, s6, s20
	s_ashr_i32 s7, s7, 31
	v_readfirstlane_b32 s10, v3
	s_mul_i32 s9, s9, s10
	s_mul_hi_u32 s9, s10, s9
	s_add_i32 s10, s10, s9
	s_mul_hi_u32 s9, s8, s10
	s_mul_i32 s10, s9, s5
	s_sub_i32 s8, s8, s10
	s_add_i32 s10, s9, 1
	s_sub_i32 s11, s8, s5
	s_cmp_ge_u32 s8, s5
	s_cselect_b32 s9, s10, s9
	s_cselect_b32 s8, s11, s8
	s_add_i32 s10, s9, 1
	s_cmp_ge_u32 s8, s5
	s_cselect_b32 s5, s10, s9
	s_xor_b32 s5, s5, s7
	s_sub_i32 s50, s5, s7
	s_add_i32 s20, s20, -1
	s_mul_i32 s5, s50, s20
	s_add_i32 s4, s4, s23
	s_sub_i32 s51, s6, s5
	v_cmp_gt_i32_e64 s[4:5], s4, v2
	v_lshlrev_b32_e32 v2, 1, v0
	v_lshlrev_b32_e32 v3, 4, v0
	s_abs_i32 s52, s33
	v_and_b32_e32 v1, 60, v1
	v_and_b32_e32 v2, 64, v2
	v_and_b32_e32 v4, 0x100, v3
	v_and_b32_e32 v22, 48, v3
	v_cvt_f32_u32_e32 v3, s52
	v_or3_b32 v65, v1, v2, v4
	v_and_b32_e32 v1, 1, v0
	v_lshlrev_b32_e32 v2, 1, v1
	v_lshrrev_b32_e32 v4, 2, v0
	v_and_b32_e32 v16, 14, v0
	v_sub_u32_e32 v2, v0, v2
	v_bitop3_b32 v66, v0, 1, v0 bitop3:0xc
	v_bitop3_b32 v67, v0, 3, 1 bitop3:0x6c
	v_and_or_b32 v68, v4, 12, v1
	v_bfe_u32 v69, v0, 2, 4
	v_and_b32_e32 v1, 60, v0
	v_lshlrev_b32_e32 v4, 8, v0
	v_lshlrev_b32_e32 v0, 6, v0
	v_and_b32_e32 v4, 0x200, v4
	v_rcp_iflag_f32_e32 v3, v3
	v_and_b32_e32 v0, 64, v0
	s_abs_i32 s54, s48
	v_or3_b32 v70, v1, v4, v0
	v_cvt_f32_u32_e32 v1, s54
	v_mul_f32_e32 v0, 0x4f7ffffe, v3
	v_cvt_u32_f32_e32 v0, v0
	v_mad_u64_u32 v[18:19], s[6:7], s17, v68, v[16:17]
	v_rcp_iflag_f32_e32 v1, v1
	v_readfirstlane_b32 s7, v0
	s_sub_i32 s6, 0, s52
	s_mul_i32 s6, s6, s7
	v_mul_f32_e32 v0, 0x4f7ffffe, v1
	v_cvt_u32_f32_e32 v0, v0
	s_mul_hi_u32 s6, s7, s6
	v_add_u32_e32 v2, 1, v2
	s_add_i32 s56, s7, s6
	s_sub_i32 s6, 0, s54
	v_readfirstlane_b32 s7, v0
	v_mbcnt_lo_u32_b32 v0, -1, 0
	v_and_b32_e32 v2, 63, v2
	s_mul_i32 s6, s6, s7
	v_mbcnt_hi_u32_b32 v0, -1, v0
	v_lshl_add_u32 v20, s17, 4, v18
	v_mul_lo_u32 v24, s19, v69
	s_mul_hi_u32 s6, s7, s6
	v_and_or_b32 v0, v0, 64, v2
	v_cndmask_b32_e64 v64, 0, 1, s[0:1]
	s_ashr_i32 s35, s17, 31
	s_mov_b32 s34, s17
	v_ashrrev_i32_e32 v19, 31, v18
	v_ashrrev_i32_e32 v21, 31, v20
	;; [unrolled: 1-line block ×3, first 2 shown]
	v_mov_b32_e32 v23, 0
	s_lshl_b32 s53, s19, 4
	s_ashr_i32 s55, s33, 31
	s_ashr_i32 s57, s48, 31
	s_add_i32 s58, s7, s6
	v_lshlrev_b32_e32 v71, 2, v0
	v_mov_b32_e32 v72, v30
	s_branch .LBB171_7
.LBB171_4:                              ;   in Loop: Header=BB171_7 Depth=1
	s_or_b64 exec, exec, s[10:11]
.LBB171_5:                              ;   in Loop: Header=BB171_7 Depth=1
	s_or_b64 exec, exec, s[8:9]
	v_subrev_u32_e32 v72, s36, v72
.LBB171_6:                              ;   in Loop: Header=BB171_7 Depth=1
	s_or_b64 exec, exec, s[6:7]
	s_add_i32 s49, s49, 1
	v_cmp_ge_i32_e32 vcc, s49, v17
	s_cbranch_vccnz .LBB171_50
.LBB171_7:                              ; =>This Loop Header: Depth=1
                                        ;     Child Loop BB171_13 Depth 2
                                        ;       Child Loop BB171_15 Depth 3
                                        ;       Child Loop BB171_18 Depth 3
	;; [unrolled: 1-line block ×4, first 2 shown]
                                        ;     Child Loop BB171_37 Depth 2
                                        ;       Child Loop BB171_39 Depth 3
                                        ;     Child Loop BB171_47 Depth 2
                                        ;       Child Loop BB171_49 Depth 3
	s_abs_i32 s7, s49
	s_mul_hi_u32 s8, s7, s56
	s_mul_i32 s9, s8, s52
	s_ashr_i32 s6, s49, 31
	s_sub_i32 s7, s7, s9
	s_xor_b32 s6, s6, s55
	s_add_i32 s9, s8, 1
	s_sub_i32 s10, s7, s52
	s_cmp_ge_u32 s7, s52
	s_cselect_b32 s8, s9, s8
	s_cselect_b32 s7, s10, s7
	s_add_i32 s9, s8, 1
	s_cmp_ge_u32 s7, s52
	s_cselect_b32 s7, s9, s8
	s_xor_b32 s7, s7, s6
	s_sub_i32 s6, s7, s6
	s_abs_i32 s8, s6
	s_mul_i32 s7, s6, s33
	s_mul_hi_u32 s9, s8, s58
	s_sub_i32 s7, s49, s7
	s_mul_i32 s10, s9, s54
	s_lshl_b32 s59, s7, 5
	s_ashr_i32 s7, s6, 31
	s_sub_i32 s8, s8, s10
	s_xor_b32 s7, s7, s57
	s_add_i32 s10, s9, 1
	s_sub_i32 s11, s8, s54
	s_cmp_ge_u32 s8, s54
	s_cselect_b32 s9, s10, s9
	s_cselect_b32 s8, s11, s8
	s_add_i32 s10, s9, 1
	s_cmp_ge_u32 s8, s54
	s_cselect_b32 s8, s10, s9
	s_xor_b32 s8, s8, s7
	s_sub_i32 s7, s8, s7
	s_mul_i32 s8, s7, s50
	s_lshl_b32 s60, s8, 8
	s_cmp_eq_u32 s7, s20
	s_cselect_b32 s62, s51, s50
	s_sub_i32 s8, s59, s16
	s_add_i32 s8, s8, 32
	s_max_i32 s61, s8, 0
	s_and_saveexec_b64 s[8:9], s[2:3]
	s_xor_b64 s[36:37], exec, s[8:9]
	s_cbranch_execz .LBB171_43
; %bb.8:                                ;   in Loop: Header=BB171_7 Depth=1
	s_mul_i32 s7, s7, s48
	s_sub_i32 s6, s6, s7
	s_lshl_b32 s6, s6, 5
	s_sub_i32 s14, s6, s17
	s_add_i32 s14, s14, 32
	s_max_i32 s7, s14, 0
	s_sub_i32 s38, s6, s7
	s_and_saveexec_b64 s[6:7], s[0:1]
	s_xor_b64 s[40:41], exec, s[6:7]
	s_cbranch_execz .LBB171_33
; %bb.9:                                ;   in Loop: Header=BB171_7 Depth=1
	s_and_saveexec_b64 s[42:43], s[4:5]
	s_cbranch_execz .LBB171_32
; %bb.10:                               ;   in Loop: Header=BB171_7 Depth=1
	s_waitcnt lgkmcnt(0)
	global_load_dword v73, v23, s[30:31]
	v_mov_b32_e32 v15, 0
	v_cmp_gt_i32_e32 vcc, s62, v72
	v_mov_b32_e32 v14, v15
	v_mov_b32_e32 v13, v15
	v_mov_b32_e32 v12, v15
	v_mov_b32_e32 v11, v15
	v_mov_b32_e32 v10, v15
	v_mov_b32_e32 v9, v15
	v_mov_b32_e32 v8, v15
	v_mov_b32_e32 v7, v15
	v_mov_b32_e32 v6, v15
	v_mov_b32_e32 v5, v15
	v_mov_b32_e32 v4, v15
	v_mov_b32_e32 v3, v15
	v_mov_b32_e32 v2, v15
	v_mov_b32_e32 v1, v15
	v_mov_b32_e32 v0, v15
	s_and_saveexec_b64 s[6:7], vcc
	s_cbranch_execz .LBB171_26
; %bb.11:                               ;   in Loop: Header=BB171_7 Depth=1
	v_mov_b32_e32 v0, 0
	s_mov_b64 s[8:9], 0
	v_mov_b32_e32 v1, v0
	v_mov_b32_e32 v2, v0
	;; [unrolled: 1-line block ×15, first 2 shown]
	s_branch .LBB171_13
.LBB171_12:                             ;   in Loop: Header=BB171_13 Depth=2
	s_or_b64 exec, exec, s[10:11]
	v_add_u32_e32 v38, 0x1000, v76
	ds_read2_b32 v[36:37], v38 offset1:32
	v_add_u32_e32 v42, 0x1400, v76
	v_add_u32_e32 v72, s23, v72
	s_waitcnt lgkmcnt(0)
	v_mfma_f32_16x16x32_fp8_fp8 v[8:11], v[26:27], v[36:37], v[8:11]
	ds_read2_b32 v[26:27], v38 offset0:128 offset1:160
	ds_read2_b32 v[38:39], v42 offset1:32
	ds_read2_b32 v[42:43], v42 offset0:128 offset1:160
	v_mfma_f32_16x16x32_fp8_fp8 v[0:3], v[58:59], v[36:37], v[0:3]
	s_waitcnt lgkmcnt(2)
	v_mfma_f32_16x16x32_fp8_fp8 v[8:11], v[44:45], v[26:27], v[8:11]
	v_mfma_f32_16x16x32_fp8_fp8 v[0:3], v[30:31], v[26:27], v[0:3]
	v_add_u32_e32 v30, s23, v74
	v_add_u32_e32 v26, 2, v64
	v_cmp_lt_i32_e32 vcc, 1, v30
	s_waitcnt lgkmcnt(1)
	v_mfma_f32_16x16x32_fp8_fp8 v[8:11], v[50:51], v[38:39], v[8:11]
	v_add_u32_e32 v50, 0x1800, v76
	ds_read2_b32 v[44:45], v50 offset1:32
	v_cndmask_b32_e32 v64, v64, v26, vcc
	v_mfma_f32_16x16x32_fp8_fp8 v[0:3], v[60:61], v[38:39], v[0:3]
	v_cmp_le_i32_e32 vcc, s62, v72
	s_or_b64 s[8:9], vcc, s[8:9]
	s_waitcnt lgkmcnt(1)
	v_mfma_f32_16x16x32_fp8_fp8 v[8:11], v[46:47], v[42:43], v[8:11]
	ds_read2_b32 v[46:47], v50 offset0:128 offset1:160
	v_add_u32_e32 v50, 0x1c00, v76
	v_mfma_f32_16x16x32_fp8_fp8 v[0:3], v[34:35], v[42:43], v[0:3]
	s_waitcnt lgkmcnt(1)
	v_mfma_f32_16x16x32_fp8_fp8 v[8:11], v[52:53], v[44:45], v[8:11]
	v_mfma_f32_16x16x32_fp8_fp8 v[0:3], v[62:63], v[44:45], v[0:3]
	s_waitcnt lgkmcnt(0)
	v_mfma_f32_16x16x32_fp8_fp8 v[8:11], v[48:49], v[46:47], v[8:11]
	ds_read2_b32 v[48:49], v50 offset1:32
	ds_read2_b32 v[50:51], v50 offset0:128 offset1:160
	;;#ASMSTART
	s_waitcnt lgkmcnt(0)
	;;#ASMEND
	v_mfma_f32_16x16x32_fp8_fp8 v[0:3], v[40:41], v[46:47], v[0:3]
	ds_write_b32 v75, v77 offset:32788
	s_waitcnt lgkmcnt(2)
	v_mfma_f32_16x16x32_fp8_fp8 v[8:11], v[54:55], v[48:49], v[8:11]
	v_mfma_f32_16x16x32_fp8_fp8 v[0:3], v[32:33], v[48:49], v[0:3]
	s_waitcnt lgkmcnt(1)
	v_mfma_f32_16x16x32_fp8_fp8 v[8:11], v[56:57], v[50:51], v[8:11]
	v_mfma_f32_16x16x32_fp8_fp8 v[0:3], v[28:29], v[50:51], v[0:3]
	s_andn2_b64 exec, exec, s[8:9]
	s_cbranch_execz .LBB171_25
.LBB171_13:                             ;   Parent Loop BB171_7 Depth=1
                                        ; =>  This Loop Header: Depth=2
                                        ;       Child Loop BB171_15 Depth 3
                                        ;       Child Loop BB171_18 Depth 3
	;; [unrolled: 1-line block ×4, first 2 shown]
	v_cmp_gt_i32_e32 vcc, 2, v30
	s_nop 1
	v_cndmask_b32_e64 v26, -2, 0, vcc
	v_add_u32_e32 v74, v26, v30
	v_lshlrev_b32_e32 v75, 3, v74
	ds_read_b32 v26, v75 offset:32784
	s_waitcnt lgkmcnt(0)
	v_cmp_ne_u32_e32 vcc, v26, v64
	s_and_saveexec_b64 s[10:11], vcc
	s_cbranch_execz .LBB171_16
; %bb.14:                               ;   in Loop: Header=BB171_13 Depth=2
	s_mov_b64 s[12:13], 0
.LBB171_15:                             ;   Parent Loop BB171_7 Depth=1
                                        ;     Parent Loop BB171_13 Depth=2
                                        ; =>    This Inner Loop Header: Depth=3
	;;#ASMSTART
	s_sleep 0
	;;#ASMEND
	ds_read_b32 v26, v75 offset:32784
	s_waitcnt lgkmcnt(0)
	v_cmp_eq_u32_e32 vcc, v26, v64
	s_or_b64 s[12:13], vcc, s[12:13]
	s_andn2_b64 exec, exec, s[12:13]
	s_cbranch_execnz .LBB171_15
.LBB171_16:                             ;   in Loop: Header=BB171_13 Depth=2
	s_or_b64 exec, exec, s[10:11]
	v_lshlrev_b32_e32 v26, 13, v74
	v_or_b32_e32 v27, 0x4000, v65
	v_add_u32_e32 v76, v27, v26
	v_add_u32_e32 v27, 0x400, v76
	ds_read2_b32 v[30:31], v76 offset1:32
	ds_read2_b32 v[28:29], v76 offset0:128 offset1:160
	ds_read2_b32 v[34:35], v27 offset1:32
	ds_read2_b32 v[32:33], v27 offset0:128 offset1:160
	v_add_u32_e32 v27, 0x800, v76
	ds_read2_b32 v[40:41], v27 offset1:32
	ds_read2_b32 v[38:39], v27 offset0:128 offset1:160
	v_add_u32_e32 v27, 0xc00, v76
	ds_read2_b32 v[42:43], v27 offset1:32
	ds_read2_b32 v[36:37], v27 offset0:128 offset1:160
	;;#ASMSTART
	s_waitcnt lgkmcnt(0)
	;;#ASMEND
	ds_read_b32 v27, v75 offset:32768
	v_add_u32_e32 v77, 1, v64
	ds_write_b32 v75, v77 offset:32784
	s_waitcnt lgkmcnt(1)
	v_cmp_ne_u32_e32 vcc, v27, v64
	s_and_saveexec_b64 s[10:11], vcc
	s_cbranch_execz .LBB171_19
; %bb.17:                               ;   in Loop: Header=BB171_13 Depth=2
	s_mov_b64 s[12:13], 0
.LBB171_18:                             ;   Parent Loop BB171_7 Depth=1
                                        ;     Parent Loop BB171_13 Depth=2
                                        ; =>    This Inner Loop Header: Depth=3
	;;#ASMSTART
	s_sleep 0
	;;#ASMEND
	ds_read_b32 v27, v75 offset:32768
	s_waitcnt lgkmcnt(0)
	v_cmp_eq_u32_e32 vcc, v27, v64
	s_or_b64 s[12:13], vcc, s[12:13]
	s_andn2_b64 exec, exec, s[12:13]
	s_cbranch_execnz .LBB171_18
.LBB171_19:                             ;   in Loop: Header=BB171_13 Depth=2
	s_or_b64 exec, exec, s[10:11]
	v_add_u32_e32 v78, v65, v26
	ds_read2_b32 v[26:27], v78 offset1:32
	ds_read2_b32 v[44:45], v78 offset0:128 offset1:160
	v_add_u32_e32 v46, 0x400, v78
	ds_read2_b32 v[50:51], v46 offset1:32
	ds_read2_b32 v[46:47], v46 offset0:128 offset1:160
	;; [unrolled: 3-line block ×3, first 2 shown]
	v_add_u32_e32 v56, 0xc00, v78
	s_waitcnt lgkmcnt(5)
	v_mfma_f32_16x16x32_fp8_fp8 v[12:15], v[26:27], v[30:31], v[12:15]
	ds_read2_b32 v[54:55], v56 offset1:32
	ds_read2_b32 v[56:57], v56 offset0:128 offset1:160
	ds_read_b32 v58, v75 offset:32772
	ds_write_b32 v75, v77 offset:32768
	s_waitcnt lgkmcnt(8)
	v_mfma_f32_16x16x32_fp8_fp8 v[12:15], v[44:45], v[28:29], v[12:15]
	s_waitcnt lgkmcnt(1)
	v_cmp_ne_u32_e32 vcc, v58, v64
	v_mfma_f32_16x16x32_fp8_fp8 v[12:15], v[50:51], v[34:35], v[12:15]
	v_mfma_f32_16x16x32_fp8_fp8 v[12:15], v[46:47], v[32:33], v[12:15]
	;; [unrolled: 1-line block ×6, first 2 shown]
	s_and_saveexec_b64 s[10:11], vcc
	s_cbranch_execz .LBB171_22
; %bb.20:                               ;   in Loop: Header=BB171_13 Depth=2
	s_mov_b64 s[12:13], 0
.LBB171_21:                             ;   Parent Loop BB171_7 Depth=1
                                        ;     Parent Loop BB171_13 Depth=2
                                        ; =>    This Inner Loop Header: Depth=3
	;;#ASMSTART
	s_sleep 0
	;;#ASMEND
	ds_read_b32 v58, v75 offset:32772
	s_waitcnt lgkmcnt(0)
	v_cmp_eq_u32_e32 vcc, v58, v64
	s_or_b64 s[12:13], vcc, s[12:13]
	s_andn2_b64 exec, exec, s[12:13]
	s_cbranch_execnz .LBB171_21
.LBB171_22:                             ;   in Loop: Header=BB171_13 Depth=2
	s_or_b64 exec, exec, s[10:11]
	v_add_u32_e32 v60, 0x1000, v78
	ds_read2_b32 v[58:59], v60 offset1:32
	v_add_u32_e32 v62, 0x1400, v78
	s_waitcnt lgkmcnt(0)
	v_mfma_f32_16x16x32_fp8_fp8 v[4:7], v[58:59], v[30:31], v[4:7]
	ds_read2_b32 v[30:31], v60 offset0:128 offset1:160
	ds_read2_b32 v[60:61], v62 offset1:32
	s_waitcnt lgkmcnt(1)
	v_mfma_f32_16x16x32_fp8_fp8 v[4:7], v[30:31], v[28:29], v[4:7]
	v_add_u32_e32 v28, 0x1800, v78
	s_waitcnt lgkmcnt(0)
	v_mfma_f32_16x16x32_fp8_fp8 v[4:7], v[60:61], v[34:35], v[4:7]
	ds_read2_b32 v[34:35], v62 offset0:128 offset1:160
	ds_read2_b32 v[62:63], v28 offset1:32
	s_waitcnt lgkmcnt(1)
	v_mfma_f32_16x16x32_fp8_fp8 v[4:7], v[34:35], v[32:33], v[4:7]
	s_waitcnt lgkmcnt(0)
	v_mfma_f32_16x16x32_fp8_fp8 v[4:7], v[62:63], v[40:41], v[4:7]
	ds_read2_b32 v[40:41], v28 offset0:128 offset1:160
	v_add_u32_e32 v28, 0x1c00, v78
	ds_read2_b32 v[32:33], v28 offset1:32
	s_waitcnt lgkmcnt(1)
	v_mfma_f32_16x16x32_fp8_fp8 v[4:7], v[40:41], v[38:39], v[4:7]
	ds_read2_b32 v[28:29], v28 offset0:128 offset1:160
	ds_read_b32 v38, v75 offset:32788
	ds_write_b32 v75, v77 offset:32772
	s_waitcnt lgkmcnt(1)
	v_cmp_ne_u32_e32 vcc, v38, v64
	v_mfma_f32_16x16x32_fp8_fp8 v[4:7], v[32:33], v[42:43], v[4:7]
	v_mfma_f32_16x16x32_fp8_fp8 v[4:7], v[28:29], v[36:37], v[4:7]
	s_and_saveexec_b64 s[10:11], vcc
	s_cbranch_execz .LBB171_12
; %bb.23:                               ;   in Loop: Header=BB171_13 Depth=2
	s_mov_b64 s[12:13], 0
.LBB171_24:                             ;   Parent Loop BB171_7 Depth=1
                                        ;     Parent Loop BB171_13 Depth=2
                                        ; =>    This Inner Loop Header: Depth=3
	;;#ASMSTART
	s_sleep 0
	;;#ASMEND
	ds_read_b32 v36, v75 offset:32788
	s_waitcnt lgkmcnt(0)
	v_cmp_eq_u32_e32 vcc, v36, v64
	s_or_b64 s[12:13], vcc, s[12:13]
	s_andn2_b64 exec, exec, s[12:13]
	s_cbranch_execnz .LBB171_24
	s_branch .LBB171_12
.LBB171_25:                             ;   in Loop: Header=BB171_7 Depth=1
	s_or_b64 exec, exec, s[8:9]
.LBB171_26:                             ;   in Loop: Header=BB171_7 Depth=1
	s_or_b64 exec, exec, s[6:7]
	v_cmp_le_i32_e32 vcc, s14, v16
	v_cmp_eq_u32_e64 s[6:7], 2, v66
	v_cmp_eq_u32_e64 s[8:9], 3, v66
	s_waitcnt vmcnt(0)
	v_cndmask_b32_e32 v26, 0, v73, vcc
	v_pk_mul_f32 v[12:13], v[26:27], v[12:13] op_sel_hi:[0,1]
	v_cmp_eq_u32_e32 vcc, 1, v66
	v_pk_mul_f32 v[28:29], v[26:27], v[14:15] op_sel_hi:[0,1]
	v_cmp_eq_u32_e64 s[10:11], 0, v66
	v_cndmask_b32_e32 v14, v12, v13, vcc
	v_cndmask_b32_e64 v14, v14, v28, s[6:7]
	v_cndmask_b32_e64 v14, v14, v29, s[8:9]
	ds_bpermute_b32 v27, v71, v14
	v_cmp_eq_u32_e64 s[12:13], 1, v67
	v_add_u32_e32 v31, s61, v68
	s_waitcnt lgkmcnt(0)
	v_cndmask_b32_e64 v14, v29, v27, s[8:9]
	v_cndmask_b32_e64 v15, v28, v27, s[6:7]
	v_cndmask_b32_e32 v13, v13, v27, vcc
	v_cndmask_b32_e64 v27, v12, v27, s[10:11]
	v_or_b32_e32 v12, 16, v16
	v_cmp_le_i32_e64 s[14:15], s14, v12
	v_cndmask_b32_e64 v28, v27, v13, s[12:13]
	s_nop 0
	v_cndmask_b32_e64 v12, 0, v73, s[14:15]
	v_pk_mul_f32 v[34:35], v[12:13], v[8:9] op_sel_hi:[0,1]
	v_pk_mul_f32 v[32:33], v[12:13], v[10:11] op_sel_hi:[0,1]
	v_cndmask_b32_e32 v8, v34, v35, vcc
	v_cndmask_b32_e64 v8, v8, v32, s[6:7]
	v_cndmask_b32_e64 v8, v8, v33, s[8:9]
	ds_bpermute_b32 v9, v71, v8
	v_cmp_eq_u32_e32 vcc, 2, v67
	v_cmp_eq_u32_e64 s[14:15], 3, v67
	s_waitcnt lgkmcnt(0)
	v_cndmask_b32_e64 v11, v32, v9, s[6:7]
	v_cndmask_b32_e32 v8, v28, v15, vcc
	v_cndmask_b32_e64 v8, v8, v14, s[14:15]
	v_cmp_ne_u32_e64 s[6:7], 0, v66
	ds_bpermute_b32 v28, v71, v8
	v_cndmask_b32_e64 v10, v33, v9, s[8:9]
	v_cndmask_b32_e64 v8, v35, v9, s[6:7]
	;; [unrolled: 1-line block ×4, first 2 shown]
	v_cndmask_b32_e32 v29, v29, v11, vcc
	v_cndmask_b32_e64 v29, v29, v10, s[14:15]
	ds_bpermute_b32 v29, v71, v29
	v_cmp_gt_u32_e32 vcc, 32, v31
	s_and_saveexec_b64 s[44:45], vcc
	s_cbranch_execz .LBB171_31
; %bb.27:                               ;   in Loop: Header=BB171_7 Depth=1
	v_cmp_eq_u32_e64 s[8:9], 1, v67
	v_cmp_eq_u32_e64 s[10:11], 0, v67
	v_cmp_eq_u32_e32 vcc, 3, v67
	s_waitcnt lgkmcnt(1)
	v_cndmask_b32_e64 v13, v13, v28, s[8:9]
	s_waitcnt lgkmcnt(0)
	v_cndmask_b32_e64 v32, v8, v29, s[8:9]
	s_mul_i32 s8, s59, s17
	s_ashr_i32 s9, s8, 31
	s_lshl_b64 s[8:9], s[8:9], 1
	v_cndmask_b32_e64 v27, v27, v28, s[10:11]
	v_cndmask_b32_e64 v33, v9, v29, s[10:11]
	s_add_u32 s10, s28, s8
	s_addc_u32 s11, s29, s9
	s_ashr_i32 s39, s38, 31
	v_cvt_f16_f32_e32 v27, v27
	v_cvt_f16_f32_sdwa v13, v13 dst_sel:WORD_1 dst_unused:UNUSED_PAD src0_sel:DWORD
	s_lshl_b64 s[8:9], s[38:39], 1
	v_cvt_f16_f32_e32 v34, v33
	v_cvt_f16_f32_sdwa v35, v32 dst_sel:WORD_1 dst_unused:UNUSED_PAD src0_sel:DWORD
	s_add_u32 s46, s10, s8
	s_addc_u32 s47, s11, s9
	v_cmp_eq_u32_e64 s[6:7], 2, v67
	v_lshl_add_u64 v[8:9], v[18:19], 1, s[46:47]
	v_or_b32_e32 v13, v13, v27
	v_cmp_gt_u32_e64 s[8:9], 30, v31
	;;#ASMSTART
	global_atomic_pk_add_f16 v[8:9], v13, off
	
	;;#ASMEND
	v_lshl_add_u64 v[32:33], v[8:9], 0, 32
	v_or_b32_e32 v13, v35, v34
	;;#ASMSTART
	global_atomic_pk_add_f16 v[32:33], v13, off
	
	;;#ASMEND
	s_and_b64 exec, exec, s[8:9]
	s_cbranch_execz .LBB171_31
; %bb.28:                               ;   in Loop: Header=BB171_7 Depth=1
	v_mov_b32_e32 v27, v26
	v_cndmask_b32_e32 v14, v14, v28, vcc
	v_cndmask_b32_e64 v15, v15, v28, s[6:7]
	v_cndmask_b32_e32 v28, v10, v29, vcc
	v_cndmask_b32_e64 v29, v11, v29, s[6:7]
	v_mov_b32_e32 v10, v26
	v_mov_b32_e32 v11, v26
	v_pk_mul_f32 v[6:7], v[10:11], v[6:7]
	v_pk_mul_f32 v[10:11], v[26:27], v[4:5]
	v_cmp_eq_u32_e32 vcc, 1, v66
	v_cmp_eq_u32_e64 s[6:7], 2, v66
	v_cmp_eq_u32_e64 s[8:9], 3, v66
	v_cndmask_b32_e32 v4, v10, v11, vcc
	v_cndmask_b32_e64 v4, v4, v6, s[6:7]
	v_cndmask_b32_e64 v4, v4, v7, s[8:9]
	v_cvt_f16_f32_e32 v15, v15
	v_cvt_f16_f32_sdwa v14, v14 dst_sel:WORD_1 dst_unused:UNUSED_PAD src0_sel:DWORD
	ds_bpermute_b32 v26, v71, v4
	v_mov_b32_e32 v13, v12
	v_lshl_add_u64 v[8:9], s[34:35], 2, v[8:9]
	v_or_b32_e32 v14, v14, v15
	v_cmp_eq_u32_e64 s[10:11], 0, v66
	;;#ASMSTART
	global_atomic_pk_add_f16 v[8:9], v14, off
	
	;;#ASMEND
	v_lshl_add_u64 v[14:15], v[8:9], 0, 32
	s_waitcnt lgkmcnt(0)
	v_cndmask_b32_e64 v4, v7, v26, s[8:9]
	v_cndmask_b32_e64 v5, v6, v26, s[6:7]
	v_cndmask_b32_e32 v6, v11, v26, vcc
	v_cndmask_b32_e64 v7, v10, v26, s[10:11]
	v_mov_b32_e32 v8, v12
	v_mov_b32_e32 v9, v12
	v_pk_mul_f32 v[10:11], v[12:13], v[0:1]
	v_pk_mul_f32 v[8:9], v[8:9], v[2:3]
	v_cndmask_b32_e32 v0, v10, v11, vcc
	v_cndmask_b32_e64 v0, v0, v8, s[6:7]
	v_cndmask_b32_e64 v0, v0, v9, s[8:9]
	ds_bpermute_b32 v1, v71, v0
	v_cmp_eq_u32_e64 s[12:13], 1, v67
	v_cmp_eq_u32_e32 vcc, 2, v67
	v_cmp_eq_u32_e64 s[14:15], 3, v67
	v_cndmask_b32_e64 v26, v7, v6, s[12:13]
	v_cndmask_b32_e32 v0, v26, v5, vcc
	v_cndmask_b32_e64 v0, v0, v4, s[14:15]
	s_waitcnt lgkmcnt(0)
	v_cndmask_b32_e64 v8, v8, v1, s[6:7]
	v_cmp_ne_u32_e64 s[6:7], 0, v66
	ds_bpermute_b32 v2, v71, v0
	v_cndmask_b32_e64 v3, v9, v1, s[8:9]
	v_cndmask_b32_e64 v0, v11, v1, s[6:7]
	;; [unrolled: 1-line block ×3, first 2 shown]
	v_cvt_f16_f32_e32 v27, v29
	v_cvt_f16_f32_sdwa v28, v28 dst_sel:WORD_1 dst_unused:UNUSED_PAD src0_sel:DWORD
	v_cndmask_b32_e64 v9, v1, v0, s[12:13]
	v_cndmask_b32_e32 v9, v9, v8, vcc
	v_cndmask_b32_e64 v9, v9, v3, s[14:15]
	ds_bpermute_b32 v9, v71, v9
	v_or_b32_e32 v10, v28, v27
	;;#ASMSTART
	global_atomic_pk_add_f16 v[14:15], v10, off
	
	;;#ASMEND
	v_or_b32_e32 v10, 16, v68
	v_add_u32_e32 v10, s61, v10
	v_cmp_gt_u32_e32 vcc, 32, v10
	s_and_b64 exec, exec, vcc
	s_cbranch_execz .LBB171_31
; %bb.29:                               ;   in Loop: Header=BB171_7 Depth=1
	v_cmp_eq_u32_e64 s[8:9], 1, v67
	v_cmp_eq_u32_e64 s[10:11], 0, v67
	v_cmp_eq_u32_e32 vcc, 3, v67
	s_waitcnt lgkmcnt(1)
	v_cndmask_b32_e64 v6, v6, v2, s[8:9]
	v_cndmask_b32_e64 v7, v7, v2, s[10:11]
	s_waitcnt lgkmcnt(0)
	v_cndmask_b32_e64 v11, v0, v9, s[8:9]
	v_cndmask_b32_e64 v12, v1, v9, s[10:11]
	v_cvt_f16_f32_e32 v7, v7
	v_cvt_f16_f32_sdwa v6, v6 dst_sel:WORD_1 dst_unused:UNUSED_PAD src0_sel:DWORD
	v_cvt_f16_f32_e32 v12, v12
	v_cvt_f16_f32_sdwa v11, v11 dst_sel:WORD_1 dst_unused:UNUSED_PAD src0_sel:DWORD
	v_cmp_eq_u32_e64 s[6:7], 2, v67
	v_lshl_add_u64 v[0:1], v[20:21], 1, s[46:47]
	v_or_b32_e32 v6, v6, v7
	v_cmp_gt_u32_e64 s[8:9], 30, v10
	;;#ASMSTART
	global_atomic_pk_add_f16 v[0:1], v6, off
	
	;;#ASMEND
	v_lshl_add_u64 v[6:7], v[0:1], 0, 32
	v_or_b32_e32 v11, v11, v12
	;;#ASMSTART
	global_atomic_pk_add_f16 v[6:7], v11, off
	
	;;#ASMEND
	s_and_b64 exec, exec, s[8:9]
	s_cbranch_execz .LBB171_31
; %bb.30:                               ;   in Loop: Header=BB171_7 Depth=1
	v_cndmask_b32_e32 v4, v4, v2, vcc
	v_cndmask_b32_e64 v2, v5, v2, s[6:7]
	v_cndmask_b32_e32 v3, v3, v9, vcc
	v_cndmask_b32_e64 v5, v8, v9, s[6:7]
	v_cvt_f16_f32_e32 v2, v2
	v_cvt_f16_f32_sdwa v4, v4 dst_sel:WORD_1 dst_unused:UNUSED_PAD src0_sel:DWORD
	v_cvt_f16_f32_e32 v5, v5
	v_cvt_f16_f32_sdwa v3, v3 dst_sel:WORD_1 dst_unused:UNUSED_PAD src0_sel:DWORD
	v_lshl_add_u64 v[0:1], s[34:35], 2, v[0:1]
	v_or_b32_e32 v2, v4, v2
	;;#ASMSTART
	global_atomic_pk_add_f16 v[0:1], v2, off
	
	;;#ASMEND
	v_lshl_add_u64 v[0:1], v[0:1], 0, 32
	v_or_b32_e32 v2, v3, v5
	;;#ASMSTART
	global_atomic_pk_add_f16 v[0:1], v2, off
	
	;;#ASMEND
.LBB171_31:                             ;   in Loop: Header=BB171_7 Depth=1
	s_or_b64 exec, exec, s[44:45]
	v_subrev_u32_e32 v72, s62, v72
.LBB171_32:                             ;   in Loop: Header=BB171_7 Depth=1
	s_or_b64 exec, exec, s[42:43]
.LBB171_33:                             ;   in Loop: Header=BB171_7 Depth=1
	s_andn2_saveexec_b64 s[6:7], s[40:41]
	s_cbranch_execz .LBB171_42
; %bb.34:                               ;   in Loop: Header=BB171_7 Depth=1
	s_lshl_b32 s39, s62, 1
	v_cmp_gt_i32_e32 vcc, s39, v72
	s_and_saveexec_b64 s[8:9], vcc
	s_cbranch_execz .LBB171_41
; %bb.35:                               ;   in Loop: Header=BB171_7 Depth=1
	s_mul_i32 s10, s38, s19
	s_ashr_i32 s11, s10, 31
	s_waitcnt lgkmcnt(0)
	s_add_u32 s10, s26, s10
	s_addc_u32 s11, s27, s11
	s_ashr_i32 s12, s60, 31
	s_add_u32 s10, s10, s60
	s_addc_u32 s11, s11, s12
	v_lshl_add_u64 v[0:1], s[10:11], 0, v[24:25]
	v_lshl_add_u64 v[26:27], v[0:1], 0, v[22:23]
	s_mov_b64 s[10:11], 0
	s_branch .LBB171_37
.LBB171_36:                             ;   in Loop: Header=BB171_37 Depth=2
	s_or_b64 exec, exec, s[12:13]
	v_or_b32_e32 v30, 0x4000, v70
	v_lshl_add_u32 v30, v28, 12, v30
	;;#ASMSTART
	s_waitcnt vmcnt(3)
	;;#ASMEND
	ds_write2_b32 v30, v12, v13 offset1:32
	ds_write2_b32 v30, v14, v15 offset0:64 offset1:96
	v_add_u32_e32 v12, 0x400, v30
	;;#ASMSTART
	s_waitcnt vmcnt(2)
	;;#ASMEND
	ds_write2_b32 v12, v8, v9 offset1:32
	ds_write2_b32 v12, v10, v11 offset0:64 offset1:96
	v_add_u32_e32 v8, 0x800, v30
	;; [unrolled: 6-line block ×3, first 2 shown]
	v_add_u32_e32 v72, s22, v72
	;;#ASMSTART
	s_waitcnt vmcnt(0)
	;;#ASMEND
	ds_write2_b32 v4, v0, v1 offset1:32
	ds_write2_b32 v4, v2, v3 offset0:64 offset1:96
	v_add_u32_e32 v0, 1, v64
	v_add_u32_e32 v30, s22, v28
	v_cmp_le_i32_e32 vcc, s39, v72
	ds_write_b32 v29, v0 offset:16
	v_add_u32_e32 v0, 2, v64
	s_or_b64 s[10:11], vcc, s[10:11]
	v_cmp_lt_i32_e32 vcc, 3, v30
	s_nop 1
	v_cndmask_b32_e32 v64, v64, v0, vcc
	s_andn2_b64 exec, exec, s[10:11]
	s_cbranch_execz .LBB171_40
.LBB171_37:                             ;   Parent Loop BB171_7 Depth=1
                                        ; =>  This Loop Header: Depth=2
                                        ;       Child Loop BB171_39 Depth 3
	v_cmp_gt_i32_e32 vcc, 4, v30
	s_nop 1
	v_cndmask_b32_e64 v0, -4, 0, vcc
	v_add_u32_e32 v28, v0, v30
	v_lshrrev_b32_e32 v0, 31, v72
	v_add_u32_e32 v0, v72, v0
	v_and_b32_e32 v1, -2, v0
	v_lshlrev_b32_e32 v0, 7, v0
	v_sub_u32_e32 v2, v72, v1
	v_and_b32_e32 v0, 0xffffff00, v0
	v_ashrrev_i32_e32 v1, 31, v0
	v_mul_lo_u32 v2, s53, v2
	v_lshl_add_u64 v[0:1], v[26:27], 0, v[0:1]
	v_ashrrev_i32_e32 v3, 31, v2
	v_lshl_add_u64 v[0:1], v[0:1], 0, v[2:3]
	v_lshlrev_b32_e32 v29, 2, v28
	;;#ASMSTART
	global_load_dwordx4 v[12:15], v[0:1], off offset:0    sc0 sc1 nt  
	global_load_dwordx4 v[8:11], v[0:1], off offset:64   sc0 sc1 nt  
	global_load_dwordx4 v[4:7], v[0:1], off offset:128  sc0 sc1 nt  
	global_load_dwordx4 v[0:3], v[0:1], off offset:192  sc0 sc1 nt  
	
	;;#ASMEND
	ds_read_b32 v30, v29 offset:32784
	v_add_u32_e32 v29, 0x8000, v29
	s_waitcnt lgkmcnt(0)
	v_cmp_ne_u32_e32 vcc, v30, v64
	s_and_saveexec_b64 s[12:13], vcc
	s_cbranch_execz .LBB171_36
; %bb.38:                               ;   in Loop: Header=BB171_37 Depth=2
	s_mov_b64 s[14:15], 0
.LBB171_39:                             ;   Parent Loop BB171_7 Depth=1
                                        ;     Parent Loop BB171_37 Depth=2
                                        ; =>    This Inner Loop Header: Depth=3
	;;#ASMSTART
	s_sleep 0
	;;#ASMEND
	ds_read_b32 v30, v29 offset:16
	s_waitcnt lgkmcnt(0)
	v_cmp_eq_u32_e32 vcc, v30, v64
	s_or_b64 s[14:15], vcc, s[14:15]
	s_andn2_b64 exec, exec, s[14:15]
	s_cbranch_execnz .LBB171_39
	s_branch .LBB171_36
.LBB171_40:                             ;   in Loop: Header=BB171_7 Depth=1
	s_or_b64 exec, exec, s[10:11]
.LBB171_41:                             ;   in Loop: Header=BB171_7 Depth=1
	s_or_b64 exec, exec, s[8:9]
	v_subrev_u32_e32 v72, s39, v72
.LBB171_42:                             ;   in Loop: Header=BB171_7 Depth=1
	s_or_b64 exec, exec, s[6:7]
.LBB171_43:                             ;   in Loop: Header=BB171_7 Depth=1
	s_andn2_saveexec_b64 s[6:7], s[36:37]
	s_cbranch_execz .LBB171_6
; %bb.44:                               ;   in Loop: Header=BB171_7 Depth=1
	s_lshl_b32 s36, s62, 1
	v_cmp_gt_i32_e32 vcc, s36, v72
	s_and_saveexec_b64 s[8:9], vcc
	s_cbranch_execz .LBB171_5
; %bb.45:                               ;   in Loop: Header=BB171_7 Depth=1
	s_mul_i32 s59, s59, s18
	s_ashr_i32 s10, s59, 31
	s_waitcnt lgkmcnt(0)
	s_add_u32 s11, s24, s59
	v_add_u32_e32 v2, s61, v69
	s_addc_u32 s12, s25, s10
	s_ashr_i32 s13, s60, 31
	v_mul_lo_u32 v0, s18, v69
	v_cmp_gt_u32_e32 vcc, 32, v2
	s_add_u32 s10, s11, s60
	s_addc_u32 s11, s12, s13
	v_cndmask_b32_e32 v0, 0, v0, vcc
	v_ashrrev_i32_e32 v1, 31, v0
	v_lshl_add_u64 v[0:1], s[10:11], 0, v[0:1]
	v_lshl_add_u64 v[26:27], v[0:1], 0, v[22:23]
	v_sub_u32_e32 v28, 31, v2
	s_mov_b64 s[10:11], 0
	s_branch .LBB171_47
.LBB171_46:                             ;   in Loop: Header=BB171_47 Depth=2
	s_or_b64 exec, exec, s[12:13]
	v_lshl_or_b32 v31, v29, 12, v70
	;;#ASMSTART
	s_waitcnt vmcnt(3)
	;;#ASMEND
	ds_write2_b32 v31, v12, v13 offset1:32
	ds_write2_b32 v31, v14, v15 offset0:64 offset1:96
	v_add_u32_e32 v12, 0x400, v31
	;;#ASMSTART
	s_waitcnt vmcnt(2)
	;;#ASMEND
	ds_write2_b32 v12, v8, v9 offset1:32
	ds_write2_b32 v12, v10, v11 offset0:64 offset1:96
	v_add_u32_e32 v8, 0x800, v31
	;;#ASMSTART
	s_waitcnt vmcnt(1)
	;;#ASMEND
	ds_write2_b32 v8, v4, v5 offset1:32
	ds_write2_b32 v8, v6, v7 offset0:64 offset1:96
	v_add_u32_e32 v4, 0xc00, v31
	;;#ASMSTART
	s_waitcnt vmcnt(0)
	;;#ASMEND
	ds_write2_b32 v4, v0, v1 offset1:32
	ds_write2_b32 v4, v2, v3 offset0:64 offset1:96
	v_add_u32_e32 v0, 1, v64
	v_add_u32_e32 v72, s21, v72
	ds_write_b32 v30, v0
	v_add_u32_e32 v30, s21, v29
	v_cmp_le_i32_e32 vcc, s36, v72
	v_add_u32_e32 v0, 2, v64
	s_or_b64 s[10:11], vcc, s[10:11]
	v_cmp_lt_i32_e32 vcc, 3, v30
	s_nop 1
	v_cndmask_b32_e32 v64, v64, v0, vcc
	s_andn2_b64 exec, exec, s[10:11]
	s_cbranch_execz .LBB171_4
.LBB171_47:                             ;   Parent Loop BB171_7 Depth=1
                                        ; =>  This Loop Header: Depth=2
                                        ;       Child Loop BB171_49 Depth 3
	v_cmp_gt_i32_e32 vcc, 4, v30
	s_nop 1
	v_cndmask_b32_e64 v0, -4, 0, vcc
	v_add_u32_e32 v29, v0, v30
	v_lshrrev_b32_e32 v0, 31, v72
	v_add_u32_e32 v0, v72, v0
	v_and_b32_e32 v1, 0xffffffe, v0
	v_sub_u32_e32 v1, v72, v1
	v_lshlrev_b32_e32 v1, 4, v1
	v_cmp_le_i32_e32 vcc, v1, v28
	v_lshlrev_b32_e32 v0, 7, v0
	v_and_b32_e32 v0, 0xffffff00, v0
	v_cndmask_b32_e32 v2, 0, v1, vcc
	v_ashrrev_i32_e32 v1, 31, v0
	v_mul_lo_u32 v2, v2, s18
	v_lshl_add_u64 v[0:1], v[26:27], 0, v[0:1]
	v_ashrrev_i32_e32 v3, 31, v2
	v_lshl_add_u64 v[0:1], v[0:1], 0, v[2:3]
	v_lshlrev_b32_e32 v30, 2, v29
	;;#ASMSTART
	global_load_dwordx4 v[12:15], v[0:1], off offset:0    
	global_load_dwordx4 v[8:11], v[0:1], off offset:64   
	;; [unrolled: 1-line block ×4, first 2 shown]
	
	;;#ASMEND
	ds_read_b32 v31, v30 offset:32768
	v_add_u32_e32 v30, 0x8000, v30
	s_waitcnt lgkmcnt(0)
	v_cmp_ne_u32_e32 vcc, v31, v64
	s_and_saveexec_b64 s[12:13], vcc
	s_cbranch_execz .LBB171_46
; %bb.48:                               ;   in Loop: Header=BB171_47 Depth=2
	s_mov_b64 s[14:15], 0
.LBB171_49:                             ;   Parent Loop BB171_7 Depth=1
                                        ;     Parent Loop BB171_47 Depth=2
                                        ; =>    This Inner Loop Header: Depth=3
	;;#ASMSTART
	s_sleep 0
	;;#ASMEND
	ds_read_b32 v31, v30
	s_waitcnt lgkmcnt(0)
	v_cmp_eq_u32_e32 vcc, v31, v64
	s_or_b64 s[14:15], vcc, s[14:15]
	s_andn2_b64 exec, exec, s[14:15]
	s_cbranch_execnz .LBB171_49
	s_branch .LBB171_46
.LBB171_50:
	s_endpgm
	.section	.rodata,"a",@progbits
	.p2align	6, 0x0
	.amdhsa_kernel _Z19_skinny_gemm_kernelILi2ELi2ELi2ELi16ELi8EEvPKhS1_P6__halfPKfiiiiiiii
		.amdhsa_group_segment_fixed_size 32800
		.amdhsa_private_segment_fixed_size 0
		.amdhsa_kernarg_size 64
		.amdhsa_user_sgpr_count 2
		.amdhsa_user_sgpr_dispatch_ptr 0
		.amdhsa_user_sgpr_queue_ptr 0
		.amdhsa_user_sgpr_kernarg_segment_ptr 1
		.amdhsa_user_sgpr_dispatch_id 0
		.amdhsa_user_sgpr_kernarg_preload_length 0
		.amdhsa_user_sgpr_kernarg_preload_offset 0
		.amdhsa_user_sgpr_private_segment_size 0
		.amdhsa_uses_dynamic_stack 0
		.amdhsa_enable_private_segment 0
		.amdhsa_system_sgpr_workgroup_id_x 1
		.amdhsa_system_sgpr_workgroup_id_y 0
		.amdhsa_system_sgpr_workgroup_id_z 0
		.amdhsa_system_sgpr_workgroup_info 0
		.amdhsa_system_vgpr_workitem_id 0
		.amdhsa_next_free_vgpr 79
		.amdhsa_next_free_sgpr 63
		.amdhsa_accum_offset 80
		.amdhsa_reserve_vcc 1
		.amdhsa_float_round_mode_32 0
		.amdhsa_float_round_mode_16_64 0
		.amdhsa_float_denorm_mode_32 3
		.amdhsa_float_denorm_mode_16_64 3
		.amdhsa_dx10_clamp 1
		.amdhsa_ieee_mode 1
		.amdhsa_fp16_overflow 0
		.amdhsa_tg_split 0
		.amdhsa_exception_fp_ieee_invalid_op 0
		.amdhsa_exception_fp_denorm_src 0
		.amdhsa_exception_fp_ieee_div_zero 0
		.amdhsa_exception_fp_ieee_overflow 0
		.amdhsa_exception_fp_ieee_underflow 0
		.amdhsa_exception_fp_ieee_inexact 0
		.amdhsa_exception_int_div_zero 0
	.end_amdhsa_kernel
	.section	.text._Z19_skinny_gemm_kernelILi2ELi2ELi2ELi16ELi8EEvPKhS1_P6__halfPKfiiiiiiii,"axG",@progbits,_Z19_skinny_gemm_kernelILi2ELi2ELi2ELi16ELi8EEvPKhS1_P6__halfPKfiiiiiiii,comdat
.Lfunc_end171:
	.size	_Z19_skinny_gemm_kernelILi2ELi2ELi2ELi16ELi8EEvPKhS1_P6__halfPKfiiiiiiii, .Lfunc_end171-_Z19_skinny_gemm_kernelILi2ELi2ELi2ELi16ELi8EEvPKhS1_P6__halfPKfiiiiiiii
                                        ; -- End function
	.set _Z19_skinny_gemm_kernelILi2ELi2ELi2ELi16ELi8EEvPKhS1_P6__halfPKfiiiiiiii.num_vgpr, 79
	.set _Z19_skinny_gemm_kernelILi2ELi2ELi2ELi16ELi8EEvPKhS1_P6__halfPKfiiiiiiii.num_agpr, 0
	.set _Z19_skinny_gemm_kernelILi2ELi2ELi2ELi16ELi8EEvPKhS1_P6__halfPKfiiiiiiii.numbered_sgpr, 63
	.set _Z19_skinny_gemm_kernelILi2ELi2ELi2ELi16ELi8EEvPKhS1_P6__halfPKfiiiiiiii.num_named_barrier, 0
	.set _Z19_skinny_gemm_kernelILi2ELi2ELi2ELi16ELi8EEvPKhS1_P6__halfPKfiiiiiiii.private_seg_size, 0
	.set _Z19_skinny_gemm_kernelILi2ELi2ELi2ELi16ELi8EEvPKhS1_P6__halfPKfiiiiiiii.uses_vcc, 1
	.set _Z19_skinny_gemm_kernelILi2ELi2ELi2ELi16ELi8EEvPKhS1_P6__halfPKfiiiiiiii.uses_flat_scratch, 0
	.set _Z19_skinny_gemm_kernelILi2ELi2ELi2ELi16ELi8EEvPKhS1_P6__halfPKfiiiiiiii.has_dyn_sized_stack, 0
	.set _Z19_skinny_gemm_kernelILi2ELi2ELi2ELi16ELi8EEvPKhS1_P6__halfPKfiiiiiiii.has_recursion, 0
	.set _Z19_skinny_gemm_kernelILi2ELi2ELi2ELi16ELi8EEvPKhS1_P6__halfPKfiiiiiiii.has_indirect_call, 0
	.section	.AMDGPU.csdata,"",@progbits
; Kernel info:
; codeLenInByte = 4604
; TotalNumSgprs: 69
; NumVgprs: 79
; NumAgprs: 0
; TotalNumVgprs: 79
; ScratchSize: 0
; MemoryBound: 0
; FloatMode: 240
; IeeeMode: 1
; LDSByteSize: 32800 bytes/workgroup (compile time only)
; SGPRBlocks: 8
; VGPRBlocks: 9
; NumSGPRsForWavesPerEU: 69
; NumVGPRsForWavesPerEU: 79
; AccumOffset: 80
; Occupancy: 6
; WaveLimiterHint : 0
; COMPUTE_PGM_RSRC2:SCRATCH_EN: 0
; COMPUTE_PGM_RSRC2:USER_SGPR: 2
; COMPUTE_PGM_RSRC2:TRAP_HANDLER: 0
; COMPUTE_PGM_RSRC2:TGID_X_EN: 1
; COMPUTE_PGM_RSRC2:TGID_Y_EN: 0
; COMPUTE_PGM_RSRC2:TGID_Z_EN: 0
; COMPUTE_PGM_RSRC2:TIDIG_COMP_CNT: 0
; COMPUTE_PGM_RSRC3_GFX90A:ACCUM_OFFSET: 19
; COMPUTE_PGM_RSRC3_GFX90A:TG_SPLIT: 0
	.section	.text._Z19_skinny_gemm_kernelILi2ELi2ELi2ELi32ELi4EEvPKhS1_P6__halfPKfiiiiiiii,"axG",@progbits,_Z19_skinny_gemm_kernelILi2ELi2ELi2ELi32ELi4EEvPKhS1_P6__halfPKfiiiiiiii,comdat
	.protected	_Z19_skinny_gemm_kernelILi2ELi2ELi2ELi32ELi4EEvPKhS1_P6__halfPKfiiiiiiii ; -- Begin function _Z19_skinny_gemm_kernelILi2ELi2ELi2ELi32ELi4EEvPKhS1_P6__halfPKfiiiiiiii
	.globl	_Z19_skinny_gemm_kernelILi2ELi2ELi2ELi32ELi4EEvPKhS1_P6__halfPKfiiiiiiii
	.p2align	8
	.type	_Z19_skinny_gemm_kernelILi2ELi2ELi2ELi32ELi4EEvPKhS1_P6__halfPKfiiiiiiii,@function
_Z19_skinny_gemm_kernelILi2ELi2ELi2ELi32ELi4EEvPKhS1_P6__halfPKfiiiiiiii: ; @_Z19_skinny_gemm_kernelILi2ELi2ELi2ELi32ELi4EEvPKhS1_P6__halfPKfiiiiiiii
; %bb.0:
	v_cmp_gt_u32_e32 vcc, 8, v0
	s_and_saveexec_b64 s[4:5], vcc
; %bb.1:
	v_lshlrev_b32_e32 v1, 2, v0
	v_mov_b32_e32 v2, 0
	ds_write_b32 v1, v2 offset:16384
; %bb.2:
	s_or_b64 exec, exec, s[4:5]
	s_load_dwordx8 s[16:23], s[0:1], 0x20
	s_waitcnt lgkmcnt(0)
	s_barrier
	s_add_i32 s3, s16, 63
	s_ashr_i32 s5, s3, 31
	s_add_i32 s4, s17, 63
	s_lshr_b32 s5, s5, 26
	s_ashr_i32 s6, s4, 31
	s_add_i32 s3, s3, s5
	s_ashr_i32 s11, s3, 6
	s_lshr_b32 s3, s6, 26
	s_add_i32 s4, s4, s3
	s_ashr_i32 s12, s4, 6
	s_mul_i32 s3, s12, s11
	s_mul_i32 s3, s3, s20
	s_add_i32 s4, s3, 0x12f
	s_mul_hi_i32 s4, s4, 0x6bca1af3
	s_lshr_b32 s5, s4, 31
	s_ashr_i32 s4, s4, 7
	s_add_i32 s4, s4, s5
	s_add_i32 s5, s2, 1
	s_mul_i32 s5, s4, s5
	v_cvt_f64_i32_e32 v[2:3], s3
	v_cvt_f64_u32_e32 v[4:5], s5
	v_min_f64 v[2:3], v[2:3], v[4:5]
	v_cvt_i32_f64_e32 v62, v[2:3]
	s_mul_i32 s33, s4, s2
	v_cmp_ge_i32_e32 vcc, s33, v62
	s_cbranch_vccnz .LBB172_51
; %bb.3:
	s_load_dwordx8 s[44:51], s[0:1], 0x0
	v_lshrrev_b32_e32 v1, 6, v0
	s_add_i32 s0, s22, s21
	v_cmp_le_i32_e64 s[14:15], s0, v1
	v_mov_b32_e32 v2, s21
	v_cmp_le_i32_e64 s[24:25], s21, v1
	v_mov_b32_e32 v3, s22
	v_cndmask_b32_e64 v3, 0, v3, s[14:15]
	v_cndmask_b32_e64 v2, 0, v2, s[24:25]
	s_abs_i32 s1, s20
	v_add_u32_e32 v2, v2, v3
	v_cvt_f32_u32_e32 v3, s1
	v_sub_u32_e32 v56, v1, v2
	s_ashr_i32 s2, s18, 31
	s_lshr_b32 s2, s2, 26
	v_rcp_iflag_f32_e32 v2, v3
	s_sub_i32 s5, 0, s1
	s_add_i32 s2, s18, s2
	s_ashr_i32 s2, s2, 6
	v_mul_f32_e32 v2, 0x4f7ffffe, v2
	v_cvt_u32_f32_e32 v2, v2
	s_abs_i32 s4, s2
	s_xor_b32 s3, s2, s20
	s_ashr_i32 s3, s3, 31
	v_readfirstlane_b32 s6, v2
	s_mul_i32 s5, s5, s6
	s_mul_hi_u32 s5, s6, s5
	s_add_i32 s6, s6, s5
	s_mul_hi_u32 s5, s4, s6
	s_mul_i32 s6, s5, s1
	s_sub_i32 s4, s4, s6
	s_add_i32 s6, s5, 1
	s_sub_i32 s7, s4, s1
	s_cmp_ge_u32 s4, s1
	s_cselect_b32 s5, s6, s5
	s_cselect_b32 s4, s7, s4
	s_add_i32 s6, s5, 1
	s_cmp_ge_u32 s4, s1
	s_cselect_b32 s1, s6, s5
	s_add_i32 s0, s0, s23
	v_and_b32_e32 v64, 31, v0
	v_lshrrev_b32_e32 v2, 3, v0
	v_cmp_gt_i32_e64 s[28:29], s0, v1
	v_lshlrev_b32_e32 v1, 2, v64
	v_and_b32_e32 v3, 4, v2
	v_and_b32_e32 v5, 1, v0
	v_lshlrev_b32_e32 v2, 6, v3
	v_or_b32_e32 v4, 0x2000, v1
	v_or_b32_e32 v3, v3, v5
	;; [unrolled: 1-line block ×4, first 2 shown]
	v_lshlrev_b32_e32 v2, 1, v5
	v_or_b32_e32 v5, 2, v3
	v_sub_u32_e32 v77, 32, v5
	v_or_b32_e32 v5, 8, v3
	v_sub_u32_e32 v78, 32, v5
	;; [unrolled: 2-line block ×5, first 2 shown]
	v_mul_lo_u32 v34, s17, v3
	v_sub_u32_e32 v81, 32, v5
	v_or_b32_e32 v5, 24, v3
	v_or_b32_e32 v3, 26, v3
                                        ; implicit-def: $vgpr99 : SGPR spill to VGPR lane
	s_add_i32 s26, s20, -1
	v_sub_u32_e32 v83, 32, v3
	v_lshrrev_b32_e32 v3, 1, v0
	s_abs_i32 s20, s11
	v_writelane_b32 v99, s11, 0
	v_and_b32_e32 v50, 16, v3
	v_cvt_f32_u32_e32 v3, s20
	v_writelane_b32 v99, s12, 1
	v_sub_u32_e32 v2, v0, v2
	s_waitcnt lgkmcnt(0)
	v_writelane_b32 v99, s44, 2
	v_add_u32_e32 v2, 1, v2
	v_and_b32_e32 v6, 63, v2
	v_writelane_b32 v99, s45, 3
	v_bitop3_b32 v67, v0, 1, v0 bitop3:0xc
	v_bitop3_b32 v68, v0, 3, 1 bitop3:0x6c
	v_bitop3_b32 v69, v0, 5, 1 bitop3:0x6c
	v_bitop3_b32 v70, v0, 7, 1 bitop3:0x6c
	v_bitop3_b32 v71, v0, 9, 1 bitop3:0x6c
	v_bitop3_b32 v72, v0, 11, 1 bitop3:0x6c
	v_bitop3_b32 v73, v0, 13, 1 bitop3:0x6c
	v_bitop3_b32 v74, v0, 15, 1 bitop3:0x6c
	v_and_b32_e32 v2, 30, v0
	v_lshlrev_b32_e32 v0, 4, v0
	v_writelane_b32 v99, s46, 4
	v_and_b32_e32 v0, 0x200, v0
	v_rcp_iflag_f32_e32 v3, v3
	s_abs_i32 s98, s12
	v_writelane_b32 v99, s47, 5
	s_xor_b32 s1, s1, s3
	v_or_b32_e32 v86, v1, v0
	v_cvt_f32_u32_e32 v1, s98
	v_writelane_b32 v99, s48, 6
	s_sub_i32 s13, s1, s3
	v_writelane_b32 v99, s49, 7
	s_mul_i32 s1, s13, s26
	s_lshl_b32 s0, s17, 1
	v_writelane_b32 v99, s50, 8
	s_sub_i32 s27, s2, s1
	v_add_u32_e32 v36, s0, v34
	s_mul_i32 s1, s17, 6
	v_or_b32_e32 v84, v4, v0
	v_mul_f32_e32 v0, 0x4f7ffffe, v3
	v_writelane_b32 v99, s51, 9
	v_cndmask_b32_e64 v63, 0, 1, s[14:15]
	v_add_u32_e32 v38, s1, v36
	v_cvt_u32_f32_e32 v0, v0
	v_rcp_iflag_f32_e32 v1, v1
	v_writelane_b32 v99, s14, 10
	v_add_u32_e32 v40, s0, v38
	v_add_u32_e32 v42, s1, v40
	v_writelane_b32 v99, s15, 11
	v_writelane_b32 v99, s24, 12
	v_add_u32_e32 v44, s0, v42
	v_add_u32_e32 v46, s1, v44
	v_writelane_b32 v99, s25, 13
	v_readfirstlane_b32 s1, v0
	v_mul_f32_e32 v0, 0x4f7ffffe, v1
	v_writelane_b32 v99, s13, 14
	v_cvt_u32_f32_e32 v0, v0
	v_writelane_b32 v99, s26, 15
	v_add_u32_e32 v48, s0, v46
	s_sub_i32 s0, 0, s20
	v_writelane_b32 v99, s27, 16
	s_mul_i32 s0, s0, s1
	v_writelane_b32 v99, s28, 17
	s_lshl_b32 s30, s19, 5
	s_mul_hi_u32 s0, s1, s0
	v_writelane_b32 v99, s29, 18
	s_ashr_i32 s31, s11, 31
	s_add_i32 s34, s1, s0
	s_sub_i32 s0, 0, s98
	v_readfirstlane_b32 s1, v0
	v_mbcnt_lo_u32_b32 v0, -1, 0
	v_writelane_b32 v99, s30, 19
	s_mul_i32 s0, s0, s1
	v_mbcnt_hi_u32_b32 v0, -1, v0
	v_writelane_b32 v99, s31, 20
	v_mov_b32_e32 v33, 0
	v_mul_lo_u32 v52, s19, v64
	s_ashr_i32 s35, s12, 31
	s_mul_hi_u32 s0, s1, s0
	v_and_or_b32 v0, v0, 64, v6
	v_writelane_b32 v99, s34, 21
	v_or_b32_e32 v75, 32, v64
	v_ashrrev_i32_e32 v35, 31, v34
	v_ashrrev_i32_e32 v37, 31, v36
	;; [unrolled: 1-line block ×6, first 2 shown]
	v_sub_u32_e32 v82, 32, v5
	v_ashrrev_i32_e32 v47, 31, v46
	v_ashrrev_i32_e32 v49, 31, v48
	;; [unrolled: 1-line block ×3, first 2 shown]
	v_mov_b32_e32 v51, v33
	v_mul_lo_u32 v85, s18, v64
	s_add_i32 s36, s1, s0
	v_lshlrev_b32_e32 v32, 1, v2
	v_lshlrev_b32_e32 v87, 2, v0
	v_mov_b32_e32 v88, v56
	v_writelane_b32 v99, s35, 22
	v_writelane_b32 v99, s36, 23
	s_branch .LBB172_7
.LBB172_4:                              ;   in Loop: Header=BB172_7 Depth=1
	s_or_b64 exec, exec, s[4:5]
.LBB172_5:                              ;   in Loop: Header=BB172_7 Depth=1
	s_or_b64 exec, exec, s[2:3]
	v_subrev_u32_e32 v88, s10, v88
.LBB172_6:                              ;   in Loop: Header=BB172_7 Depth=1
	s_or_b64 exec, exec, s[0:1]
	s_add_i32 s33, s33, 1
	v_cmp_ge_i32_e32 vcc, s33, v62
	s_cbranch_vccnz .LBB172_51
.LBB172_7:                              ; =>This Loop Header: Depth=1
                                        ;     Child Loop BB172_13 Depth 2
                                        ;       Child Loop BB172_15 Depth 3
                                        ;       Child Loop BB172_18 Depth 3
	;; [unrolled: 1-line block ×3, first 2 shown]
                                        ;     Child Loop BB172_38 Depth 2
                                        ;       Child Loop BB172_40 Depth 3
                                        ;     Child Loop BB172_48 Depth 2
                                        ;       Child Loop BB172_50 Depth 3
	s_abs_i32 s1, s33
	s_mul_hi_u32 s2, s1, s34
	s_mul_i32 s3, s2, s20
	s_ashr_i32 s0, s33, 31
	s_sub_i32 s1, s1, s3
	s_xor_b32 s0, s0, s31
	s_add_i32 s3, s2, 1
	s_sub_i32 s4, s1, s20
	s_cmp_ge_u32 s1, s20
	s_cselect_b32 s2, s3, s2
	s_cselect_b32 s1, s4, s1
	s_add_i32 s3, s2, 1
	s_cmp_ge_u32 s1, s20
	s_cselect_b32 s1, s3, s2
	s_xor_b32 s1, s1, s0
	s_sub_i32 s0, s1, s0
	s_abs_i32 s2, s0
	s_mul_i32 s1, s0, s11
	s_mul_hi_u32 s3, s2, s36
	s_sub_i32 s1, s33, s1
	s_mul_i32 s4, s3, s98
	s_lshl_b32 s52, s1, 6
	s_ashr_i32 s1, s0, 31
	s_sub_i32 s2, s2, s4
	s_xor_b32 s1, s1, s35
	s_add_i32 s4, s3, 1
	s_sub_i32 s5, s2, s98
	s_cmp_ge_u32 s2, s98
	s_cselect_b32 s3, s4, s3
	s_cselect_b32 s2, s5, s2
	s_add_i32 s4, s3, 1
	s_cmp_ge_u32 s2, s98
	s_cselect_b32 s2, s4, s3
	s_xor_b32 s2, s2, s1
	s_sub_i32 s1, s2, s1
	s_mul_i32 s2, s1, s13
	s_lshl_b32 s37, s2, 6
	s_cmp_eq_u32 s1, s26
	s_cselect_b32 s99, s27, s13
	s_sub_i32 s2, s52, s16
	s_add_i32 s53, s2, 64
	s_and_saveexec_b64 s[2:3], s[24:25]
	s_xor_b64 s[38:39], exec, s[2:3]
	s_cbranch_execz .LBB172_44
; %bb.8:                                ;   in Loop: Header=BB172_7 Depth=1
	s_mul_i32 s1, s1, s12
	s_sub_i32 s0, s0, s1
	s_lshl_b32 s0, s0, 6
	s_sub_i32 s90, s0, s17
	s_add_i32 s90, s90, 64
	s_max_i32 s1, s90, 0
	s_sub_i32 s54, s0, s1
	s_and_saveexec_b64 s[0:1], s[14:15]
	s_xor_b64 s[4:5], exec, s[0:1]
	s_cbranch_execz .LBB172_34
; %bb.9:                                ;   in Loop: Header=BB172_7 Depth=1
	s_and_saveexec_b64 s[2:3], s[28:29]
	s_cbranch_execz .LBB172_33
; %bb.10:                               ;   in Loop: Header=BB172_7 Depth=1
	global_load_dword v89, v33, s[50:51]
	v_writelane_b32 v99, s2, 24
	v_mov_b32_e32 v31, 0
	v_cmp_gt_i32_e32 vcc, s99, v88
	v_writelane_b32 v99, s3, 25
	v_writelane_b32 v99, s4, 26
	v_mov_b32_e32 v30, v31
	v_mov_b32_e32 v29, v31
	;; [unrolled: 1-line block ×12, first 2 shown]
	s_waitcnt lgkmcnt(1)
	v_mov_b32_e32 v18, v31
	v_mov_b32_e32 v17, v31
	;; [unrolled: 1-line block ×19, first 2 shown]
	v_writelane_b32 v99, s5, 27
	s_and_saveexec_b64 s[0:1], vcc
	s_cbranch_execz .LBB172_23
; %bb.11:                               ;   in Loop: Header=BB172_7 Depth=1
	v_mov_b32_e32 v0, 0
	s_mov_b64 s[2:3], 0
	v_mov_b32_e32 v1, v0
	v_mov_b32_e32 v2, v0
	;; [unrolled: 1-line block ×31, first 2 shown]
	s_branch .LBB172_13
.LBB172_12:                             ;   in Loop: Header=BB172_13 Depth=2
	s_or_b64 exec, exec, s[4:5]
	v_add_u32_e32 v96, 0x800, v93
	ds_read2_b32 v[94:95], v96 offset1:32
	v_add_u32_e32 v88, s23, v88
	s_waitcnt lgkmcnt(0)
	v_mfma_f32_32x32x16_fp8_fp8 v[0:15], v[60:61], v[94:95], v[0:15]
	ds_read2_b32 v[60:61], v96 offset0:128 offset1:160
	s_waitcnt lgkmcnt(0)
	v_mfma_f32_32x32x16_fp8_fp8 v[0:15], v[58:59], v[60:61], v[0:15]
	v_add_u32_e32 v60, 0xc00, v93
	ds_read2_b32 v[58:59], v60 offset1:32
	ds_read2_b32 v[60:61], v60 offset0:128 offset1:160
	ds_write_b32 v91, v92 offset:16396
	s_waitcnt lgkmcnt(2)
	v_mfma_f32_32x32x16_fp8_fp8 v[0:15], v[56:57], v[58:59], v[0:15]
	v_add_u32_e32 v56, s23, v90
	v_add_u32_e32 v57, 2, v63
	v_cmp_lt_i32_e32 vcc, 1, v56
	s_nop 1
	v_cndmask_b32_e32 v63, v63, v57, vcc
	v_cmp_le_i32_e32 vcc, s99, v88
	s_waitcnt lgkmcnt(1)
	v_mfma_f32_32x32x16_fp8_fp8 v[0:15], v[54:55], v[60:61], v[0:15]
	s_or_b64 s[2:3], vcc, s[2:3]
	s_andn2_b64 exec, exec, s[2:3]
	s_cbranch_execz .LBB172_22
.LBB172_13:                             ;   Parent Loop BB172_7 Depth=1
                                        ; =>  This Loop Header: Depth=2
                                        ;       Child Loop BB172_15 Depth 3
                                        ;       Child Loop BB172_18 Depth 3
	;; [unrolled: 1-line block ×3, first 2 shown]
	v_cmp_gt_i32_e32 vcc, 2, v56
	s_nop 1
	v_cndmask_b32_e64 v54, -2, 0, vcc
	v_add_u32_e32 v90, v54, v56
	v_lshlrev_b32_e32 v91, 4, v90
	ds_read_b32 v54, v91 offset:16384
	s_waitcnt lgkmcnt(0)
	v_cmp_ne_u32_e32 vcc, v54, v63
	s_and_saveexec_b64 s[4:5], vcc
	s_cbranch_execz .LBB172_16
; %bb.14:                               ;   in Loop: Header=BB172_13 Depth=2
	s_mov_b64 s[6:7], 0
.LBB172_15:                             ;   Parent Loop BB172_7 Depth=1
                                        ;     Parent Loop BB172_13 Depth=2
                                        ; =>    This Inner Loop Header: Depth=3
	;;#ASMSTART
	s_sleep 0
	;;#ASMEND
	ds_read_b32 v54, v91 offset:16384
	s_waitcnt lgkmcnt(0)
	v_cmp_eq_u32_e32 vcc, v54, v63
	s_or_b64 s[6:7], vcc, s[6:7]
	s_andn2_b64 exec, exec, s[6:7]
	s_cbranch_execnz .LBB172_15
.LBB172_16:                             ;   in Loop: Header=BB172_13 Depth=2
	s_or_b64 exec, exec, s[4:5]
	v_lshl_or_b32 v54, v90, 11, v65
	ds_read2_b32 v[60:61], v54 offset1:32
	ds_read2_b32 v[58:59], v54 offset0:128 offset1:160
	v_add_u32_e32 v54, 0x400, v54
	ds_read2_b32 v[56:57], v54 offset1:32
	ds_read_b32 v93, v91 offset:16388
	ds_read2_b32 v[54:55], v54 offset0:128 offset1:160
	v_add_u32_e32 v92, 1, v63
	ds_write_b32 v91, v92 offset:16384
	s_waitcnt lgkmcnt(2)
	v_cmp_ne_u32_e32 vcc, v93, v63
	s_and_saveexec_b64 s[4:5], vcc
	s_cbranch_execz .LBB172_19
; %bb.17:                               ;   in Loop: Header=BB172_13 Depth=2
	s_mov_b64 s[6:7], 0
.LBB172_18:                             ;   Parent Loop BB172_7 Depth=1
                                        ;     Parent Loop BB172_13 Depth=2
                                        ; =>    This Inner Loop Header: Depth=3
	;;#ASMSTART
	s_sleep 0
	;;#ASMEND
	ds_read_b32 v93, v91 offset:16388
	s_waitcnt lgkmcnt(0)
	v_cmp_eq_u32_e32 vcc, v93, v63
	s_or_b64 s[6:7], vcc, s[6:7]
	s_andn2_b64 exec, exec, s[6:7]
	s_cbranch_execnz .LBB172_18
.LBB172_19:                             ;   in Loop: Header=BB172_13 Depth=2
	s_or_b64 exec, exec, s[4:5]
	v_lshlrev_b32_e32 v93, 12, v90
	v_add_u32_e32 v93, v66, v93
	ds_read2_b32 v[94:95], v93 offset1:32
	v_add_u32_e32 v96, 0x400, v93
	ds_write_b32 v91, v92 offset:16388
	s_waitcnt lgkmcnt(1)
	v_mfma_f32_32x32x16_fp8_fp8 v[16:31], v[60:61], v[94:95], v[16:31]
	ds_read2_b32 v[94:95], v93 offset0:128 offset1:160
	s_waitcnt lgkmcnt(0)
	v_mfma_f32_32x32x16_fp8_fp8 v[16:31], v[58:59], v[94:95], v[16:31]
	ds_read2_b32 v[94:95], v96 offset1:32
	s_waitcnt lgkmcnt(0)
	v_mfma_f32_32x32x16_fp8_fp8 v[16:31], v[56:57], v[94:95], v[16:31]
	ds_read2_b32 v[94:95], v96 offset0:128 offset1:160
	ds_read_b32 v96, v91 offset:16396
	s_waitcnt lgkmcnt(0)
	v_cmp_ne_u32_e32 vcc, v96, v63
	v_mfma_f32_32x32x16_fp8_fp8 v[16:31], v[54:55], v[94:95], v[16:31]
	s_and_saveexec_b64 s[4:5], vcc
	s_cbranch_execz .LBB172_12
; %bb.20:                               ;   in Loop: Header=BB172_13 Depth=2
	s_mov_b64 s[6:7], 0
.LBB172_21:                             ;   Parent Loop BB172_7 Depth=1
                                        ;     Parent Loop BB172_13 Depth=2
                                        ; =>    This Inner Loop Header: Depth=3
	;;#ASMSTART
	s_sleep 0
	;;#ASMEND
	ds_read_b32 v94, v91 offset:16396
	s_waitcnt lgkmcnt(0)
	v_cmp_eq_u32_e32 vcc, v94, v63
	s_or_b64 s[6:7], vcc, s[6:7]
	s_andn2_b64 exec, exec, s[6:7]
	s_cbranch_execnz .LBB172_21
	s_branch .LBB172_12
.LBB172_22:                             ;   in Loop: Header=BB172_7 Depth=1
	s_or_b64 exec, exec, s[2:3]
.LBB172_23:                             ;   in Loop: Header=BB172_7 Depth=1
	v_writelane_b32 v99, s54, 28
	s_nop 1
	v_writelane_b32 v99, s55, 29
	v_writelane_b32 v99, s38, 30
	s_nop 1
	v_writelane_b32 v99, s39, 31
	v_writelane_b32 v99, s53, 32
	;; [unrolled: 1-line block ×4, first 2 shown]
	s_or_b64 exec, exec, s[0:1]
	v_cmp_le_i32_e32 vcc, s90, v64
	v_cmp_eq_u32_e64 s[86:87], 1, v67
	v_cmp_eq_u32_e64 s[50:51], 2, v67
	s_waitcnt vmcnt(0)
	v_cndmask_b32_e32 v54, 0, v89, vcc
	v_pk_mul_f32 v[16:17], v[54:55], v[16:17] op_sel_hi:[0,1]
	v_pk_mul_f32 v[30:31], v[54:55], v[30:31] op_sel_hi:[0,1]
	;; [unrolled: 1-line block ×8, first 2 shown]
	v_cndmask_b32_e64 v54, v16, v17, s[86:87]
	v_cndmask_b32_e64 v54, v54, v18, s[50:51]
	v_cmp_eq_u32_e64 s[52:53], 3, v67
	v_cmp_eq_u32_e64 s[56:57], 4, v67
	v_cmp_eq_u32_e64 s[60:61], 5, v67
	v_cndmask_b32_e64 v54, v54, v19, s[52:53]
	v_cndmask_b32_e64 v54, v54, v20, s[56:57]
	v_cndmask_b32_e64 v54, v54, v21, s[60:61]
	v_cmp_eq_u32_e64 s[64:65], 6, v67
	v_cmp_eq_u32_e64 s[68:69], 7, v67
	v_cmp_eq_u32_e64 s[72:73], 8, v67
	v_cndmask_b32_e64 v54, v54, v22, s[64:65]
	;; [unrolled: 6-line block ×5, first 2 shown]
	ds_bpermute_b32 v54, v87, v54
	v_cmp_eq_u32_e64 s[26:27], 2, v68
	v_cmp_eq_u32_e64 s[28:29], 3, v68
	;; [unrolled: 1-line block ×4, first 2 shown]
	s_waitcnt lgkmcnt(0)
	v_cndmask_b32_e64 v17, v17, v54, s[86:87]
	v_cndmask_b32_e64 v16, v16, v54, s[70:71]
	;; [unrolled: 1-line block ×12, first 2 shown]
	v_cmp_eq_u32_e64 s[36:37], 6, v68
	v_cndmask_b32_e64 v57, v23, v54, s[68:69]
	v_cmp_eq_u32_e64 s[38:39], 7, v68
	v_cndmask_b32_e64 v18, v18, v58, s[36:37]
	v_cndmask_b32_e64 v55, v24, v54, s[72:73]
	v_cndmask_b32_e64 v18, v18, v57, s[38:39]
	v_cmp_eq_u32_e64 s[42:43], 8, v68
	v_cndmask_b32_e64 v25, v25, v54, s[74:75]
	v_cmp_eq_u32_e64 s[44:45], 9, v68
	v_cndmask_b32_e64 v18, v18, v55, s[42:43]
	v_cndmask_b32_e64 v26, v26, v54, s[76:77]
	v_cndmask_b32_e64 v18, v18, v25, s[44:45]
	;; [unrolled: 6-line block ×4, first 2 shown]
	v_cmp_eq_u32_e64 s[62:63], 14, v68
	v_cndmask_b32_e64 v31, v31, v54, s[88:89]
	v_cmp_eq_u32_e64 s[66:67], 15, v68
	v_cndmask_b32_e64 v18, v18, v30, s[62:63]
	v_cmp_le_i32_e64 s[90:91], s90, v75
	v_cndmask_b32_e64 v18, v18, v31, s[66:67]
	ds_bpermute_b32 v54, v87, v18
	v_cmp_eq_u32_e64 s[40:41], 0, v68
	v_cmp_eq_u32_e64 s[2:3], 1, v69
	;; [unrolled: 1-line block ×4, first 2 shown]
	s_waitcnt lgkmcnt(0)
	v_cndmask_b32_e64 v22, v27, v54, s[48:49]
	v_cndmask_b32_e64 v27, v58, v54, s[36:37]
	;; [unrolled: 1-line block ×3, first 2 shown]
	v_pk_mul_f32 v[0:1], v[58:59], v[0:1] op_sel_hi:[0,1]
	v_cndmask_b32_e64 v24, v25, v54, s[44:45]
	v_cndmask_b32_e64 v25, v55, v54, s[42:43]
	v_pk_mul_f32 v[2:3], v[58:59], v[2:3] op_sel_hi:[0,1]
	v_cndmask_b32_e64 v55, v0, v1, s[86:87]
	v_cndmask_b32_e64 v55, v55, v2, s[50:51]
	;; [unrolled: 3-line block ×6, first 2 shown]
	v_cndmask_b32_e64 v17, v17, v54, s[24:25]
	v_cndmask_b32_e64 v16, v16, v54, s[40:41]
	v_pk_mul_f32 v[12:13], v[58:59], v[12:13] op_sel_hi:[0,1]
	v_cndmask_b32_e64 v55, v55, v11, s[78:79]
	v_cndmask_b32_e64 v18, v31, v54, s[66:67]
	;; [unrolled: 1-line block ×14, first 2 shown]
	v_pk_mul_f32 v[14:15], v[58:59], v[14:15] op_sel_hi:[0,1]
	v_cndmask_b32_e64 v55, v55, v13, s[82:83]
	v_cndmask_b32_e64 v54, v54, v30, s[8:9]
	v_cmp_eq_u32_e64 s[10:11], 4, v69
	v_cndmask_b32_e64 v55, v55, v14, s[84:85]
	v_cmp_eq_u32_e64 s[12:13], 5, v69
	v_cndmask_b32_e64 v54, v54, v29, s[10:11]
	v_cndmask_b32_e64 v55, v55, v15, s[88:89]
	;; [unrolled: 1-line block ×3, first 2 shown]
	v_cmp_eq_u32_e64 s[14:15], 6, v69
	ds_bpermute_b32 v55, v87, v55
	v_cmp_eq_u32_e64 s[96:97], 7, v69
	v_cndmask_b32_e64 v54, v54, v27, s[14:15]
	v_cmp_eq_u32_e64 s[4:5], 8, v69
	v_cndmask_b32_e64 v54, v54, v26, s[96:97]
	v_cmp_eq_u32_e32 vcc, 9, v69
	v_cndmask_b32_e64 v54, v54, v25, s[4:5]
	v_cmp_eq_u32_e64 s[0:1], 10, v69
	v_cndmask_b32_e32 v54, v54, v24, vcc
	v_cmp_eq_u32_e64 s[86:87], 11, v69
	v_cndmask_b32_e64 v54, v54, v23, s[0:1]
	s_waitcnt lgkmcnt(0)
	v_cndmask_b32_e64 v2, v2, v55, s[50:51]
	v_cmp_ne_u32_e64 s[50:51], 0, v67
	v_cndmask_b32_e64 v54, v54, v22, s[86:87]
	v_cmp_eq_u32_e64 s[90:91], 12, v69
	v_cndmask_b32_e64 v1, v1, v55, s[50:51]
	v_cndmask_b32_e64 v0, v0, v55, s[70:71]
	;; [unrolled: 1-line block ×4, first 2 shown]
	v_cmp_eq_u32_e64 s[88:89], 13, v69
	v_cndmask_b32_e64 v14, v14, v55, s[84:85]
	v_cndmask_b32_e64 v13, v13, v55, s[82:83]
	;; [unrolled: 1-line block ×14, first 2 shown]
	v_cmp_eq_u32_e64 s[84:85], 14, v69
	v_cndmask_b32_e64 v55, v55, v2, s[26:27]
	v_cmp_eq_u32_e64 s[82:83], 15, v69
	v_cndmask_b32_e64 v54, v54, v19, s[84:85]
	v_cndmask_b32_e64 v55, v55, v3, s[28:29]
	;; [unrolled: 1-line block ×4, first 2 shown]
	ds_bpermute_b32 v54, v87, v54
	v_cndmask_b32_e64 v55, v55, v5, s[34:35]
	v_cndmask_b32_e64 v55, v55, v6, s[36:37]
	;; [unrolled: 1-line block ×4, first 2 shown]
	v_cmp_eq_u32_e64 s[80:81], 0, v69
	v_cndmask_b32_e64 v55, v55, v9, s[44:45]
	s_waitcnt lgkmcnt(0)
	v_cndmask_b32_e64 v17, v17, v54, s[2:3]
	v_cndmask_b32_e64 v16, v16, v54, s[80:81]
	v_cmp_eq_u32_e64 s[78:79], 1, v70
	v_cndmask_b32_e64 v55, v55, v10, s[46:47]
	v_cndmask_b32_e64 v18, v18, v54, s[82:83]
	;; [unrolled: 1-line block ×7, first 2 shown]
	v_cndmask_b32_e32 v24, v24, v54, vcc
	v_cndmask_b32_e64 v25, v25, v54, s[4:5]
	v_cndmask_b32_e64 v26, v26, v54, s[96:97]
	;; [unrolled: 1-line block ×8, first 2 shown]
	v_cmp_eq_u32_e64 s[76:77], 2, v70
	v_cndmask_b32_e64 v55, v55, v11, s[48:49]
	v_cmp_eq_u32_e64 s[74:75], 3, v70
	v_cndmask_b32_e64 v54, v54, v31, s[76:77]
	v_cndmask_b32_e64 v55, v55, v12, s[54:55]
	;; [unrolled: 1-line block ×3, first 2 shown]
	v_cmp_eq_u32_e64 s[72:73], 4, v70
	v_cndmask_b32_e64 v55, v55, v13, s[58:59]
	v_cmp_eq_u32_e64 s[68:69], 5, v70
	v_cndmask_b32_e64 v54, v54, v29, s[72:73]
	v_cndmask_b32_e64 v55, v55, v14, s[62:63]
	;; [unrolled: 1-line block ×3, first 2 shown]
	v_cmp_eq_u32_e64 s[64:65], 6, v70
	v_cndmask_b32_e64 v55, v55, v15, s[66:67]
	v_cmp_eq_u32_e64 s[60:61], 7, v70
	v_cndmask_b32_e64 v54, v54, v27, s[64:65]
	ds_bpermute_b32 v55, v87, v55
	v_cndmask_b32_e64 v54, v54, v26, s[60:61]
	v_cmp_eq_u32_e64 s[56:57], 8, v70
	v_cmp_eq_u32_e64 s[52:53], 9, v70
	;; [unrolled: 1-line block ×3, first 2 shown]
	v_cndmask_b32_e64 v54, v54, v25, s[56:57]
	v_cndmask_b32_e64 v54, v54, v24, s[52:53]
	;; [unrolled: 1-line block ×3, first 2 shown]
	v_cmp_eq_u32_e64 s[70:71], 11, v70
	s_waitcnt lgkmcnt(0)
	v_cndmask_b32_e64 v15, v15, v55, s[66:67]
	v_cmp_eq_u32_e64 s[66:67], 12, v70
	v_cndmask_b32_e64 v54, v54, v22, s[70:71]
	v_cndmask_b32_e64 v14, v14, v55, s[62:63]
	;; [unrolled: 1-line block ×3, first 2 shown]
	v_cmp_eq_u32_e64 s[62:63], 13, v70
	v_cndmask_b32_e64 v1, v1, v55, s[24:25]
	v_cndmask_b32_e64 v0, v0, v55, s[40:41]
	;; [unrolled: 1-line block ×4, first 2 shown]
	v_cmp_eq_u32_e64 s[92:93], 14, v70
	v_cndmask_b32_e64 v12, v12, v55, s[54:55]
	v_cndmask_b32_e64 v11, v11, v55, s[48:49]
	;; [unrolled: 1-line block ×13, first 2 shown]
	v_cmp_eq_u32_e64 s[94:95], 15, v70
	v_cndmask_b32_e64 v55, v55, v2, s[6:7]
	v_cndmask_b32_e64 v55, v55, v3, s[8:9]
	;; [unrolled: 1-line block ×3, first 2 shown]
	ds_bpermute_b32 v54, v87, v54
	v_cndmask_b32_e64 v55, v55, v4, s[10:11]
	v_cndmask_b32_e64 v55, v55, v5, s[12:13]
	;; [unrolled: 1-line block ×4, first 2 shown]
	v_cmp_eq_u32_e64 s[48:49], 0, v70
	v_cndmask_b32_e64 v55, v55, v8, s[4:5]
	s_waitcnt lgkmcnt(0)
	v_cndmask_b32_e64 v17, v17, v54, s[78:79]
	v_cndmask_b32_e64 v16, v16, v54, s[48:49]
	v_cmp_eq_u32_e64 s[46:47], 1, v71
	v_cndmask_b32_e32 v55, v55, v9, vcc
	v_cndmask_b32_e64 v18, v18, v54, s[94:95]
	v_cndmask_b32_e64 v19, v19, v54, s[92:93]
	;; [unrolled: 1-line block ×15, first 2 shown]
	v_cmp_eq_u32_e64 s[44:45], 2, v71
	v_cndmask_b32_e64 v55, v55, v10, s[0:1]
	v_cmp_eq_u32_e64 s[42:43], 3, v71
	v_cndmask_b32_e64 v54, v54, v31, s[44:45]
	v_cndmask_b32_e64 v55, v55, v11, s[86:87]
	v_cndmask_b32_e64 v54, v54, v30, s[42:43]
	v_cmp_eq_u32_e64 s[38:39], 4, v71
	v_cndmask_b32_e64 v55, v55, v12, s[90:91]
	v_cmp_eq_u32_e64 s[36:37], 5, v71
	v_cndmask_b32_e64 v54, v54, v29, s[38:39]
	v_cndmask_b32_e64 v55, v55, v13, s[88:89]
	v_cndmask_b32_e64 v54, v54, v28, s[36:37]
	;; [unrolled: 6-line block ×3, first 2 shown]
	v_cmp_eq_u32_e64 s[28:29], 8, v71
	ds_bpermute_b32 v55, v87, v55
	v_cmp_eq_u32_e64 s[26:27], 9, v71
	v_cndmask_b32_e64 v54, v54, v25, s[28:29]
	v_cmp_eq_u32_e64 s[24:25], 10, v71
	v_cndmask_b32_e64 v54, v54, v24, s[26:27]
	;; [unrolled: 2-line block ×4, first 2 shown]
	s_waitcnt lgkmcnt(0)
	v_cndmask_b32_e64 v15, v15, v55, s[82:83]
	v_cndmask_b32_e64 v54, v54, v21, s[58:59]
	v_cmp_eq_u32_e64 s[82:83], 13, v71
	v_cndmask_b32_e64 v14, v14, v55, s[84:85]
	v_cmp_eq_u32_e64 s[84:85], 14, v71
	v_cndmask_b32_e64 v54, v54, v20, s[82:83]
	v_cndmask_b32_e64 v1, v1, v55, s[2:3]
	v_cndmask_b32_e64 v0, v0, v55, s[80:81]
	v_cndmask_b32_e64 v13, v13, v55, s[88:89]
	v_cndmask_b32_e64 v54, v54, v19, s[84:85]
	v_cndmask_b32_e64 v12, v12, v55, s[90:91]
	v_cmp_eq_u32_e64 s[90:91], 15, v71
	v_cndmask_b32_e64 v11, v11, v55, s[86:87]
	v_cndmask_b32_e64 v10, v10, v55, s[0:1]
	v_cndmask_b32_e32 v9, v9, v55, vcc
	v_cndmask_b32_e64 v8, v8, v55, s[4:5]
	v_cndmask_b32_e64 v7, v7, v55, s[96:97]
	;; [unrolled: 1-line block ×10, first 2 shown]
	ds_bpermute_b32 v54, v87, v54
	v_cndmask_b32_e64 v55, v55, v3, s[74:75]
	v_cndmask_b32_e64 v55, v55, v4, s[72:73]
	v_cndmask_b32_e64 v55, v55, v5, s[68:69]
	v_cmp_eq_u32_e64 s[54:55], 0, v71
	v_cndmask_b32_e64 v55, v55, v6, s[64:65]
	v_cndmask_b32_e64 v55, v55, v7, s[60:61]
	v_writelane_b32 v99, s54, 35
	s_waitcnt lgkmcnt(0)
	v_cndmask_b32_e64 v17, v17, v54, s[46:47]
	v_cndmask_b32_e64 v55, v55, v8, s[56:57]
	v_writelane_b32 v99, s55, 36
	v_cndmask_b32_e64 v16, v16, v54, s[54:55]
	v_cmp_eq_u32_e64 s[54:55], 1, v72
	v_cndmask_b32_e64 v18, v18, v54, s[90:91]
	v_cndmask_b32_e64 v19, v19, v54, s[84:85]
	;; [unrolled: 1-line block ×15, first 2 shown]
	v_cmp_eq_u32_e64 s[0:1], 2, v72
	v_cndmask_b32_e64 v55, v55, v9, s[52:53]
	v_cmp_eq_u32_e64 s[4:5], 3, v72
	v_cndmask_b32_e64 v54, v54, v31, s[0:1]
	v_cndmask_b32_e64 v55, v55, v10, s[50:51]
	v_cndmask_b32_e64 v54, v54, v30, s[4:5]
	v_cmp_eq_u32_e64 s[96:97], 4, v72
	v_cndmask_b32_e64 v55, v55, v11, s[70:71]
	v_cmp_eq_u32_e64 s[14:15], 5, v72
	v_cndmask_b32_e64 v54, v54, v29, s[96:97]
	v_cndmask_b32_e64 v55, v55, v12, s[66:67]
	v_cndmask_b32_e64 v54, v54, v28, s[14:15]
	;; [unrolled: 6-line block ×3, first 2 shown]
	v_cmp_eq_u32_e64 s[8:9], 8, v72
	v_cndmask_b32_e64 v55, v55, v15, s[94:95]
	v_cmp_eq_u32_e64 s[6:7], 9, v72
	v_cndmask_b32_e64 v54, v54, v25, s[8:9]
	ds_bpermute_b32 v55, v87, v55
	v_cndmask_b32_e64 v54, v54, v24, s[6:7]
	v_cmp_eq_u32_e32 vcc, 10, v72
	v_cmp_eq_u32_e64 s[80:81], 11, v72
	v_cmp_eq_u32_e64 s[86:87], 12, v72
	v_cndmask_b32_e32 v54, v54, v23, vcc
	v_cndmask_b32_e64 v54, v54, v22, s[80:81]
	v_cndmask_b32_e64 v54, v54, v21, s[86:87]
	v_cmp_eq_u32_e64 s[88:89], 13, v72
	s_waitcnt lgkmcnt(0)
	v_cndmask_b32_e64 v13, v13, v55, s[62:63]
	v_cmp_eq_u32_e64 s[62:63], 14, v72
	v_cndmask_b32_e64 v54, v54, v20, s[88:89]
	v_cndmask_b32_e64 v12, v12, v55, s[66:67]
	;; [unrolled: 1-line block ×3, first 2 shown]
	v_cmp_eq_u32_e64 s[66:67], 15, v72
	v_cndmask_b32_e64 v57, v11, v55, s[70:71]
	v_cmp_eq_u32_e64 s[70:71], 0, v72
	v_cndmask_b32_e64 v54, v54, v18, s[66:67]
	ds_bpermute_b32 v54, v87, v54
	v_cndmask_b32_e64 v15, v15, v55, s[94:95]
	v_cndmask_b32_e64 v14, v14, v55, s[92:93]
	;; [unrolled: 1-line block ×4, first 2 shown]
	s_waitcnt lgkmcnt(0)
	v_cndmask_b32_e64 v18, v18, v54, s[66:67]
	v_cndmask_b32_e64 v19, v19, v54, s[62:63]
	;; [unrolled: 1-line block ×5, first 2 shown]
	v_cndmask_b32_e32 v23, v23, v54, vcc
	v_cndmask_b32_e64 v24, v24, v54, s[6:7]
	v_cndmask_b32_e64 v25, v25, v54, s[8:9]
	;; [unrolled: 1-line block ×28, first 2 shown]
	v_cmp_eq_u32_e64 s[50:51], 1, v73
	v_cndmask_b32_e64 v0, v0, v54, s[24:25]
	v_cmp_eq_u32_e64 s[52:53], 2, v73
	v_cndmask_b32_e64 v10, v16, v17, s[50:51]
	v_cndmask_b32_e64 v0, v0, v57, s[40:41]
	v_cndmask_b32_e64 v9, v10, v31, s[52:53]
	v_cmp_eq_u32_e64 s[56:57], 3, v73
	v_cndmask_b32_e64 v0, v0, v12, s[58:59]
	v_cmp_eq_u32_e64 s[60:61], 4, v73
	v_cndmask_b32_e64 v8, v9, v30, s[56:57]
	v_cndmask_b32_e64 v0, v0, v13, s[82:83]
	v_cndmask_b32_e64 v7, v8, v29, s[60:61]
	;; [unrolled: 6-line block ×3, first 2 shown]
	v_cmp_eq_u32_e64 s[72:73], 7, v73
	ds_bpermute_b32 v94, v87, v0
	v_cmp_eq_u32_e64 s[74:75], 8, v73
	v_cndmask_b32_e64 v4, v5, v26, s[72:73]
	v_cmp_eq_u32_e64 s[76:77], 9, v73
	v_cndmask_b32_e64 v3, v4, v25, s[74:75]
	;; [unrolled: 2-line block ×4, first 2 shown]
	s_waitcnt lgkmcnt(0)
	v_cndmask_b32_e64 v95, v15, v94, s[90:91]
	v_cndmask_b32_e64 v0, v0, v22, s[78:79]
	v_cmp_eq_u32_e64 s[90:91], 12, v73
	v_cndmask_b32_e64 v96, v14, v94, s[84:85]
	v_cmp_eq_u32_e64 s[84:85], 13, v73
	v_cndmask_b32_e64 v0, v0, v21, s[90:91]
	v_cndmask_b32_e64 v97, v13, v94, s[82:83]
	;; [unrolled: 1-line block ×3, first 2 shown]
	v_cmp_eq_u32_e64 s[82:83], 14, v73
	v_cndmask_b32_e64 v98, v12, v94, s[58:59]
	v_cmp_eq_u32_e64 s[58:59], 15, v73
	v_cndmask_b32_e64 v0, v0, v19, s[82:83]
	v_readlane_b32 s2, v99, 35
	v_cndmask_b32_e64 v0, v0, v18, s[58:59]
	ds_bpermute_b32 v1, v87, v0
	v_readlane_b32 s3, v99, 36
	s_waitcnt lgkmcnt(0)
	v_cndmask_b32_e64 v11, v27, v1, s[68:69]
	v_cndmask_b32_e64 v12, v28, v1, s[64:65]
	;; [unrolled: 1-line block ×4, first 2 shown]
	s_mov_b64 s[2:3], s[54:55]
	v_cndmask_b32_e64 v10, v26, v1, s[72:73]
	v_cndmask_b32_e64 v13, v29, v1, s[60:61]
	v_cndmask_b32_e64 v26, v92, v94, s[44:45]
	v_cndmask_b32_e64 v29, v28, v27, s[2:3]
	v_cndmask_b32_e64 v9, v25, v1, s[74:75]
	v_cndmask_b32_e64 v25, v91, v94, s[42:43]
	v_cndmask_b32_e64 v29, v29, v26, s[0:1]
	v_cndmask_b32_e64 v8, v24, v1, s[76:77]
	v_cndmask_b32_e64 v24, v90, v94, s[38:39]
	v_cndmask_b32_e64 v29, v29, v25, s[4:5]
	v_cndmask_b32_e64 v7, v23, v1, s[48:49]
	v_cndmask_b32_e64 v23, v89, v94, s[36:37]
	v_cndmask_b32_e64 v29, v29, v24, s[96:97]
	v_cndmask_b32_e64 v6, v22, v1, s[78:79]
	v_cndmask_b32_e64 v22, v61, v94, s[34:35]
	v_cndmask_b32_e64 v29, v29, v23, s[14:15]
	v_cndmask_b32_e64 v5, v21, v1, s[90:91]
	v_cndmask_b32_e64 v21, v60, v94, s[30:31]
	v_cndmask_b32_e64 v29, v29, v22, s[12:13]
	v_cndmask_b32_e64 v4, v20, v1, s[84:85]
	v_cndmask_b32_e64 v20, v59, v94, s[28:29]
	v_cndmask_b32_e64 v29, v29, v21, s[10:11]
	v_cndmask_b32_e64 v3, v19, v1, s[82:83]
	v_cndmask_b32_e64 v0, v17, v1, s[50:51]
	v_cndmask_b32_e64 v17, v57, v94, s[40:41]
	v_cmp_eq_u32_e64 s[40:41], 0, v73
	v_cndmask_b32_e64 v19, v58, v94, s[26:27]
	v_cndmask_b32_e64 v29, v29, v20, s[8:9]
	;; [unrolled: 1-line block ×8, first 2 shown]
	v_cndmask_b32_e32 v29, v29, v16, vcc
	v_cndmask_b32_e64 v29, v29, v17, s[80:81]
	v_cndmask_b32_e64 v29, v29, v98, s[86:87]
	v_cndmask_b32_e64 v29, v29, v97, s[88:89]
	v_cndmask_b32_e64 v29, v29, v96, s[62:63]
	v_cndmask_b32_e64 v29, v29, v95, s[66:67]
	ds_bpermute_b32 v29, v87, v29
	v_cmp_eq_u32_e64 s[24:25], 1, v74
	v_cmp_eq_u32_e64 s[26:27], 2, v74
	;; [unrolled: 1-line block ×3, first 2 shown]
	v_cndmask_b32_e64 v18, v1, v0, s[24:25]
	s_waitcnt lgkmcnt(0)
	v_cndmask_b32_e64 v92, v27, v29, s[2:3]
	v_cndmask_b32_e64 v93, v28, v29, s[70:71]
	;; [unrolled: 1-line block ×18, first 2 shown]
	v_cndmask_b32_e32 v16, v16, v29, vcc
	v_cndmask_b32_e64 v19, v19, v57, s[76:77]
	v_cndmask_b32_e64 v17, v17, v29, s[80:81]
	;; [unrolled: 1-line block ×12, first 2 shown]
	ds_bpermute_b32 v94, v87, v19
	v_cndmask_b32_e64 v18, v18, v15, s[26:27]
	v_cndmask_b32_e64 v18, v18, v14, s[28:29]
	v_cmp_eq_u32_e64 s[30:31], 4, v74
	v_cmp_eq_u32_e64 s[34:35], 5, v74
	s_waitcnt lgkmcnt(0)
	v_cndmask_b32_e64 v23, v17, v94, s[78:79]
	v_cndmask_b32_e64 v24, v16, v94, s[48:49]
	;; [unrolled: 1-line block ×18, first 2 shown]
	v_cmp_eq_u32_e64 s[36:37], 6, v74
	v_cndmask_b32_e64 v28, v60, v94, s[68:69]
	v_cndmask_b32_e64 v55, v55, v29, s[34:35]
	v_cndmask_b32_e64 v18, v18, v11, s[36:37]
	v_cmp_eq_u32_e64 s[38:39], 7, v74
	v_cndmask_b32_e64 v27, v59, v94, s[72:73]
	v_cndmask_b32_e64 v55, v55, v28, s[36:37]
	v_cndmask_b32_e64 v18, v18, v10, s[38:39]
	;; [unrolled: 4-line block ×4, first 2 shown]
	v_cmp_eq_u32_e64 s[46:47], 10, v74
	v_cndmask_b32_e64 v55, v55, v25, s[44:45]
	v_cmp_eq_u32_e64 s[54:55], 11, v74
	v_cndmask_b32_e64 v18, v18, v7, s[46:47]
	v_cndmask_b32_e64 v55, v55, v24, s[46:47]
	;; [unrolled: 1-line block ×3, first 2 shown]
	v_cmp_eq_u32_e64 s[66:67], 12, v74
	v_cndmask_b32_e64 v55, v55, v23, s[54:55]
	v_cmp_eq_u32_e64 s[62:63], 13, v74
	v_cndmask_b32_e64 v18, v18, v5, s[66:67]
	v_cndmask_b32_e64 v55, v55, v22, s[66:67]
	;; [unrolled: 1-line block ×3, first 2 shown]
	v_cmp_eq_u32_e32 vcc, 14, v74
	v_cndmask_b32_e64 v55, v55, v21, s[62:63]
	v_cmp_eq_u32_e64 s[6:7], 15, v74
	v_cndmask_b32_e32 v18, v18, v3, vcc
	v_cndmask_b32_e32 v55, v55, v20, vcc
	v_cndmask_b32_e64 v18, v18, v2, s[6:7]
	v_cndmask_b32_e64 v55, v55, v19, s[6:7]
	ds_bpermute_b32 v18, v87, v18
	ds_bpermute_b32 v58, v87, v55
	v_readlane_b32 s53, v99, 32
	s_nop 1
	v_cmp_lt_i32_e32 vcc, s53, v76
	s_and_saveexec_b64 s[40:41], vcc
	v_readlane_b32 s44, v99, 2
	v_readlane_b32 s45, v99, 3
	v_readlane_b32 s46, v99, 4
	v_readlane_b32 s47, v99, 5
	v_readlane_b32 s48, v99, 6
	v_readlane_b32 s49, v99, 7
	v_readlane_b32 s50, v99, 8
	v_readlane_b32 s51, v99, 9
	v_readlane_b32 s52, v99, 34
	v_readlane_b32 s54, v99, 28
	v_readlane_b32 s55, v99, 29
	s_cbranch_execz .LBB172_32
; %bb.24:                               ;   in Loop: Header=BB172_7 Depth=1
	s_mul_i32 s0, s52, s17
	s_ashr_i32 s1, s0, 31
	s_lshl_b64 s[0:1], s[0:1], 1
	s_add_u32 s2, s48, s0
	v_cmp_eq_u32_e64 s[34:35], 1, v74
	v_cmp_eq_u32_e64 s[36:37], 0, v74
	s_addc_u32 s3, s49, s1
	s_ashr_i32 s55, s54, 31
	s_waitcnt lgkmcnt(1)
	v_cndmask_b32_e64 v55, v0, v18, s[34:35]
	v_cndmask_b32_e64 v57, v1, v18, s[36:37]
	s_lshl_b64 s[0:1], s[54:55], 1
	s_waitcnt lgkmcnt(0)
	v_cndmask_b32_e64 v59, v16, v58, s[34:35]
	v_cndmask_b32_e64 v60, v17, v58, s[36:37]
	v_cvt_f16_f32_e32 v57, v57
	v_cvt_f16_f32_sdwa v55, v55 dst_sel:WORD_1 dst_unused:UNUSED_PAD src0_sel:DWORD
	s_add_u32 s42, s2, s0
	v_cvt_f16_f32_e32 v60, v60
	v_cvt_f16_f32_sdwa v59, v59 dst_sel:WORD_1 dst_unused:UNUSED_PAD src0_sel:DWORD
	s_addc_u32 s43, s3, s1
	v_lshl_add_u64 v[0:1], s[42:43], 0, v[32:33]
	v_cmp_eq_u32_e32 vcc, 15, v74
	v_cmp_eq_u32_e64 s[6:7], 14, v74
	v_cmp_eq_u32_e64 s[8:9], 13, v74
	v_cmp_eq_u32_e64 s[10:11], 12, v74
	v_cmp_eq_u32_e64 s[12:13], 11, v74
	v_cmp_eq_u32_e64 s[14:15], 10, v74
	v_cmp_eq_u32_e64 s[0:1], 9, v74
	v_cmp_eq_u32_e64 s[2:3], 8, v74
	v_cmp_eq_u32_e64 s[4:5], 7, v74
	v_cmp_eq_u32_e64 s[38:39], 6, v74
	v_cmp_eq_u32_e64 s[24:25], 5, v74
	v_cmp_eq_u32_e64 s[26:27], 4, v74
	v_cmp_eq_u32_e64 s[28:29], 3, v74
	v_cmp_eq_u32_e64 s[30:31], 2, v74
	v_lshl_add_u64 v[16:17], v[34:35], 1, v[0:1]
	v_or_b32_e32 v55, v55, v57
	v_cmp_lt_i32_e64 s[34:35], s53, v77
	;;#ASMSTART
	global_atomic_pk_add_f16 v[16:17], v55, off
	
	;;#ASMEND
	v_lshl_add_u64 v[16:17], v[16:17], 0, 64
	v_or_b32_e32 v55, v59, v60
	;;#ASMSTART
	global_atomic_pk_add_f16 v[16:17], v55, off
	
	;;#ASMEND
	s_and_b64 exec, exec, s[34:35]
	s_cbranch_execz .LBB172_32
; %bb.25:                               ;   in Loop: Header=BB172_7 Depth=1
	v_cndmask_b32_e32 v2, v2, v18, vcc
	v_cndmask_b32_e64 v3, v3, v18, s[6:7]
	v_cndmask_b32_e64 v16, v4, v18, s[8:9]
	;; [unrolled: 1-line block ×19, first 2 shown]
	v_cvt_f16_f32_e32 v22, v18
	v_cvt_f16_f32_sdwa v23, v92 dst_sel:WORD_1 dst_unused:UNUSED_PAD src0_sel:DWORD
	v_cvt_f16_f32_e32 v21, v21
	v_cvt_f16_f32_sdwa v20, v20 dst_sel:WORD_1 dst_unused:UNUSED_PAD src0_sel:DWORD
	v_cndmask_b32_e32 v4, v19, v58, vcc
	v_cndmask_b32_e64 v9, v24, v58, s[14:15]
	v_cndmask_b32_e64 v10, v25, v58, s[0:1]
	;; [unrolled: 1-line block ×7, first 2 shown]
	v_lshl_add_u64 v[18:19], v[36:37], 1, v[0:1]
	v_cmp_lt_i32_e32 vcc, s53, v78
	v_or_b32_e32 v22, v23, v22
	;;#ASMSTART
	global_atomic_pk_add_f16 v[18:19], v22, off
	
	;;#ASMEND
	v_lshl_add_u64 v[18:19], v[18:19], 0, 64
	v_or_b32_e32 v20, v20, v21
	;;#ASMSTART
	global_atomic_pk_add_f16 v[18:19], v20, off
	
	;;#ASMEND
	s_and_b64 exec, exec, vcc
	s_cbranch_execz .LBB172_32
; %bb.26:                               ;   in Loop: Header=BB172_7 Depth=1
	v_cvt_f16_f32_e32 v20, v91
	v_cvt_f16_f32_sdwa v21, v90 dst_sel:WORD_1 dst_unused:UNUSED_PAD src0_sel:DWORD
	v_cvt_f16_f32_e32 v22, v15
	v_cvt_f16_f32_sdwa v23, v14 dst_sel:WORD_1 dst_unused:UNUSED_PAD src0_sel:DWORD
	v_lshl_add_u64 v[18:19], v[38:39], 1, v[0:1]
	v_or_b32_e32 v14, v21, v20
	v_cmp_lt_i32_e32 vcc, s53, v79
	;;#ASMSTART
	global_atomic_pk_add_f16 v[18:19], v14, off
	
	;;#ASMEND
	v_lshl_add_u64 v[14:15], v[18:19], 0, 64
	v_or_b32_e32 v18, v23, v22
	;;#ASMSTART
	global_atomic_pk_add_f16 v[14:15], v18, off
	
	;;#ASMEND
	s_and_b64 exec, exec, vcc
	s_cbranch_execz .LBB172_32
; %bb.27:                               ;   in Loop: Header=BB172_7 Depth=1
	v_cvt_f16_f32_e32 v18, v89
	v_cvt_f16_f32_sdwa v19, v61 dst_sel:WORD_1 dst_unused:UNUSED_PAD src0_sel:DWORD
	v_cvt_f16_f32_e32 v20, v13
	v_cvt_f16_f32_sdwa v21, v12 dst_sel:WORD_1 dst_unused:UNUSED_PAD src0_sel:DWORD
	v_lshl_add_u64 v[14:15], v[40:41], 1, v[0:1]
	v_or_b32_e32 v12, v19, v18
	v_cmp_lt_i32_e32 vcc, s53, v80
	;; [unrolled: 20-line block ×5, first 2 shown]
	;;#ASMSTART
	global_atomic_pk_add_f16 v[8:9], v6, off
	
	;;#ASMEND
	v_lshl_add_u64 v[6:7], v[8:9], 0, 64
	v_or_b32_e32 v8, v13, v12
	;;#ASMSTART
	global_atomic_pk_add_f16 v[6:7], v8, off
	
	;;#ASMEND
	s_and_b64 exec, exec, vcc
	s_cbranch_execz .LBB172_32
; %bb.31:                               ;   in Loop: Header=BB172_7 Depth=1
	v_cvt_f16_f32_e32 v3, v3
	v_cvt_f16_f32_sdwa v2, v2 dst_sel:WORD_1 dst_unused:UNUSED_PAD src0_sel:DWORD
	v_cvt_f16_f32_e32 v5, v5
	v_cvt_f16_f32_sdwa v4, v4 dst_sel:WORD_1 dst_unused:UNUSED_PAD src0_sel:DWORD
	v_lshl_add_u64 v[0:1], v[48:49], 1, v[0:1]
	v_or_b32_e32 v2, v2, v3
	;;#ASMSTART
	global_atomic_pk_add_f16 v[0:1], v2, off
	
	;;#ASMEND
	v_lshl_add_u64 v[0:1], v[0:1], 0, 64
	v_or_b32_e32 v2, v4, v5
	;;#ASMSTART
	global_atomic_pk_add_f16 v[0:1], v2, off
	
	;;#ASMEND
.LBB172_32:                             ;   in Loop: Header=BB172_7 Depth=1
	s_or_b64 exec, exec, s[40:41]
	v_readlane_b32 s14, v99, 10
	v_readlane_b32 s24, v99, 12
	;; [unrolled: 1-line block ×6, first 2 shown]
	v_subrev_u32_e32 v88, s99, v88
	v_readlane_b32 s11, v99, 0
	v_readlane_b32 s12, v99, 1
	;; [unrolled: 1-line block ×17, first 2 shown]
.LBB172_33:                             ;   in Loop: Header=BB172_7 Depth=1
	s_or_b64 exec, exec, s[2:3]
.LBB172_34:                             ;   in Loop: Header=BB172_7 Depth=1
	s_andn2_saveexec_b64 s[0:1], s[4:5]
	s_cbranch_execz .LBB172_43
; %bb.35:                               ;   in Loop: Header=BB172_7 Depth=1
	s_lshl_b32 s10, s99, 1
	v_cmp_gt_i32_e32 vcc, s10, v88
	s_and_saveexec_b64 s[2:3], vcc
	s_cbranch_execz .LBB172_42
; %bb.36:                               ;   in Loop: Header=BB172_7 Depth=1
	s_mul_i32 s4, s54, s19
	s_ashr_i32 s5, s4, 31
	s_add_u32 s4, s46, s4
	s_addc_u32 s5, s47, s5
	s_ashr_i32 s6, s37, 31
	s_add_u32 s4, s4, s37
	s_addc_u32 s5, s5, s6
	v_lshl_add_u64 v[0:1], s[4:5], 0, v[52:53]
	v_lshl_add_u64 v[8:9], v[0:1], 0, v[50:51]
	s_mov_b64 s[4:5], 0
	s_branch .LBB172_38
.LBB172_37:                             ;   in Loop: Header=BB172_38 Depth=2
	s_or_b64 exec, exec, s[6:7]
	v_lshl_add_u32 v12, v10, 11, v84
	;;#ASMSTART
	s_waitcnt vmcnt(1)
	;;#ASMEND
	ds_write2_b32 v12, v4, v5 offset1:32
	ds_write2_b32 v12, v6, v7 offset0:64 offset1:96
	v_add_u32_e32 v4, 0x400, v12
	v_add_u32_e32 v88, s22, v88
	;;#ASMSTART
	s_waitcnt vmcnt(0)
	;;#ASMEND
	ds_write2_b32 v4, v0, v1 offset1:32
	ds_write2_b32 v4, v2, v3 offset0:64 offset1:96
	v_add_u32_e32 v0, 1, v63
	v_add_u32_e32 v56, s22, v10
	v_cmp_le_i32_e32 vcc, s10, v88
	ds_write_b32 v11, v0 offset:16
	v_add_u32_e32 v0, 2, v63
	s_or_b64 s[4:5], vcc, s[4:5]
	v_cmp_lt_i32_e32 vcc, 3, v56
	s_nop 1
	v_cndmask_b32_e32 v63, v63, v0, vcc
	s_andn2_b64 exec, exec, s[4:5]
	s_cbranch_execz .LBB172_41
.LBB172_38:                             ;   Parent Loop BB172_7 Depth=1
                                        ; =>  This Loop Header: Depth=2
                                        ;       Child Loop BB172_40 Depth 3
	v_cmp_gt_i32_e32 vcc, 4, v56
	s_nop 1
	v_cndmask_b32_e64 v0, -4, 0, vcc
	v_add_u32_e32 v10, v0, v56
	v_lshrrev_b32_e32 v0, 31, v88
	v_add_u32_e32 v0, v88, v0
	v_and_b32_e32 v1, -2, v0
	v_lshlrev_b32_e32 v0, 5, v0
	v_sub_u32_e32 v2, v88, v1
	v_and_b32_e32 v0, 0xffffffc0, v0
	v_ashrrev_i32_e32 v1, 31, v0
	v_mul_lo_u32 v2, s30, v2
	v_lshl_add_u64 v[0:1], v[8:9], 0, v[0:1]
	v_ashrrev_i32_e32 v3, 31, v2
	v_lshl_add_u64 v[0:1], v[0:1], 0, v[2:3]
	v_lshlrev_b32_e32 v11, 2, v10
	;;#ASMSTART
	global_load_dwordx4 v[4:7], v[0:1], off offset:0   sc0 sc1 nt  
	global_load_dwordx4 v[0:3], v[0:1], off offset:32  sc0 sc1 nt  
	
	;;#ASMEND
	ds_read_b32 v12, v11 offset:16400
	v_add_u32_e32 v11, 0x4000, v11
	s_waitcnt lgkmcnt(0)
	v_cmp_ne_u32_e32 vcc, v12, v63
	s_and_saveexec_b64 s[6:7], vcc
	s_cbranch_execz .LBB172_37
; %bb.39:                               ;   in Loop: Header=BB172_38 Depth=2
	s_mov_b64 s[8:9], 0
.LBB172_40:                             ;   Parent Loop BB172_7 Depth=1
                                        ;     Parent Loop BB172_38 Depth=2
                                        ; =>    This Inner Loop Header: Depth=3
	;;#ASMSTART
	s_sleep 0
	;;#ASMEND
	ds_read_b32 v12, v11 offset:16
	s_waitcnt lgkmcnt(0)
	v_cmp_eq_u32_e32 vcc, v12, v63
	s_or_b64 s[8:9], vcc, s[8:9]
	s_andn2_b64 exec, exec, s[8:9]
	s_cbranch_execnz .LBB172_40
	s_branch .LBB172_37
.LBB172_41:                             ;   in Loop: Header=BB172_7 Depth=1
	s_or_b64 exec, exec, s[4:5]
.LBB172_42:                             ;   in Loop: Header=BB172_7 Depth=1
	s_or_b64 exec, exec, s[2:3]
	v_subrev_u32_e32 v88, s10, v88
.LBB172_43:                             ;   in Loop: Header=BB172_7 Depth=1
	s_or_b64 exec, exec, s[0:1]
.LBB172_44:                             ;   in Loop: Header=BB172_7 Depth=1
	s_andn2_saveexec_b64 s[0:1], s[38:39]
	s_cbranch_execz .LBB172_6
; %bb.45:                               ;   in Loop: Header=BB172_7 Depth=1
	s_lshl_b32 s10, s99, 1
	v_cmp_gt_i32_e32 vcc, s10, v88
	s_and_saveexec_b64 s[2:3], vcc
	s_cbranch_execz .LBB172_5
; %bb.46:                               ;   in Loop: Header=BB172_7 Depth=1
	s_mul_i32 s4, s52, s18
	s_max_i32 s6, s53, 0
	s_ashr_i32 s5, s4, 31
	s_add_u32 s4, s44, s4
	v_add_u32_e32 v2, s6, v64
	s_addc_u32 s5, s45, s5
	s_ashr_i32 s7, s37, 31
	v_cmp_gt_u32_e32 vcc, 64, v2
	s_add_u32 s4, s4, s37
	s_addc_u32 s5, s5, s7
	v_cndmask_b32_e32 v0, 0, v85, vcc
	v_ashrrev_i32_e32 v1, 31, v0
	v_lshl_add_u64 v[0:1], s[4:5], 0, v[0:1]
	v_lshl_add_u64 v[8:9], v[0:1], 0, v[50:51]
	v_sub_u32_e32 v10, 63, v2
	s_mov_b64 s[4:5], 0
	s_branch .LBB172_48
.LBB172_47:                             ;   in Loop: Header=BB172_48 Depth=2
	s_or_b64 exec, exec, s[6:7]
	v_lshl_or_b32 v13, v11, 11, v86
	;;#ASMSTART
	s_waitcnt vmcnt(1)
	;;#ASMEND
	ds_write2_b32 v13, v4, v5 offset1:32
	ds_write2_b32 v13, v6, v7 offset0:64 offset1:96
	v_add_u32_e32 v4, 0x400, v13
	v_add_u32_e32 v88, s21, v88
	;;#ASMSTART
	s_waitcnt vmcnt(0)
	;;#ASMEND
	ds_write2_b32 v4, v0, v1 offset1:32
	ds_write2_b32 v4, v2, v3 offset0:64 offset1:96
	v_add_u32_e32 v0, 1, v63
	v_add_u32_e32 v56, s21, v11
	v_cmp_le_i32_e32 vcc, s10, v88
	ds_write_b32 v12, v0
	v_add_u32_e32 v0, 2, v63
	s_or_b64 s[4:5], vcc, s[4:5]
	v_cmp_lt_i32_e32 vcc, 3, v56
	s_nop 1
	v_cndmask_b32_e32 v63, v63, v0, vcc
	s_andn2_b64 exec, exec, s[4:5]
	s_cbranch_execz .LBB172_4
.LBB172_48:                             ;   Parent Loop BB172_7 Depth=1
                                        ; =>  This Loop Header: Depth=2
                                        ;       Child Loop BB172_50 Depth 3
	v_cmp_gt_i32_e32 vcc, 4, v56
	s_nop 1
	v_cndmask_b32_e64 v0, -4, 0, vcc
	v_add_u32_e32 v11, v0, v56
	v_lshrrev_b32_e32 v0, 31, v88
	v_add_u32_e32 v0, v88, v0
	v_and_b32_e32 v1, 0x7fffffe, v0
	v_sub_u32_e32 v1, v88, v1
	v_lshlrev_b32_e32 v1, 5, v1
	v_cmp_le_i32_e32 vcc, v1, v10
	v_lshlrev_b32_e32 v0, 5, v0
	v_and_b32_e32 v0, 0xffffffc0, v0
	v_cndmask_b32_e32 v2, 0, v1, vcc
	v_ashrrev_i32_e32 v1, 31, v0
	v_mul_lo_u32 v2, v2, s18
	v_lshl_add_u64 v[0:1], v[8:9], 0, v[0:1]
	v_ashrrev_i32_e32 v3, 31, v2
	v_lshl_add_u64 v[0:1], v[0:1], 0, v[2:3]
	v_lshlrev_b32_e32 v12, 2, v11
	;;#ASMSTART
	global_load_dwordx4 v[4:7], v[0:1], off offset:0   
	global_load_dwordx4 v[0:3], v[0:1], off offset:32  
	
	;;#ASMEND
	ds_read_b32 v13, v12 offset:16384
	v_add_u32_e32 v12, 0x4000, v12
	s_waitcnt lgkmcnt(0)
	v_cmp_ne_u32_e32 vcc, v13, v63
	s_and_saveexec_b64 s[6:7], vcc
	s_cbranch_execz .LBB172_47
; %bb.49:                               ;   in Loop: Header=BB172_48 Depth=2
	s_mov_b64 s[8:9], 0
.LBB172_50:                             ;   Parent Loop BB172_7 Depth=1
                                        ;     Parent Loop BB172_48 Depth=2
                                        ; =>    This Inner Loop Header: Depth=3
	;;#ASMSTART
	s_sleep 0
	;;#ASMEND
	ds_read_b32 v13, v12
	s_waitcnt lgkmcnt(0)
	v_cmp_eq_u32_e32 vcc, v13, v63
	s_or_b64 s[8:9], vcc, s[8:9]
	s_andn2_b64 exec, exec, s[8:9]
	s_cbranch_execnz .LBB172_50
	s_branch .LBB172_47
.LBB172_51:
	s_endpgm
	.section	.rodata,"a",@progbits
	.p2align	6, 0x0
	.amdhsa_kernel _Z19_skinny_gemm_kernelILi2ELi2ELi2ELi32ELi4EEvPKhS1_P6__halfPKfiiiiiiii
		.amdhsa_group_segment_fixed_size 16416
		.amdhsa_private_segment_fixed_size 0
		.amdhsa_kernarg_size 64
		.amdhsa_user_sgpr_count 2
		.amdhsa_user_sgpr_dispatch_ptr 0
		.amdhsa_user_sgpr_queue_ptr 0
		.amdhsa_user_sgpr_kernarg_segment_ptr 1
		.amdhsa_user_sgpr_dispatch_id 0
		.amdhsa_user_sgpr_kernarg_preload_length 0
		.amdhsa_user_sgpr_kernarg_preload_offset 0
		.amdhsa_user_sgpr_private_segment_size 0
		.amdhsa_uses_dynamic_stack 0
		.amdhsa_enable_private_segment 0
		.amdhsa_system_sgpr_workgroup_id_x 1
		.amdhsa_system_sgpr_workgroup_id_y 0
		.amdhsa_system_sgpr_workgroup_id_z 0
		.amdhsa_system_sgpr_workgroup_info 0
		.amdhsa_system_vgpr_workitem_id 0
		.amdhsa_next_free_vgpr 100
		.amdhsa_next_free_sgpr 100
		.amdhsa_accum_offset 100
		.amdhsa_reserve_vcc 1
		.amdhsa_float_round_mode_32 0
		.amdhsa_float_round_mode_16_64 0
		.amdhsa_float_denorm_mode_32 3
		.amdhsa_float_denorm_mode_16_64 3
		.amdhsa_dx10_clamp 1
		.amdhsa_ieee_mode 1
		.amdhsa_fp16_overflow 0
		.amdhsa_tg_split 0
		.amdhsa_exception_fp_ieee_invalid_op 0
		.amdhsa_exception_fp_denorm_src 0
		.amdhsa_exception_fp_ieee_div_zero 0
		.amdhsa_exception_fp_ieee_overflow 0
		.amdhsa_exception_fp_ieee_underflow 0
		.amdhsa_exception_fp_ieee_inexact 0
		.amdhsa_exception_int_div_zero 0
	.end_amdhsa_kernel
	.section	.text._Z19_skinny_gemm_kernelILi2ELi2ELi2ELi32ELi4EEvPKhS1_P6__halfPKfiiiiiiii,"axG",@progbits,_Z19_skinny_gemm_kernelILi2ELi2ELi2ELi32ELi4EEvPKhS1_P6__halfPKfiiiiiiii,comdat
.Lfunc_end172:
	.size	_Z19_skinny_gemm_kernelILi2ELi2ELi2ELi32ELi4EEvPKhS1_P6__halfPKfiiiiiiii, .Lfunc_end172-_Z19_skinny_gemm_kernelILi2ELi2ELi2ELi32ELi4EEvPKhS1_P6__halfPKfiiiiiiii
                                        ; -- End function
	.set _Z19_skinny_gemm_kernelILi2ELi2ELi2ELi32ELi4EEvPKhS1_P6__halfPKfiiiiiiii.num_vgpr, 100
	.set _Z19_skinny_gemm_kernelILi2ELi2ELi2ELi32ELi4EEvPKhS1_P6__halfPKfiiiiiiii.num_agpr, 0
	.set _Z19_skinny_gemm_kernelILi2ELi2ELi2ELi32ELi4EEvPKhS1_P6__halfPKfiiiiiiii.numbered_sgpr, 100
	.set _Z19_skinny_gemm_kernelILi2ELi2ELi2ELi32ELi4EEvPKhS1_P6__halfPKfiiiiiiii.num_named_barrier, 0
	.set _Z19_skinny_gemm_kernelILi2ELi2ELi2ELi32ELi4EEvPKhS1_P6__halfPKfiiiiiiii.private_seg_size, 0
	.set _Z19_skinny_gemm_kernelILi2ELi2ELi2ELi32ELi4EEvPKhS1_P6__halfPKfiiiiiiii.uses_vcc, 1
	.set _Z19_skinny_gemm_kernelILi2ELi2ELi2ELi32ELi4EEvPKhS1_P6__halfPKfiiiiiiii.uses_flat_scratch, 0
	.set _Z19_skinny_gemm_kernelILi2ELi2ELi2ELi32ELi4EEvPKhS1_P6__halfPKfiiiiiiii.has_dyn_sized_stack, 0
	.set _Z19_skinny_gemm_kernelILi2ELi2ELi2ELi32ELi4EEvPKhS1_P6__halfPKfiiiiiiii.has_recursion, 0
	.set _Z19_skinny_gemm_kernelILi2ELi2ELi2ELi32ELi4EEvPKhS1_P6__halfPKfiiiiiiii.has_indirect_call, 0
	.section	.AMDGPU.csdata,"",@progbits
; Kernel info:
; codeLenInByte = 9648
; TotalNumSgprs: 106
; NumVgprs: 100
; NumAgprs: 0
; TotalNumVgprs: 100
; ScratchSize: 0
; MemoryBound: 0
; FloatMode: 240
; IeeeMode: 1
; LDSByteSize: 16416 bytes/workgroup (compile time only)
; SGPRBlocks: 13
; VGPRBlocks: 12
; NumSGPRsForWavesPerEU: 106
; NumVGPRsForWavesPerEU: 100
; AccumOffset: 100
; Occupancy: 4
; WaveLimiterHint : 0
; COMPUTE_PGM_RSRC2:SCRATCH_EN: 0
; COMPUTE_PGM_RSRC2:USER_SGPR: 2
; COMPUTE_PGM_RSRC2:TRAP_HANDLER: 0
; COMPUTE_PGM_RSRC2:TGID_X_EN: 1
; COMPUTE_PGM_RSRC2:TGID_Y_EN: 0
; COMPUTE_PGM_RSRC2:TGID_Z_EN: 0
; COMPUTE_PGM_RSRC2:TIDIG_COMP_CNT: 0
; COMPUTE_PGM_RSRC3_GFX90A:ACCUM_OFFSET: 24
; COMPUTE_PGM_RSRC3_GFX90A:TG_SPLIT: 0
	.section	.text._Z19_skinny_gemm_kernelILi2ELi2ELi2ELi32ELi8EEvPKhS1_P6__halfPKfiiiiiiii,"axG",@progbits,_Z19_skinny_gemm_kernelILi2ELi2ELi2ELi32ELi8EEvPKhS1_P6__halfPKfiiiiiiii,comdat
	.protected	_Z19_skinny_gemm_kernelILi2ELi2ELi2ELi32ELi8EEvPKhS1_P6__halfPKfiiiiiiii ; -- Begin function _Z19_skinny_gemm_kernelILi2ELi2ELi2ELi32ELi8EEvPKhS1_P6__halfPKfiiiiiiii
	.globl	_Z19_skinny_gemm_kernelILi2ELi2ELi2ELi32ELi8EEvPKhS1_P6__halfPKfiiiiiiii
	.p2align	8
	.type	_Z19_skinny_gemm_kernelILi2ELi2ELi2ELi32ELi8EEvPKhS1_P6__halfPKfiiiiiiii,@function
_Z19_skinny_gemm_kernelILi2ELi2ELi2ELi32ELi8EEvPKhS1_P6__halfPKfiiiiiiii: ; @_Z19_skinny_gemm_kernelILi2ELi2ELi2ELi32ELi8EEvPKhS1_P6__halfPKfiiiiiiii
; %bb.0:
	v_cmp_gt_u32_e32 vcc, 8, v0
	s_and_saveexec_b64 s[4:5], vcc
; %bb.1:
	v_lshlrev_b32_e32 v1, 2, v0
	v_mov_b32_e32 v2, 0
	ds_write_b32 v1, v2 offset:32768
; %bb.2:
	s_or_b64 exec, exec, s[4:5]
	s_load_dwordx8 s[16:23], s[0:1], 0x20
	s_waitcnt lgkmcnt(0)
	s_barrier
	s_add_i32 s3, s16, 63
	s_ashr_i32 s5, s3, 31
	s_add_i32 s4, s17, 63
	s_lshr_b32 s5, s5, 26
	s_ashr_i32 s6, s4, 31
	s_add_i32 s3, s3, s5
	s_ashr_i32 s11, s3, 6
	s_lshr_b32 s3, s6, 26
	s_add_i32 s4, s4, s3
	s_ashr_i32 s12, s4, 6
	s_mul_i32 s3, s12, s11
	s_mul_i32 s3, s3, s20
	s_add_i32 s4, s3, 0x12f
	s_mul_hi_i32 s4, s4, 0x6bca1af3
	s_lshr_b32 s5, s4, 31
	s_ashr_i32 s4, s4, 7
	s_add_i32 s4, s4, s5
	s_add_i32 s5, s2, 1
	s_mul_i32 s5, s4, s5
	v_cvt_f64_i32_e32 v[2:3], s3
	v_cvt_f64_u32_e32 v[4:5], s5
	v_min_f64 v[2:3], v[2:3], v[4:5]
	v_cvt_i32_f64_e32 v70, v[2:3]
	s_mul_i32 s33, s4, s2
	v_cmp_ge_i32_e32 vcc, s33, v70
	s_cbranch_vccnz .LBB173_51
; %bb.3:
	s_load_dwordx8 s[44:51], s[0:1], 0x0
	v_lshrrev_b32_e32 v1, 6, v0
	s_add_i32 s0, s22, s21
	v_cmp_le_i32_e64 s[14:15], s0, v1
	v_mov_b32_e32 v2, s21
	v_cmp_le_i32_e64 s[24:25], s21, v1
	v_mov_b32_e32 v3, s22
	v_cndmask_b32_e64 v3, 0, v3, s[14:15]
	v_cndmask_b32_e64 v2, 0, v2, s[24:25]
	s_abs_i32 s1, s20
	v_add_u32_e32 v2, v2, v3
	v_cvt_f32_u32_e32 v3, s1
	v_sub_u32_e32 v56, v1, v2
	s_ashr_i32 s2, s18, 31
	s_lshr_b32 s2, s2, 25
	v_rcp_iflag_f32_e32 v2, v3
	s_sub_i32 s5, 0, s1
	s_add_i32 s2, s18, s2
	s_ashr_i32 s2, s2, 7
	v_mul_f32_e32 v2, 0x4f7ffffe, v2
	v_cvt_u32_f32_e32 v2, v2
	s_abs_i32 s4, s2
	s_xor_b32 s3, s2, s20
	s_ashr_i32 s3, s3, 31
	v_readfirstlane_b32 s6, v2
	s_mul_i32 s5, s5, s6
	s_mul_hi_u32 s5, s6, s5
	s_add_i32 s6, s6, s5
	s_mul_hi_u32 s5, s4, s6
	s_mul_i32 s6, s5, s1
	s_sub_i32 s4, s4, s6
	s_add_i32 s6, s5, 1
	s_sub_i32 s7, s4, s1
	s_cmp_ge_u32 s4, s1
	s_cselect_b32 s5, s6, s5
	s_cselect_b32 s4, s7, s4
	s_add_i32 s6, s5, 1
	s_cmp_ge_u32 s4, s1
	s_cselect_b32 s1, s6, s5
	s_add_i32 s0, s0, s23
	v_and_b32_e32 v72, 31, v0
	v_lshrrev_b32_e32 v2, 3, v0
	v_cmp_gt_i32_e64 s[28:29], s0, v1
	v_lshlrev_b32_e32 v1, 2, v72
	v_and_b32_e32 v3, 4, v2
	v_and_b32_e32 v5, 1, v0
	v_lshlrev_b32_e32 v2, 6, v3
	v_or_b32_e32 v4, 0x4000, v1
	v_or_b32_e32 v3, v3, v5
	v_or_b32_e32 v73, v1, v2
	v_or_b32_e32 v74, v4, v2
	v_lshlrev_b32_e32 v2, 1, v5
	v_or_b32_e32 v5, 2, v3
	v_sub_u32_e32 v85, 32, v5
	v_or_b32_e32 v5, 8, v3
	v_sub_u32_e32 v86, 32, v5
	;; [unrolled: 2-line block ×3, first 2 shown]
	v_or_b32_e32 v5, 16, v3
                                        ; implicit-def: $vgpr105 : SGPR spill to VGPR lane
	v_sub_u32_e32 v88, 32, v5
	v_or_b32_e32 v5, 18, v3
	v_writelane_b32 v105, s11, 0
	v_sub_u32_e32 v84, 32, v3
	v_mul_lo_u32 v34, s17, v3
	v_sub_u32_e32 v89, 32, v5
	v_or_b32_e32 v5, 24, v3
	v_or_b32_e32 v3, 26, v3
	v_writelane_b32 v105, s12, 1
	v_sub_u32_e32 v91, 32, v3
	v_lshrrev_b32_e32 v3, 1, v0
	s_abs_i32 s30, s11
	s_waitcnt lgkmcnt(0)
	v_writelane_b32 v105, s44, 2
	v_and_b32_e32 v50, 16, v3
	v_cvt_f32_u32_e32 v3, s30
	v_writelane_b32 v105, s45, 3
	v_sub_u32_e32 v2, v0, v2
	v_writelane_b32 v105, s46, 4
	v_add_u32_e32 v2, 1, v2
	v_writelane_b32 v105, s47, 5
	v_and_b32_e32 v6, 63, v2
	v_bitop3_b32 v75, v0, 1, v0 bitop3:0xc
	v_bitop3_b32 v76, v0, 3, 1 bitop3:0x6c
	;; [unrolled: 1-line block ×8, first 2 shown]
	v_and_b32_e32 v2, 30, v0
	v_lshlrev_b32_e32 v0, 4, v0
	v_writelane_b32 v105, s48, 6
	v_and_b32_e32 v0, 0x200, v0
	v_rcp_iflag_f32_e32 v3, v3
	s_abs_i32 s34, s12
	v_writelane_b32 v105, s49, 7
	s_xor_b32 s1, s1, s3
	v_or_b32_e32 v94, v1, v0
	v_cvt_f32_u32_e32 v1, s34
	v_writelane_b32 v105, s50, 8
	s_sub_i32 s13, s1, s3
	s_add_i32 s26, s20, -1
	v_writelane_b32 v105, s51, 9
	v_cndmask_b32_e64 v71, 0, 1, s[14:15]
	s_mul_i32 s1, s13, s26
	s_lshl_b32 s0, s17, 1
	v_writelane_b32 v105, s14, 10
	s_sub_i32 s27, s2, s1
	v_add_u32_e32 v36, s0, v34
	s_mul_i32 s1, s17, 6
	v_or_b32_e32 v92, v4, v0
	v_mul_f32_e32 v0, 0x4f7ffffe, v3
	v_writelane_b32 v105, s15, 11
	v_add_u32_e32 v38, s1, v36
	v_cvt_u32_f32_e32 v0, v0
	v_rcp_iflag_f32_e32 v1, v1
	v_writelane_b32 v105, s24, 12
	v_add_u32_e32 v40, s0, v38
	v_add_u32_e32 v42, s1, v40
	v_writelane_b32 v105, s25, 13
	v_writelane_b32 v105, s13, 14
	v_add_u32_e32 v44, s0, v42
	v_writelane_b32 v105, s26, 15
	v_add_u32_e32 v46, s1, v44
	v_readfirstlane_b32 s1, v0
	v_mul_f32_e32 v0, 0x4f7ffffe, v1
	v_writelane_b32 v105, s27, 16
	v_cvt_u32_f32_e32 v0, v0
	v_writelane_b32 v105, s28, 17
	v_add_u32_e32 v48, s0, v46
	s_sub_i32 s0, 0, s30
	v_writelane_b32 v105, s29, 18
	s_lshl_b32 s31, s19, 5
	s_mul_i32 s0, s0, s1
	v_writelane_b32 v105, s30, 19
	s_mul_hi_u32 s0, s1, s0
	v_writelane_b32 v105, s31, 20
	s_ashr_i32 s35, s11, 31
	s_add_i32 s36, s1, s0
	s_sub_i32 s0, 0, s34
	v_readfirstlane_b32 s1, v0
	v_mbcnt_lo_u32_b32 v0, -1, 0
	v_writelane_b32 v105, s34, 21
	s_mul_i32 s0, s0, s1
	v_mbcnt_hi_u32_b32 v0, -1, v0
	v_writelane_b32 v105, s35, 22
	v_mov_b32_e32 v33, 0
	v_mul_lo_u32 v52, s19, v72
	s_ashr_i32 s37, s12, 31
	s_mul_hi_u32 s0, s1, s0
	v_and_or_b32 v0, v0, 64, v6
	v_writelane_b32 v105, s36, 23
	v_or_b32_e32 v83, 32, v72
	v_ashrrev_i32_e32 v35, 31, v34
	v_ashrrev_i32_e32 v37, 31, v36
	;; [unrolled: 1-line block ×6, first 2 shown]
	v_sub_u32_e32 v90, 32, v5
	v_ashrrev_i32_e32 v47, 31, v46
	v_ashrrev_i32_e32 v49, 31, v48
	;; [unrolled: 1-line block ×3, first 2 shown]
	v_mov_b32_e32 v51, v33
	v_mul_lo_u32 v93, s18, v72
	s_add_i32 s38, s1, s0
	v_lshlrev_b32_e32 v32, 1, v2
	v_lshlrev_b32_e32 v95, 2, v0
	v_mov_b32_e32 v96, v56
	v_writelane_b32 v105, s37, 24
	v_writelane_b32 v105, s38, 25
	s_branch .LBB173_7
.LBB173_4:                              ;   in Loop: Header=BB173_7 Depth=1
	s_or_b64 exec, exec, s[4:5]
.LBB173_5:                              ;   in Loop: Header=BB173_7 Depth=1
	s_or_b64 exec, exec, s[2:3]
	v_subrev_u32_e32 v96, s10, v96
.LBB173_6:                              ;   in Loop: Header=BB173_7 Depth=1
	s_or_b64 exec, exec, s[0:1]
	s_add_i32 s33, s33, 1
	v_cmp_ge_i32_e32 vcc, s33, v70
	s_cbranch_vccnz .LBB173_51
.LBB173_7:                              ; =>This Loop Header: Depth=1
                                        ;     Child Loop BB173_13 Depth 2
                                        ;       Child Loop BB173_15 Depth 3
                                        ;       Child Loop BB173_18 Depth 3
	;; [unrolled: 1-line block ×3, first 2 shown]
                                        ;     Child Loop BB173_38 Depth 2
                                        ;       Child Loop BB173_40 Depth 3
                                        ;     Child Loop BB173_48 Depth 2
                                        ;       Child Loop BB173_50 Depth 3
	s_abs_i32 s1, s33
	s_mul_hi_u32 s2, s1, s36
	s_mul_i32 s3, s2, s30
	s_ashr_i32 s0, s33, 31
	s_sub_i32 s1, s1, s3
	s_xor_b32 s0, s0, s35
	s_add_i32 s3, s2, 1
	s_sub_i32 s4, s1, s30
	s_cmp_ge_u32 s1, s30
	s_cselect_b32 s2, s3, s2
	s_cselect_b32 s1, s4, s1
	s_add_i32 s3, s2, 1
	s_cmp_ge_u32 s1, s30
	s_cselect_b32 s1, s3, s2
	s_xor_b32 s1, s1, s0
	s_sub_i32 s0, s1, s0
	s_abs_i32 s2, s0
	s_mul_i32 s1, s0, s11
	s_mul_hi_u32 s3, s2, s38
	s_sub_i32 s1, s33, s1
	s_mul_i32 s4, s3, s34
	s_lshl_b32 s52, s1, 6
	s_ashr_i32 s1, s0, 31
	s_sub_i32 s2, s2, s4
	s_xor_b32 s1, s1, s37
	s_add_i32 s4, s3, 1
	s_sub_i32 s5, s2, s34
	s_cmp_ge_u32 s2, s34
	s_cselect_b32 s3, s4, s3
	s_cselect_b32 s2, s5, s2
	s_add_i32 s4, s3, 1
	s_cmp_ge_u32 s2, s34
	s_cselect_b32 s2, s4, s3
	s_xor_b32 s2, s2, s1
	s_sub_i32 s1, s2, s1
	s_mul_i32 s2, s1, s13
	s_lshl_b32 s39, s2, 7
	s_cmp_eq_u32 s1, s26
	s_cselect_b32 s20, s27, s13
	s_sub_i32 s2, s52, s16
	s_add_i32 s53, s2, 64
	s_and_saveexec_b64 s[2:3], s[24:25]
	s_xor_b64 s[40:41], exec, s[2:3]
	s_cbranch_execz .LBB173_44
; %bb.8:                                ;   in Loop: Header=BB173_7 Depth=1
	s_mul_i32 s1, s1, s12
	s_sub_i32 s0, s0, s1
	s_lshl_b32 s0, s0, 6
	s_sub_i32 s90, s0, s17
	s_add_i32 s90, s90, 64
	s_max_i32 s1, s90, 0
	s_sub_i32 s54, s0, s1
	s_and_saveexec_b64 s[0:1], s[14:15]
	s_xor_b64 s[4:5], exec, s[0:1]
	s_cbranch_execz .LBB173_34
; %bb.9:                                ;   in Loop: Header=BB173_7 Depth=1
	s_and_saveexec_b64 s[2:3], s[28:29]
	s_cbranch_execz .LBB173_33
; %bb.10:                               ;   in Loop: Header=BB173_7 Depth=1
	global_load_dword v97, v33, s[50:51]
	v_writelane_b32 v105, s2, 26
	v_mov_b32_e32 v31, 0
	v_cmp_gt_i32_e32 vcc, s20, v96
	v_writelane_b32 v105, s3, 27
	v_writelane_b32 v105, s4, 28
	v_mov_b32_e32 v30, v31
	v_mov_b32_e32 v29, v31
	v_mov_b32_e32 v28, v31
	v_mov_b32_e32 v27, v31
	v_mov_b32_e32 v26, v31
	v_mov_b32_e32 v25, v31
	v_mov_b32_e32 v24, v31
	v_mov_b32_e32 v23, v31
	v_mov_b32_e32 v22, v31
	v_mov_b32_e32 v21, v31
	v_mov_b32_e32 v20, v31
	v_mov_b32_e32 v19, v31
	s_waitcnt lgkmcnt(1)
	v_mov_b32_e32 v18, v31
	v_mov_b32_e32 v17, v31
	;; [unrolled: 1-line block ×19, first 2 shown]
	v_writelane_b32 v105, s5, 29
	s_and_saveexec_b64 s[0:1], vcc
	s_cbranch_execz .LBB173_23
; %bb.11:                               ;   in Loop: Header=BB173_7 Depth=1
	v_mov_b32_e32 v0, 0
	s_mov_b64 s[2:3], 0
	v_mov_b32_e32 v1, v0
	v_mov_b32_e32 v2, v0
	;; [unrolled: 1-line block ×31, first 2 shown]
	s_branch .LBB173_13
.LBB173_12:                             ;   in Loop: Header=BB173_13 Depth=2
	s_or_b64 exec, exec, s[4:5]
	v_add_u32_e32 v104, 0x1000, v101
	ds_read2_b32 v[102:103], v104 offset1:32
	v_add_u32_e32 v96, s23, v96
	s_waitcnt lgkmcnt(0)
	v_mfma_f32_32x32x16_fp8_fp8 v[0:15], v[68:69], v[102:103], v[0:15]
	ds_read2_b32 v[68:69], v104 offset0:128 offset1:160
	s_waitcnt lgkmcnt(0)
	v_mfma_f32_32x32x16_fp8_fp8 v[0:15], v[66:67], v[68:69], v[0:15]
	v_add_u32_e32 v68, 0x1400, v101
	ds_read2_b32 v[66:67], v68 offset1:32
	s_waitcnt lgkmcnt(0)
	v_mfma_f32_32x32x16_fp8_fp8 v[0:15], v[64:65], v[66:67], v[0:15]
	ds_read2_b32 v[64:65], v68 offset0:128 offset1:160
	s_waitcnt lgkmcnt(0)
	v_mfma_f32_32x32x16_fp8_fp8 v[0:15], v[62:63], v[64:65], v[0:15]
	v_add_u32_e32 v64, 0x1800, v101
	ds_read2_b32 v[62:63], v64 offset1:32
	;; [unrolled: 7-line block ×3, first 2 shown]
	ds_read2_b32 v[60:61], v60 offset0:128 offset1:160
	ds_write_b32 v99, v100 offset:32780
	s_waitcnt lgkmcnt(2)
	v_mfma_f32_32x32x16_fp8_fp8 v[0:15], v[56:57], v[58:59], v[0:15]
	v_add_u32_e32 v56, s23, v98
	v_add_u32_e32 v57, 2, v71
	v_cmp_lt_i32_e32 vcc, 1, v56
	s_nop 1
	v_cndmask_b32_e32 v71, v71, v57, vcc
	v_cmp_le_i32_e32 vcc, s20, v96
	s_waitcnt lgkmcnt(1)
	v_mfma_f32_32x32x16_fp8_fp8 v[0:15], v[54:55], v[60:61], v[0:15]
	s_or_b64 s[2:3], vcc, s[2:3]
	s_andn2_b64 exec, exec, s[2:3]
	s_cbranch_execz .LBB173_22
.LBB173_13:                             ;   Parent Loop BB173_7 Depth=1
                                        ; =>  This Loop Header: Depth=2
                                        ;       Child Loop BB173_15 Depth 3
                                        ;       Child Loop BB173_18 Depth 3
                                        ;       Child Loop BB173_21 Depth 3
	v_cmp_gt_i32_e32 vcc, 2, v56
	s_nop 1
	v_cndmask_b32_e64 v54, -2, 0, vcc
	v_add_u32_e32 v98, v54, v56
	v_lshlrev_b32_e32 v99, 4, v98
	ds_read_b32 v54, v99 offset:32768
	s_waitcnt lgkmcnt(0)
	v_cmp_ne_u32_e32 vcc, v54, v71
	s_and_saveexec_b64 s[4:5], vcc
	s_cbranch_execz .LBB173_16
; %bb.14:                               ;   in Loop: Header=BB173_13 Depth=2
	s_mov_b64 s[6:7], 0
.LBB173_15:                             ;   Parent Loop BB173_7 Depth=1
                                        ;     Parent Loop BB173_13 Depth=2
                                        ; =>    This Inner Loop Header: Depth=3
	;;#ASMSTART
	s_sleep 0
	;;#ASMEND
	ds_read_b32 v54, v99 offset:32768
	s_waitcnt lgkmcnt(0)
	v_cmp_eq_u32_e32 vcc, v54, v71
	s_or_b64 s[6:7], vcc, s[6:7]
	s_andn2_b64 exec, exec, s[6:7]
	s_cbranch_execnz .LBB173_15
.LBB173_16:                             ;   in Loop: Header=BB173_13 Depth=2
	s_or_b64 exec, exec, s[4:5]
	v_lshl_or_b32 v54, v98, 12, v73
	v_add_u32_e32 v55, 0x400, v54
	ds_read2_b32 v[68:69], v54 offset1:32
	ds_read2_b32 v[66:67], v54 offset0:128 offset1:160
	ds_read2_b32 v[64:65], v55 offset1:32
	ds_read2_b32 v[62:63], v55 offset0:128 offset1:160
	v_add_u32_e32 v55, 0x800, v54
	v_add_u32_e32 v54, 0xc00, v54
	ds_read2_b32 v[60:61], v55 offset1:32
	ds_read2_b32 v[58:59], v55 offset0:128 offset1:160
	ds_read2_b32 v[56:57], v54 offset1:32
	ds_read_b32 v101, v99 offset:32772
	ds_read2_b32 v[54:55], v54 offset0:128 offset1:160
	v_add_u32_e32 v100, 1, v71
	ds_write_b32 v99, v100 offset:32768
	s_waitcnt lgkmcnt(2)
	v_cmp_ne_u32_e32 vcc, v101, v71
	s_and_saveexec_b64 s[4:5], vcc
	s_cbranch_execz .LBB173_19
; %bb.17:                               ;   in Loop: Header=BB173_13 Depth=2
	s_mov_b64 s[6:7], 0
.LBB173_18:                             ;   Parent Loop BB173_7 Depth=1
                                        ;     Parent Loop BB173_13 Depth=2
                                        ; =>    This Inner Loop Header: Depth=3
	;;#ASMSTART
	s_sleep 0
	;;#ASMEND
	ds_read_b32 v101, v99 offset:32772
	s_waitcnt lgkmcnt(0)
	v_cmp_eq_u32_e32 vcc, v101, v71
	s_or_b64 s[6:7], vcc, s[6:7]
	s_andn2_b64 exec, exec, s[6:7]
	s_cbranch_execnz .LBB173_18
.LBB173_19:                             ;   in Loop: Header=BB173_13 Depth=2
	s_or_b64 exec, exec, s[4:5]
	v_lshlrev_b32_e32 v101, 13, v98
	v_add_u32_e32 v101, v74, v101
	ds_read2_b32 v[102:103], v101 offset1:32
	v_add_u32_e32 v104, 0x400, v101
	ds_write_b32 v99, v100 offset:32772
	s_waitcnt lgkmcnt(1)
	v_mfma_f32_32x32x16_fp8_fp8 v[16:31], v[68:69], v[102:103], v[16:31]
	ds_read2_b32 v[102:103], v101 offset0:128 offset1:160
	s_waitcnt lgkmcnt(0)
	v_mfma_f32_32x32x16_fp8_fp8 v[16:31], v[66:67], v[102:103], v[16:31]
	ds_read2_b32 v[102:103], v104 offset1:32
	s_waitcnt lgkmcnt(0)
	v_mfma_f32_32x32x16_fp8_fp8 v[16:31], v[64:65], v[102:103], v[16:31]
	ds_read2_b32 v[102:103], v104 offset0:128 offset1:160
	v_add_u32_e32 v104, 0x800, v101
	s_waitcnt lgkmcnt(0)
	v_mfma_f32_32x32x16_fp8_fp8 v[16:31], v[62:63], v[102:103], v[16:31]
	ds_read2_b32 v[102:103], v104 offset1:32
	s_waitcnt lgkmcnt(0)
	v_mfma_f32_32x32x16_fp8_fp8 v[16:31], v[60:61], v[102:103], v[16:31]
	ds_read2_b32 v[102:103], v104 offset0:128 offset1:160
	v_add_u32_e32 v104, 0xc00, v101
	s_waitcnt lgkmcnt(0)
	v_mfma_f32_32x32x16_fp8_fp8 v[16:31], v[58:59], v[102:103], v[16:31]
	ds_read2_b32 v[102:103], v104 offset1:32
	s_waitcnt lgkmcnt(0)
	v_mfma_f32_32x32x16_fp8_fp8 v[16:31], v[56:57], v[102:103], v[16:31]
	ds_read2_b32 v[102:103], v104 offset0:128 offset1:160
	ds_read_b32 v104, v99 offset:32780
	s_waitcnt lgkmcnt(0)
	v_cmp_ne_u32_e32 vcc, v104, v71
	v_mfma_f32_32x32x16_fp8_fp8 v[16:31], v[54:55], v[102:103], v[16:31]
	s_and_saveexec_b64 s[4:5], vcc
	s_cbranch_execz .LBB173_12
; %bb.20:                               ;   in Loop: Header=BB173_13 Depth=2
	s_mov_b64 s[6:7], 0
.LBB173_21:                             ;   Parent Loop BB173_7 Depth=1
                                        ;     Parent Loop BB173_13 Depth=2
                                        ; =>    This Inner Loop Header: Depth=3
	;;#ASMSTART
	s_sleep 0
	;;#ASMEND
	ds_read_b32 v102, v99 offset:32780
	s_waitcnt lgkmcnt(0)
	v_cmp_eq_u32_e32 vcc, v102, v71
	s_or_b64 s[6:7], vcc, s[6:7]
	s_andn2_b64 exec, exec, s[6:7]
	s_cbranch_execnz .LBB173_21
	s_branch .LBB173_12
.LBB173_22:                             ;   in Loop: Header=BB173_7 Depth=1
	s_or_b64 exec, exec, s[2:3]
.LBB173_23:                             ;   in Loop: Header=BB173_7 Depth=1
	v_writelane_b32 v105, s54, 30
	s_nop 1
	v_writelane_b32 v105, s55, 31
	v_writelane_b32 v105, s40, 32
	s_nop 1
	v_writelane_b32 v105, s41, 33
	v_writelane_b32 v105, s53, 34
	;; [unrolled: 1-line block ×4, first 2 shown]
	s_or_b64 exec, exec, s[0:1]
	v_cmp_le_i32_e32 vcc, s90, v72
	v_cmp_eq_u32_e64 s[86:87], 1, v75
	v_cmp_eq_u32_e64 s[50:51], 2, v75
	s_waitcnt vmcnt(0)
	v_cndmask_b32_e32 v54, 0, v97, vcc
	v_pk_mul_f32 v[16:17], v[54:55], v[16:17] op_sel_hi:[0,1]
	v_pk_mul_f32 v[30:31], v[54:55], v[30:31] op_sel_hi:[0,1]
	v_pk_mul_f32 v[28:29], v[54:55], v[28:29] op_sel_hi:[0,1]
	v_pk_mul_f32 v[26:27], v[54:55], v[26:27] op_sel_hi:[0,1]
	v_pk_mul_f32 v[24:25], v[54:55], v[24:25] op_sel_hi:[0,1]
	v_pk_mul_f32 v[22:23], v[54:55], v[22:23] op_sel_hi:[0,1]
	v_pk_mul_f32 v[20:21], v[54:55], v[20:21] op_sel_hi:[0,1]
	v_pk_mul_f32 v[18:19], v[54:55], v[18:19] op_sel_hi:[0,1]
	v_cndmask_b32_e64 v54, v16, v17, s[86:87]
	v_cndmask_b32_e64 v54, v54, v18, s[50:51]
	v_cmp_eq_u32_e64 s[52:53], 3, v75
	v_cmp_eq_u32_e64 s[56:57], 4, v75
	v_cmp_eq_u32_e64 s[60:61], 5, v75
	v_cndmask_b32_e64 v54, v54, v19, s[52:53]
	v_cndmask_b32_e64 v54, v54, v20, s[56:57]
	v_cndmask_b32_e64 v54, v54, v21, s[60:61]
	v_cmp_eq_u32_e64 s[64:65], 6, v75
	v_cmp_eq_u32_e64 s[68:69], 7, v75
	v_cmp_eq_u32_e64 s[72:73], 8, v75
	v_cndmask_b32_e64 v54, v54, v22, s[64:65]
	v_cndmask_b32_e64 v54, v54, v23, s[68:69]
	v_cndmask_b32_e64 v54, v54, v24, s[72:73]
	v_cmp_eq_u32_e64 s[74:75], 9, v75
	v_cmp_eq_u32_e64 s[76:77], 10, v75
	v_cmp_eq_u32_e64 s[78:79], 11, v75
	v_cndmask_b32_e64 v54, v54, v25, s[74:75]
	v_cndmask_b32_e64 v54, v54, v26, s[76:77]
	v_cndmask_b32_e64 v54, v54, v27, s[78:79]
	v_cmp_eq_u32_e64 s[80:81], 12, v75
	v_cmp_eq_u32_e64 s[82:83], 13, v75
	v_cmp_eq_u32_e64 s[84:85], 14, v75
	v_cndmask_b32_e64 v54, v54, v28, s[80:81]
	v_cndmask_b32_e64 v54, v54, v29, s[82:83]
	v_cndmask_b32_e64 v54, v54, v30, s[84:85]
	v_cmp_eq_u32_e64 s[88:89], 15, v75
	v_cmp_eq_u32_e64 s[70:71], 0, v75
	v_cmp_eq_u32_e64 s[24:25], 1, v76
	v_cndmask_b32_e64 v54, v54, v31, s[88:89]
	ds_bpermute_b32 v54, v95, v54
	v_cmp_eq_u32_e64 s[26:27], 2, v76
	v_cmp_eq_u32_e64 s[28:29], 3, v76
	;; [unrolled: 1-line block ×4, first 2 shown]
	s_waitcnt lgkmcnt(0)
	v_cndmask_b32_e64 v62, v17, v54, s[86:87]
	v_cndmask_b32_e64 v16, v16, v54, s[70:71]
	;; [unrolled: 1-line block ×12, first 2 shown]
	v_cmp_eq_u32_e64 s[36:37], 6, v76
	v_cndmask_b32_e64 v55, v23, v54, s[68:69]
	v_cmp_eq_u32_e64 s[38:39], 7, v76
	v_cndmask_b32_e64 v17, v17, v57, s[36:37]
	v_cndmask_b32_e64 v24, v24, v54, s[72:73]
	v_cndmask_b32_e64 v17, v17, v55, s[38:39]
	v_cmp_eq_u32_e64 s[42:43], 8, v76
	v_cndmask_b32_e64 v25, v25, v54, s[74:75]
	v_cmp_eq_u32_e64 s[44:45], 9, v76
	v_cndmask_b32_e64 v17, v17, v24, s[42:43]
	v_cndmask_b32_e64 v26, v26, v54, s[76:77]
	v_cndmask_b32_e64 v17, v17, v25, s[44:45]
	;; [unrolled: 6-line block ×4, first 2 shown]
	v_cmp_eq_u32_e64 s[62:63], 14, v76
	v_cndmask_b32_e64 v31, v31, v54, s[88:89]
	v_cmp_eq_u32_e64 s[66:67], 15, v76
	v_cndmask_b32_e64 v17, v17, v30, s[62:63]
	v_cmp_le_i32_e64 s[90:91], s90, v83
	v_cndmask_b32_e64 v17, v17, v31, s[66:67]
	ds_bpermute_b32 v54, v95, v17
	v_cmp_eq_u32_e64 s[40:41], 0, v76
	v_cmp_eq_u32_e64 s[4:5], 1, v77
	;; [unrolled: 1-line block ×4, first 2 shown]
	s_waitcnt lgkmcnt(0)
	v_cndmask_b32_e64 v21, v27, v54, s[48:49]
	v_cndmask_b32_e64 v27, v58, v54, s[34:35]
	;; [unrolled: 1-line block ×3, first 2 shown]
	v_pk_mul_f32 v[0:1], v[58:59], v[0:1] op_sel_hi:[0,1]
	v_cndmask_b32_e64 v23, v25, v54, s[44:45]
	v_cndmask_b32_e64 v25, v55, v54, s[38:39]
	v_pk_mul_f32 v[2:3], v[58:59], v[2:3] op_sel_hi:[0,1]
	v_cndmask_b32_e64 v55, v0, v1, s[86:87]
	v_cndmask_b32_e64 v55, v55, v2, s[50:51]
	;; [unrolled: 3-line block ×6, first 2 shown]
	v_cndmask_b32_e64 v17, v31, v54, s[66:67]
	v_cndmask_b32_e64 v31, v62, v54, s[24:25]
	;; [unrolled: 1-line block ×3, first 2 shown]
	v_pk_mul_f32 v[12:13], v[58:59], v[12:13] op_sel_hi:[0,1]
	v_cndmask_b32_e64 v55, v55, v11, s[78:79]
	v_cndmask_b32_e64 v18, v30, v54, s[62:63]
	;; [unrolled: 1-line block ×13, first 2 shown]
	v_pk_mul_f32 v[14:15], v[58:59], v[14:15] op_sel_hi:[0,1]
	v_cndmask_b32_e64 v55, v55, v13, s[82:83]
	v_cndmask_b32_e64 v54, v54, v29, s[8:9]
	v_cmp_eq_u32_e64 s[10:11], 4, v77
	v_cndmask_b32_e64 v55, v55, v14, s[84:85]
	v_cmp_eq_u32_e64 s[12:13], 5, v77
	v_cndmask_b32_e64 v54, v54, v28, s[10:11]
	v_cndmask_b32_e64 v55, v55, v15, s[88:89]
	;; [unrolled: 1-line block ×3, first 2 shown]
	v_cmp_eq_u32_e64 s[14:15], 6, v77
	ds_bpermute_b32 v55, v95, v55
	v_cmp_eq_u32_e64 s[96:97], 7, v77
	v_cndmask_b32_e64 v54, v54, v26, s[14:15]
	v_cmp_eq_u32_e64 s[98:99], 8, v77
	v_cndmask_b32_e64 v54, v54, v25, s[96:97]
	v_cmp_eq_u32_e32 vcc, 9, v77
	v_cndmask_b32_e64 v54, v54, v24, s[98:99]
	v_cmp_eq_u32_e64 s[0:1], 10, v77
	v_cndmask_b32_e32 v54, v54, v23, vcc
	v_cmp_eq_u32_e64 s[86:87], 11, v77
	v_cndmask_b32_e64 v54, v54, v22, s[0:1]
	s_waitcnt lgkmcnt(0)
	v_cndmask_b32_e64 v2, v2, v55, s[50:51]
	v_cmp_ne_u32_e64 s[50:51], 0, v75
	v_cndmask_b32_e64 v54, v54, v21, s[86:87]
	v_cmp_eq_u32_e64 s[90:91], 12, v77
	v_cndmask_b32_e64 v1, v1, v55, s[50:51]
	v_cndmask_b32_e64 v0, v0, v55, s[70:71]
	;; [unrolled: 1-line block ×4, first 2 shown]
	v_cmp_eq_u32_e64 s[88:89], 13, v77
	v_cndmask_b32_e64 v14, v14, v55, s[84:85]
	v_cndmask_b32_e64 v13, v13, v55, s[82:83]
	v_cndmask_b32_e64 v12, v12, v55, s[80:81]
	v_cndmask_b32_e64 v11, v11, v55, s[78:79]
	v_cndmask_b32_e64 v10, v10, v55, s[76:77]
	v_cndmask_b32_e64 v9, v9, v55, s[74:75]
	v_cndmask_b32_e64 v8, v8, v55, s[72:73]
	v_cndmask_b32_e64 v7, v7, v55, s[68:69]
	v_cndmask_b32_e64 v6, v6, v55, s[64:65]
	v_cndmask_b32_e64 v5, v5, v55, s[60:61]
	v_cndmask_b32_e64 v4, v4, v55, s[56:57]
	v_cndmask_b32_e64 v3, v3, v55, s[52:53]
	v_cndmask_b32_e64 v55, v0, v1, s[24:25]
	v_cndmask_b32_e64 v54, v54, v19, s[88:89]
	v_cmp_eq_u32_e64 s[84:85], 14, v77
	v_cndmask_b32_e64 v55, v55, v2, s[26:27]
	v_cmp_eq_u32_e64 s[82:83], 15, v77
	v_cndmask_b32_e64 v54, v54, v18, s[84:85]
	v_cndmask_b32_e64 v55, v55, v3, s[28:29]
	;; [unrolled: 1-line block ×4, first 2 shown]
	ds_bpermute_b32 v54, v95, v54
	v_cndmask_b32_e64 v55, v55, v5, s[34:35]
	v_cndmask_b32_e64 v55, v55, v6, s[36:37]
	;; [unrolled: 1-line block ×4, first 2 shown]
	v_cmp_eq_u32_e64 s[80:81], 0, v77
	v_cndmask_b32_e64 v55, v55, v9, s[44:45]
	s_waitcnt lgkmcnt(0)
	v_cndmask_b32_e64 v31, v31, v54, s[4:5]
	v_cndmask_b32_e64 v16, v16, v54, s[80:81]
	v_cmp_eq_u32_e64 s[78:79], 1, v78
	v_cndmask_b32_e64 v55, v55, v10, s[46:47]
	v_cndmask_b32_e64 v17, v17, v54, s[82:83]
	;; [unrolled: 1-line block ×7, first 2 shown]
	v_cndmask_b32_e32 v23, v23, v54, vcc
	v_cndmask_b32_e64 v24, v24, v54, s[98:99]
	v_cndmask_b32_e64 v25, v25, v54, s[96:97]
	;; [unrolled: 1-line block ×8, first 2 shown]
	v_cmp_eq_u32_e64 s[76:77], 2, v78
	v_cndmask_b32_e64 v55, v55, v11, s[48:49]
	v_cmp_eq_u32_e64 s[74:75], 3, v78
	v_cndmask_b32_e64 v54, v54, v30, s[76:77]
	v_cndmask_b32_e64 v55, v55, v12, s[54:55]
	;; [unrolled: 1-line block ×3, first 2 shown]
	v_cmp_eq_u32_e64 s[72:73], 4, v78
	v_cndmask_b32_e64 v55, v55, v13, s[58:59]
	v_cmp_eq_u32_e64 s[68:69], 5, v78
	v_cndmask_b32_e64 v54, v54, v28, s[72:73]
	v_cndmask_b32_e64 v55, v55, v14, s[62:63]
	v_cndmask_b32_e64 v54, v54, v27, s[68:69]
	v_cmp_eq_u32_e64 s[64:65], 6, v78
	v_cndmask_b32_e64 v55, v55, v15, s[66:67]
	v_cmp_eq_u32_e64 s[60:61], 7, v78
	v_cndmask_b32_e64 v54, v54, v26, s[64:65]
	ds_bpermute_b32 v55, v95, v55
	v_cndmask_b32_e64 v54, v54, v25, s[60:61]
	v_cmp_eq_u32_e64 s[56:57], 8, v78
	v_cmp_eq_u32_e64 s[52:53], 9, v78
	;; [unrolled: 1-line block ×3, first 2 shown]
	v_cndmask_b32_e64 v54, v54, v24, s[56:57]
	v_cndmask_b32_e64 v54, v54, v23, s[52:53]
	v_cndmask_b32_e64 v54, v54, v22, s[50:51]
	v_cmp_eq_u32_e64 s[70:71], 11, v78
	s_waitcnt lgkmcnt(0)
	v_cndmask_b32_e64 v15, v15, v55, s[66:67]
	v_cmp_eq_u32_e64 s[66:67], 12, v78
	v_cndmask_b32_e64 v54, v54, v21, s[70:71]
	v_cndmask_b32_e64 v14, v14, v55, s[62:63]
	;; [unrolled: 1-line block ×3, first 2 shown]
	v_cmp_eq_u32_e64 s[62:63], 13, v78
	v_cndmask_b32_e64 v1, v1, v55, s[24:25]
	v_cndmask_b32_e64 v0, v0, v55, s[40:41]
	;; [unrolled: 1-line block ×4, first 2 shown]
	v_cmp_eq_u32_e64 s[92:93], 14, v78
	v_cndmask_b32_e64 v12, v12, v55, s[54:55]
	v_cndmask_b32_e64 v11, v11, v55, s[48:49]
	v_cndmask_b32_e64 v10, v10, v55, s[46:47]
	v_cndmask_b32_e64 v9, v9, v55, s[44:45]
	v_cndmask_b32_e64 v8, v8, v55, s[42:43]
	v_cndmask_b32_e64 v7, v7, v55, s[38:39]
	v_cndmask_b32_e64 v6, v6, v55, s[36:37]
	v_cndmask_b32_e64 v5, v5, v55, s[34:35]
	v_cndmask_b32_e64 v4, v4, v55, s[30:31]
	v_cndmask_b32_e64 v3, v3, v55, s[28:29]
	v_cndmask_b32_e64 v2, v2, v55, s[26:27]
	v_cndmask_b32_e64 v55, v0, v1, s[4:5]
	v_cndmask_b32_e64 v54, v54, v18, s[92:93]
	v_cmp_eq_u32_e64 s[94:95], 15, v78
	v_cndmask_b32_e64 v55, v55, v2, s[6:7]
	v_cndmask_b32_e64 v55, v55, v3, s[8:9]
	;; [unrolled: 1-line block ×3, first 2 shown]
	ds_bpermute_b32 v54, v95, v54
	v_cndmask_b32_e64 v55, v55, v4, s[10:11]
	v_cndmask_b32_e64 v55, v55, v5, s[12:13]
	;; [unrolled: 1-line block ×4, first 2 shown]
	v_cmp_eq_u32_e64 s[48:49], 0, v78
	v_cndmask_b32_e64 v55, v55, v8, s[98:99]
	s_waitcnt lgkmcnt(0)
	v_cndmask_b32_e64 v31, v31, v54, s[78:79]
	v_cndmask_b32_e64 v16, v16, v54, s[48:49]
	v_cmp_eq_u32_e64 s[46:47], 1, v79
	v_cndmask_b32_e32 v55, v55, v9, vcc
	v_cndmask_b32_e64 v17, v17, v54, s[94:95]
	v_cndmask_b32_e64 v18, v18, v54, s[92:93]
	;; [unrolled: 1-line block ×15, first 2 shown]
	v_cmp_eq_u32_e64 s[44:45], 2, v79
	v_cndmask_b32_e64 v55, v55, v10, s[0:1]
	v_cmp_eq_u32_e64 s[42:43], 3, v79
	v_cndmask_b32_e64 v54, v54, v30, s[44:45]
	v_cndmask_b32_e64 v55, v55, v11, s[86:87]
	v_cndmask_b32_e64 v54, v54, v29, s[42:43]
	v_cmp_eq_u32_e64 s[38:39], 4, v79
	v_cndmask_b32_e64 v55, v55, v12, s[90:91]
	v_cmp_eq_u32_e64 s[36:37], 5, v79
	v_cndmask_b32_e64 v54, v54, v28, s[38:39]
	v_cndmask_b32_e64 v55, v55, v13, s[88:89]
	v_cndmask_b32_e64 v54, v54, v27, s[36:37]
	;; [unrolled: 6-line block ×3, first 2 shown]
	v_cmp_eq_u32_e64 s[28:29], 8, v79
	ds_bpermute_b32 v55, v95, v55
	v_cmp_eq_u32_e64 s[26:27], 9, v79
	v_cndmask_b32_e64 v54, v54, v24, s[28:29]
	v_cmp_eq_u32_e64 s[24:25], 10, v79
	v_cndmask_b32_e64 v54, v54, v23, s[26:27]
	;; [unrolled: 2-line block ×4, first 2 shown]
	s_waitcnt lgkmcnt(0)
	v_cndmask_b32_e64 v15, v15, v55, s[82:83]
	v_cndmask_b32_e64 v54, v54, v20, s[58:59]
	v_cmp_eq_u32_e64 s[82:83], 13, v79
	v_cndmask_b32_e64 v14, v14, v55, s[84:85]
	v_cmp_eq_u32_e64 s[84:85], 14, v79
	v_cndmask_b32_e64 v54, v54, v19, s[82:83]
	v_cndmask_b32_e64 v1, v1, v55, s[4:5]
	;; [unrolled: 1-line block ×6, first 2 shown]
	v_cmp_eq_u32_e64 s[90:91], 15, v79
	v_cndmask_b32_e64 v11, v11, v55, s[86:87]
	v_cndmask_b32_e64 v10, v10, v55, s[0:1]
	v_cndmask_b32_e32 v9, v9, v55, vcc
	v_cndmask_b32_e64 v8, v8, v55, s[98:99]
	v_cndmask_b32_e64 v7, v7, v55, s[96:97]
	;; [unrolled: 1-line block ×10, first 2 shown]
	ds_bpermute_b32 v54, v95, v54
	v_cndmask_b32_e64 v55, v55, v3, s[74:75]
	v_cndmask_b32_e64 v55, v55, v4, s[72:73]
	;; [unrolled: 1-line block ×4, first 2 shown]
	v_cmp_eq_u32_e64 s[54:55], 0, v79
	v_cndmask_b32_e64 v55, v55, v7, s[60:61]
	s_waitcnt lgkmcnt(0)
	v_cndmask_b32_e64 v31, v31, v54, s[46:47]
	v_cndmask_b32_e64 v16, v16, v54, s[54:55]
	v_cmp_eq_u32_e64 s[0:1], 1, v80
	v_cndmask_b32_e64 v55, v55, v8, s[56:57]
	v_cndmask_b32_e64 v17, v17, v54, s[90:91]
	;; [unrolled: 1-line block ×16, first 2 shown]
	v_cmp_eq_u32_e64 s[2:3], 2, v80
	v_cndmask_b32_e64 v55, v55, v9, s[52:53]
	v_cmp_eq_u32_e64 s[98:99], 3, v80
	v_cndmask_b32_e64 v54, v54, v30, s[2:3]
	v_cndmask_b32_e64 v55, v55, v10, s[50:51]
	v_cndmask_b32_e64 v54, v54, v29, s[98:99]
	v_cmp_eq_u32_e64 s[96:97], 4, v80
	v_cndmask_b32_e64 v55, v55, v11, s[70:71]
	v_cmp_eq_u32_e64 s[14:15], 5, v80
	v_cndmask_b32_e64 v54, v54, v28, s[96:97]
	v_cndmask_b32_e64 v55, v55, v12, s[66:67]
	v_cndmask_b32_e64 v54, v54, v27, s[14:15]
	;; [unrolled: 6-line block ×3, first 2 shown]
	v_cmp_eq_u32_e64 s[8:9], 8, v80
	v_cndmask_b32_e64 v55, v55, v15, s[94:95]
	v_cmp_eq_u32_e64 s[6:7], 9, v80
	v_cndmask_b32_e64 v54, v54, v24, s[8:9]
	ds_bpermute_b32 v55, v95, v55
	v_cndmask_b32_e64 v54, v54, v23, s[6:7]
	v_cmp_eq_u32_e32 vcc, 10, v80
	v_cmp_eq_u32_e64 s[80:81], 11, v80
	v_cmp_eq_u32_e64 s[86:87], 12, v80
	v_cndmask_b32_e32 v54, v54, v22, vcc
	v_cndmask_b32_e64 v54, v54, v21, s[80:81]
	v_cndmask_b32_e64 v54, v54, v20, s[86:87]
	v_cmp_eq_u32_e64 s[88:89], 13, v80
	s_waitcnt lgkmcnt(0)
	v_cndmask_b32_e64 v13, v13, v55, s[62:63]
	v_cmp_eq_u32_e64 s[62:63], 14, v80
	v_cndmask_b32_e64 v54, v54, v19, s[88:89]
	v_cndmask_b32_e64 v12, v12, v55, s[66:67]
	v_cndmask_b32_e64 v54, v54, v18, s[62:63]
	v_cmp_eq_u32_e64 s[66:67], 15, v80
	v_cndmask_b32_e64 v57, v11, v55, s[70:71]
	v_cmp_eq_u32_e64 s[70:71], 0, v80
	v_cndmask_b32_e64 v54, v54, v17, s[66:67]
	ds_bpermute_b32 v54, v95, v54
	v_cndmask_b32_e64 v15, v15, v55, s[94:95]
	v_cndmask_b32_e64 v14, v14, v55, s[92:93]
	v_cndmask_b32_e64 v58, v9, v55, s[52:53]
	v_cndmask_b32_e64 v59, v8, v55, s[56:57]
	s_waitcnt lgkmcnt(0)
	v_cndmask_b32_e64 v17, v17, v54, s[66:67]
	v_cndmask_b32_e64 v18, v18, v54, s[62:63]
	;; [unrolled: 1-line block ×5, first 2 shown]
	v_cndmask_b32_e32 v22, v22, v54, vcc
	v_cndmask_b32_e64 v23, v23, v54, s[6:7]
	v_cndmask_b32_e64 v24, v24, v54, s[8:9]
	;; [unrolled: 1-line block ×28, first 2 shown]
	v_cmp_eq_u32_e64 s[50:51], 1, v81
	v_cndmask_b32_e64 v0, v0, v54, s[24:25]
	v_cmp_eq_u32_e64 s[52:53], 2, v81
	v_cndmask_b32_e64 v10, v16, v31, s[50:51]
	v_cndmask_b32_e64 v0, v0, v57, s[40:41]
	v_cndmask_b32_e64 v9, v10, v30, s[52:53]
	v_cmp_eq_u32_e64 s[56:57], 3, v81
	v_cndmask_b32_e64 v0, v0, v12, s[58:59]
	v_cmp_eq_u32_e64 s[60:61], 4, v81
	v_cndmask_b32_e64 v8, v9, v29, s[56:57]
	v_cndmask_b32_e64 v0, v0, v13, s[82:83]
	v_cndmask_b32_e64 v7, v8, v28, s[60:61]
	;; [unrolled: 6-line block ×3, first 2 shown]
	v_cmp_eq_u32_e64 s[72:73], 7, v81
	ds_bpermute_b32 v67, v95, v0
	v_cmp_eq_u32_e64 s[74:75], 8, v81
	v_cndmask_b32_e64 v4, v5, v25, s[72:73]
	v_cmp_eq_u32_e64 s[76:77], 9, v81
	v_cndmask_b32_e64 v3, v4, v24, s[74:75]
	;; [unrolled: 2-line block ×4, first 2 shown]
	s_waitcnt lgkmcnt(0)
	v_cndmask_b32_e64 v68, v15, v67, s[90:91]
	v_cndmask_b32_e64 v0, v0, v21, s[78:79]
	v_cmp_eq_u32_e64 s[90:91], 12, v81
	v_cndmask_b32_e64 v69, v14, v67, s[84:85]
	v_cmp_eq_u32_e64 s[84:85], 13, v81
	v_cndmask_b32_e64 v0, v0, v20, s[90:91]
	v_cndmask_b32_e64 v97, v13, v67, s[82:83]
	;; [unrolled: 1-line block ×3, first 2 shown]
	v_cmp_eq_u32_e64 s[82:83], 14, v81
	v_cndmask_b32_e64 v98, v12, v67, s[58:59]
	v_cmp_eq_u32_e64 s[58:59], 15, v81
	v_cndmask_b32_e64 v0, v0, v18, s[82:83]
	s_nop 0
	v_cndmask_b32_e64 v0, v0, v17, s[58:59]
	ds_bpermute_b32 v1, v95, v0
	s_waitcnt lgkmcnt(0)
	v_cndmask_b32_e64 v12, v27, v1, s[64:65]
	v_cndmask_b32_e64 v13, v28, v1, s[60:61]
	;; [unrolled: 1-line block ×29, first 2 shown]
	v_cmp_eq_u32_e64 s[40:41], 0, v81
	v_cndmask_b32_e64 v19, v58, v67, s[26:27]
	v_cndmask_b32_e64 v29, v29, v20, s[8:9]
	;; [unrolled: 1-line block ×8, first 2 shown]
	v_cndmask_b32_e32 v29, v29, v16, vcc
	v_cndmask_b32_e64 v29, v29, v17, s[80:81]
	v_cndmask_b32_e64 v29, v29, v98, s[86:87]
	;; [unrolled: 1-line block ×5, first 2 shown]
	ds_bpermute_b32 v29, v95, v29
	v_cmp_eq_u32_e64 s[24:25], 1, v82
	v_cmp_eq_u32_e64 s[26:27], 2, v82
	v_cmp_eq_u32_e64 s[28:29], 3, v82
	v_cndmask_b32_e64 v18, v1, v0, s[24:25]
	s_waitcnt lgkmcnt(0)
	v_cndmask_b32_e64 v65, v27, v29, s[0:1]
	v_cndmask_b32_e64 v66, v28, v29, s[70:71]
	;; [unrolled: 1-line block ×18, first 2 shown]
	v_cndmask_b32_e32 v16, v16, v29, vcc
	v_cndmask_b32_e64 v19, v19, v57, s[76:77]
	v_cndmask_b32_e64 v17, v17, v29, s[80:81]
	;; [unrolled: 1-line block ×12, first 2 shown]
	ds_bpermute_b32 v67, v95, v19
	v_cndmask_b32_e64 v18, v18, v15, s[26:27]
	v_cndmask_b32_e64 v18, v18, v14, s[28:29]
	v_cmp_eq_u32_e64 s[30:31], 4, v82
	v_cmp_eq_u32_e64 s[34:35], 5, v82
	s_waitcnt lgkmcnt(0)
	v_cndmask_b32_e64 v23, v17, v67, s[78:79]
	v_cndmask_b32_e64 v24, v16, v67, s[48:49]
	;; [unrolled: 1-line block ×18, first 2 shown]
	v_cmp_eq_u32_e64 s[36:37], 6, v82
	v_cndmask_b32_e64 v28, v60, v67, s[68:69]
	v_cndmask_b32_e64 v55, v55, v29, s[34:35]
	v_cndmask_b32_e64 v18, v18, v11, s[36:37]
	v_cmp_eq_u32_e64 s[38:39], 7, v82
	v_cndmask_b32_e64 v27, v59, v67, s[72:73]
	v_cndmask_b32_e64 v55, v55, v28, s[36:37]
	v_cndmask_b32_e64 v18, v18, v10, s[38:39]
	;; [unrolled: 4-line block ×4, first 2 shown]
	v_cmp_eq_u32_e64 s[46:47], 10, v82
	v_cndmask_b32_e64 v55, v55, v25, s[44:45]
	v_cmp_eq_u32_e64 s[54:55], 11, v82
	v_cndmask_b32_e64 v18, v18, v7, s[46:47]
	v_cndmask_b32_e64 v55, v55, v24, s[46:47]
	;; [unrolled: 1-line block ×3, first 2 shown]
	v_cmp_eq_u32_e64 s[66:67], 12, v82
	v_cndmask_b32_e64 v55, v55, v23, s[54:55]
	v_cmp_eq_u32_e64 s[62:63], 13, v82
	v_cndmask_b32_e64 v18, v18, v5, s[66:67]
	v_cndmask_b32_e64 v55, v55, v22, s[66:67]
	;; [unrolled: 1-line block ×3, first 2 shown]
	v_cmp_eq_u32_e32 vcc, 14, v82
	v_cndmask_b32_e64 v55, v55, v21, s[62:63]
	v_cmp_eq_u32_e64 s[6:7], 15, v82
	v_cndmask_b32_e32 v18, v18, v3, vcc
	v_cndmask_b32_e32 v55, v55, v20, vcc
	v_cndmask_b32_e64 v18, v18, v2, s[6:7]
	v_cndmask_b32_e64 v55, v55, v19, s[6:7]
	ds_bpermute_b32 v18, v95, v18
	ds_bpermute_b32 v58, v95, v55
	v_readlane_b32 s53, v105, 34
	s_nop 1
	v_cmp_lt_i32_e32 vcc, s53, v84
	s_and_saveexec_b64 s[40:41], vcc
	v_readlane_b32 s44, v105, 2
	v_readlane_b32 s45, v105, 3
	;; [unrolled: 1-line block ×11, first 2 shown]
	s_cbranch_execz .LBB173_32
; %bb.24:                               ;   in Loop: Header=BB173_7 Depth=1
	s_mul_i32 s0, s52, s17
	s_ashr_i32 s1, s0, 31
	s_lshl_b64 s[0:1], s[0:1], 1
	s_add_u32 s2, s48, s0
	v_cmp_eq_u32_e64 s[34:35], 1, v82
	v_cmp_eq_u32_e64 s[36:37], 0, v82
	s_addc_u32 s3, s49, s1
	s_ashr_i32 s55, s54, 31
	s_waitcnt lgkmcnt(1)
	v_cndmask_b32_e64 v55, v0, v18, s[34:35]
	v_cndmask_b32_e64 v57, v1, v18, s[36:37]
	s_lshl_b64 s[0:1], s[54:55], 1
	s_waitcnt lgkmcnt(0)
	v_cndmask_b32_e64 v59, v16, v58, s[34:35]
	v_cndmask_b32_e64 v60, v17, v58, s[36:37]
	v_cvt_f16_f32_e32 v57, v57
	v_cvt_f16_f32_sdwa v55, v55 dst_sel:WORD_1 dst_unused:UNUSED_PAD src0_sel:DWORD
	s_add_u32 s42, s2, s0
	v_cvt_f16_f32_e32 v60, v60
	v_cvt_f16_f32_sdwa v59, v59 dst_sel:WORD_1 dst_unused:UNUSED_PAD src0_sel:DWORD
	s_addc_u32 s43, s3, s1
	v_lshl_add_u64 v[0:1], s[42:43], 0, v[32:33]
	v_cmp_eq_u32_e32 vcc, 15, v82
	v_cmp_eq_u32_e64 s[6:7], 14, v82
	v_cmp_eq_u32_e64 s[8:9], 13, v82
	;; [unrolled: 1-line block ×13, first 2 shown]
	v_lshl_add_u64 v[16:17], v[34:35], 1, v[0:1]
	v_or_b32_e32 v55, v55, v57
	v_cmp_lt_i32_e64 s[34:35], s53, v85
	;;#ASMSTART
	global_atomic_pk_add_f16 v[16:17], v55, off
	
	;;#ASMEND
	v_lshl_add_u64 v[16:17], v[16:17], 0, 64
	v_or_b32_e32 v55, v59, v60
	;;#ASMSTART
	global_atomic_pk_add_f16 v[16:17], v55, off
	
	;;#ASMEND
	s_and_b64 exec, exec, s[34:35]
	s_cbranch_execz .LBB173_32
; %bb.25:                               ;   in Loop: Header=BB173_7 Depth=1
	v_cndmask_b32_e32 v2, v2, v18, vcc
	v_cndmask_b32_e64 v3, v3, v18, s[6:7]
	v_cndmask_b32_e64 v16, v4, v18, s[8:9]
	;; [unrolled: 1-line block ×19, first 2 shown]
	v_cvt_f16_f32_e32 v22, v18
	v_cvt_f16_f32_sdwa v23, v65 dst_sel:WORD_1 dst_unused:UNUSED_PAD src0_sel:DWORD
	v_cvt_f16_f32_e32 v21, v21
	v_cvt_f16_f32_sdwa v20, v20 dst_sel:WORD_1 dst_unused:UNUSED_PAD src0_sel:DWORD
	v_cndmask_b32_e32 v4, v19, v58, vcc
	v_cndmask_b32_e64 v9, v24, v58, s[14:15]
	v_cndmask_b32_e64 v10, v25, v58, s[0:1]
	;; [unrolled: 1-line block ×7, first 2 shown]
	v_lshl_add_u64 v[18:19], v[36:37], 1, v[0:1]
	v_cmp_lt_i32_e32 vcc, s53, v86
	v_or_b32_e32 v22, v23, v22
	;;#ASMSTART
	global_atomic_pk_add_f16 v[18:19], v22, off
	
	;;#ASMEND
	v_lshl_add_u64 v[18:19], v[18:19], 0, 64
	v_or_b32_e32 v20, v20, v21
	;;#ASMSTART
	global_atomic_pk_add_f16 v[18:19], v20, off
	
	;;#ASMEND
	s_and_b64 exec, exec, vcc
	s_cbranch_execz .LBB173_32
; %bb.26:                               ;   in Loop: Header=BB173_7 Depth=1
	v_cvt_f16_f32_e32 v20, v64
	v_cvt_f16_f32_sdwa v21, v63 dst_sel:WORD_1 dst_unused:UNUSED_PAD src0_sel:DWORD
	v_cvt_f16_f32_e32 v22, v15
	v_cvt_f16_f32_sdwa v23, v14 dst_sel:WORD_1 dst_unused:UNUSED_PAD src0_sel:DWORD
	v_lshl_add_u64 v[18:19], v[38:39], 1, v[0:1]
	v_or_b32_e32 v14, v21, v20
	v_cmp_lt_i32_e32 vcc, s53, v87
	;;#ASMSTART
	global_atomic_pk_add_f16 v[18:19], v14, off
	
	;;#ASMEND
	v_lshl_add_u64 v[14:15], v[18:19], 0, 64
	v_or_b32_e32 v18, v23, v22
	;;#ASMSTART
	global_atomic_pk_add_f16 v[14:15], v18, off
	
	;;#ASMEND
	s_and_b64 exec, exec, vcc
	s_cbranch_execz .LBB173_32
; %bb.27:                               ;   in Loop: Header=BB173_7 Depth=1
	v_cvt_f16_f32_e32 v18, v62
	v_cvt_f16_f32_sdwa v19, v61 dst_sel:WORD_1 dst_unused:UNUSED_PAD src0_sel:DWORD
	v_cvt_f16_f32_e32 v20, v13
	v_cvt_f16_f32_sdwa v21, v12 dst_sel:WORD_1 dst_unused:UNUSED_PAD src0_sel:DWORD
	v_lshl_add_u64 v[14:15], v[40:41], 1, v[0:1]
	v_or_b32_e32 v12, v19, v18
	v_cmp_lt_i32_e32 vcc, s53, v88
	;;#ASMSTART
	global_atomic_pk_add_f16 v[14:15], v12, off
	
	;;#ASMEND
	v_lshl_add_u64 v[12:13], v[14:15], 0, 64
	v_or_b32_e32 v14, v21, v20
	;;#ASMSTART
	global_atomic_pk_add_f16 v[12:13], v14, off
	
	;;#ASMEND
	s_and_b64 exec, exec, vcc
	s_cbranch_execz .LBB173_32
; %bb.28:                               ;   in Loop: Header=BB173_7 Depth=1
	v_cvt_f16_f32_e32 v14, v60
	v_cvt_f16_f32_sdwa v15, v59 dst_sel:WORD_1 dst_unused:UNUSED_PAD src0_sel:DWORD
	v_cvt_f16_f32_e32 v18, v11
	v_cvt_f16_f32_sdwa v19, v10 dst_sel:WORD_1 dst_unused:UNUSED_PAD src0_sel:DWORD
	v_lshl_add_u64 v[12:13], v[42:43], 1, v[0:1]
	v_or_b32_e32 v10, v15, v14
	v_cmp_lt_i32_e32 vcc, s53, v89
	;;#ASMSTART
	global_atomic_pk_add_f16 v[12:13], v10, off
	
	;;#ASMEND
	v_lshl_add_u64 v[10:11], v[12:13], 0, 64
	v_or_b32_e32 v12, v19, v18
	;;#ASMSTART
	global_atomic_pk_add_f16 v[10:11], v12, off
	
	;;#ASMEND
	s_and_b64 exec, exec, vcc
	s_cbranch_execz .LBB173_32
; %bb.29:                               ;   in Loop: Header=BB173_7 Depth=1
	v_cvt_f16_f32_e32 v12, v57
	v_cvt_f16_f32_sdwa v13, v55 dst_sel:WORD_1 dst_unused:UNUSED_PAD src0_sel:DWORD
	v_cvt_f16_f32_e32 v14, v9
	v_cvt_f16_f32_sdwa v15, v8 dst_sel:WORD_1 dst_unused:UNUSED_PAD src0_sel:DWORD
	v_lshl_add_u64 v[10:11], v[44:45], 1, v[0:1]
	v_or_b32_e32 v8, v13, v12
	v_cmp_lt_i32_e32 vcc, s53, v90
	;;#ASMSTART
	global_atomic_pk_add_f16 v[10:11], v8, off
	
	;;#ASMEND
	v_lshl_add_u64 v[8:9], v[10:11], 0, 64
	v_or_b32_e32 v10, v15, v14
	;;#ASMSTART
	global_atomic_pk_add_f16 v[8:9], v10, off
	
	;;#ASMEND
	s_and_b64 exec, exec, vcc
	s_cbranch_execz .LBB173_32
; %bb.30:                               ;   in Loop: Header=BB173_7 Depth=1
	v_cvt_f16_f32_e32 v10, v17
	v_cvt_f16_f32_sdwa v11, v16 dst_sel:WORD_1 dst_unused:UNUSED_PAD src0_sel:DWORD
	v_cvt_f16_f32_e32 v12, v7
	v_cvt_f16_f32_sdwa v13, v6 dst_sel:WORD_1 dst_unused:UNUSED_PAD src0_sel:DWORD
	v_lshl_add_u64 v[8:9], v[46:47], 1, v[0:1]
	v_or_b32_e32 v6, v11, v10
	v_cmp_lt_i32_e32 vcc, s53, v91
	;;#ASMSTART
	global_atomic_pk_add_f16 v[8:9], v6, off
	
	;;#ASMEND
	v_lshl_add_u64 v[6:7], v[8:9], 0, 64
	v_or_b32_e32 v8, v13, v12
	;;#ASMSTART
	global_atomic_pk_add_f16 v[6:7], v8, off
	
	;;#ASMEND
	s_and_b64 exec, exec, vcc
	s_cbranch_execz .LBB173_32
; %bb.31:                               ;   in Loop: Header=BB173_7 Depth=1
	v_cvt_f16_f32_e32 v3, v3
	v_cvt_f16_f32_sdwa v2, v2 dst_sel:WORD_1 dst_unused:UNUSED_PAD src0_sel:DWORD
	v_cvt_f16_f32_e32 v5, v5
	v_cvt_f16_f32_sdwa v4, v4 dst_sel:WORD_1 dst_unused:UNUSED_PAD src0_sel:DWORD
	v_lshl_add_u64 v[0:1], v[48:49], 1, v[0:1]
	v_or_b32_e32 v2, v2, v3
	;;#ASMSTART
	global_atomic_pk_add_f16 v[0:1], v2, off
	
	;;#ASMEND
	v_lshl_add_u64 v[0:1], v[0:1], 0, 64
	v_or_b32_e32 v2, v4, v5
	;;#ASMSTART
	global_atomic_pk_add_f16 v[0:1], v2, off
	
	;;#ASMEND
.LBB173_32:                             ;   in Loop: Header=BB173_7 Depth=1
	s_or_b64 exec, exec, s[40:41]
	v_readlane_b32 s14, v105, 10
	v_readlane_b32 s24, v105, 12
	;; [unrolled: 1-line block ×6, first 2 shown]
	v_subrev_u32_e32 v96, s20, v96
	v_readlane_b32 s11, v105, 0
	v_readlane_b32 s12, v105, 1
	v_readlane_b32 s15, v105, 11
	v_readlane_b32 s25, v105, 13
	v_readlane_b32 s13, v105, 14
	v_readlane_b32 s26, v105, 15
	v_readlane_b32 s27, v105, 16
	v_readlane_b32 s29, v105, 18
	v_readlane_b32 s30, v105, 19
	v_readlane_b32 s31, v105, 20
	v_readlane_b32 s34, v105, 21
	v_readlane_b32 s35, v105, 22
	v_readlane_b32 s36, v105, 23
	v_readlane_b32 s37, v105, 24
	v_readlane_b32 s38, v105, 25
	v_readlane_b32 s39, v105, 35
	v_readlane_b32 s41, v105, 33
	v_readlane_b32 s5, v105, 29
	v_readlane_b32 s3, v105, 27
.LBB173_33:                             ;   in Loop: Header=BB173_7 Depth=1
	s_or_b64 exec, exec, s[2:3]
.LBB173_34:                             ;   in Loop: Header=BB173_7 Depth=1
	s_andn2_saveexec_b64 s[0:1], s[4:5]
	s_cbranch_execz .LBB173_43
; %bb.35:                               ;   in Loop: Header=BB173_7 Depth=1
	s_lshl_b32 s10, s20, 1
	v_cmp_gt_i32_e32 vcc, s10, v96
	s_and_saveexec_b64 s[2:3], vcc
	s_cbranch_execz .LBB173_42
; %bb.36:                               ;   in Loop: Header=BB173_7 Depth=1
	s_mul_i32 s4, s54, s19
	s_ashr_i32 s5, s4, 31
	s_add_u32 s4, s46, s4
	s_addc_u32 s5, s47, s5
	s_ashr_i32 s6, s39, 31
	s_add_u32 s4, s4, s39
	s_addc_u32 s5, s5, s6
	v_lshl_add_u64 v[0:1], s[4:5], 0, v[52:53]
	v_lshl_add_u64 v[16:17], v[0:1], 0, v[50:51]
	s_mov_b64 s[4:5], 0
	s_branch .LBB173_38
.LBB173_37:                             ;   in Loop: Header=BB173_38 Depth=2
	s_or_b64 exec, exec, s[6:7]
	v_lshl_add_u32 v20, v18, 12, v92
	;;#ASMSTART
	s_waitcnt vmcnt(3)
	;;#ASMEND
	ds_write2_b32 v20, v12, v13 offset1:32
	ds_write2_b32 v20, v14, v15 offset0:64 offset1:96
	v_add_u32_e32 v12, 0x400, v20
	;;#ASMSTART
	s_waitcnt vmcnt(2)
	;;#ASMEND
	ds_write2_b32 v12, v8, v9 offset1:32
	ds_write2_b32 v12, v10, v11 offset0:64 offset1:96
	v_add_u32_e32 v8, 0x800, v20
	;; [unrolled: 6-line block ×3, first 2 shown]
	v_add_u32_e32 v96, s22, v96
	;;#ASMSTART
	s_waitcnt vmcnt(0)
	;;#ASMEND
	ds_write2_b32 v4, v0, v1 offset1:32
	ds_write2_b32 v4, v2, v3 offset0:64 offset1:96
	v_add_u32_e32 v0, 1, v71
	v_add_u32_e32 v56, s22, v18
	v_cmp_le_i32_e32 vcc, s10, v96
	ds_write_b32 v19, v0 offset:16
	v_add_u32_e32 v0, 2, v71
	s_or_b64 s[4:5], vcc, s[4:5]
	v_cmp_lt_i32_e32 vcc, 3, v56
	s_nop 1
	v_cndmask_b32_e32 v71, v71, v0, vcc
	s_andn2_b64 exec, exec, s[4:5]
	s_cbranch_execz .LBB173_41
.LBB173_38:                             ;   Parent Loop BB173_7 Depth=1
                                        ; =>  This Loop Header: Depth=2
                                        ;       Child Loop BB173_40 Depth 3
	v_cmp_gt_i32_e32 vcc, 4, v56
	s_nop 1
	v_cndmask_b32_e64 v0, -4, 0, vcc
	s_waitcnt lgkmcnt(1)
	v_add_u32_e32 v18, v0, v56
	v_lshrrev_b32_e32 v0, 31, v96
	v_add_u32_e32 v0, v96, v0
	v_and_b32_e32 v1, -2, v0
	v_lshlrev_b32_e32 v0, 6, v0
	v_sub_u32_e32 v2, v96, v1
	v_and_b32_e32 v0, 0xffffff80, v0
	v_ashrrev_i32_e32 v1, 31, v0
	v_mul_lo_u32 v2, s31, v2
	v_lshl_add_u64 v[0:1], v[16:17], 0, v[0:1]
	v_ashrrev_i32_e32 v3, 31, v2
	v_lshl_add_u64 v[0:1], v[0:1], 0, v[2:3]
	v_lshlrev_b32_e32 v19, 2, v18
	;;#ASMSTART
	global_load_dwordx4 v[12:15], v[0:1], off offset:0   sc0 sc1 nt  
	global_load_dwordx4 v[8:11], v[0:1], off offset:32  sc0 sc1 nt  
	global_load_dwordx4 v[4:7], v[0:1], off offset:64  sc0 sc1 nt  
	;; [unrolled: 1-line block ×3, first 2 shown]
	
	;;#ASMEND
	ds_read_b32 v20, v19 offset:32784
	v_add_u32_e32 v19, 0x8000, v19
	s_waitcnt lgkmcnt(0)
	v_cmp_ne_u32_e32 vcc, v20, v71
	s_and_saveexec_b64 s[6:7], vcc
	s_cbranch_execz .LBB173_37
; %bb.39:                               ;   in Loop: Header=BB173_38 Depth=2
	s_mov_b64 s[8:9], 0
.LBB173_40:                             ;   Parent Loop BB173_7 Depth=1
                                        ;     Parent Loop BB173_38 Depth=2
                                        ; =>    This Inner Loop Header: Depth=3
	;;#ASMSTART
	s_sleep 0
	;;#ASMEND
	ds_read_b32 v20, v19 offset:16
	s_waitcnt lgkmcnt(0)
	v_cmp_eq_u32_e32 vcc, v20, v71
	s_or_b64 s[8:9], vcc, s[8:9]
	s_andn2_b64 exec, exec, s[8:9]
	s_cbranch_execnz .LBB173_40
	s_branch .LBB173_37
.LBB173_41:                             ;   in Loop: Header=BB173_7 Depth=1
	s_or_b64 exec, exec, s[4:5]
.LBB173_42:                             ;   in Loop: Header=BB173_7 Depth=1
	s_or_b64 exec, exec, s[2:3]
	v_subrev_u32_e32 v96, s10, v96
.LBB173_43:                             ;   in Loop: Header=BB173_7 Depth=1
	s_or_b64 exec, exec, s[0:1]
.LBB173_44:                             ;   in Loop: Header=BB173_7 Depth=1
	s_andn2_saveexec_b64 s[0:1], s[40:41]
	s_cbranch_execz .LBB173_6
; %bb.45:                               ;   in Loop: Header=BB173_7 Depth=1
	s_lshl_b32 s10, s20, 1
	v_cmp_gt_i32_e32 vcc, s10, v96
	s_and_saveexec_b64 s[2:3], vcc
	s_cbranch_execz .LBB173_5
; %bb.46:                               ;   in Loop: Header=BB173_7 Depth=1
	s_mul_i32 s4, s52, s18
	s_max_i32 s6, s53, 0
	s_ashr_i32 s5, s4, 31
	s_add_u32 s4, s44, s4
	v_add_u32_e32 v2, s6, v72
	s_addc_u32 s5, s45, s5
	s_ashr_i32 s7, s39, 31
	v_cmp_gt_u32_e32 vcc, 64, v2
	s_add_u32 s4, s4, s39
	s_addc_u32 s5, s5, s7
	v_cndmask_b32_e32 v0, 0, v93, vcc
	v_ashrrev_i32_e32 v1, 31, v0
	v_lshl_add_u64 v[0:1], s[4:5], 0, v[0:1]
	v_lshl_add_u64 v[16:17], v[0:1], 0, v[50:51]
	s_waitcnt lgkmcnt(1)
	v_sub_u32_e32 v18, 63, v2
	s_mov_b64 s[4:5], 0
	s_branch .LBB173_48
.LBB173_47:                             ;   in Loop: Header=BB173_48 Depth=2
	s_or_b64 exec, exec, s[6:7]
	v_lshl_or_b32 v21, v19, 12, v94
	;;#ASMSTART
	s_waitcnt vmcnt(3)
	;;#ASMEND
	ds_write2_b32 v21, v12, v13 offset1:32
	ds_write2_b32 v21, v14, v15 offset0:64 offset1:96
	v_add_u32_e32 v12, 0x400, v21
	;;#ASMSTART
	s_waitcnt vmcnt(2)
	;;#ASMEND
	ds_write2_b32 v12, v8, v9 offset1:32
	ds_write2_b32 v12, v10, v11 offset0:64 offset1:96
	v_add_u32_e32 v8, 0x800, v21
	;; [unrolled: 6-line block ×3, first 2 shown]
	v_add_u32_e32 v96, s21, v96
	;;#ASMSTART
	s_waitcnt vmcnt(0)
	;;#ASMEND
	ds_write2_b32 v4, v0, v1 offset1:32
	ds_write2_b32 v4, v2, v3 offset0:64 offset1:96
	v_add_u32_e32 v0, 1, v71
	v_add_u32_e32 v56, s21, v19
	v_cmp_le_i32_e32 vcc, s10, v96
	ds_write_b32 v20, v0
	v_add_u32_e32 v0, 2, v71
	s_or_b64 s[4:5], vcc, s[4:5]
	v_cmp_lt_i32_e32 vcc, 3, v56
	s_nop 1
	v_cndmask_b32_e32 v71, v71, v0, vcc
	s_andn2_b64 exec, exec, s[4:5]
	s_cbranch_execz .LBB173_4
.LBB173_48:                             ;   Parent Loop BB173_7 Depth=1
                                        ; =>  This Loop Header: Depth=2
                                        ;       Child Loop BB173_50 Depth 3
	v_cmp_gt_i32_e32 vcc, 4, v56
	s_nop 1
	v_cndmask_b32_e64 v0, -4, 0, vcc
	v_add_u32_e32 v19, v0, v56
	v_lshrrev_b32_e32 v0, 31, v96
	v_add_u32_e32 v0, v96, v0
	v_and_b32_e32 v1, 0x7fffffe, v0
	v_sub_u32_e32 v1, v96, v1
	v_lshlrev_b32_e32 v1, 5, v1
	v_cmp_le_i32_e32 vcc, v1, v18
	v_lshlrev_b32_e32 v0, 6, v0
	v_and_b32_e32 v0, 0xffffff80, v0
	v_cndmask_b32_e32 v2, 0, v1, vcc
	v_ashrrev_i32_e32 v1, 31, v0
	v_mul_lo_u32 v2, v2, s18
	v_lshl_add_u64 v[0:1], v[16:17], 0, v[0:1]
	v_ashrrev_i32_e32 v3, 31, v2
	v_lshl_add_u64 v[0:1], v[0:1], 0, v[2:3]
	v_lshlrev_b32_e32 v20, 2, v19
	;;#ASMSTART
	global_load_dwordx4 v[12:15], v[0:1], off offset:0   
	global_load_dwordx4 v[8:11], v[0:1], off offset:32  
	;; [unrolled: 1-line block ×4, first 2 shown]
	
	;;#ASMEND
	ds_read_b32 v21, v20 offset:32768
	v_add_u32_e32 v20, 0x8000, v20
	s_waitcnt lgkmcnt(0)
	v_cmp_ne_u32_e32 vcc, v21, v71
	s_and_saveexec_b64 s[6:7], vcc
	s_cbranch_execz .LBB173_47
; %bb.49:                               ;   in Loop: Header=BB173_48 Depth=2
	s_mov_b64 s[8:9], 0
.LBB173_50:                             ;   Parent Loop BB173_7 Depth=1
                                        ;     Parent Loop BB173_48 Depth=2
                                        ; =>    This Inner Loop Header: Depth=3
	;;#ASMSTART
	s_sleep 0
	;;#ASMEND
	ds_read_b32 v21, v20
	s_waitcnt lgkmcnt(0)
	v_cmp_eq_u32_e32 vcc, v21, v71
	s_or_b64 s[8:9], vcc, s[8:9]
	s_andn2_b64 exec, exec, s[8:9]
	s_cbranch_execnz .LBB173_50
	s_branch .LBB173_47
.LBB173_51:
	s_endpgm
	.section	.rodata,"a",@progbits
	.p2align	6, 0x0
	.amdhsa_kernel _Z19_skinny_gemm_kernelILi2ELi2ELi2ELi32ELi8EEvPKhS1_P6__halfPKfiiiiiiii
		.amdhsa_group_segment_fixed_size 32800
		.amdhsa_private_segment_fixed_size 0
		.amdhsa_kernarg_size 64
		.amdhsa_user_sgpr_count 2
		.amdhsa_user_sgpr_dispatch_ptr 0
		.amdhsa_user_sgpr_queue_ptr 0
		.amdhsa_user_sgpr_kernarg_segment_ptr 1
		.amdhsa_user_sgpr_dispatch_id 0
		.amdhsa_user_sgpr_kernarg_preload_length 0
		.amdhsa_user_sgpr_kernarg_preload_offset 0
		.amdhsa_user_sgpr_private_segment_size 0
		.amdhsa_uses_dynamic_stack 0
		.amdhsa_enable_private_segment 0
		.amdhsa_system_sgpr_workgroup_id_x 1
		.amdhsa_system_sgpr_workgroup_id_y 0
		.amdhsa_system_sgpr_workgroup_id_z 0
		.amdhsa_system_sgpr_workgroup_info 0
		.amdhsa_system_vgpr_workitem_id 0
		.amdhsa_next_free_vgpr 106
		.amdhsa_next_free_sgpr 100
		.amdhsa_accum_offset 108
		.amdhsa_reserve_vcc 1
		.amdhsa_float_round_mode_32 0
		.amdhsa_float_round_mode_16_64 0
		.amdhsa_float_denorm_mode_32 3
		.amdhsa_float_denorm_mode_16_64 3
		.amdhsa_dx10_clamp 1
		.amdhsa_ieee_mode 1
		.amdhsa_fp16_overflow 0
		.amdhsa_tg_split 0
		.amdhsa_exception_fp_ieee_invalid_op 0
		.amdhsa_exception_fp_denorm_src 0
		.amdhsa_exception_fp_ieee_div_zero 0
		.amdhsa_exception_fp_ieee_overflow 0
		.amdhsa_exception_fp_ieee_underflow 0
		.amdhsa_exception_fp_ieee_inexact 0
		.amdhsa_exception_int_div_zero 0
	.end_amdhsa_kernel
	.section	.text._Z19_skinny_gemm_kernelILi2ELi2ELi2ELi32ELi8EEvPKhS1_P6__halfPKfiiiiiiii,"axG",@progbits,_Z19_skinny_gemm_kernelILi2ELi2ELi2ELi32ELi8EEvPKhS1_P6__halfPKfiiiiiiii,comdat
.Lfunc_end173:
	.size	_Z19_skinny_gemm_kernelILi2ELi2ELi2ELi32ELi8EEvPKhS1_P6__halfPKfiiiiiiii, .Lfunc_end173-_Z19_skinny_gemm_kernelILi2ELi2ELi2ELi32ELi8EEvPKhS1_P6__halfPKfiiiiiiii
                                        ; -- End function
	.set _Z19_skinny_gemm_kernelILi2ELi2ELi2ELi32ELi8EEvPKhS1_P6__halfPKfiiiiiiii.num_vgpr, 106
	.set _Z19_skinny_gemm_kernelILi2ELi2ELi2ELi32ELi8EEvPKhS1_P6__halfPKfiiiiiiii.num_agpr, 0
	.set _Z19_skinny_gemm_kernelILi2ELi2ELi2ELi32ELi8EEvPKhS1_P6__halfPKfiiiiiiii.numbered_sgpr, 100
	.set _Z19_skinny_gemm_kernelILi2ELi2ELi2ELi32ELi8EEvPKhS1_P6__halfPKfiiiiiiii.num_named_barrier, 0
	.set _Z19_skinny_gemm_kernelILi2ELi2ELi2ELi32ELi8EEvPKhS1_P6__halfPKfiiiiiiii.private_seg_size, 0
	.set _Z19_skinny_gemm_kernelILi2ELi2ELi2ELi32ELi8EEvPKhS1_P6__halfPKfiiiiiiii.uses_vcc, 1
	.set _Z19_skinny_gemm_kernelILi2ELi2ELi2ELi32ELi8EEvPKhS1_P6__halfPKfiiiiiiii.uses_flat_scratch, 0
	.set _Z19_skinny_gemm_kernelILi2ELi2ELi2ELi32ELi8EEvPKhS1_P6__halfPKfiiiiiiii.has_dyn_sized_stack, 0
	.set _Z19_skinny_gemm_kernelILi2ELi2ELi2ELi32ELi8EEvPKhS1_P6__halfPKfiiiiiiii.has_recursion, 0
	.set _Z19_skinny_gemm_kernelILi2ELi2ELi2ELi32ELi8EEvPKhS1_P6__halfPKfiiiiiiii.has_indirect_call, 0
	.section	.AMDGPU.csdata,"",@progbits
; Kernel info:
; codeLenInByte = 10120
; TotalNumSgprs: 106
; NumVgprs: 106
; NumAgprs: 0
; TotalNumVgprs: 106
; ScratchSize: 0
; MemoryBound: 0
; FloatMode: 240
; IeeeMode: 1
; LDSByteSize: 32800 bytes/workgroup (compile time only)
; SGPRBlocks: 13
; VGPRBlocks: 13
; NumSGPRsForWavesPerEU: 106
; NumVGPRsForWavesPerEU: 106
; AccumOffset: 108
; Occupancy: 4
; WaveLimiterHint : 0
; COMPUTE_PGM_RSRC2:SCRATCH_EN: 0
; COMPUTE_PGM_RSRC2:USER_SGPR: 2
; COMPUTE_PGM_RSRC2:TRAP_HANDLER: 0
; COMPUTE_PGM_RSRC2:TGID_X_EN: 1
; COMPUTE_PGM_RSRC2:TGID_Y_EN: 0
; COMPUTE_PGM_RSRC2:TGID_Z_EN: 0
; COMPUTE_PGM_RSRC2:TIDIG_COMP_CNT: 0
; COMPUTE_PGM_RSRC3_GFX90A:ACCUM_OFFSET: 26
; COMPUTE_PGM_RSRC3_GFX90A:TG_SPLIT: 0
	.section	.text._Z19_skinny_gemm_kernelILi2ELi2ELi3ELi16ELi4EEvPKhS1_P6__halfPKfiiiiiiii,"axG",@progbits,_Z19_skinny_gemm_kernelILi2ELi2ELi3ELi16ELi4EEvPKhS1_P6__halfPKfiiiiiiii,comdat
	.protected	_Z19_skinny_gemm_kernelILi2ELi2ELi3ELi16ELi4EEvPKhS1_P6__halfPKfiiiiiiii ; -- Begin function _Z19_skinny_gemm_kernelILi2ELi2ELi3ELi16ELi4EEvPKhS1_P6__halfPKfiiiiiiii
	.globl	_Z19_skinny_gemm_kernelILi2ELi2ELi3ELi16ELi4EEvPKhS1_P6__halfPKfiiiiiiii
	.p2align	8
	.type	_Z19_skinny_gemm_kernelILi2ELi2ELi3ELi16ELi4EEvPKhS1_P6__halfPKfiiiiiiii,@function
_Z19_skinny_gemm_kernelILi2ELi2ELi3ELi16ELi4EEvPKhS1_P6__halfPKfiiiiiiii: ; @_Z19_skinny_gemm_kernelILi2ELi2ELi3ELi16ELi4EEvPKhS1_P6__halfPKfiiiiiiii
; %bb.0:
	v_cmp_gt_u32_e32 vcc, 12, v0
	v_lshlrev_b32_e32 v1, 2, v0
	s_and_saveexec_b64 s[4:5], vcc
; %bb.1:
	v_mov_b32_e32 v2, 0
	ds_write_b32 v1, v2 offset:24576
; %bb.2:
	s_or_b64 exec, exec, s[4:5]
	s_load_dwordx8 s[16:23], s[0:1], 0x20
	s_waitcnt lgkmcnt(0)
	s_barrier
	s_add_i32 s3, s16, 31
	s_ashr_i32 s5, s3, 31
	s_add_i32 s4, s17, 31
	s_lshr_b32 s5, s5, 27
	s_ashr_i32 s6, s4, 31
	s_add_i32 s3, s3, s5
	s_ashr_i32 s33, s3, 5
	s_lshr_b32 s3, s6, 27
	s_add_i32 s4, s4, s3
	s_ashr_i32 s48, s4, 5
	s_mul_i32 s3, s48, s33
	s_mul_i32 s3, s3, s20
	s_add_i32 s4, s3, 0x12f
	s_mul_hi_i32 s4, s4, 0x6bca1af3
	s_lshr_b32 s5, s4, 31
	s_ashr_i32 s4, s4, 7
	s_add_i32 s4, s4, s5
	s_add_i32 s5, s2, 1
	s_mul_i32 s5, s4, s5
	v_cvt_f64_i32_e32 v[2:3], s3
	v_cvt_f64_u32_e32 v[4:5], s5
	v_min_f64 v[2:3], v[2:3], v[4:5]
	v_cvt_i32_f64_e32 v17, v[2:3]
	s_mul_i32 s49, s4, s2
	v_cmp_ge_i32_e32 vcc, s49, v17
	s_cbranch_vccnz .LBB174_50
; %bb.3:
	v_lshrrev_b32_e32 v2, 6, v0
	s_add_i32 s4, s22, s21
	s_load_dwordx8 s[24:31], s[0:1], 0x0
	v_cmp_le_i32_e64 s[0:1], s4, v2
	v_mov_b32_e32 v3, s21
	v_cmp_le_i32_e64 s[2:3], s21, v2
	v_mov_b32_e32 v4, s22
	v_cndmask_b32_e64 v4, 0, v4, s[0:1]
	v_cndmask_b32_e64 v3, 0, v3, s[2:3]
	s_abs_i32 s5, s20
	v_add_u32_e32 v3, v3, v4
	v_cvt_f32_u32_e32 v4, s5
	v_sub_u32_e32 v28, v2, v3
	s_ashr_i32 s6, s18, 31
	s_lshr_b32 s6, s6, 25
	v_rcp_iflag_f32_e32 v3, v4
	s_sub_i32 s9, 0, s5
	s_add_i32 s6, s18, s6
	s_ashr_i32 s6, s6, 7
	v_mul_f32_e32 v3, 0x4f7ffffe, v3
	v_cvt_u32_f32_e32 v3, v3
	s_abs_i32 s8, s6
	s_xor_b32 s7, s6, s20
	s_ashr_i32 s7, s7, 31
	v_readfirstlane_b32 s10, v3
	s_mul_i32 s9, s9, s10
	s_mul_hi_u32 s9, s10, s9
	s_add_i32 s10, s10, s9
	s_mul_hi_u32 s9, s8, s10
	s_mul_i32 s10, s9, s5
	s_sub_i32 s8, s8, s10
	s_add_i32 s10, s9, 1
	s_sub_i32 s11, s8, s5
	s_cmp_ge_u32 s8, s5
	s_cselect_b32 s9, s10, s9
	s_cselect_b32 s8, s11, s8
	s_add_i32 s10, s9, 1
	s_cmp_ge_u32 s8, s5
	s_cselect_b32 s5, s10, s9
	s_xor_b32 s5, s5, s7
	s_sub_i32 s50, s5, s7
	s_add_i32 s20, s20, -1
	s_mul_i32 s5, s50, s20
	s_add_i32 s4, s4, s23
	s_sub_i32 s51, s6, s5
	v_cmp_gt_i32_e64 s[4:5], s4, v2
	v_lshlrev_b32_e32 v2, 1, v0
	v_lshlrev_b32_e32 v3, 4, v0
	s_abs_i32 s52, s33
	v_and_b32_e32 v1, 60, v1
	v_and_b32_e32 v2, 64, v2
	;; [unrolled: 1-line block ×4, first 2 shown]
	v_cvt_f32_u32_e32 v3, s52
	v_or3_b32 v47, v1, v2, v4
	v_and_b32_e32 v1, 1, v0
	v_lshlrev_b32_e32 v2, 1, v1
	v_lshrrev_b32_e32 v4, 2, v0
	v_and_b32_e32 v16, 14, v0
	v_sub_u32_e32 v2, v0, v2
	v_bitop3_b32 v48, v0, 1, v0 bitop3:0xc
	v_bitop3_b32 v49, v0, 3, 1 bitop3:0x6c
	v_and_or_b32 v50, v4, 12, v1
	v_bfe_u32 v51, v0, 2, 4
	v_and_b32_e32 v1, 60, v0
	v_lshlrev_b32_e32 v4, 8, v0
	v_lshlrev_b32_e32 v0, 6, v0
	v_and_b32_e32 v4, 0x200, v4
	v_rcp_iflag_f32_e32 v3, v3
	v_and_b32_e32 v0, 64, v0
	s_abs_i32 s54, s48
	v_or3_b32 v52, v1, v4, v0
	v_cvt_f32_u32_e32 v1, s54
	v_mul_f32_e32 v0, 0x4f7ffffe, v3
	v_cvt_u32_f32_e32 v0, v0
	v_mad_u64_u32 v[18:19], s[6:7], s17, v50, v[16:17]
	v_rcp_iflag_f32_e32 v1, v1
	v_readfirstlane_b32 s7, v0
	s_sub_i32 s6, 0, s52
	s_mul_i32 s6, s6, s7
	v_mul_f32_e32 v0, 0x4f7ffffe, v1
	v_cvt_u32_f32_e32 v0, v0
	s_mul_hi_u32 s6, s7, s6
	v_add_u32_e32 v2, 1, v2
	s_add_i32 s56, s7, s6
	s_sub_i32 s6, 0, s54
	v_readfirstlane_b32 s7, v0
	v_mbcnt_lo_u32_b32 v0, -1, 0
	v_and_b32_e32 v2, 63, v2
	s_mul_i32 s6, s6, s7
	v_mbcnt_hi_u32_b32 v0, -1, v0
	v_lshl_add_u32 v20, s17, 4, v18
	v_mul_lo_u32 v24, s19, v51
	s_mul_hi_u32 s6, s7, s6
	v_and_or_b32 v0, v0, 64, v2
	v_cndmask_b32_e64 v46, 0, 1, s[0:1]
	s_ashr_i32 s35, s17, 31
	s_mov_b32 s34, s17
	v_ashrrev_i32_e32 v19, 31, v18
	v_ashrrev_i32_e32 v21, 31, v20
	;; [unrolled: 1-line block ×3, first 2 shown]
	v_mov_b32_e32 v23, 0
	s_lshl_b32 s53, s19, 4
	s_ashr_i32 s55, s33, 31
	s_ashr_i32 s57, s48, 31
	s_add_i32 s58, s7, s6
	v_lshlrev_b32_e32 v53, 2, v0
	v_mov_b32_e32 v54, v28
	s_branch .LBB174_7
.LBB174_4:                              ;   in Loop: Header=BB174_7 Depth=1
	s_or_b64 exec, exec, s[10:11]
.LBB174_5:                              ;   in Loop: Header=BB174_7 Depth=1
	s_or_b64 exec, exec, s[8:9]
	v_subrev_u32_e32 v54, s36, v54
.LBB174_6:                              ;   in Loop: Header=BB174_7 Depth=1
	s_or_b64 exec, exec, s[6:7]
	s_add_i32 s49, s49, 1
	v_cmp_ge_i32_e32 vcc, s49, v17
	s_cbranch_vccnz .LBB174_50
.LBB174_7:                              ; =>This Loop Header: Depth=1
                                        ;     Child Loop BB174_13 Depth 2
                                        ;       Child Loop BB174_15 Depth 3
                                        ;       Child Loop BB174_18 Depth 3
	;; [unrolled: 1-line block ×4, first 2 shown]
                                        ;     Child Loop BB174_37 Depth 2
                                        ;       Child Loop BB174_39 Depth 3
                                        ;     Child Loop BB174_47 Depth 2
                                        ;       Child Loop BB174_49 Depth 3
	s_abs_i32 s7, s49
	s_mul_hi_u32 s8, s7, s56
	s_mul_i32 s9, s8, s52
	s_ashr_i32 s6, s49, 31
	s_sub_i32 s7, s7, s9
	s_xor_b32 s6, s6, s55
	s_add_i32 s9, s8, 1
	s_sub_i32 s10, s7, s52
	s_cmp_ge_u32 s7, s52
	s_cselect_b32 s8, s9, s8
	s_cselect_b32 s7, s10, s7
	s_add_i32 s9, s8, 1
	s_cmp_ge_u32 s7, s52
	s_cselect_b32 s7, s9, s8
	s_xor_b32 s7, s7, s6
	s_sub_i32 s6, s7, s6
	s_abs_i32 s8, s6
	s_mul_i32 s7, s6, s33
	s_mul_hi_u32 s9, s8, s58
	s_sub_i32 s7, s49, s7
	s_mul_i32 s10, s9, s54
	s_lshl_b32 s59, s7, 5
	s_ashr_i32 s7, s6, 31
	s_sub_i32 s8, s8, s10
	s_xor_b32 s7, s7, s57
	s_add_i32 s10, s9, 1
	s_sub_i32 s11, s8, s54
	s_cmp_ge_u32 s8, s54
	s_cselect_b32 s9, s10, s9
	s_cselect_b32 s8, s11, s8
	s_add_i32 s10, s9, 1
	s_cmp_ge_u32 s8, s54
	s_cselect_b32 s8, s10, s9
	s_xor_b32 s8, s8, s7
	s_sub_i32 s7, s8, s7
	s_mul_i32 s8, s7, s50
	s_lshl_b32 s60, s8, 7
	s_cmp_eq_u32 s7, s20
	s_cselect_b32 s62, s51, s50
	s_sub_i32 s8, s59, s16
	s_add_i32 s8, s8, 32
	s_max_i32 s61, s8, 0
	s_and_saveexec_b64 s[8:9], s[2:3]
	s_xor_b64 s[36:37], exec, s[8:9]
	s_cbranch_execz .LBB174_43
; %bb.8:                                ;   in Loop: Header=BB174_7 Depth=1
	s_mul_i32 s7, s7, s48
	s_sub_i32 s6, s6, s7
	s_lshl_b32 s6, s6, 5
	s_sub_i32 s14, s6, s17
	s_add_i32 s14, s14, 32
	s_max_i32 s7, s14, 0
	s_sub_i32 s38, s6, s7
	s_and_saveexec_b64 s[6:7], s[0:1]
	s_xor_b64 s[40:41], exec, s[6:7]
	s_cbranch_execz .LBB174_33
; %bb.9:                                ;   in Loop: Header=BB174_7 Depth=1
	s_and_saveexec_b64 s[42:43], s[4:5]
	s_cbranch_execz .LBB174_32
; %bb.10:                               ;   in Loop: Header=BB174_7 Depth=1
	s_waitcnt lgkmcnt(0)
	global_load_dword v55, v23, s[30:31]
	v_mov_b32_e32 v15, 0
	v_cmp_gt_i32_e32 vcc, s62, v54
	v_mov_b32_e32 v14, v15
	v_mov_b32_e32 v13, v15
	;; [unrolled: 1-line block ×15, first 2 shown]
	s_and_saveexec_b64 s[6:7], vcc
	s_cbranch_execz .LBB174_26
; %bb.11:                               ;   in Loop: Header=BB174_7 Depth=1
	v_mov_b32_e32 v0, 0
	s_mov_b64 s[8:9], 0
	v_mov_b32_e32 v1, v0
	v_mov_b32_e32 v2, v0
	v_mov_b32_e32 v3, v0
	v_mov_b32_e32 v4, v0
	v_mov_b32_e32 v5, v0
	v_mov_b32_e32 v6, v0
	v_mov_b32_e32 v7, v0
	v_mov_b32_e32 v8, v0
	v_mov_b32_e32 v9, v0
	v_mov_b32_e32 v10, v0
	v_mov_b32_e32 v11, v0
	v_mov_b32_e32 v12, v0
	v_mov_b32_e32 v13, v0
	v_mov_b32_e32 v14, v0
	v_mov_b32_e32 v15, v0
	s_branch .LBB174_13
.LBB174_12:                             ;   in Loop: Header=BB174_13 Depth=2
	s_or_b64 exec, exec, s[10:11]
	v_add_u32_e32 v34, 0x800, v58
	ds_read2_b32 v[28:29], v34 offset1:32
	v_add_u32_e32 v58, 0xc00, v58
	v_add_u32_e32 v54, s23, v54
	s_waitcnt lgkmcnt(0)
	v_mfma_f32_16x16x32_fp8_fp8 v[8:11], v[26:27], v[28:29], v[8:11]
	ds_read2_b32 v[26:27], v34 offset0:128 offset1:160
	ds_read2_b32 v[34:35], v58 offset1:32
	v_mfma_f32_16x16x32_fp8_fp8 v[0:3], v[42:43], v[28:29], v[0:3]
	v_add_u32_e32 v28, s23, v56
	v_cmp_lt_i32_e32 vcc, 2, v28
	s_waitcnt lgkmcnt(1)
	v_mfma_f32_16x16x32_fp8_fp8 v[8:11], v[36:37], v[26:27], v[8:11]
	ds_read2_b32 v[36:37], v58 offset0:128 offset1:160
	;;#ASMSTART
	s_waitcnt lgkmcnt(0)
	;;#ASMEND
	ds_write_b32 v57, v59 offset:24604
	v_mfma_f32_16x16x32_fp8_fp8 v[0:3], v[44:45], v[26:27], v[0:3]
	v_add_u32_e32 v26, 2, v46
	v_cndmask_b32_e32 v46, v46, v26, vcc
	v_cmp_le_i32_e32 vcc, s62, v54
	s_waitcnt lgkmcnt(2)
	v_mfma_f32_16x16x32_fp8_fp8 v[8:11], v[38:39], v[34:35], v[8:11]
	s_or_b64 s[8:9], vcc, s[8:9]
	v_mfma_f32_16x16x32_fp8_fp8 v[0:3], v[32:33], v[34:35], v[0:3]
	s_waitcnt lgkmcnt(1)
	v_mfma_f32_16x16x32_fp8_fp8 v[8:11], v[40:41], v[36:37], v[8:11]
	v_mfma_f32_16x16x32_fp8_fp8 v[0:3], v[30:31], v[36:37], v[0:3]
	s_andn2_b64 exec, exec, s[8:9]
	s_cbranch_execz .LBB174_25
.LBB174_13:                             ;   Parent Loop BB174_7 Depth=1
                                        ; =>  This Loop Header: Depth=2
                                        ;       Child Loop BB174_15 Depth 3
                                        ;       Child Loop BB174_18 Depth 3
	;; [unrolled: 1-line block ×4, first 2 shown]
	v_cmp_gt_i32_e32 vcc, 3, v28
	s_nop 1
	v_cndmask_b32_e64 v26, -3, 0, vcc
	v_add_u32_e32 v56, v26, v28
	v_lshlrev_b32_e32 v57, 3, v56
	ds_read_b32 v26, v57 offset:24600
	s_waitcnt lgkmcnt(0)
	v_cmp_ne_u32_e32 vcc, v26, v46
	s_and_saveexec_b64 s[10:11], vcc
	s_cbranch_execz .LBB174_16
; %bb.14:                               ;   in Loop: Header=BB174_13 Depth=2
	s_mov_b64 s[12:13], 0
.LBB174_15:                             ;   Parent Loop BB174_7 Depth=1
                                        ;     Parent Loop BB174_13 Depth=2
                                        ; =>    This Inner Loop Header: Depth=3
	;;#ASMSTART
	s_sleep 0
	;;#ASMEND
	ds_read_b32 v26, v57 offset:24600
	s_waitcnt lgkmcnt(0)
	v_cmp_eq_u32_e32 vcc, v26, v46
	s_or_b64 s[12:13], vcc, s[12:13]
	s_andn2_b64 exec, exec, s[12:13]
	s_cbranch_execnz .LBB174_15
.LBB174_16:                             ;   in Loop: Header=BB174_13 Depth=2
	s_or_b64 exec, exec, s[10:11]
	v_lshlrev_b32_e32 v26, 12, v56
	v_or_b32_e32 v27, 0x3000, v47
	v_add_u32_e32 v58, v27, v26
	v_add_u32_e32 v27, 0x400, v58
	ds_read2_b32 v[32:33], v58 offset1:32
	ds_read2_b32 v[30:31], v58 offset0:128 offset1:160
	ds_read2_b32 v[34:35], v27 offset1:32
	ds_read2_b32 v[28:29], v27 offset0:128 offset1:160
	;;#ASMSTART
	s_waitcnt lgkmcnt(0)
	;;#ASMEND
	ds_read_b32 v27, v57 offset:24576
	v_add_u32_e32 v59, 1, v46
	ds_write_b32 v57, v59 offset:24600
	s_waitcnt lgkmcnt(1)
	v_cmp_ne_u32_e32 vcc, v27, v46
	s_and_saveexec_b64 s[10:11], vcc
	s_cbranch_execz .LBB174_19
; %bb.17:                               ;   in Loop: Header=BB174_13 Depth=2
	s_mov_b64 s[12:13], 0
.LBB174_18:                             ;   Parent Loop BB174_7 Depth=1
                                        ;     Parent Loop BB174_13 Depth=2
                                        ; =>    This Inner Loop Header: Depth=3
	;;#ASMSTART
	s_sleep 0
	;;#ASMEND
	ds_read_b32 v27, v57 offset:24576
	s_waitcnt lgkmcnt(0)
	v_cmp_eq_u32_e32 vcc, v27, v46
	s_or_b64 s[12:13], vcc, s[12:13]
	s_andn2_b64 exec, exec, s[12:13]
	s_cbranch_execnz .LBB174_18
.LBB174_19:                             ;   in Loop: Header=BB174_13 Depth=2
	s_or_b64 exec, exec, s[10:11]
	v_add_u32_e32 v60, v47, v26
	ds_read2_b32 v[26:27], v60 offset1:32
	ds_read2_b32 v[36:37], v60 offset0:128 offset1:160
	v_add_u32_e32 v40, 0x400, v60
	ds_read2_b32 v[38:39], v40 offset1:32
	ds_read2_b32 v[40:41], v40 offset0:128 offset1:160
	ds_read_b32 v42, v57 offset:24580
	ds_write_b32 v57, v59 offset:24576
	s_waitcnt lgkmcnt(5)
	v_mfma_f32_16x16x32_fp8_fp8 v[12:15], v[26:27], v[32:33], v[12:15]
	s_waitcnt lgkmcnt(1)
	v_cmp_ne_u32_e32 vcc, v42, v46
	v_mfma_f32_16x16x32_fp8_fp8 v[12:15], v[36:37], v[30:31], v[12:15]
	v_mfma_f32_16x16x32_fp8_fp8 v[12:15], v[38:39], v[34:35], v[12:15]
	;; [unrolled: 1-line block ×3, first 2 shown]
	s_and_saveexec_b64 s[10:11], vcc
	s_cbranch_execz .LBB174_22
; %bb.20:                               ;   in Loop: Header=BB174_13 Depth=2
	s_mov_b64 s[12:13], 0
.LBB174_21:                             ;   Parent Loop BB174_7 Depth=1
                                        ;     Parent Loop BB174_13 Depth=2
                                        ; =>    This Inner Loop Header: Depth=3
	;;#ASMSTART
	s_sleep 0
	;;#ASMEND
	ds_read_b32 v42, v57 offset:24580
	s_waitcnt lgkmcnt(0)
	v_cmp_eq_u32_e32 vcc, v42, v46
	s_or_b64 s[12:13], vcc, s[12:13]
	s_andn2_b64 exec, exec, s[12:13]
	s_cbranch_execnz .LBB174_21
.LBB174_22:                             ;   in Loop: Header=BB174_13 Depth=2
	s_or_b64 exec, exec, s[10:11]
	v_add_u32_e32 v44, 0x800, v60
	ds_read2_b32 v[42:43], v44 offset1:32
	ds_read2_b32 v[44:45], v44 offset0:128 offset1:160
	v_add_u32_e32 v60, 0xc00, v60
	s_waitcnt lgkmcnt(1)
	v_mfma_f32_16x16x32_fp8_fp8 v[4:7], v[42:43], v[32:33], v[4:7]
	ds_read2_b32 v[32:33], v60 offset1:32
	s_waitcnt lgkmcnt(1)
	v_mfma_f32_16x16x32_fp8_fp8 v[4:7], v[44:45], v[30:31], v[4:7]
	s_waitcnt lgkmcnt(0)
	v_mfma_f32_16x16x32_fp8_fp8 v[4:7], v[32:33], v[34:35], v[4:7]
	ds_read2_b32 v[30:31], v60 offset0:128 offset1:160
	ds_read_b32 v34, v57 offset:24604
	ds_write_b32 v57, v59 offset:24580
	s_waitcnt lgkmcnt(1)
	v_cmp_ne_u32_e32 vcc, v34, v46
	v_mfma_f32_16x16x32_fp8_fp8 v[4:7], v[30:31], v[28:29], v[4:7]
	s_and_saveexec_b64 s[10:11], vcc
	s_cbranch_execz .LBB174_12
; %bb.23:                               ;   in Loop: Header=BB174_13 Depth=2
	s_mov_b64 s[12:13], 0
.LBB174_24:                             ;   Parent Loop BB174_7 Depth=1
                                        ;     Parent Loop BB174_13 Depth=2
                                        ; =>    This Inner Loop Header: Depth=3
	;;#ASMSTART
	s_sleep 0
	;;#ASMEND
	ds_read_b32 v28, v57 offset:24604
	s_waitcnt lgkmcnt(0)
	v_cmp_eq_u32_e32 vcc, v28, v46
	s_or_b64 s[12:13], vcc, s[12:13]
	s_andn2_b64 exec, exec, s[12:13]
	s_cbranch_execnz .LBB174_24
	s_branch .LBB174_12
.LBB174_25:                             ;   in Loop: Header=BB174_7 Depth=1
	s_or_b64 exec, exec, s[8:9]
.LBB174_26:                             ;   in Loop: Header=BB174_7 Depth=1
	s_or_b64 exec, exec, s[6:7]
	v_cmp_le_i32_e32 vcc, s14, v16
	v_cmp_eq_u32_e64 s[6:7], 2, v48
	v_cmp_eq_u32_e64 s[8:9], 3, v48
	s_waitcnt vmcnt(0)
	v_cndmask_b32_e32 v26, 0, v55, vcc
	v_pk_mul_f32 v[12:13], v[26:27], v[12:13] op_sel_hi:[0,1]
	v_cmp_eq_u32_e32 vcc, 1, v48
	v_pk_mul_f32 v[30:31], v[26:27], v[14:15] op_sel_hi:[0,1]
	v_cmp_eq_u32_e64 s[10:11], 0, v48
	v_cndmask_b32_e32 v14, v12, v13, vcc
	v_cndmask_b32_e64 v14, v14, v30, s[6:7]
	v_cndmask_b32_e64 v14, v14, v31, s[8:9]
	ds_bpermute_b32 v27, v53, v14
	v_cmp_eq_u32_e64 s[12:13], 1, v49
	s_waitcnt lgkmcnt(0)
	v_cndmask_b32_e64 v14, v31, v27, s[8:9]
	v_cndmask_b32_e64 v15, v30, v27, s[6:7]
	v_cndmask_b32_e32 v13, v13, v27, vcc
	v_cndmask_b32_e64 v27, v12, v27, s[10:11]
	v_or_b32_e32 v12, 16, v16
	v_cmp_le_i32_e64 s[14:15], s14, v12
	v_cndmask_b32_e64 v29, v27, v13, s[12:13]
	s_nop 0
	v_cndmask_b32_e64 v12, 0, v55, s[14:15]
	v_pk_mul_f32 v[32:33], v[12:13], v[8:9] op_sel_hi:[0,1]
	v_pk_mul_f32 v[30:31], v[12:13], v[10:11] op_sel_hi:[0,1]
	v_cndmask_b32_e32 v8, v32, v33, vcc
	v_cndmask_b32_e64 v8, v8, v30, s[6:7]
	v_cndmask_b32_e64 v8, v8, v31, s[8:9]
	ds_bpermute_b32 v9, v53, v8
	v_cmp_eq_u32_e32 vcc, 2, v49
	v_cmp_eq_u32_e64 s[14:15], 3, v49
	s_waitcnt lgkmcnt(0)
	v_cndmask_b32_e64 v11, v30, v9, s[6:7]
	v_cndmask_b32_e32 v8, v29, v15, vcc
	v_cndmask_b32_e64 v8, v8, v14, s[14:15]
	v_cmp_ne_u32_e64 s[6:7], 0, v48
	ds_bpermute_b32 v29, v53, v8
	v_cndmask_b32_e64 v10, v31, v9, s[8:9]
	v_cndmask_b32_e64 v8, v33, v9, s[6:7]
	;; [unrolled: 1-line block ×4, first 2 shown]
	v_cndmask_b32_e32 v30, v30, v11, vcc
	v_cndmask_b32_e64 v30, v30, v10, s[14:15]
	ds_bpermute_b32 v30, v53, v30
	v_add_u32_e32 v31, s61, v50
	v_cmp_gt_u32_e32 vcc, 32, v31
	s_and_saveexec_b64 s[44:45], vcc
	s_cbranch_execz .LBB174_31
; %bb.27:                               ;   in Loop: Header=BB174_7 Depth=1
	v_cmp_eq_u32_e64 s[8:9], 1, v49
	v_cmp_eq_u32_e64 s[10:11], 0, v49
	v_cmp_eq_u32_e32 vcc, 3, v49
	s_waitcnt lgkmcnt(1)
	v_cndmask_b32_e64 v13, v13, v29, s[8:9]
	s_waitcnt lgkmcnt(0)
	v_cndmask_b32_e64 v32, v8, v30, s[8:9]
	s_mul_i32 s8, s59, s17
	s_ashr_i32 s9, s8, 31
	s_lshl_b64 s[8:9], s[8:9], 1
	v_cndmask_b32_e64 v27, v27, v29, s[10:11]
	v_cndmask_b32_e64 v33, v9, v30, s[10:11]
	s_add_u32 s10, s28, s8
	s_addc_u32 s11, s29, s9
	s_ashr_i32 s39, s38, 31
	v_cvt_f16_f32_e32 v27, v27
	v_cvt_f16_f32_sdwa v13, v13 dst_sel:WORD_1 dst_unused:UNUSED_PAD src0_sel:DWORD
	s_lshl_b64 s[8:9], s[38:39], 1
	v_cvt_f16_f32_e32 v34, v33
	v_cvt_f16_f32_sdwa v35, v32 dst_sel:WORD_1 dst_unused:UNUSED_PAD src0_sel:DWORD
	s_add_u32 s46, s10, s8
	s_addc_u32 s47, s11, s9
	v_cmp_eq_u32_e64 s[6:7], 2, v49
	v_lshl_add_u64 v[8:9], v[18:19], 1, s[46:47]
	v_or_b32_e32 v13, v13, v27
	v_cmp_gt_u32_e64 s[8:9], 30, v31
	;;#ASMSTART
	global_atomic_pk_add_f16 v[8:9], v13, off
	
	;;#ASMEND
	v_lshl_add_u64 v[32:33], v[8:9], 0, 32
	v_or_b32_e32 v13, v35, v34
	;;#ASMSTART
	global_atomic_pk_add_f16 v[32:33], v13, off
	
	;;#ASMEND
	s_and_b64 exec, exec, s[8:9]
	s_cbranch_execz .LBB174_31
; %bb.28:                               ;   in Loop: Header=BB174_7 Depth=1
	v_mov_b32_e32 v27, v26
	v_cndmask_b32_e32 v14, v14, v29, vcc
	v_cndmask_b32_e64 v15, v15, v29, s[6:7]
	v_cndmask_b32_e32 v29, v10, v30, vcc
	v_cndmask_b32_e64 v30, v11, v30, s[6:7]
	v_mov_b32_e32 v10, v26
	v_mov_b32_e32 v11, v26
	v_pk_mul_f32 v[6:7], v[10:11], v[6:7]
	v_pk_mul_f32 v[10:11], v[26:27], v[4:5]
	v_cmp_eq_u32_e32 vcc, 1, v48
	v_cmp_eq_u32_e64 s[6:7], 2, v48
	v_cmp_eq_u32_e64 s[8:9], 3, v48
	v_cndmask_b32_e32 v4, v10, v11, vcc
	v_cndmask_b32_e64 v4, v4, v6, s[6:7]
	v_cndmask_b32_e64 v4, v4, v7, s[8:9]
	v_cvt_f16_f32_e32 v15, v15
	v_cvt_f16_f32_sdwa v14, v14 dst_sel:WORD_1 dst_unused:UNUSED_PAD src0_sel:DWORD
	ds_bpermute_b32 v26, v53, v4
	v_mov_b32_e32 v13, v12
	v_lshl_add_u64 v[8:9], s[34:35], 2, v[8:9]
	v_or_b32_e32 v14, v14, v15
	v_cmp_eq_u32_e64 s[10:11], 0, v48
	;;#ASMSTART
	global_atomic_pk_add_f16 v[8:9], v14, off
	
	;;#ASMEND
	v_lshl_add_u64 v[14:15], v[8:9], 0, 32
	s_waitcnt lgkmcnt(0)
	v_cndmask_b32_e64 v4, v7, v26, s[8:9]
	v_cndmask_b32_e64 v5, v6, v26, s[6:7]
	v_cndmask_b32_e32 v6, v11, v26, vcc
	v_cndmask_b32_e64 v7, v10, v26, s[10:11]
	v_mov_b32_e32 v8, v12
	v_mov_b32_e32 v9, v12
	v_pk_mul_f32 v[10:11], v[12:13], v[0:1]
	v_pk_mul_f32 v[8:9], v[8:9], v[2:3]
	v_cndmask_b32_e32 v0, v10, v11, vcc
	v_cndmask_b32_e64 v0, v0, v8, s[6:7]
	v_cndmask_b32_e64 v0, v0, v9, s[8:9]
	ds_bpermute_b32 v1, v53, v0
	v_cmp_eq_u32_e64 s[12:13], 1, v49
	v_cmp_eq_u32_e32 vcc, 2, v49
	v_cmp_eq_u32_e64 s[14:15], 3, v49
	v_cndmask_b32_e64 v26, v7, v6, s[12:13]
	v_cndmask_b32_e32 v0, v26, v5, vcc
	v_cndmask_b32_e64 v0, v0, v4, s[14:15]
	s_waitcnt lgkmcnt(0)
	v_cndmask_b32_e64 v8, v8, v1, s[6:7]
	v_cmp_ne_u32_e64 s[6:7], 0, v48
	ds_bpermute_b32 v2, v53, v0
	v_cndmask_b32_e64 v3, v9, v1, s[8:9]
	v_cndmask_b32_e64 v0, v11, v1, s[6:7]
	;; [unrolled: 1-line block ×3, first 2 shown]
	v_cvt_f16_f32_e32 v27, v30
	v_cvt_f16_f32_sdwa v29, v29 dst_sel:WORD_1 dst_unused:UNUSED_PAD src0_sel:DWORD
	v_cndmask_b32_e64 v9, v1, v0, s[12:13]
	v_cndmask_b32_e32 v9, v9, v8, vcc
	v_cndmask_b32_e64 v9, v9, v3, s[14:15]
	ds_bpermute_b32 v9, v53, v9
	v_or_b32_e32 v10, v29, v27
	;;#ASMSTART
	global_atomic_pk_add_f16 v[14:15], v10, off
	
	;;#ASMEND
	v_or_b32_e32 v10, 16, v50
	v_add_u32_e32 v10, s61, v10
	v_cmp_gt_u32_e32 vcc, 32, v10
	s_and_b64 exec, exec, vcc
	s_cbranch_execz .LBB174_31
; %bb.29:                               ;   in Loop: Header=BB174_7 Depth=1
	v_cmp_eq_u32_e64 s[8:9], 1, v49
	v_cmp_eq_u32_e64 s[10:11], 0, v49
	v_cmp_eq_u32_e32 vcc, 3, v49
	s_waitcnt lgkmcnt(1)
	v_cndmask_b32_e64 v6, v6, v2, s[8:9]
	v_cndmask_b32_e64 v7, v7, v2, s[10:11]
	s_waitcnt lgkmcnt(0)
	v_cndmask_b32_e64 v11, v0, v9, s[8:9]
	v_cndmask_b32_e64 v12, v1, v9, s[10:11]
	v_cvt_f16_f32_e32 v7, v7
	v_cvt_f16_f32_sdwa v6, v6 dst_sel:WORD_1 dst_unused:UNUSED_PAD src0_sel:DWORD
	v_cvt_f16_f32_e32 v12, v12
	v_cvt_f16_f32_sdwa v11, v11 dst_sel:WORD_1 dst_unused:UNUSED_PAD src0_sel:DWORD
	v_cmp_eq_u32_e64 s[6:7], 2, v49
	v_lshl_add_u64 v[0:1], v[20:21], 1, s[46:47]
	v_or_b32_e32 v6, v6, v7
	v_cmp_gt_u32_e64 s[8:9], 30, v10
	;;#ASMSTART
	global_atomic_pk_add_f16 v[0:1], v6, off
	
	;;#ASMEND
	v_lshl_add_u64 v[6:7], v[0:1], 0, 32
	v_or_b32_e32 v11, v11, v12
	;;#ASMSTART
	global_atomic_pk_add_f16 v[6:7], v11, off
	
	;;#ASMEND
	s_and_b64 exec, exec, s[8:9]
	s_cbranch_execz .LBB174_31
; %bb.30:                               ;   in Loop: Header=BB174_7 Depth=1
	v_cndmask_b32_e32 v4, v4, v2, vcc
	v_cndmask_b32_e64 v2, v5, v2, s[6:7]
	v_cndmask_b32_e32 v3, v3, v9, vcc
	v_cndmask_b32_e64 v5, v8, v9, s[6:7]
	v_cvt_f16_f32_e32 v2, v2
	v_cvt_f16_f32_sdwa v4, v4 dst_sel:WORD_1 dst_unused:UNUSED_PAD src0_sel:DWORD
	v_cvt_f16_f32_e32 v5, v5
	v_cvt_f16_f32_sdwa v3, v3 dst_sel:WORD_1 dst_unused:UNUSED_PAD src0_sel:DWORD
	v_lshl_add_u64 v[0:1], s[34:35], 2, v[0:1]
	v_or_b32_e32 v2, v4, v2
	;;#ASMSTART
	global_atomic_pk_add_f16 v[0:1], v2, off
	
	;;#ASMEND
	v_lshl_add_u64 v[0:1], v[0:1], 0, 32
	v_or_b32_e32 v2, v3, v5
	;;#ASMSTART
	global_atomic_pk_add_f16 v[0:1], v2, off
	
	;;#ASMEND
.LBB174_31:                             ;   in Loop: Header=BB174_7 Depth=1
	s_or_b64 exec, exec, s[44:45]
	v_subrev_u32_e32 v54, s62, v54
.LBB174_32:                             ;   in Loop: Header=BB174_7 Depth=1
	s_or_b64 exec, exec, s[42:43]
.LBB174_33:                             ;   in Loop: Header=BB174_7 Depth=1
	s_andn2_saveexec_b64 s[6:7], s[40:41]
	s_cbranch_execz .LBB174_42
; %bb.34:                               ;   in Loop: Header=BB174_7 Depth=1
	s_lshl_b32 s39, s62, 1
	v_cmp_gt_i32_e32 vcc, s39, v54
	s_and_saveexec_b64 s[8:9], vcc
	s_cbranch_execz .LBB174_41
; %bb.35:                               ;   in Loop: Header=BB174_7 Depth=1
	s_mul_i32 s10, s38, s19
	s_ashr_i32 s11, s10, 31
	s_waitcnt lgkmcnt(0)
	s_add_u32 s10, s26, s10
	s_addc_u32 s11, s27, s11
	s_ashr_i32 s12, s60, 31
	s_add_u32 s10, s10, s60
	s_addc_u32 s11, s11, s12
	v_lshl_add_u64 v[0:1], s[10:11], 0, v[24:25]
	v_lshl_add_u64 v[8:9], v[0:1], 0, v[22:23]
	s_mov_b64 s[10:11], 0
	s_branch .LBB174_37
.LBB174_36:                             ;   in Loop: Header=BB174_37 Depth=2
	s_or_b64 exec, exec, s[12:13]
	v_or_b32_e32 v12, 0x3000, v52
	v_lshl_add_u32 v12, v10, 11, v12
	;;#ASMSTART
	s_waitcnt vmcnt(1)
	;;#ASMEND
	ds_write2_b32 v12, v4, v5 offset1:32
	ds_write2_b32 v12, v6, v7 offset0:64 offset1:96
	v_add_u32_e32 v4, 0x400, v12
	v_add_u32_e32 v54, s22, v54
	;;#ASMSTART
	s_waitcnt vmcnt(0)
	;;#ASMEND
	ds_write2_b32 v4, v0, v1 offset1:32
	ds_write2_b32 v4, v2, v3 offset0:64 offset1:96
	v_add_u32_e32 v0, 1, v46
	v_add_u32_e32 v28, s22, v10
	v_cmp_le_i32_e32 vcc, s39, v54
	ds_write_b32 v11, v0 offset:24
	v_add_u32_e32 v0, 2, v46
	s_or_b64 s[10:11], vcc, s[10:11]
	v_cmp_lt_i32_e32 vcc, 5, v28
	s_nop 1
	v_cndmask_b32_e32 v46, v46, v0, vcc
	s_andn2_b64 exec, exec, s[10:11]
	s_cbranch_execz .LBB174_40
.LBB174_37:                             ;   Parent Loop BB174_7 Depth=1
                                        ; =>  This Loop Header: Depth=2
                                        ;       Child Loop BB174_39 Depth 3
	v_cmp_gt_i32_e32 vcc, 6, v28
	s_nop 1
	v_cndmask_b32_e64 v0, -6, 0, vcc
	v_add_u32_e32 v10, v0, v28
	v_lshrrev_b32_e32 v0, 31, v54
	v_add_u32_e32 v0, v54, v0
	v_and_b32_e32 v1, -2, v0
	v_lshlrev_b32_e32 v0, 6, v0
	v_sub_u32_e32 v2, v54, v1
	v_and_b32_e32 v0, 0xffffff80, v0
	v_ashrrev_i32_e32 v1, 31, v0
	v_mul_lo_u32 v2, s53, v2
	v_lshl_add_u64 v[0:1], v[8:9], 0, v[0:1]
	v_ashrrev_i32_e32 v3, 31, v2
	v_lshl_add_u64 v[0:1], v[0:1], 0, v[2:3]
	v_lshlrev_b32_e32 v11, 2, v10
	;;#ASMSTART
	global_load_dwordx4 v[4:7], v[0:1], off offset:0   sc0 sc1 nt  
	global_load_dwordx4 v[0:3], v[0:1], off offset:64  sc0 sc1 nt  
	
	;;#ASMEND
	ds_read_b32 v12, v11 offset:24600
	v_add_u32_e32 v11, 0x6000, v11
	s_waitcnt lgkmcnt(0)
	v_cmp_ne_u32_e32 vcc, v12, v46
	s_and_saveexec_b64 s[12:13], vcc
	s_cbranch_execz .LBB174_36
; %bb.38:                               ;   in Loop: Header=BB174_37 Depth=2
	s_mov_b64 s[14:15], 0
.LBB174_39:                             ;   Parent Loop BB174_7 Depth=1
                                        ;     Parent Loop BB174_37 Depth=2
                                        ; =>    This Inner Loop Header: Depth=3
	;;#ASMSTART
	s_sleep 0
	;;#ASMEND
	ds_read_b32 v12, v11 offset:24
	s_waitcnt lgkmcnt(0)
	v_cmp_eq_u32_e32 vcc, v12, v46
	s_or_b64 s[14:15], vcc, s[14:15]
	s_andn2_b64 exec, exec, s[14:15]
	s_cbranch_execnz .LBB174_39
	s_branch .LBB174_36
.LBB174_40:                             ;   in Loop: Header=BB174_7 Depth=1
	s_or_b64 exec, exec, s[10:11]
.LBB174_41:                             ;   in Loop: Header=BB174_7 Depth=1
	s_or_b64 exec, exec, s[8:9]
	v_subrev_u32_e32 v54, s39, v54
.LBB174_42:                             ;   in Loop: Header=BB174_7 Depth=1
	s_or_b64 exec, exec, s[6:7]
.LBB174_43:                             ;   in Loop: Header=BB174_7 Depth=1
	s_andn2_saveexec_b64 s[6:7], s[36:37]
	s_cbranch_execz .LBB174_6
; %bb.44:                               ;   in Loop: Header=BB174_7 Depth=1
	s_lshl_b32 s36, s62, 1
	v_cmp_gt_i32_e32 vcc, s36, v54
	s_and_saveexec_b64 s[8:9], vcc
	s_cbranch_execz .LBB174_5
; %bb.45:                               ;   in Loop: Header=BB174_7 Depth=1
	s_mul_i32 s59, s59, s18
	s_ashr_i32 s10, s59, 31
	s_waitcnt lgkmcnt(0)
	s_add_u32 s11, s24, s59
	v_add_u32_e32 v2, s61, v51
	s_addc_u32 s12, s25, s10
	s_ashr_i32 s13, s60, 31
	v_mul_lo_u32 v0, s18, v51
	v_cmp_gt_u32_e32 vcc, 32, v2
	s_add_u32 s10, s11, s60
	s_addc_u32 s11, s12, s13
	v_cndmask_b32_e32 v0, 0, v0, vcc
	v_ashrrev_i32_e32 v1, 31, v0
	v_lshl_add_u64 v[0:1], s[10:11], 0, v[0:1]
	v_lshl_add_u64 v[8:9], v[0:1], 0, v[22:23]
	v_sub_u32_e32 v10, 31, v2
	s_mov_b64 s[10:11], 0
	s_branch .LBB174_47
.LBB174_46:                             ;   in Loop: Header=BB174_47 Depth=2
	s_or_b64 exec, exec, s[12:13]
	v_lshl_or_b32 v13, v11, 11, v52
	;;#ASMSTART
	s_waitcnt vmcnt(1)
	;;#ASMEND
	ds_write2_b32 v13, v4, v5 offset1:32
	ds_write2_b32 v13, v6, v7 offset0:64 offset1:96
	v_add_u32_e32 v4, 0x400, v13
	v_add_u32_e32 v54, s21, v54
	;;#ASMSTART
	s_waitcnt vmcnt(0)
	;;#ASMEND
	ds_write2_b32 v4, v0, v1 offset1:32
	ds_write2_b32 v4, v2, v3 offset0:64 offset1:96
	v_add_u32_e32 v0, 1, v46
	v_add_u32_e32 v28, s21, v11
	v_cmp_le_i32_e32 vcc, s36, v54
	ds_write_b32 v12, v0
	v_add_u32_e32 v0, 2, v46
	s_or_b64 s[10:11], vcc, s[10:11]
	v_cmp_lt_i32_e32 vcc, 5, v28
	s_nop 1
	v_cndmask_b32_e32 v46, v46, v0, vcc
	s_andn2_b64 exec, exec, s[10:11]
	s_cbranch_execz .LBB174_4
.LBB174_47:                             ;   Parent Loop BB174_7 Depth=1
                                        ; =>  This Loop Header: Depth=2
                                        ;       Child Loop BB174_49 Depth 3
	v_cmp_gt_i32_e32 vcc, 6, v28
	s_nop 1
	v_cndmask_b32_e64 v0, -6, 0, vcc
	v_add_u32_e32 v11, v0, v28
	v_lshrrev_b32_e32 v0, 31, v54
	v_add_u32_e32 v0, v54, v0
	v_and_b32_e32 v1, 0xffffffe, v0
	v_sub_u32_e32 v1, v54, v1
	v_lshlrev_b32_e32 v1, 4, v1
	v_cmp_le_i32_e32 vcc, v1, v10
	v_lshlrev_b32_e32 v0, 6, v0
	v_and_b32_e32 v0, 0xffffff80, v0
	v_cndmask_b32_e32 v2, 0, v1, vcc
	v_ashrrev_i32_e32 v1, 31, v0
	v_mul_lo_u32 v2, v2, s18
	v_lshl_add_u64 v[0:1], v[8:9], 0, v[0:1]
	v_ashrrev_i32_e32 v3, 31, v2
	v_lshl_add_u64 v[0:1], v[0:1], 0, v[2:3]
	v_lshlrev_b32_e32 v12, 2, v11
	;;#ASMSTART
	global_load_dwordx4 v[4:7], v[0:1], off offset:0   
	global_load_dwordx4 v[0:3], v[0:1], off offset:64  
	
	;;#ASMEND
	ds_read_b32 v13, v12 offset:24576
	v_add_u32_e32 v12, 0x6000, v12
	s_waitcnt lgkmcnt(0)
	v_cmp_ne_u32_e32 vcc, v13, v46
	s_and_saveexec_b64 s[12:13], vcc
	s_cbranch_execz .LBB174_46
; %bb.48:                               ;   in Loop: Header=BB174_47 Depth=2
	s_mov_b64 s[14:15], 0
.LBB174_49:                             ;   Parent Loop BB174_7 Depth=1
                                        ;     Parent Loop BB174_47 Depth=2
                                        ; =>    This Inner Loop Header: Depth=3
	;;#ASMSTART
	s_sleep 0
	;;#ASMEND
	ds_read_b32 v13, v12
	s_waitcnt lgkmcnt(0)
	v_cmp_eq_u32_e32 vcc, v13, v46
	s_or_b64 s[14:15], vcc, s[14:15]
	s_andn2_b64 exec, exec, s[14:15]
	s_cbranch_execnz .LBB174_49
	s_branch .LBB174_46
.LBB174_50:
	s_endpgm
	.section	.rodata,"a",@progbits
	.p2align	6, 0x0
	.amdhsa_kernel _Z19_skinny_gemm_kernelILi2ELi2ELi3ELi16ELi4EEvPKhS1_P6__halfPKfiiiiiiii
		.amdhsa_group_segment_fixed_size 24624
		.amdhsa_private_segment_fixed_size 0
		.amdhsa_kernarg_size 64
		.amdhsa_user_sgpr_count 2
		.amdhsa_user_sgpr_dispatch_ptr 0
		.amdhsa_user_sgpr_queue_ptr 0
		.amdhsa_user_sgpr_kernarg_segment_ptr 1
		.amdhsa_user_sgpr_dispatch_id 0
		.amdhsa_user_sgpr_kernarg_preload_length 0
		.amdhsa_user_sgpr_kernarg_preload_offset 0
		.amdhsa_user_sgpr_private_segment_size 0
		.amdhsa_uses_dynamic_stack 0
		.amdhsa_enable_private_segment 0
		.amdhsa_system_sgpr_workgroup_id_x 1
		.amdhsa_system_sgpr_workgroup_id_y 0
		.amdhsa_system_sgpr_workgroup_id_z 0
		.amdhsa_system_sgpr_workgroup_info 0
		.amdhsa_system_vgpr_workitem_id 0
		.amdhsa_next_free_vgpr 61
		.amdhsa_next_free_sgpr 63
		.amdhsa_accum_offset 64
		.amdhsa_reserve_vcc 1
		.amdhsa_float_round_mode_32 0
		.amdhsa_float_round_mode_16_64 0
		.amdhsa_float_denorm_mode_32 3
		.amdhsa_float_denorm_mode_16_64 3
		.amdhsa_dx10_clamp 1
		.amdhsa_ieee_mode 1
		.amdhsa_fp16_overflow 0
		.amdhsa_tg_split 0
		.amdhsa_exception_fp_ieee_invalid_op 0
		.amdhsa_exception_fp_denorm_src 0
		.amdhsa_exception_fp_ieee_div_zero 0
		.amdhsa_exception_fp_ieee_overflow 0
		.amdhsa_exception_fp_ieee_underflow 0
		.amdhsa_exception_fp_ieee_inexact 0
		.amdhsa_exception_int_div_zero 0
	.end_amdhsa_kernel
	.section	.text._Z19_skinny_gemm_kernelILi2ELi2ELi3ELi16ELi4EEvPKhS1_P6__halfPKfiiiiiiii,"axG",@progbits,_Z19_skinny_gemm_kernelILi2ELi2ELi3ELi16ELi4EEvPKhS1_P6__halfPKfiiiiiiii,comdat
.Lfunc_end174:
	.size	_Z19_skinny_gemm_kernelILi2ELi2ELi3ELi16ELi4EEvPKhS1_P6__halfPKfiiiiiiii, .Lfunc_end174-_Z19_skinny_gemm_kernelILi2ELi2ELi3ELi16ELi4EEvPKhS1_P6__halfPKfiiiiiiii
                                        ; -- End function
	.set _Z19_skinny_gemm_kernelILi2ELi2ELi3ELi16ELi4EEvPKhS1_P6__halfPKfiiiiiiii.num_vgpr, 61
	.set _Z19_skinny_gemm_kernelILi2ELi2ELi3ELi16ELi4EEvPKhS1_P6__halfPKfiiiiiiii.num_agpr, 0
	.set _Z19_skinny_gemm_kernelILi2ELi2ELi3ELi16ELi4EEvPKhS1_P6__halfPKfiiiiiiii.numbered_sgpr, 63
	.set _Z19_skinny_gemm_kernelILi2ELi2ELi3ELi16ELi4EEvPKhS1_P6__halfPKfiiiiiiii.num_named_barrier, 0
	.set _Z19_skinny_gemm_kernelILi2ELi2ELi3ELi16ELi4EEvPKhS1_P6__halfPKfiiiiiiii.private_seg_size, 0
	.set _Z19_skinny_gemm_kernelILi2ELi2ELi3ELi16ELi4EEvPKhS1_P6__halfPKfiiiiiiii.uses_vcc, 1
	.set _Z19_skinny_gemm_kernelILi2ELi2ELi3ELi16ELi4EEvPKhS1_P6__halfPKfiiiiiiii.uses_flat_scratch, 0
	.set _Z19_skinny_gemm_kernelILi2ELi2ELi3ELi16ELi4EEvPKhS1_P6__halfPKfiiiiiiii.has_dyn_sized_stack, 0
	.set _Z19_skinny_gemm_kernelILi2ELi2ELi3ELi16ELi4EEvPKhS1_P6__halfPKfiiiiiiii.has_recursion, 0
	.set _Z19_skinny_gemm_kernelILi2ELi2ELi3ELi16ELi4EEvPKhS1_P6__halfPKfiiiiiiii.has_indirect_call, 0
	.section	.AMDGPU.csdata,"",@progbits
; Kernel info:
; codeLenInByte = 4028
; TotalNumSgprs: 69
; NumVgprs: 61
; NumAgprs: 0
; TotalNumVgprs: 61
; ScratchSize: 0
; MemoryBound: 0
; FloatMode: 240
; IeeeMode: 1
; LDSByteSize: 24624 bytes/workgroup (compile time only)
; SGPRBlocks: 8
; VGPRBlocks: 7
; NumSGPRsForWavesPerEU: 69
; NumVGPRsForWavesPerEU: 61
; AccumOffset: 64
; Occupancy: 8
; WaveLimiterHint : 0
; COMPUTE_PGM_RSRC2:SCRATCH_EN: 0
; COMPUTE_PGM_RSRC2:USER_SGPR: 2
; COMPUTE_PGM_RSRC2:TRAP_HANDLER: 0
; COMPUTE_PGM_RSRC2:TGID_X_EN: 1
; COMPUTE_PGM_RSRC2:TGID_Y_EN: 0
; COMPUTE_PGM_RSRC2:TGID_Z_EN: 0
; COMPUTE_PGM_RSRC2:TIDIG_COMP_CNT: 0
; COMPUTE_PGM_RSRC3_GFX90A:ACCUM_OFFSET: 15
; COMPUTE_PGM_RSRC3_GFX90A:TG_SPLIT: 0
	.section	.text._Z19_skinny_gemm_kernelILi2ELi2ELi3ELi16ELi8EEvPKhS1_P6__halfPKfiiiiiiii,"axG",@progbits,_Z19_skinny_gemm_kernelILi2ELi2ELi3ELi16ELi8EEvPKhS1_P6__halfPKfiiiiiiii,comdat
	.protected	_Z19_skinny_gemm_kernelILi2ELi2ELi3ELi16ELi8EEvPKhS1_P6__halfPKfiiiiiiii ; -- Begin function _Z19_skinny_gemm_kernelILi2ELi2ELi3ELi16ELi8EEvPKhS1_P6__halfPKfiiiiiiii
	.globl	_Z19_skinny_gemm_kernelILi2ELi2ELi3ELi16ELi8EEvPKhS1_P6__halfPKfiiiiiiii
	.p2align	8
	.type	_Z19_skinny_gemm_kernelILi2ELi2ELi3ELi16ELi8EEvPKhS1_P6__halfPKfiiiiiiii,@function
_Z19_skinny_gemm_kernelILi2ELi2ELi3ELi16ELi8EEvPKhS1_P6__halfPKfiiiiiiii: ; @_Z19_skinny_gemm_kernelILi2ELi2ELi3ELi16ELi8EEvPKhS1_P6__halfPKfiiiiiiii
; %bb.0:
	v_cmp_gt_u32_e32 vcc, 12, v0
	v_lshlrev_b32_e32 v1, 2, v0
	s_and_saveexec_b64 s[4:5], vcc
; %bb.1:
	v_mov_b32_e32 v2, 0
	ds_write_b32 v1, v2 offset:49152
; %bb.2:
	s_or_b64 exec, exec, s[4:5]
	s_load_dwordx8 s[16:23], s[0:1], 0x20
	s_waitcnt lgkmcnt(0)
	s_barrier
	s_add_i32 s3, s16, 31
	s_ashr_i32 s5, s3, 31
	s_add_i32 s4, s17, 31
	s_lshr_b32 s5, s5, 27
	s_ashr_i32 s6, s4, 31
	s_add_i32 s3, s3, s5
	s_ashr_i32 s33, s3, 5
	s_lshr_b32 s3, s6, 27
	s_add_i32 s4, s4, s3
	s_ashr_i32 s48, s4, 5
	s_mul_i32 s3, s48, s33
	s_mul_i32 s3, s3, s20
	s_add_i32 s4, s3, 0x12f
	s_mul_hi_i32 s4, s4, 0x6bca1af3
	s_lshr_b32 s5, s4, 31
	s_ashr_i32 s4, s4, 7
	s_add_i32 s4, s4, s5
	s_add_i32 s5, s2, 1
	s_mul_i32 s5, s4, s5
	v_cvt_f64_i32_e32 v[2:3], s3
	v_cvt_f64_u32_e32 v[4:5], s5
	v_min_f64 v[2:3], v[2:3], v[4:5]
	v_cvt_i32_f64_e32 v17, v[2:3]
	s_mul_i32 s49, s4, s2
	v_cmp_ge_i32_e32 vcc, s49, v17
	s_cbranch_vccnz .LBB175_50
; %bb.3:
	v_lshrrev_b32_e32 v2, 6, v0
	s_add_i32 s4, s22, s21
	s_load_dwordx8 s[24:31], s[0:1], 0x0
	v_cmp_le_i32_e64 s[0:1], s4, v2
	v_mov_b32_e32 v3, s21
	v_cmp_le_i32_e64 s[2:3], s21, v2
	v_mov_b32_e32 v4, s22
	v_cndmask_b32_e64 v4, 0, v4, s[0:1]
	v_cndmask_b32_e64 v3, 0, v3, s[2:3]
	s_abs_i32 s5, s20
	v_add_u32_e32 v3, v3, v4
	v_cvt_f32_u32_e32 v4, s5
	v_sub_u32_e32 v30, v2, v3
	s_ashr_i32 s6, s18, 31
	s_lshr_b32 s6, s6, 24
	v_rcp_iflag_f32_e32 v3, v4
	s_sub_i32 s9, 0, s5
	s_add_i32 s6, s18, s6
	s_ashr_i32 s6, s6, 8
	v_mul_f32_e32 v3, 0x4f7ffffe, v3
	v_cvt_u32_f32_e32 v3, v3
	s_abs_i32 s8, s6
	s_xor_b32 s7, s6, s20
	s_ashr_i32 s7, s7, 31
	v_readfirstlane_b32 s10, v3
	s_mul_i32 s9, s9, s10
	s_mul_hi_u32 s9, s10, s9
	s_add_i32 s10, s10, s9
	s_mul_hi_u32 s9, s8, s10
	s_mul_i32 s10, s9, s5
	s_sub_i32 s8, s8, s10
	s_add_i32 s10, s9, 1
	s_sub_i32 s11, s8, s5
	s_cmp_ge_u32 s8, s5
	s_cselect_b32 s9, s10, s9
	s_cselect_b32 s8, s11, s8
	s_add_i32 s10, s9, 1
	s_cmp_ge_u32 s8, s5
	s_cselect_b32 s5, s10, s9
	s_xor_b32 s5, s5, s7
	s_sub_i32 s50, s5, s7
	s_add_i32 s20, s20, -1
	s_mul_i32 s5, s50, s20
	s_add_i32 s4, s4, s23
	s_sub_i32 s51, s6, s5
	v_cmp_gt_i32_e64 s[4:5], s4, v2
	v_lshlrev_b32_e32 v2, 1, v0
	v_lshlrev_b32_e32 v3, 4, v0
	s_abs_i32 s52, s33
	v_and_b32_e32 v1, 60, v1
	v_and_b32_e32 v2, 64, v2
	;; [unrolled: 1-line block ×4, first 2 shown]
	v_cvt_f32_u32_e32 v3, s52
	v_or3_b32 v65, v1, v2, v4
	v_and_b32_e32 v1, 1, v0
	v_lshlrev_b32_e32 v2, 1, v1
	v_lshrrev_b32_e32 v4, 2, v0
	v_and_b32_e32 v16, 14, v0
	v_sub_u32_e32 v2, v0, v2
	v_bitop3_b32 v66, v0, 1, v0 bitop3:0xc
	v_bitop3_b32 v67, v0, 3, 1 bitop3:0x6c
	v_and_or_b32 v68, v4, 12, v1
	v_bfe_u32 v69, v0, 2, 4
	v_and_b32_e32 v1, 60, v0
	v_lshlrev_b32_e32 v4, 8, v0
	v_lshlrev_b32_e32 v0, 6, v0
	v_and_b32_e32 v4, 0x200, v4
	v_rcp_iflag_f32_e32 v3, v3
	v_and_b32_e32 v0, 64, v0
	s_abs_i32 s54, s48
	v_or3_b32 v70, v1, v4, v0
	v_cvt_f32_u32_e32 v1, s54
	v_mul_f32_e32 v0, 0x4f7ffffe, v3
	v_cvt_u32_f32_e32 v0, v0
	v_mad_u64_u32 v[18:19], s[6:7], s17, v68, v[16:17]
	v_rcp_iflag_f32_e32 v1, v1
	v_readfirstlane_b32 s7, v0
	s_sub_i32 s6, 0, s52
	s_mul_i32 s6, s6, s7
	v_mul_f32_e32 v0, 0x4f7ffffe, v1
	v_cvt_u32_f32_e32 v0, v0
	s_mul_hi_u32 s6, s7, s6
	v_add_u32_e32 v2, 1, v2
	s_add_i32 s56, s7, s6
	s_sub_i32 s6, 0, s54
	v_readfirstlane_b32 s7, v0
	v_mbcnt_lo_u32_b32 v0, -1, 0
	v_and_b32_e32 v2, 63, v2
	s_mul_i32 s6, s6, s7
	v_mbcnt_hi_u32_b32 v0, -1, v0
	v_lshl_add_u32 v20, s17, 4, v18
	v_mul_lo_u32 v24, s19, v69
	s_mul_hi_u32 s6, s7, s6
	v_and_or_b32 v0, v0, 64, v2
	v_cndmask_b32_e64 v64, 0, 1, s[0:1]
	s_ashr_i32 s35, s17, 31
	s_mov_b32 s34, s17
	v_ashrrev_i32_e32 v19, 31, v18
	v_ashrrev_i32_e32 v21, 31, v20
	;; [unrolled: 1-line block ×3, first 2 shown]
	v_mov_b32_e32 v23, 0
	s_lshl_b32 s53, s19, 4
	s_ashr_i32 s55, s33, 31
	s_ashr_i32 s57, s48, 31
	s_add_i32 s58, s7, s6
	v_lshlrev_b32_e32 v71, 2, v0
	v_mov_b32_e32 v72, v30
	s_branch .LBB175_7
.LBB175_4:                              ;   in Loop: Header=BB175_7 Depth=1
	s_or_b64 exec, exec, s[10:11]
.LBB175_5:                              ;   in Loop: Header=BB175_7 Depth=1
	s_or_b64 exec, exec, s[8:9]
	v_subrev_u32_e32 v72, s36, v72
.LBB175_6:                              ;   in Loop: Header=BB175_7 Depth=1
	s_or_b64 exec, exec, s[6:7]
	s_add_i32 s49, s49, 1
	v_cmp_ge_i32_e32 vcc, s49, v17
	s_cbranch_vccnz .LBB175_50
.LBB175_7:                              ; =>This Loop Header: Depth=1
                                        ;     Child Loop BB175_13 Depth 2
                                        ;       Child Loop BB175_15 Depth 3
                                        ;       Child Loop BB175_18 Depth 3
	;; [unrolled: 1-line block ×4, first 2 shown]
                                        ;     Child Loop BB175_37 Depth 2
                                        ;       Child Loop BB175_39 Depth 3
                                        ;     Child Loop BB175_47 Depth 2
                                        ;       Child Loop BB175_49 Depth 3
	s_abs_i32 s7, s49
	s_mul_hi_u32 s8, s7, s56
	s_mul_i32 s9, s8, s52
	s_ashr_i32 s6, s49, 31
	s_sub_i32 s7, s7, s9
	s_xor_b32 s6, s6, s55
	s_add_i32 s9, s8, 1
	s_sub_i32 s10, s7, s52
	s_cmp_ge_u32 s7, s52
	s_cselect_b32 s8, s9, s8
	s_cselect_b32 s7, s10, s7
	s_add_i32 s9, s8, 1
	s_cmp_ge_u32 s7, s52
	s_cselect_b32 s7, s9, s8
	s_xor_b32 s7, s7, s6
	s_sub_i32 s6, s7, s6
	s_abs_i32 s8, s6
	s_mul_i32 s7, s6, s33
	s_mul_hi_u32 s9, s8, s58
	s_sub_i32 s7, s49, s7
	s_mul_i32 s10, s9, s54
	s_lshl_b32 s59, s7, 5
	s_ashr_i32 s7, s6, 31
	s_sub_i32 s8, s8, s10
	s_xor_b32 s7, s7, s57
	s_add_i32 s10, s9, 1
	s_sub_i32 s11, s8, s54
	s_cmp_ge_u32 s8, s54
	s_cselect_b32 s9, s10, s9
	s_cselect_b32 s8, s11, s8
	s_add_i32 s10, s9, 1
	s_cmp_ge_u32 s8, s54
	s_cselect_b32 s8, s10, s9
	s_xor_b32 s8, s8, s7
	s_sub_i32 s7, s8, s7
	s_mul_i32 s8, s7, s50
	s_lshl_b32 s60, s8, 8
	s_cmp_eq_u32 s7, s20
	s_cselect_b32 s62, s51, s50
	s_sub_i32 s8, s59, s16
	s_add_i32 s8, s8, 32
	s_max_i32 s61, s8, 0
	s_and_saveexec_b64 s[8:9], s[2:3]
	s_xor_b64 s[36:37], exec, s[8:9]
	s_cbranch_execz .LBB175_43
; %bb.8:                                ;   in Loop: Header=BB175_7 Depth=1
	s_mul_i32 s7, s7, s48
	s_sub_i32 s6, s6, s7
	s_lshl_b32 s6, s6, 5
	s_sub_i32 s14, s6, s17
	s_add_i32 s14, s14, 32
	s_max_i32 s7, s14, 0
	s_sub_i32 s38, s6, s7
	s_and_saveexec_b64 s[6:7], s[0:1]
	s_xor_b64 s[40:41], exec, s[6:7]
	s_cbranch_execz .LBB175_33
; %bb.9:                                ;   in Loop: Header=BB175_7 Depth=1
	s_and_saveexec_b64 s[42:43], s[4:5]
	s_cbranch_execz .LBB175_32
; %bb.10:                               ;   in Loop: Header=BB175_7 Depth=1
	s_waitcnt lgkmcnt(0)
	global_load_dword v73, v23, s[30:31]
	v_mov_b32_e32 v15, 0
	v_cmp_gt_i32_e32 vcc, s62, v72
	v_mov_b32_e32 v14, v15
	v_mov_b32_e32 v13, v15
	;; [unrolled: 1-line block ×15, first 2 shown]
	s_and_saveexec_b64 s[6:7], vcc
	s_cbranch_execz .LBB175_26
; %bb.11:                               ;   in Loop: Header=BB175_7 Depth=1
	v_mov_b32_e32 v0, 0
	s_mov_b64 s[8:9], 0
	v_mov_b32_e32 v1, v0
	v_mov_b32_e32 v2, v0
	;; [unrolled: 1-line block ×15, first 2 shown]
	s_branch .LBB175_13
.LBB175_12:                             ;   in Loop: Header=BB175_13 Depth=2
	s_or_b64 exec, exec, s[10:11]
	v_add_u32_e32 v38, 0x1000, v76
	ds_read2_b32 v[36:37], v38 offset1:32
	v_add_u32_e32 v42, 0x1400, v76
	v_add_u32_e32 v72, s23, v72
	s_waitcnt lgkmcnt(0)
	v_mfma_f32_16x16x32_fp8_fp8 v[8:11], v[26:27], v[36:37], v[8:11]
	ds_read2_b32 v[26:27], v38 offset0:128 offset1:160
	ds_read2_b32 v[38:39], v42 offset1:32
	ds_read2_b32 v[42:43], v42 offset0:128 offset1:160
	v_mfma_f32_16x16x32_fp8_fp8 v[0:3], v[58:59], v[36:37], v[0:3]
	s_waitcnt lgkmcnt(2)
	v_mfma_f32_16x16x32_fp8_fp8 v[8:11], v[44:45], v[26:27], v[8:11]
	v_mfma_f32_16x16x32_fp8_fp8 v[0:3], v[30:31], v[26:27], v[0:3]
	v_add_u32_e32 v30, s23, v74
	v_add_u32_e32 v26, 2, v64
	v_cmp_lt_i32_e32 vcc, 2, v30
	s_waitcnt lgkmcnt(1)
	v_mfma_f32_16x16x32_fp8_fp8 v[8:11], v[50:51], v[38:39], v[8:11]
	v_add_u32_e32 v50, 0x1800, v76
	ds_read2_b32 v[44:45], v50 offset1:32
	v_cndmask_b32_e32 v64, v64, v26, vcc
	v_mfma_f32_16x16x32_fp8_fp8 v[0:3], v[60:61], v[38:39], v[0:3]
	v_cmp_le_i32_e32 vcc, s62, v72
	s_or_b64 s[8:9], vcc, s[8:9]
	s_waitcnt lgkmcnt(1)
	v_mfma_f32_16x16x32_fp8_fp8 v[8:11], v[46:47], v[42:43], v[8:11]
	ds_read2_b32 v[46:47], v50 offset0:128 offset1:160
	v_add_u32_e32 v50, 0x1c00, v76
	v_mfma_f32_16x16x32_fp8_fp8 v[0:3], v[34:35], v[42:43], v[0:3]
	s_waitcnt lgkmcnt(1)
	v_mfma_f32_16x16x32_fp8_fp8 v[8:11], v[52:53], v[44:45], v[8:11]
	v_mfma_f32_16x16x32_fp8_fp8 v[0:3], v[62:63], v[44:45], v[0:3]
	s_waitcnt lgkmcnt(0)
	v_mfma_f32_16x16x32_fp8_fp8 v[8:11], v[48:49], v[46:47], v[8:11]
	ds_read2_b32 v[48:49], v50 offset1:32
	ds_read2_b32 v[50:51], v50 offset0:128 offset1:160
	;;#ASMSTART
	s_waitcnt lgkmcnt(0)
	;;#ASMEND
	v_mfma_f32_16x16x32_fp8_fp8 v[0:3], v[40:41], v[46:47], v[0:3]
	ds_write_b32 v75, v77 offset:49180
	s_waitcnt lgkmcnt(2)
	v_mfma_f32_16x16x32_fp8_fp8 v[8:11], v[54:55], v[48:49], v[8:11]
	v_mfma_f32_16x16x32_fp8_fp8 v[0:3], v[32:33], v[48:49], v[0:3]
	s_waitcnt lgkmcnt(1)
	v_mfma_f32_16x16x32_fp8_fp8 v[8:11], v[56:57], v[50:51], v[8:11]
	v_mfma_f32_16x16x32_fp8_fp8 v[0:3], v[28:29], v[50:51], v[0:3]
	s_andn2_b64 exec, exec, s[8:9]
	s_cbranch_execz .LBB175_25
.LBB175_13:                             ;   Parent Loop BB175_7 Depth=1
                                        ; =>  This Loop Header: Depth=2
                                        ;       Child Loop BB175_15 Depth 3
                                        ;       Child Loop BB175_18 Depth 3
	;; [unrolled: 1-line block ×4, first 2 shown]
	v_cmp_gt_i32_e32 vcc, 3, v30
	s_nop 1
	v_cndmask_b32_e64 v26, -3, 0, vcc
	v_add_u32_e32 v74, v26, v30
	v_lshlrev_b32_e32 v75, 3, v74
	ds_read_b32 v26, v75 offset:49176
	s_waitcnt lgkmcnt(0)
	v_cmp_ne_u32_e32 vcc, v26, v64
	s_and_saveexec_b64 s[10:11], vcc
	s_cbranch_execz .LBB175_16
; %bb.14:                               ;   in Loop: Header=BB175_13 Depth=2
	s_mov_b64 s[12:13], 0
.LBB175_15:                             ;   Parent Loop BB175_7 Depth=1
                                        ;     Parent Loop BB175_13 Depth=2
                                        ; =>    This Inner Loop Header: Depth=3
	;;#ASMSTART
	s_sleep 0
	;;#ASMEND
	ds_read_b32 v26, v75 offset:49176
	s_waitcnt lgkmcnt(0)
	v_cmp_eq_u32_e32 vcc, v26, v64
	s_or_b64 s[12:13], vcc, s[12:13]
	s_andn2_b64 exec, exec, s[12:13]
	s_cbranch_execnz .LBB175_15
.LBB175_16:                             ;   in Loop: Header=BB175_13 Depth=2
	s_or_b64 exec, exec, s[10:11]
	v_lshlrev_b32_e32 v26, 13, v74
	v_or_b32_e32 v27, 0x6000, v65
	v_add_u32_e32 v76, v27, v26
	v_add_u32_e32 v27, 0x400, v76
	ds_read2_b32 v[30:31], v76 offset1:32
	ds_read2_b32 v[28:29], v76 offset0:128 offset1:160
	ds_read2_b32 v[34:35], v27 offset1:32
	ds_read2_b32 v[32:33], v27 offset0:128 offset1:160
	v_add_u32_e32 v27, 0x800, v76
	ds_read2_b32 v[40:41], v27 offset1:32
	ds_read2_b32 v[38:39], v27 offset0:128 offset1:160
	v_add_u32_e32 v27, 0xc00, v76
	ds_read2_b32 v[42:43], v27 offset1:32
	ds_read2_b32 v[36:37], v27 offset0:128 offset1:160
	;;#ASMSTART
	s_waitcnt lgkmcnt(0)
	;;#ASMEND
	ds_read_b32 v27, v75 offset:49152
	v_add_u32_e32 v77, 1, v64
	ds_write_b32 v75, v77 offset:49176
	s_waitcnt lgkmcnt(1)
	v_cmp_ne_u32_e32 vcc, v27, v64
	s_and_saveexec_b64 s[10:11], vcc
	s_cbranch_execz .LBB175_19
; %bb.17:                               ;   in Loop: Header=BB175_13 Depth=2
	s_mov_b64 s[12:13], 0
.LBB175_18:                             ;   Parent Loop BB175_7 Depth=1
                                        ;     Parent Loop BB175_13 Depth=2
                                        ; =>    This Inner Loop Header: Depth=3
	;;#ASMSTART
	s_sleep 0
	;;#ASMEND
	ds_read_b32 v27, v75 offset:49152
	s_waitcnt lgkmcnt(0)
	v_cmp_eq_u32_e32 vcc, v27, v64
	s_or_b64 s[12:13], vcc, s[12:13]
	s_andn2_b64 exec, exec, s[12:13]
	s_cbranch_execnz .LBB175_18
.LBB175_19:                             ;   in Loop: Header=BB175_13 Depth=2
	s_or_b64 exec, exec, s[10:11]
	v_add_u32_e32 v78, v65, v26
	ds_read2_b32 v[26:27], v78 offset1:32
	ds_read2_b32 v[44:45], v78 offset0:128 offset1:160
	v_add_u32_e32 v46, 0x400, v78
	ds_read2_b32 v[50:51], v46 offset1:32
	ds_read2_b32 v[46:47], v46 offset0:128 offset1:160
	;; [unrolled: 3-line block ×3, first 2 shown]
	v_add_u32_e32 v56, 0xc00, v78
	s_waitcnt lgkmcnt(5)
	v_mfma_f32_16x16x32_fp8_fp8 v[12:15], v[26:27], v[30:31], v[12:15]
	ds_read2_b32 v[54:55], v56 offset1:32
	ds_read2_b32 v[56:57], v56 offset0:128 offset1:160
	ds_read_b32 v58, v75 offset:49156
	ds_write_b32 v75, v77 offset:49152
	s_waitcnt lgkmcnt(8)
	v_mfma_f32_16x16x32_fp8_fp8 v[12:15], v[44:45], v[28:29], v[12:15]
	s_waitcnt lgkmcnt(1)
	v_cmp_ne_u32_e32 vcc, v58, v64
	v_mfma_f32_16x16x32_fp8_fp8 v[12:15], v[50:51], v[34:35], v[12:15]
	v_mfma_f32_16x16x32_fp8_fp8 v[12:15], v[46:47], v[32:33], v[12:15]
	;; [unrolled: 1-line block ×6, first 2 shown]
	s_and_saveexec_b64 s[10:11], vcc
	s_cbranch_execz .LBB175_22
; %bb.20:                               ;   in Loop: Header=BB175_13 Depth=2
	s_mov_b64 s[12:13], 0
.LBB175_21:                             ;   Parent Loop BB175_7 Depth=1
                                        ;     Parent Loop BB175_13 Depth=2
                                        ; =>    This Inner Loop Header: Depth=3
	;;#ASMSTART
	s_sleep 0
	;;#ASMEND
	ds_read_b32 v58, v75 offset:49156
	s_waitcnt lgkmcnt(0)
	v_cmp_eq_u32_e32 vcc, v58, v64
	s_or_b64 s[12:13], vcc, s[12:13]
	s_andn2_b64 exec, exec, s[12:13]
	s_cbranch_execnz .LBB175_21
.LBB175_22:                             ;   in Loop: Header=BB175_13 Depth=2
	s_or_b64 exec, exec, s[10:11]
	v_add_u32_e32 v60, 0x1000, v78
	ds_read2_b32 v[58:59], v60 offset1:32
	v_add_u32_e32 v62, 0x1400, v78
	s_waitcnt lgkmcnt(0)
	v_mfma_f32_16x16x32_fp8_fp8 v[4:7], v[58:59], v[30:31], v[4:7]
	ds_read2_b32 v[30:31], v60 offset0:128 offset1:160
	ds_read2_b32 v[60:61], v62 offset1:32
	s_waitcnt lgkmcnt(1)
	v_mfma_f32_16x16x32_fp8_fp8 v[4:7], v[30:31], v[28:29], v[4:7]
	v_add_u32_e32 v28, 0x1800, v78
	s_waitcnt lgkmcnt(0)
	v_mfma_f32_16x16x32_fp8_fp8 v[4:7], v[60:61], v[34:35], v[4:7]
	ds_read2_b32 v[34:35], v62 offset0:128 offset1:160
	ds_read2_b32 v[62:63], v28 offset1:32
	s_waitcnt lgkmcnt(1)
	v_mfma_f32_16x16x32_fp8_fp8 v[4:7], v[34:35], v[32:33], v[4:7]
	s_waitcnt lgkmcnt(0)
	v_mfma_f32_16x16x32_fp8_fp8 v[4:7], v[62:63], v[40:41], v[4:7]
	ds_read2_b32 v[40:41], v28 offset0:128 offset1:160
	v_add_u32_e32 v28, 0x1c00, v78
	ds_read2_b32 v[32:33], v28 offset1:32
	s_waitcnt lgkmcnt(1)
	v_mfma_f32_16x16x32_fp8_fp8 v[4:7], v[40:41], v[38:39], v[4:7]
	ds_read2_b32 v[28:29], v28 offset0:128 offset1:160
	ds_read_b32 v38, v75 offset:49180
	ds_write_b32 v75, v77 offset:49156
	s_waitcnt lgkmcnt(1)
	v_cmp_ne_u32_e32 vcc, v38, v64
	v_mfma_f32_16x16x32_fp8_fp8 v[4:7], v[32:33], v[42:43], v[4:7]
	v_mfma_f32_16x16x32_fp8_fp8 v[4:7], v[28:29], v[36:37], v[4:7]
	s_and_saveexec_b64 s[10:11], vcc
	s_cbranch_execz .LBB175_12
; %bb.23:                               ;   in Loop: Header=BB175_13 Depth=2
	s_mov_b64 s[12:13], 0
.LBB175_24:                             ;   Parent Loop BB175_7 Depth=1
                                        ;     Parent Loop BB175_13 Depth=2
                                        ; =>    This Inner Loop Header: Depth=3
	;;#ASMSTART
	s_sleep 0
	;;#ASMEND
	ds_read_b32 v36, v75 offset:49180
	s_waitcnt lgkmcnt(0)
	v_cmp_eq_u32_e32 vcc, v36, v64
	s_or_b64 s[12:13], vcc, s[12:13]
	s_andn2_b64 exec, exec, s[12:13]
	s_cbranch_execnz .LBB175_24
	s_branch .LBB175_12
.LBB175_25:                             ;   in Loop: Header=BB175_7 Depth=1
	s_or_b64 exec, exec, s[8:9]
.LBB175_26:                             ;   in Loop: Header=BB175_7 Depth=1
	s_or_b64 exec, exec, s[6:7]
	v_cmp_le_i32_e32 vcc, s14, v16
	v_cmp_eq_u32_e64 s[6:7], 2, v66
	v_cmp_eq_u32_e64 s[8:9], 3, v66
	s_waitcnt vmcnt(0)
	v_cndmask_b32_e32 v26, 0, v73, vcc
	v_pk_mul_f32 v[12:13], v[26:27], v[12:13] op_sel_hi:[0,1]
	v_cmp_eq_u32_e32 vcc, 1, v66
	v_pk_mul_f32 v[28:29], v[26:27], v[14:15] op_sel_hi:[0,1]
	v_cmp_eq_u32_e64 s[10:11], 0, v66
	v_cndmask_b32_e32 v14, v12, v13, vcc
	v_cndmask_b32_e64 v14, v14, v28, s[6:7]
	v_cndmask_b32_e64 v14, v14, v29, s[8:9]
	ds_bpermute_b32 v27, v71, v14
	v_cmp_eq_u32_e64 s[12:13], 1, v67
	v_add_u32_e32 v31, s61, v68
	s_waitcnt lgkmcnt(0)
	v_cndmask_b32_e64 v14, v29, v27, s[8:9]
	v_cndmask_b32_e64 v15, v28, v27, s[6:7]
	v_cndmask_b32_e32 v13, v13, v27, vcc
	v_cndmask_b32_e64 v27, v12, v27, s[10:11]
	v_or_b32_e32 v12, 16, v16
	v_cmp_le_i32_e64 s[14:15], s14, v12
	v_cndmask_b32_e64 v28, v27, v13, s[12:13]
	s_nop 0
	v_cndmask_b32_e64 v12, 0, v73, s[14:15]
	v_pk_mul_f32 v[34:35], v[12:13], v[8:9] op_sel_hi:[0,1]
	v_pk_mul_f32 v[32:33], v[12:13], v[10:11] op_sel_hi:[0,1]
	v_cndmask_b32_e32 v8, v34, v35, vcc
	v_cndmask_b32_e64 v8, v8, v32, s[6:7]
	v_cndmask_b32_e64 v8, v8, v33, s[8:9]
	ds_bpermute_b32 v9, v71, v8
	v_cmp_eq_u32_e32 vcc, 2, v67
	v_cmp_eq_u32_e64 s[14:15], 3, v67
	s_waitcnt lgkmcnt(0)
	v_cndmask_b32_e64 v11, v32, v9, s[6:7]
	v_cndmask_b32_e32 v8, v28, v15, vcc
	v_cndmask_b32_e64 v8, v8, v14, s[14:15]
	v_cmp_ne_u32_e64 s[6:7], 0, v66
	ds_bpermute_b32 v28, v71, v8
	v_cndmask_b32_e64 v10, v33, v9, s[8:9]
	v_cndmask_b32_e64 v8, v35, v9, s[6:7]
	;; [unrolled: 1-line block ×4, first 2 shown]
	v_cndmask_b32_e32 v29, v29, v11, vcc
	v_cndmask_b32_e64 v29, v29, v10, s[14:15]
	ds_bpermute_b32 v29, v71, v29
	v_cmp_gt_u32_e32 vcc, 32, v31
	s_and_saveexec_b64 s[44:45], vcc
	s_cbranch_execz .LBB175_31
; %bb.27:                               ;   in Loop: Header=BB175_7 Depth=1
	v_cmp_eq_u32_e64 s[8:9], 1, v67
	v_cmp_eq_u32_e64 s[10:11], 0, v67
	v_cmp_eq_u32_e32 vcc, 3, v67
	s_waitcnt lgkmcnt(1)
	v_cndmask_b32_e64 v13, v13, v28, s[8:9]
	s_waitcnt lgkmcnt(0)
	v_cndmask_b32_e64 v32, v8, v29, s[8:9]
	s_mul_i32 s8, s59, s17
	s_ashr_i32 s9, s8, 31
	s_lshl_b64 s[8:9], s[8:9], 1
	v_cndmask_b32_e64 v27, v27, v28, s[10:11]
	v_cndmask_b32_e64 v33, v9, v29, s[10:11]
	s_add_u32 s10, s28, s8
	s_addc_u32 s11, s29, s9
	s_ashr_i32 s39, s38, 31
	v_cvt_f16_f32_e32 v27, v27
	v_cvt_f16_f32_sdwa v13, v13 dst_sel:WORD_1 dst_unused:UNUSED_PAD src0_sel:DWORD
	s_lshl_b64 s[8:9], s[38:39], 1
	v_cvt_f16_f32_e32 v34, v33
	v_cvt_f16_f32_sdwa v35, v32 dst_sel:WORD_1 dst_unused:UNUSED_PAD src0_sel:DWORD
	s_add_u32 s46, s10, s8
	s_addc_u32 s47, s11, s9
	v_cmp_eq_u32_e64 s[6:7], 2, v67
	v_lshl_add_u64 v[8:9], v[18:19], 1, s[46:47]
	v_or_b32_e32 v13, v13, v27
	v_cmp_gt_u32_e64 s[8:9], 30, v31
	;;#ASMSTART
	global_atomic_pk_add_f16 v[8:9], v13, off
	
	;;#ASMEND
	v_lshl_add_u64 v[32:33], v[8:9], 0, 32
	v_or_b32_e32 v13, v35, v34
	;;#ASMSTART
	global_atomic_pk_add_f16 v[32:33], v13, off
	
	;;#ASMEND
	s_and_b64 exec, exec, s[8:9]
	s_cbranch_execz .LBB175_31
; %bb.28:                               ;   in Loop: Header=BB175_7 Depth=1
	v_mov_b32_e32 v27, v26
	v_cndmask_b32_e32 v14, v14, v28, vcc
	v_cndmask_b32_e64 v15, v15, v28, s[6:7]
	v_cndmask_b32_e32 v28, v10, v29, vcc
	v_cndmask_b32_e64 v29, v11, v29, s[6:7]
	v_mov_b32_e32 v10, v26
	v_mov_b32_e32 v11, v26
	v_pk_mul_f32 v[6:7], v[10:11], v[6:7]
	v_pk_mul_f32 v[10:11], v[26:27], v[4:5]
	v_cmp_eq_u32_e32 vcc, 1, v66
	v_cmp_eq_u32_e64 s[6:7], 2, v66
	v_cmp_eq_u32_e64 s[8:9], 3, v66
	v_cndmask_b32_e32 v4, v10, v11, vcc
	v_cndmask_b32_e64 v4, v4, v6, s[6:7]
	v_cndmask_b32_e64 v4, v4, v7, s[8:9]
	v_cvt_f16_f32_e32 v15, v15
	v_cvt_f16_f32_sdwa v14, v14 dst_sel:WORD_1 dst_unused:UNUSED_PAD src0_sel:DWORD
	ds_bpermute_b32 v26, v71, v4
	v_mov_b32_e32 v13, v12
	v_lshl_add_u64 v[8:9], s[34:35], 2, v[8:9]
	v_or_b32_e32 v14, v14, v15
	v_cmp_eq_u32_e64 s[10:11], 0, v66
	;;#ASMSTART
	global_atomic_pk_add_f16 v[8:9], v14, off
	
	;;#ASMEND
	v_lshl_add_u64 v[14:15], v[8:9], 0, 32
	s_waitcnt lgkmcnt(0)
	v_cndmask_b32_e64 v4, v7, v26, s[8:9]
	v_cndmask_b32_e64 v5, v6, v26, s[6:7]
	v_cndmask_b32_e32 v6, v11, v26, vcc
	v_cndmask_b32_e64 v7, v10, v26, s[10:11]
	v_mov_b32_e32 v8, v12
	v_mov_b32_e32 v9, v12
	v_pk_mul_f32 v[10:11], v[12:13], v[0:1]
	v_pk_mul_f32 v[8:9], v[8:9], v[2:3]
	v_cndmask_b32_e32 v0, v10, v11, vcc
	v_cndmask_b32_e64 v0, v0, v8, s[6:7]
	v_cndmask_b32_e64 v0, v0, v9, s[8:9]
	ds_bpermute_b32 v1, v71, v0
	v_cmp_eq_u32_e64 s[12:13], 1, v67
	v_cmp_eq_u32_e32 vcc, 2, v67
	v_cmp_eq_u32_e64 s[14:15], 3, v67
	v_cndmask_b32_e64 v26, v7, v6, s[12:13]
	v_cndmask_b32_e32 v0, v26, v5, vcc
	v_cndmask_b32_e64 v0, v0, v4, s[14:15]
	s_waitcnt lgkmcnt(0)
	v_cndmask_b32_e64 v8, v8, v1, s[6:7]
	v_cmp_ne_u32_e64 s[6:7], 0, v66
	ds_bpermute_b32 v2, v71, v0
	v_cndmask_b32_e64 v3, v9, v1, s[8:9]
	v_cndmask_b32_e64 v0, v11, v1, s[6:7]
	;; [unrolled: 1-line block ×3, first 2 shown]
	v_cvt_f16_f32_e32 v27, v29
	v_cvt_f16_f32_sdwa v28, v28 dst_sel:WORD_1 dst_unused:UNUSED_PAD src0_sel:DWORD
	v_cndmask_b32_e64 v9, v1, v0, s[12:13]
	v_cndmask_b32_e32 v9, v9, v8, vcc
	v_cndmask_b32_e64 v9, v9, v3, s[14:15]
	ds_bpermute_b32 v9, v71, v9
	v_or_b32_e32 v10, v28, v27
	;;#ASMSTART
	global_atomic_pk_add_f16 v[14:15], v10, off
	
	;;#ASMEND
	v_or_b32_e32 v10, 16, v68
	v_add_u32_e32 v10, s61, v10
	v_cmp_gt_u32_e32 vcc, 32, v10
	s_and_b64 exec, exec, vcc
	s_cbranch_execz .LBB175_31
; %bb.29:                               ;   in Loop: Header=BB175_7 Depth=1
	v_cmp_eq_u32_e64 s[8:9], 1, v67
	v_cmp_eq_u32_e64 s[10:11], 0, v67
	v_cmp_eq_u32_e32 vcc, 3, v67
	s_waitcnt lgkmcnt(1)
	v_cndmask_b32_e64 v6, v6, v2, s[8:9]
	v_cndmask_b32_e64 v7, v7, v2, s[10:11]
	s_waitcnt lgkmcnt(0)
	v_cndmask_b32_e64 v11, v0, v9, s[8:9]
	v_cndmask_b32_e64 v12, v1, v9, s[10:11]
	v_cvt_f16_f32_e32 v7, v7
	v_cvt_f16_f32_sdwa v6, v6 dst_sel:WORD_1 dst_unused:UNUSED_PAD src0_sel:DWORD
	v_cvt_f16_f32_e32 v12, v12
	v_cvt_f16_f32_sdwa v11, v11 dst_sel:WORD_1 dst_unused:UNUSED_PAD src0_sel:DWORD
	v_cmp_eq_u32_e64 s[6:7], 2, v67
	v_lshl_add_u64 v[0:1], v[20:21], 1, s[46:47]
	v_or_b32_e32 v6, v6, v7
	v_cmp_gt_u32_e64 s[8:9], 30, v10
	;;#ASMSTART
	global_atomic_pk_add_f16 v[0:1], v6, off
	
	;;#ASMEND
	v_lshl_add_u64 v[6:7], v[0:1], 0, 32
	v_or_b32_e32 v11, v11, v12
	;;#ASMSTART
	global_atomic_pk_add_f16 v[6:7], v11, off
	
	;;#ASMEND
	s_and_b64 exec, exec, s[8:9]
	s_cbranch_execz .LBB175_31
; %bb.30:                               ;   in Loop: Header=BB175_7 Depth=1
	v_cndmask_b32_e32 v4, v4, v2, vcc
	v_cndmask_b32_e64 v2, v5, v2, s[6:7]
	v_cndmask_b32_e32 v3, v3, v9, vcc
	v_cndmask_b32_e64 v5, v8, v9, s[6:7]
	v_cvt_f16_f32_e32 v2, v2
	v_cvt_f16_f32_sdwa v4, v4 dst_sel:WORD_1 dst_unused:UNUSED_PAD src0_sel:DWORD
	v_cvt_f16_f32_e32 v5, v5
	v_cvt_f16_f32_sdwa v3, v3 dst_sel:WORD_1 dst_unused:UNUSED_PAD src0_sel:DWORD
	v_lshl_add_u64 v[0:1], s[34:35], 2, v[0:1]
	v_or_b32_e32 v2, v4, v2
	;;#ASMSTART
	global_atomic_pk_add_f16 v[0:1], v2, off
	
	;;#ASMEND
	v_lshl_add_u64 v[0:1], v[0:1], 0, 32
	v_or_b32_e32 v2, v3, v5
	;;#ASMSTART
	global_atomic_pk_add_f16 v[0:1], v2, off
	
	;;#ASMEND
.LBB175_31:                             ;   in Loop: Header=BB175_7 Depth=1
	s_or_b64 exec, exec, s[44:45]
	v_subrev_u32_e32 v72, s62, v72
.LBB175_32:                             ;   in Loop: Header=BB175_7 Depth=1
	s_or_b64 exec, exec, s[42:43]
.LBB175_33:                             ;   in Loop: Header=BB175_7 Depth=1
	s_andn2_saveexec_b64 s[6:7], s[40:41]
	s_cbranch_execz .LBB175_42
; %bb.34:                               ;   in Loop: Header=BB175_7 Depth=1
	s_lshl_b32 s39, s62, 1
	v_cmp_gt_i32_e32 vcc, s39, v72
	s_and_saveexec_b64 s[8:9], vcc
	s_cbranch_execz .LBB175_41
; %bb.35:                               ;   in Loop: Header=BB175_7 Depth=1
	s_mul_i32 s10, s38, s19
	s_ashr_i32 s11, s10, 31
	s_waitcnt lgkmcnt(0)
	s_add_u32 s10, s26, s10
	s_addc_u32 s11, s27, s11
	s_ashr_i32 s12, s60, 31
	s_add_u32 s10, s10, s60
	s_addc_u32 s11, s11, s12
	v_lshl_add_u64 v[0:1], s[10:11], 0, v[24:25]
	v_lshl_add_u64 v[26:27], v[0:1], 0, v[22:23]
	s_mov_b64 s[10:11], 0
	s_branch .LBB175_37
.LBB175_36:                             ;   in Loop: Header=BB175_37 Depth=2
	s_or_b64 exec, exec, s[12:13]
	v_or_b32_e32 v30, 0x6000, v70
	v_lshl_add_u32 v30, v28, 12, v30
	;;#ASMSTART
	s_waitcnt vmcnt(3)
	;;#ASMEND
	ds_write2_b32 v30, v12, v13 offset1:32
	ds_write2_b32 v30, v14, v15 offset0:64 offset1:96
	v_add_u32_e32 v12, 0x400, v30
	;;#ASMSTART
	s_waitcnt vmcnt(2)
	;;#ASMEND
	ds_write2_b32 v12, v8, v9 offset1:32
	ds_write2_b32 v12, v10, v11 offset0:64 offset1:96
	v_add_u32_e32 v8, 0x800, v30
	;; [unrolled: 6-line block ×3, first 2 shown]
	v_add_u32_e32 v72, s22, v72
	;;#ASMSTART
	s_waitcnt vmcnt(0)
	;;#ASMEND
	ds_write2_b32 v4, v0, v1 offset1:32
	ds_write2_b32 v4, v2, v3 offset0:64 offset1:96
	v_add_u32_e32 v0, 1, v64
	v_add_u32_e32 v30, s22, v28
	v_cmp_le_i32_e32 vcc, s39, v72
	ds_write_b32 v29, v0 offset:24
	v_add_u32_e32 v0, 2, v64
	s_or_b64 s[10:11], vcc, s[10:11]
	v_cmp_lt_i32_e32 vcc, 5, v30
	s_nop 1
	v_cndmask_b32_e32 v64, v64, v0, vcc
	s_andn2_b64 exec, exec, s[10:11]
	s_cbranch_execz .LBB175_40
.LBB175_37:                             ;   Parent Loop BB175_7 Depth=1
                                        ; =>  This Loop Header: Depth=2
                                        ;       Child Loop BB175_39 Depth 3
	v_cmp_gt_i32_e32 vcc, 6, v30
	s_nop 1
	v_cndmask_b32_e64 v0, -6, 0, vcc
	v_add_u32_e32 v28, v0, v30
	v_lshrrev_b32_e32 v0, 31, v72
	v_add_u32_e32 v0, v72, v0
	v_and_b32_e32 v1, -2, v0
	v_lshlrev_b32_e32 v0, 7, v0
	v_sub_u32_e32 v2, v72, v1
	v_and_b32_e32 v0, 0xffffff00, v0
	v_ashrrev_i32_e32 v1, 31, v0
	v_mul_lo_u32 v2, s53, v2
	v_lshl_add_u64 v[0:1], v[26:27], 0, v[0:1]
	v_ashrrev_i32_e32 v3, 31, v2
	v_lshl_add_u64 v[0:1], v[0:1], 0, v[2:3]
	v_lshlrev_b32_e32 v29, 2, v28
	;;#ASMSTART
	global_load_dwordx4 v[12:15], v[0:1], off offset:0    sc0 sc1 nt  
	global_load_dwordx4 v[8:11], v[0:1], off offset:64   sc0 sc1 nt  
	global_load_dwordx4 v[4:7], v[0:1], off offset:128  sc0 sc1 nt  
	global_load_dwordx4 v[0:3], v[0:1], off offset:192  sc0 sc1 nt  
	
	;;#ASMEND
	ds_read_b32 v30, v29 offset:49176
	v_add_u32_e32 v29, 0xc000, v29
	s_waitcnt lgkmcnt(0)
	v_cmp_ne_u32_e32 vcc, v30, v64
	s_and_saveexec_b64 s[12:13], vcc
	s_cbranch_execz .LBB175_36
; %bb.38:                               ;   in Loop: Header=BB175_37 Depth=2
	s_mov_b64 s[14:15], 0
.LBB175_39:                             ;   Parent Loop BB175_7 Depth=1
                                        ;     Parent Loop BB175_37 Depth=2
                                        ; =>    This Inner Loop Header: Depth=3
	;;#ASMSTART
	s_sleep 0
	;;#ASMEND
	ds_read_b32 v30, v29 offset:24
	s_waitcnt lgkmcnt(0)
	v_cmp_eq_u32_e32 vcc, v30, v64
	s_or_b64 s[14:15], vcc, s[14:15]
	s_andn2_b64 exec, exec, s[14:15]
	s_cbranch_execnz .LBB175_39
	s_branch .LBB175_36
.LBB175_40:                             ;   in Loop: Header=BB175_7 Depth=1
	s_or_b64 exec, exec, s[10:11]
.LBB175_41:                             ;   in Loop: Header=BB175_7 Depth=1
	s_or_b64 exec, exec, s[8:9]
	v_subrev_u32_e32 v72, s39, v72
.LBB175_42:                             ;   in Loop: Header=BB175_7 Depth=1
	s_or_b64 exec, exec, s[6:7]
.LBB175_43:                             ;   in Loop: Header=BB175_7 Depth=1
	s_andn2_saveexec_b64 s[6:7], s[36:37]
	s_cbranch_execz .LBB175_6
; %bb.44:                               ;   in Loop: Header=BB175_7 Depth=1
	s_lshl_b32 s36, s62, 1
	v_cmp_gt_i32_e32 vcc, s36, v72
	s_and_saveexec_b64 s[8:9], vcc
	s_cbranch_execz .LBB175_5
; %bb.45:                               ;   in Loop: Header=BB175_7 Depth=1
	s_mul_i32 s59, s59, s18
	s_ashr_i32 s10, s59, 31
	s_waitcnt lgkmcnt(0)
	s_add_u32 s11, s24, s59
	v_add_u32_e32 v2, s61, v69
	s_addc_u32 s12, s25, s10
	s_ashr_i32 s13, s60, 31
	v_mul_lo_u32 v0, s18, v69
	v_cmp_gt_u32_e32 vcc, 32, v2
	s_add_u32 s10, s11, s60
	s_addc_u32 s11, s12, s13
	v_cndmask_b32_e32 v0, 0, v0, vcc
	v_ashrrev_i32_e32 v1, 31, v0
	v_lshl_add_u64 v[0:1], s[10:11], 0, v[0:1]
	v_lshl_add_u64 v[26:27], v[0:1], 0, v[22:23]
	v_sub_u32_e32 v28, 31, v2
	s_mov_b64 s[10:11], 0
	s_branch .LBB175_47
.LBB175_46:                             ;   in Loop: Header=BB175_47 Depth=2
	s_or_b64 exec, exec, s[12:13]
	v_lshl_or_b32 v31, v29, 12, v70
	;;#ASMSTART
	s_waitcnt vmcnt(3)
	;;#ASMEND
	ds_write2_b32 v31, v12, v13 offset1:32
	ds_write2_b32 v31, v14, v15 offset0:64 offset1:96
	v_add_u32_e32 v12, 0x400, v31
	;;#ASMSTART
	s_waitcnt vmcnt(2)
	;;#ASMEND
	ds_write2_b32 v12, v8, v9 offset1:32
	ds_write2_b32 v12, v10, v11 offset0:64 offset1:96
	v_add_u32_e32 v8, 0x800, v31
	;; [unrolled: 6-line block ×4, first 2 shown]
	v_add_u32_e32 v72, s21, v72
	ds_write_b32 v30, v0
	v_add_u32_e32 v30, s21, v29
	v_cmp_le_i32_e32 vcc, s36, v72
	v_add_u32_e32 v0, 2, v64
	s_or_b64 s[10:11], vcc, s[10:11]
	v_cmp_lt_i32_e32 vcc, 5, v30
	s_nop 1
	v_cndmask_b32_e32 v64, v64, v0, vcc
	s_andn2_b64 exec, exec, s[10:11]
	s_cbranch_execz .LBB175_4
.LBB175_47:                             ;   Parent Loop BB175_7 Depth=1
                                        ; =>  This Loop Header: Depth=2
                                        ;       Child Loop BB175_49 Depth 3
	v_cmp_gt_i32_e32 vcc, 6, v30
	s_nop 1
	v_cndmask_b32_e64 v0, -6, 0, vcc
	v_add_u32_e32 v29, v0, v30
	v_lshrrev_b32_e32 v0, 31, v72
	v_add_u32_e32 v0, v72, v0
	v_and_b32_e32 v1, 0xffffffe, v0
	v_sub_u32_e32 v1, v72, v1
	v_lshlrev_b32_e32 v1, 4, v1
	v_cmp_le_i32_e32 vcc, v1, v28
	v_lshlrev_b32_e32 v0, 7, v0
	v_and_b32_e32 v0, 0xffffff00, v0
	v_cndmask_b32_e32 v2, 0, v1, vcc
	v_ashrrev_i32_e32 v1, 31, v0
	v_mul_lo_u32 v2, v2, s18
	v_lshl_add_u64 v[0:1], v[26:27], 0, v[0:1]
	v_ashrrev_i32_e32 v3, 31, v2
	v_lshl_add_u64 v[0:1], v[0:1], 0, v[2:3]
	v_lshlrev_b32_e32 v30, 2, v29
	;;#ASMSTART
	global_load_dwordx4 v[12:15], v[0:1], off offset:0    
	global_load_dwordx4 v[8:11], v[0:1], off offset:64   
	;; [unrolled: 1-line block ×4, first 2 shown]
	
	;;#ASMEND
	ds_read_b32 v31, v30 offset:49152
	v_add_u32_e32 v30, 0xc000, v30
	s_waitcnt lgkmcnt(0)
	v_cmp_ne_u32_e32 vcc, v31, v64
	s_and_saveexec_b64 s[12:13], vcc
	s_cbranch_execz .LBB175_46
; %bb.48:                               ;   in Loop: Header=BB175_47 Depth=2
	s_mov_b64 s[14:15], 0
.LBB175_49:                             ;   Parent Loop BB175_7 Depth=1
                                        ;     Parent Loop BB175_47 Depth=2
                                        ; =>    This Inner Loop Header: Depth=3
	;;#ASMSTART
	s_sleep 0
	;;#ASMEND
	ds_read_b32 v31, v30
	s_waitcnt lgkmcnt(0)
	v_cmp_eq_u32_e32 vcc, v31, v64
	s_or_b64 s[14:15], vcc, s[14:15]
	s_andn2_b64 exec, exec, s[14:15]
	s_cbranch_execnz .LBB175_49
	s_branch .LBB175_46
.LBB175_50:
	s_endpgm
	.section	.rodata,"a",@progbits
	.p2align	6, 0x0
	.amdhsa_kernel _Z19_skinny_gemm_kernelILi2ELi2ELi3ELi16ELi8EEvPKhS1_P6__halfPKfiiiiiiii
		.amdhsa_group_segment_fixed_size 49200
		.amdhsa_private_segment_fixed_size 0
		.amdhsa_kernarg_size 64
		.amdhsa_user_sgpr_count 2
		.amdhsa_user_sgpr_dispatch_ptr 0
		.amdhsa_user_sgpr_queue_ptr 0
		.amdhsa_user_sgpr_kernarg_segment_ptr 1
		.amdhsa_user_sgpr_dispatch_id 0
		.amdhsa_user_sgpr_kernarg_preload_length 0
		.amdhsa_user_sgpr_kernarg_preload_offset 0
		.amdhsa_user_sgpr_private_segment_size 0
		.amdhsa_uses_dynamic_stack 0
		.amdhsa_enable_private_segment 0
		.amdhsa_system_sgpr_workgroup_id_x 1
		.amdhsa_system_sgpr_workgroup_id_y 0
		.amdhsa_system_sgpr_workgroup_id_z 0
		.amdhsa_system_sgpr_workgroup_info 0
		.amdhsa_system_vgpr_workitem_id 0
		.amdhsa_next_free_vgpr 79
		.amdhsa_next_free_sgpr 63
		.amdhsa_accum_offset 80
		.amdhsa_reserve_vcc 1
		.amdhsa_float_round_mode_32 0
		.amdhsa_float_round_mode_16_64 0
		.amdhsa_float_denorm_mode_32 3
		.amdhsa_float_denorm_mode_16_64 3
		.amdhsa_dx10_clamp 1
		.amdhsa_ieee_mode 1
		.amdhsa_fp16_overflow 0
		.amdhsa_tg_split 0
		.amdhsa_exception_fp_ieee_invalid_op 0
		.amdhsa_exception_fp_denorm_src 0
		.amdhsa_exception_fp_ieee_div_zero 0
		.amdhsa_exception_fp_ieee_overflow 0
		.amdhsa_exception_fp_ieee_underflow 0
		.amdhsa_exception_fp_ieee_inexact 0
		.amdhsa_exception_int_div_zero 0
	.end_amdhsa_kernel
	.section	.text._Z19_skinny_gemm_kernelILi2ELi2ELi3ELi16ELi8EEvPKhS1_P6__halfPKfiiiiiiii,"axG",@progbits,_Z19_skinny_gemm_kernelILi2ELi2ELi3ELi16ELi8EEvPKhS1_P6__halfPKfiiiiiiii,comdat
.Lfunc_end175:
	.size	_Z19_skinny_gemm_kernelILi2ELi2ELi3ELi16ELi8EEvPKhS1_P6__halfPKfiiiiiiii, .Lfunc_end175-_Z19_skinny_gemm_kernelILi2ELi2ELi3ELi16ELi8EEvPKhS1_P6__halfPKfiiiiiiii
                                        ; -- End function
	.set _Z19_skinny_gemm_kernelILi2ELi2ELi3ELi16ELi8EEvPKhS1_P6__halfPKfiiiiiiii.num_vgpr, 79
	.set _Z19_skinny_gemm_kernelILi2ELi2ELi3ELi16ELi8EEvPKhS1_P6__halfPKfiiiiiiii.num_agpr, 0
	.set _Z19_skinny_gemm_kernelILi2ELi2ELi3ELi16ELi8EEvPKhS1_P6__halfPKfiiiiiiii.numbered_sgpr, 63
	.set _Z19_skinny_gemm_kernelILi2ELi2ELi3ELi16ELi8EEvPKhS1_P6__halfPKfiiiiiiii.num_named_barrier, 0
	.set _Z19_skinny_gemm_kernelILi2ELi2ELi3ELi16ELi8EEvPKhS1_P6__halfPKfiiiiiiii.private_seg_size, 0
	.set _Z19_skinny_gemm_kernelILi2ELi2ELi3ELi16ELi8EEvPKhS1_P6__halfPKfiiiiiiii.uses_vcc, 1
	.set _Z19_skinny_gemm_kernelILi2ELi2ELi3ELi16ELi8EEvPKhS1_P6__halfPKfiiiiiiii.uses_flat_scratch, 0
	.set _Z19_skinny_gemm_kernelILi2ELi2ELi3ELi16ELi8EEvPKhS1_P6__halfPKfiiiiiiii.has_dyn_sized_stack, 0
	.set _Z19_skinny_gemm_kernelILi2ELi2ELi3ELi16ELi8EEvPKhS1_P6__halfPKfiiiiiiii.has_recursion, 0
	.set _Z19_skinny_gemm_kernelILi2ELi2ELi3ELi16ELi8EEvPKhS1_P6__halfPKfiiiiiiii.has_indirect_call, 0
	.section	.AMDGPU.csdata,"",@progbits
; Kernel info:
; codeLenInByte = 4604
; TotalNumSgprs: 69
; NumVgprs: 79
; NumAgprs: 0
; TotalNumVgprs: 79
; ScratchSize: 0
; MemoryBound: 0
; FloatMode: 240
; IeeeMode: 1
; LDSByteSize: 49200 bytes/workgroup (compile time only)
; SGPRBlocks: 8
; VGPRBlocks: 9
; NumSGPRsForWavesPerEU: 69
; NumVGPRsForWavesPerEU: 79
; AccumOffset: 80
; Occupancy: 6
; WaveLimiterHint : 0
; COMPUTE_PGM_RSRC2:SCRATCH_EN: 0
; COMPUTE_PGM_RSRC2:USER_SGPR: 2
; COMPUTE_PGM_RSRC2:TRAP_HANDLER: 0
; COMPUTE_PGM_RSRC2:TGID_X_EN: 1
; COMPUTE_PGM_RSRC2:TGID_Y_EN: 0
; COMPUTE_PGM_RSRC2:TGID_Z_EN: 0
; COMPUTE_PGM_RSRC2:TIDIG_COMP_CNT: 0
; COMPUTE_PGM_RSRC3_GFX90A:ACCUM_OFFSET: 19
; COMPUTE_PGM_RSRC3_GFX90A:TG_SPLIT: 0
	.section	.text._Z19_skinny_gemm_kernelILi2ELi2ELi3ELi32ELi4EEvPKhS1_P6__halfPKfiiiiiiii,"axG",@progbits,_Z19_skinny_gemm_kernelILi2ELi2ELi3ELi32ELi4EEvPKhS1_P6__halfPKfiiiiiiii,comdat
	.protected	_Z19_skinny_gemm_kernelILi2ELi2ELi3ELi32ELi4EEvPKhS1_P6__halfPKfiiiiiiii ; -- Begin function _Z19_skinny_gemm_kernelILi2ELi2ELi3ELi32ELi4EEvPKhS1_P6__halfPKfiiiiiiii
	.globl	_Z19_skinny_gemm_kernelILi2ELi2ELi3ELi32ELi4EEvPKhS1_P6__halfPKfiiiiiiii
	.p2align	8
	.type	_Z19_skinny_gemm_kernelILi2ELi2ELi3ELi32ELi4EEvPKhS1_P6__halfPKfiiiiiiii,@function
_Z19_skinny_gemm_kernelILi2ELi2ELi3ELi32ELi4EEvPKhS1_P6__halfPKfiiiiiiii: ; @_Z19_skinny_gemm_kernelILi2ELi2ELi3ELi32ELi4EEvPKhS1_P6__halfPKfiiiiiiii
; %bb.0:
	v_cmp_gt_u32_e32 vcc, 12, v0
	s_and_saveexec_b64 s[4:5], vcc
; %bb.1:
	v_lshlrev_b32_e32 v1, 2, v0
	v_mov_b32_e32 v2, 0
	ds_write_b32 v1, v2 offset:24576
; %bb.2:
	s_or_b64 exec, exec, s[4:5]
	s_load_dwordx8 s[16:23], s[0:1], 0x20
	s_waitcnt lgkmcnt(0)
	s_barrier
	s_add_i32 s3, s16, 63
	s_ashr_i32 s5, s3, 31
	s_add_i32 s4, s17, 63
	s_lshr_b32 s5, s5, 26
	s_ashr_i32 s6, s4, 31
	s_add_i32 s3, s3, s5
	s_ashr_i32 s11, s3, 6
	s_lshr_b32 s3, s6, 26
	s_add_i32 s4, s4, s3
	s_ashr_i32 s12, s4, 6
	s_mul_i32 s3, s12, s11
	s_mul_i32 s3, s3, s20
	s_add_i32 s4, s3, 0x12f
	s_mul_hi_i32 s4, s4, 0x6bca1af3
	s_lshr_b32 s5, s4, 31
	s_ashr_i32 s4, s4, 7
	s_add_i32 s4, s4, s5
	s_add_i32 s5, s2, 1
	s_mul_i32 s5, s4, s5
	v_cvt_f64_i32_e32 v[2:3], s3
	v_cvt_f64_u32_e32 v[4:5], s5
	v_min_f64 v[2:3], v[2:3], v[4:5]
	v_cvt_i32_f64_e32 v62, v[2:3]
	s_mul_i32 s33, s4, s2
	v_cmp_ge_i32_e32 vcc, s33, v62
	s_cbranch_vccnz .LBB176_51
; %bb.3:
	s_load_dwordx8 s[44:51], s[0:1], 0x0
	v_lshrrev_b32_e32 v1, 6, v0
	s_add_i32 s0, s22, s21
	v_cmp_le_i32_e64 s[14:15], s0, v1
	v_mov_b32_e32 v2, s21
	v_cmp_le_i32_e64 s[24:25], s21, v1
	v_mov_b32_e32 v3, s22
	v_cndmask_b32_e64 v3, 0, v3, s[14:15]
	v_cndmask_b32_e64 v2, 0, v2, s[24:25]
	s_abs_i32 s1, s20
	v_add_u32_e32 v2, v2, v3
	v_cvt_f32_u32_e32 v3, s1
	v_sub_u32_e32 v56, v1, v2
	s_ashr_i32 s2, s18, 31
	s_lshr_b32 s2, s2, 26
	v_rcp_iflag_f32_e32 v2, v3
	s_sub_i32 s5, 0, s1
	s_add_i32 s2, s18, s2
	s_ashr_i32 s2, s2, 6
	v_mul_f32_e32 v2, 0x4f7ffffe, v2
	v_cvt_u32_f32_e32 v2, v2
	s_abs_i32 s4, s2
	s_xor_b32 s3, s2, s20
	s_ashr_i32 s3, s3, 31
	v_readfirstlane_b32 s6, v2
	s_mul_i32 s5, s5, s6
	s_mul_hi_u32 s5, s6, s5
	s_add_i32 s6, s6, s5
	s_mul_hi_u32 s5, s4, s6
	s_mul_i32 s6, s5, s1
	s_sub_i32 s4, s4, s6
	s_add_i32 s6, s5, 1
	s_sub_i32 s7, s4, s1
	s_cmp_ge_u32 s4, s1
	s_cselect_b32 s5, s6, s5
	s_cselect_b32 s4, s7, s4
	s_add_i32 s6, s5, 1
	s_cmp_ge_u32 s4, s1
	s_cselect_b32 s1, s6, s5
	s_add_i32 s0, s0, s23
	v_and_b32_e32 v64, 31, v0
	v_lshrrev_b32_e32 v2, 3, v0
	v_cmp_gt_i32_e64 s[28:29], s0, v1
	v_lshlrev_b32_e32 v1, 2, v64
	v_and_b32_e32 v3, 4, v2
	v_and_b32_e32 v5, 1, v0
	v_lshlrev_b32_e32 v2, 6, v3
	v_or_b32_e32 v4, 0x3000, v1
	v_or_b32_e32 v3, v3, v5
	;; [unrolled: 1-line block ×4, first 2 shown]
	v_lshlrev_b32_e32 v2, 1, v5
	v_or_b32_e32 v5, 2, v3
	v_sub_u32_e32 v77, 32, v5
	v_or_b32_e32 v5, 8, v3
	v_sub_u32_e32 v78, 32, v5
	;; [unrolled: 2-line block ×5, first 2 shown]
	v_mul_lo_u32 v34, s17, v3
	v_sub_u32_e32 v81, 32, v5
	v_or_b32_e32 v5, 24, v3
	v_or_b32_e32 v3, 26, v3
                                        ; implicit-def: $vgpr99 : SGPR spill to VGPR lane
	s_add_i32 s26, s20, -1
	v_sub_u32_e32 v83, 32, v3
	v_lshrrev_b32_e32 v3, 1, v0
	s_abs_i32 s20, s11
	v_writelane_b32 v99, s11, 0
	v_and_b32_e32 v50, 16, v3
	v_cvt_f32_u32_e32 v3, s20
	v_writelane_b32 v99, s12, 1
	v_sub_u32_e32 v2, v0, v2
	s_waitcnt lgkmcnt(0)
	v_writelane_b32 v99, s44, 2
	v_add_u32_e32 v2, 1, v2
	v_and_b32_e32 v6, 63, v2
	v_writelane_b32 v99, s45, 3
	v_bitop3_b32 v67, v0, 1, v0 bitop3:0xc
	v_bitop3_b32 v68, v0, 3, 1 bitop3:0x6c
	;; [unrolled: 1-line block ×8, first 2 shown]
	v_and_b32_e32 v2, 30, v0
	v_lshlrev_b32_e32 v0, 4, v0
	v_writelane_b32 v99, s46, 4
	v_and_b32_e32 v0, 0x200, v0
	v_rcp_iflag_f32_e32 v3, v3
	s_abs_i32 s98, s12
	v_writelane_b32 v99, s47, 5
	s_xor_b32 s1, s1, s3
	v_or_b32_e32 v86, v1, v0
	v_cvt_f32_u32_e32 v1, s98
	v_writelane_b32 v99, s48, 6
	s_sub_i32 s13, s1, s3
	v_writelane_b32 v99, s49, 7
	s_mul_i32 s1, s13, s26
	s_lshl_b32 s0, s17, 1
	v_writelane_b32 v99, s50, 8
	s_sub_i32 s27, s2, s1
	v_add_u32_e32 v36, s0, v34
	s_mul_i32 s1, s17, 6
	v_or_b32_e32 v84, v4, v0
	v_mul_f32_e32 v0, 0x4f7ffffe, v3
	v_writelane_b32 v99, s51, 9
	v_cndmask_b32_e64 v63, 0, 1, s[14:15]
	v_add_u32_e32 v38, s1, v36
	v_cvt_u32_f32_e32 v0, v0
	v_rcp_iflag_f32_e32 v1, v1
	v_writelane_b32 v99, s14, 10
	v_add_u32_e32 v40, s0, v38
	v_add_u32_e32 v42, s1, v40
	v_writelane_b32 v99, s15, 11
	v_writelane_b32 v99, s24, 12
	v_add_u32_e32 v44, s0, v42
	v_add_u32_e32 v46, s1, v44
	v_writelane_b32 v99, s25, 13
	v_readfirstlane_b32 s1, v0
	v_mul_f32_e32 v0, 0x4f7ffffe, v1
	v_writelane_b32 v99, s13, 14
	v_cvt_u32_f32_e32 v0, v0
	v_writelane_b32 v99, s26, 15
	v_add_u32_e32 v48, s0, v46
	s_sub_i32 s0, 0, s20
	v_writelane_b32 v99, s27, 16
	s_mul_i32 s0, s0, s1
	v_writelane_b32 v99, s28, 17
	s_lshl_b32 s30, s19, 5
	s_mul_hi_u32 s0, s1, s0
	v_writelane_b32 v99, s29, 18
	s_ashr_i32 s31, s11, 31
	s_add_i32 s34, s1, s0
	s_sub_i32 s0, 0, s98
	v_readfirstlane_b32 s1, v0
	v_mbcnt_lo_u32_b32 v0, -1, 0
	v_writelane_b32 v99, s30, 19
	s_mul_i32 s0, s0, s1
	v_mbcnt_hi_u32_b32 v0, -1, v0
	v_writelane_b32 v99, s31, 20
	v_mov_b32_e32 v33, 0
	v_mul_lo_u32 v52, s19, v64
	s_ashr_i32 s35, s12, 31
	s_mul_hi_u32 s0, s1, s0
	v_and_or_b32 v0, v0, 64, v6
	v_writelane_b32 v99, s34, 21
	v_or_b32_e32 v75, 32, v64
	v_ashrrev_i32_e32 v35, 31, v34
	v_ashrrev_i32_e32 v37, 31, v36
	;; [unrolled: 1-line block ×6, first 2 shown]
	v_sub_u32_e32 v82, 32, v5
	v_ashrrev_i32_e32 v47, 31, v46
	v_ashrrev_i32_e32 v49, 31, v48
	;; [unrolled: 1-line block ×3, first 2 shown]
	v_mov_b32_e32 v51, v33
	v_mul_lo_u32 v85, s18, v64
	s_add_i32 s36, s1, s0
	v_lshlrev_b32_e32 v32, 1, v2
	v_lshlrev_b32_e32 v87, 2, v0
	v_mov_b32_e32 v88, v56
	v_writelane_b32 v99, s35, 22
	v_writelane_b32 v99, s36, 23
	s_branch .LBB176_7
.LBB176_4:                              ;   in Loop: Header=BB176_7 Depth=1
	s_or_b64 exec, exec, s[4:5]
.LBB176_5:                              ;   in Loop: Header=BB176_7 Depth=1
	s_or_b64 exec, exec, s[2:3]
	v_subrev_u32_e32 v88, s10, v88
.LBB176_6:                              ;   in Loop: Header=BB176_7 Depth=1
	s_or_b64 exec, exec, s[0:1]
	s_add_i32 s33, s33, 1
	v_cmp_ge_i32_e32 vcc, s33, v62
	s_cbranch_vccnz .LBB176_51
.LBB176_7:                              ; =>This Loop Header: Depth=1
                                        ;     Child Loop BB176_13 Depth 2
                                        ;       Child Loop BB176_15 Depth 3
                                        ;       Child Loop BB176_18 Depth 3
	;; [unrolled: 1-line block ×3, first 2 shown]
                                        ;     Child Loop BB176_38 Depth 2
                                        ;       Child Loop BB176_40 Depth 3
                                        ;     Child Loop BB176_48 Depth 2
                                        ;       Child Loop BB176_50 Depth 3
	s_abs_i32 s1, s33
	s_mul_hi_u32 s2, s1, s34
	s_mul_i32 s3, s2, s20
	s_ashr_i32 s0, s33, 31
	s_sub_i32 s1, s1, s3
	s_xor_b32 s0, s0, s31
	s_add_i32 s3, s2, 1
	s_sub_i32 s4, s1, s20
	s_cmp_ge_u32 s1, s20
	s_cselect_b32 s2, s3, s2
	s_cselect_b32 s1, s4, s1
	s_add_i32 s3, s2, 1
	s_cmp_ge_u32 s1, s20
	s_cselect_b32 s1, s3, s2
	s_xor_b32 s1, s1, s0
	s_sub_i32 s0, s1, s0
	s_abs_i32 s2, s0
	s_mul_i32 s1, s0, s11
	s_mul_hi_u32 s3, s2, s36
	s_sub_i32 s1, s33, s1
	s_mul_i32 s4, s3, s98
	s_lshl_b32 s52, s1, 6
	s_ashr_i32 s1, s0, 31
	s_sub_i32 s2, s2, s4
	s_xor_b32 s1, s1, s35
	s_add_i32 s4, s3, 1
	s_sub_i32 s5, s2, s98
	s_cmp_ge_u32 s2, s98
	s_cselect_b32 s3, s4, s3
	s_cselect_b32 s2, s5, s2
	s_add_i32 s4, s3, 1
	s_cmp_ge_u32 s2, s98
	s_cselect_b32 s2, s4, s3
	s_xor_b32 s2, s2, s1
	s_sub_i32 s1, s2, s1
	s_mul_i32 s2, s1, s13
	s_lshl_b32 s37, s2, 6
	s_cmp_eq_u32 s1, s26
	s_cselect_b32 s99, s27, s13
	s_sub_i32 s2, s52, s16
	s_add_i32 s53, s2, 64
	s_and_saveexec_b64 s[2:3], s[24:25]
	s_xor_b64 s[38:39], exec, s[2:3]
	s_cbranch_execz .LBB176_44
; %bb.8:                                ;   in Loop: Header=BB176_7 Depth=1
	s_mul_i32 s1, s1, s12
	s_sub_i32 s0, s0, s1
	s_lshl_b32 s0, s0, 6
	s_sub_i32 s90, s0, s17
	s_add_i32 s90, s90, 64
	s_max_i32 s1, s90, 0
	s_sub_i32 s54, s0, s1
	s_and_saveexec_b64 s[0:1], s[14:15]
	s_xor_b64 s[4:5], exec, s[0:1]
	s_cbranch_execz .LBB176_34
; %bb.9:                                ;   in Loop: Header=BB176_7 Depth=1
	s_and_saveexec_b64 s[2:3], s[28:29]
	s_cbranch_execz .LBB176_33
; %bb.10:                               ;   in Loop: Header=BB176_7 Depth=1
	global_load_dword v89, v33, s[50:51]
	v_writelane_b32 v99, s2, 24
	v_mov_b32_e32 v31, 0
	v_cmp_gt_i32_e32 vcc, s99, v88
	v_writelane_b32 v99, s3, 25
	v_writelane_b32 v99, s4, 26
	v_mov_b32_e32 v30, v31
	v_mov_b32_e32 v29, v31
	;; [unrolled: 1-line block ×12, first 2 shown]
	s_waitcnt lgkmcnt(1)
	v_mov_b32_e32 v18, v31
	v_mov_b32_e32 v17, v31
	;; [unrolled: 1-line block ×19, first 2 shown]
	v_writelane_b32 v99, s5, 27
	s_and_saveexec_b64 s[0:1], vcc
	s_cbranch_execz .LBB176_23
; %bb.11:                               ;   in Loop: Header=BB176_7 Depth=1
	v_mov_b32_e32 v0, 0
	s_mov_b64 s[2:3], 0
	v_mov_b32_e32 v1, v0
	v_mov_b32_e32 v2, v0
	;; [unrolled: 1-line block ×31, first 2 shown]
	s_branch .LBB176_13
.LBB176_12:                             ;   in Loop: Header=BB176_13 Depth=2
	s_or_b64 exec, exec, s[4:5]
	v_add_u32_e32 v96, 0x800, v93
	ds_read2_b32 v[94:95], v96 offset1:32
	v_add_u32_e32 v88, s23, v88
	s_waitcnt lgkmcnt(0)
	v_mfma_f32_32x32x16_fp8_fp8 v[0:15], v[60:61], v[94:95], v[0:15]
	ds_read2_b32 v[60:61], v96 offset0:128 offset1:160
	s_waitcnt lgkmcnt(0)
	v_mfma_f32_32x32x16_fp8_fp8 v[0:15], v[58:59], v[60:61], v[0:15]
	v_add_u32_e32 v60, 0xc00, v93
	ds_read2_b32 v[58:59], v60 offset1:32
	ds_read2_b32 v[60:61], v60 offset0:128 offset1:160
	ds_write_b32 v91, v92 offset:24588
	s_waitcnt lgkmcnt(2)
	v_mfma_f32_32x32x16_fp8_fp8 v[0:15], v[56:57], v[58:59], v[0:15]
	v_add_u32_e32 v56, s23, v90
	v_add_u32_e32 v57, 2, v63
	v_cmp_lt_i32_e32 vcc, 2, v56
	s_nop 1
	v_cndmask_b32_e32 v63, v63, v57, vcc
	v_cmp_le_i32_e32 vcc, s99, v88
	s_waitcnt lgkmcnt(1)
	v_mfma_f32_32x32x16_fp8_fp8 v[0:15], v[54:55], v[60:61], v[0:15]
	s_or_b64 s[2:3], vcc, s[2:3]
	s_andn2_b64 exec, exec, s[2:3]
	s_cbranch_execz .LBB176_22
.LBB176_13:                             ;   Parent Loop BB176_7 Depth=1
                                        ; =>  This Loop Header: Depth=2
                                        ;       Child Loop BB176_15 Depth 3
                                        ;       Child Loop BB176_18 Depth 3
	;; [unrolled: 1-line block ×3, first 2 shown]
	v_cmp_gt_i32_e32 vcc, 3, v56
	s_nop 1
	v_cndmask_b32_e64 v54, -3, 0, vcc
	v_add_u32_e32 v90, v54, v56
	v_lshlrev_b32_e32 v91, 4, v90
	ds_read_b32 v54, v91 offset:24576
	s_waitcnt lgkmcnt(0)
	v_cmp_ne_u32_e32 vcc, v54, v63
	s_and_saveexec_b64 s[4:5], vcc
	s_cbranch_execz .LBB176_16
; %bb.14:                               ;   in Loop: Header=BB176_13 Depth=2
	s_mov_b64 s[6:7], 0
.LBB176_15:                             ;   Parent Loop BB176_7 Depth=1
                                        ;     Parent Loop BB176_13 Depth=2
                                        ; =>    This Inner Loop Header: Depth=3
	;;#ASMSTART
	s_sleep 0
	;;#ASMEND
	ds_read_b32 v54, v91 offset:24576
	s_waitcnt lgkmcnt(0)
	v_cmp_eq_u32_e32 vcc, v54, v63
	s_or_b64 s[6:7], vcc, s[6:7]
	s_andn2_b64 exec, exec, s[6:7]
	s_cbranch_execnz .LBB176_15
.LBB176_16:                             ;   in Loop: Header=BB176_13 Depth=2
	s_or_b64 exec, exec, s[4:5]
	v_lshl_or_b32 v54, v90, 11, v65
	ds_read2_b32 v[60:61], v54 offset1:32
	ds_read2_b32 v[58:59], v54 offset0:128 offset1:160
	v_add_u32_e32 v54, 0x400, v54
	ds_read2_b32 v[56:57], v54 offset1:32
	ds_read_b32 v93, v91 offset:24580
	ds_read2_b32 v[54:55], v54 offset0:128 offset1:160
	v_add_u32_e32 v92, 1, v63
	ds_write_b32 v91, v92 offset:24576
	s_waitcnt lgkmcnt(2)
	v_cmp_ne_u32_e32 vcc, v93, v63
	s_and_saveexec_b64 s[4:5], vcc
	s_cbranch_execz .LBB176_19
; %bb.17:                               ;   in Loop: Header=BB176_13 Depth=2
	s_mov_b64 s[6:7], 0
.LBB176_18:                             ;   Parent Loop BB176_7 Depth=1
                                        ;     Parent Loop BB176_13 Depth=2
                                        ; =>    This Inner Loop Header: Depth=3
	;;#ASMSTART
	s_sleep 0
	;;#ASMEND
	ds_read_b32 v93, v91 offset:24580
	s_waitcnt lgkmcnt(0)
	v_cmp_eq_u32_e32 vcc, v93, v63
	s_or_b64 s[6:7], vcc, s[6:7]
	s_andn2_b64 exec, exec, s[6:7]
	s_cbranch_execnz .LBB176_18
.LBB176_19:                             ;   in Loop: Header=BB176_13 Depth=2
	s_or_b64 exec, exec, s[4:5]
	v_lshlrev_b32_e32 v93, 12, v90
	v_add_u32_e32 v93, v66, v93
	ds_read2_b32 v[94:95], v93 offset1:32
	v_add_u32_e32 v96, 0x400, v93
	ds_write_b32 v91, v92 offset:24580
	s_waitcnt lgkmcnt(1)
	v_mfma_f32_32x32x16_fp8_fp8 v[16:31], v[60:61], v[94:95], v[16:31]
	ds_read2_b32 v[94:95], v93 offset0:128 offset1:160
	s_waitcnt lgkmcnt(0)
	v_mfma_f32_32x32x16_fp8_fp8 v[16:31], v[58:59], v[94:95], v[16:31]
	ds_read2_b32 v[94:95], v96 offset1:32
	s_waitcnt lgkmcnt(0)
	v_mfma_f32_32x32x16_fp8_fp8 v[16:31], v[56:57], v[94:95], v[16:31]
	ds_read2_b32 v[94:95], v96 offset0:128 offset1:160
	ds_read_b32 v96, v91 offset:24588
	s_waitcnt lgkmcnt(0)
	v_cmp_ne_u32_e32 vcc, v96, v63
	v_mfma_f32_32x32x16_fp8_fp8 v[16:31], v[54:55], v[94:95], v[16:31]
	s_and_saveexec_b64 s[4:5], vcc
	s_cbranch_execz .LBB176_12
; %bb.20:                               ;   in Loop: Header=BB176_13 Depth=2
	s_mov_b64 s[6:7], 0
.LBB176_21:                             ;   Parent Loop BB176_7 Depth=1
                                        ;     Parent Loop BB176_13 Depth=2
                                        ; =>    This Inner Loop Header: Depth=3
	;;#ASMSTART
	s_sleep 0
	;;#ASMEND
	ds_read_b32 v94, v91 offset:24588
	s_waitcnt lgkmcnt(0)
	v_cmp_eq_u32_e32 vcc, v94, v63
	s_or_b64 s[6:7], vcc, s[6:7]
	s_andn2_b64 exec, exec, s[6:7]
	s_cbranch_execnz .LBB176_21
	s_branch .LBB176_12
.LBB176_22:                             ;   in Loop: Header=BB176_7 Depth=1
	s_or_b64 exec, exec, s[2:3]
.LBB176_23:                             ;   in Loop: Header=BB176_7 Depth=1
	v_writelane_b32 v99, s54, 28
	s_nop 1
	v_writelane_b32 v99, s55, 29
	v_writelane_b32 v99, s38, 30
	s_nop 1
	v_writelane_b32 v99, s39, 31
	v_writelane_b32 v99, s53, 32
	;; [unrolled: 1-line block ×4, first 2 shown]
	s_or_b64 exec, exec, s[0:1]
	v_cmp_le_i32_e32 vcc, s90, v64
	v_cmp_eq_u32_e64 s[86:87], 1, v67
	v_cmp_eq_u32_e64 s[50:51], 2, v67
	s_waitcnt vmcnt(0)
	v_cndmask_b32_e32 v54, 0, v89, vcc
	v_pk_mul_f32 v[16:17], v[54:55], v[16:17] op_sel_hi:[0,1]
	v_pk_mul_f32 v[30:31], v[54:55], v[30:31] op_sel_hi:[0,1]
	;; [unrolled: 1-line block ×8, first 2 shown]
	v_cndmask_b32_e64 v54, v16, v17, s[86:87]
	v_cndmask_b32_e64 v54, v54, v18, s[50:51]
	v_cmp_eq_u32_e64 s[52:53], 3, v67
	v_cmp_eq_u32_e64 s[56:57], 4, v67
	v_cmp_eq_u32_e64 s[60:61], 5, v67
	v_cndmask_b32_e64 v54, v54, v19, s[52:53]
	v_cndmask_b32_e64 v54, v54, v20, s[56:57]
	v_cndmask_b32_e64 v54, v54, v21, s[60:61]
	v_cmp_eq_u32_e64 s[64:65], 6, v67
	v_cmp_eq_u32_e64 s[68:69], 7, v67
	v_cmp_eq_u32_e64 s[72:73], 8, v67
	v_cndmask_b32_e64 v54, v54, v22, s[64:65]
	;; [unrolled: 6-line block ×5, first 2 shown]
	ds_bpermute_b32 v54, v87, v54
	v_cmp_eq_u32_e64 s[26:27], 2, v68
	v_cmp_eq_u32_e64 s[28:29], 3, v68
	;; [unrolled: 1-line block ×4, first 2 shown]
	s_waitcnt lgkmcnt(0)
	v_cndmask_b32_e64 v17, v17, v54, s[86:87]
	v_cndmask_b32_e64 v16, v16, v54, s[70:71]
	;; [unrolled: 1-line block ×12, first 2 shown]
	v_cmp_eq_u32_e64 s[36:37], 6, v68
	v_cndmask_b32_e64 v57, v23, v54, s[68:69]
	v_cmp_eq_u32_e64 s[38:39], 7, v68
	v_cndmask_b32_e64 v18, v18, v58, s[36:37]
	v_cndmask_b32_e64 v55, v24, v54, s[72:73]
	v_cndmask_b32_e64 v18, v18, v57, s[38:39]
	v_cmp_eq_u32_e64 s[42:43], 8, v68
	v_cndmask_b32_e64 v25, v25, v54, s[74:75]
	v_cmp_eq_u32_e64 s[44:45], 9, v68
	v_cndmask_b32_e64 v18, v18, v55, s[42:43]
	v_cndmask_b32_e64 v26, v26, v54, s[76:77]
	v_cndmask_b32_e64 v18, v18, v25, s[44:45]
	;; [unrolled: 6-line block ×4, first 2 shown]
	v_cmp_eq_u32_e64 s[62:63], 14, v68
	v_cndmask_b32_e64 v31, v31, v54, s[88:89]
	v_cmp_eq_u32_e64 s[66:67], 15, v68
	v_cndmask_b32_e64 v18, v18, v30, s[62:63]
	v_cmp_le_i32_e64 s[90:91], s90, v75
	v_cndmask_b32_e64 v18, v18, v31, s[66:67]
	ds_bpermute_b32 v54, v87, v18
	v_cmp_eq_u32_e64 s[40:41], 0, v68
	v_cmp_eq_u32_e64 s[2:3], 1, v69
	;; [unrolled: 1-line block ×4, first 2 shown]
	s_waitcnt lgkmcnt(0)
	v_cndmask_b32_e64 v22, v27, v54, s[48:49]
	v_cndmask_b32_e64 v27, v58, v54, s[36:37]
	;; [unrolled: 1-line block ×3, first 2 shown]
	v_pk_mul_f32 v[0:1], v[58:59], v[0:1] op_sel_hi:[0,1]
	v_cndmask_b32_e64 v24, v25, v54, s[44:45]
	v_cndmask_b32_e64 v25, v55, v54, s[42:43]
	v_pk_mul_f32 v[2:3], v[58:59], v[2:3] op_sel_hi:[0,1]
	v_cndmask_b32_e64 v55, v0, v1, s[86:87]
	v_cndmask_b32_e64 v55, v55, v2, s[50:51]
	;; [unrolled: 3-line block ×6, first 2 shown]
	v_cndmask_b32_e64 v17, v17, v54, s[24:25]
	v_cndmask_b32_e64 v16, v16, v54, s[40:41]
	v_pk_mul_f32 v[12:13], v[58:59], v[12:13] op_sel_hi:[0,1]
	v_cndmask_b32_e64 v55, v55, v11, s[78:79]
	v_cndmask_b32_e64 v18, v31, v54, s[66:67]
	;; [unrolled: 1-line block ×14, first 2 shown]
	v_pk_mul_f32 v[14:15], v[58:59], v[14:15] op_sel_hi:[0,1]
	v_cndmask_b32_e64 v55, v55, v13, s[82:83]
	v_cndmask_b32_e64 v54, v54, v30, s[8:9]
	v_cmp_eq_u32_e64 s[10:11], 4, v69
	v_cndmask_b32_e64 v55, v55, v14, s[84:85]
	v_cmp_eq_u32_e64 s[12:13], 5, v69
	v_cndmask_b32_e64 v54, v54, v29, s[10:11]
	v_cndmask_b32_e64 v55, v55, v15, s[88:89]
	;; [unrolled: 1-line block ×3, first 2 shown]
	v_cmp_eq_u32_e64 s[14:15], 6, v69
	ds_bpermute_b32 v55, v87, v55
	v_cmp_eq_u32_e64 s[96:97], 7, v69
	v_cndmask_b32_e64 v54, v54, v27, s[14:15]
	v_cmp_eq_u32_e64 s[4:5], 8, v69
	v_cndmask_b32_e64 v54, v54, v26, s[96:97]
	v_cmp_eq_u32_e32 vcc, 9, v69
	v_cndmask_b32_e64 v54, v54, v25, s[4:5]
	v_cmp_eq_u32_e64 s[0:1], 10, v69
	v_cndmask_b32_e32 v54, v54, v24, vcc
	v_cmp_eq_u32_e64 s[86:87], 11, v69
	v_cndmask_b32_e64 v54, v54, v23, s[0:1]
	s_waitcnt lgkmcnt(0)
	v_cndmask_b32_e64 v2, v2, v55, s[50:51]
	v_cmp_ne_u32_e64 s[50:51], 0, v67
	v_cndmask_b32_e64 v54, v54, v22, s[86:87]
	v_cmp_eq_u32_e64 s[90:91], 12, v69
	v_cndmask_b32_e64 v1, v1, v55, s[50:51]
	v_cndmask_b32_e64 v0, v0, v55, s[70:71]
	;; [unrolled: 1-line block ×4, first 2 shown]
	v_cmp_eq_u32_e64 s[88:89], 13, v69
	v_cndmask_b32_e64 v14, v14, v55, s[84:85]
	v_cndmask_b32_e64 v13, v13, v55, s[82:83]
	v_cndmask_b32_e64 v12, v12, v55, s[80:81]
	v_cndmask_b32_e64 v11, v11, v55, s[78:79]
	v_cndmask_b32_e64 v10, v10, v55, s[76:77]
	v_cndmask_b32_e64 v9, v9, v55, s[74:75]
	v_cndmask_b32_e64 v8, v8, v55, s[72:73]
	v_cndmask_b32_e64 v7, v7, v55, s[68:69]
	v_cndmask_b32_e64 v6, v6, v55, s[64:65]
	v_cndmask_b32_e64 v5, v5, v55, s[60:61]
	v_cndmask_b32_e64 v4, v4, v55, s[56:57]
	v_cndmask_b32_e64 v3, v3, v55, s[52:53]
	v_cndmask_b32_e64 v55, v0, v1, s[24:25]
	v_cndmask_b32_e64 v54, v54, v20, s[88:89]
	v_cmp_eq_u32_e64 s[84:85], 14, v69
	v_cndmask_b32_e64 v55, v55, v2, s[26:27]
	v_cmp_eq_u32_e64 s[82:83], 15, v69
	v_cndmask_b32_e64 v54, v54, v19, s[84:85]
	v_cndmask_b32_e64 v55, v55, v3, s[28:29]
	;; [unrolled: 1-line block ×4, first 2 shown]
	ds_bpermute_b32 v54, v87, v54
	v_cndmask_b32_e64 v55, v55, v5, s[34:35]
	v_cndmask_b32_e64 v55, v55, v6, s[36:37]
	;; [unrolled: 1-line block ×4, first 2 shown]
	v_cmp_eq_u32_e64 s[80:81], 0, v69
	v_cndmask_b32_e64 v55, v55, v9, s[44:45]
	s_waitcnt lgkmcnt(0)
	v_cndmask_b32_e64 v17, v17, v54, s[2:3]
	v_cndmask_b32_e64 v16, v16, v54, s[80:81]
	v_cmp_eq_u32_e64 s[78:79], 1, v70
	v_cndmask_b32_e64 v55, v55, v10, s[46:47]
	v_cndmask_b32_e64 v18, v18, v54, s[82:83]
	;; [unrolled: 1-line block ×7, first 2 shown]
	v_cndmask_b32_e32 v24, v24, v54, vcc
	v_cndmask_b32_e64 v25, v25, v54, s[4:5]
	v_cndmask_b32_e64 v26, v26, v54, s[96:97]
	;; [unrolled: 1-line block ×8, first 2 shown]
	v_cmp_eq_u32_e64 s[76:77], 2, v70
	v_cndmask_b32_e64 v55, v55, v11, s[48:49]
	v_cmp_eq_u32_e64 s[74:75], 3, v70
	v_cndmask_b32_e64 v54, v54, v31, s[76:77]
	v_cndmask_b32_e64 v55, v55, v12, s[54:55]
	;; [unrolled: 1-line block ×3, first 2 shown]
	v_cmp_eq_u32_e64 s[72:73], 4, v70
	v_cndmask_b32_e64 v55, v55, v13, s[58:59]
	v_cmp_eq_u32_e64 s[68:69], 5, v70
	v_cndmask_b32_e64 v54, v54, v29, s[72:73]
	v_cndmask_b32_e64 v55, v55, v14, s[62:63]
	v_cndmask_b32_e64 v54, v54, v28, s[68:69]
	v_cmp_eq_u32_e64 s[64:65], 6, v70
	v_cndmask_b32_e64 v55, v55, v15, s[66:67]
	v_cmp_eq_u32_e64 s[60:61], 7, v70
	v_cndmask_b32_e64 v54, v54, v27, s[64:65]
	ds_bpermute_b32 v55, v87, v55
	v_cndmask_b32_e64 v54, v54, v26, s[60:61]
	v_cmp_eq_u32_e64 s[56:57], 8, v70
	v_cmp_eq_u32_e64 s[52:53], 9, v70
	;; [unrolled: 1-line block ×3, first 2 shown]
	v_cndmask_b32_e64 v54, v54, v25, s[56:57]
	v_cndmask_b32_e64 v54, v54, v24, s[52:53]
	;; [unrolled: 1-line block ×3, first 2 shown]
	v_cmp_eq_u32_e64 s[70:71], 11, v70
	s_waitcnt lgkmcnt(0)
	v_cndmask_b32_e64 v15, v15, v55, s[66:67]
	v_cmp_eq_u32_e64 s[66:67], 12, v70
	v_cndmask_b32_e64 v54, v54, v22, s[70:71]
	v_cndmask_b32_e64 v14, v14, v55, s[62:63]
	v_cndmask_b32_e64 v54, v54, v21, s[66:67]
	v_cmp_eq_u32_e64 s[62:63], 13, v70
	v_cndmask_b32_e64 v1, v1, v55, s[24:25]
	v_cndmask_b32_e64 v0, v0, v55, s[40:41]
	;; [unrolled: 1-line block ×4, first 2 shown]
	v_cmp_eq_u32_e64 s[92:93], 14, v70
	v_cndmask_b32_e64 v12, v12, v55, s[54:55]
	v_cndmask_b32_e64 v11, v11, v55, s[48:49]
	;; [unrolled: 1-line block ×13, first 2 shown]
	v_cmp_eq_u32_e64 s[94:95], 15, v70
	v_cndmask_b32_e64 v55, v55, v2, s[6:7]
	v_cndmask_b32_e64 v55, v55, v3, s[8:9]
	;; [unrolled: 1-line block ×3, first 2 shown]
	ds_bpermute_b32 v54, v87, v54
	v_cndmask_b32_e64 v55, v55, v4, s[10:11]
	v_cndmask_b32_e64 v55, v55, v5, s[12:13]
	;; [unrolled: 1-line block ×4, first 2 shown]
	v_cmp_eq_u32_e64 s[48:49], 0, v70
	v_cndmask_b32_e64 v55, v55, v8, s[4:5]
	s_waitcnt lgkmcnt(0)
	v_cndmask_b32_e64 v17, v17, v54, s[78:79]
	v_cndmask_b32_e64 v16, v16, v54, s[48:49]
	v_cmp_eq_u32_e64 s[46:47], 1, v71
	v_cndmask_b32_e32 v55, v55, v9, vcc
	v_cndmask_b32_e64 v18, v18, v54, s[94:95]
	v_cndmask_b32_e64 v19, v19, v54, s[92:93]
	;; [unrolled: 1-line block ×15, first 2 shown]
	v_cmp_eq_u32_e64 s[44:45], 2, v71
	v_cndmask_b32_e64 v55, v55, v10, s[0:1]
	v_cmp_eq_u32_e64 s[42:43], 3, v71
	v_cndmask_b32_e64 v54, v54, v31, s[44:45]
	v_cndmask_b32_e64 v55, v55, v11, s[86:87]
	v_cndmask_b32_e64 v54, v54, v30, s[42:43]
	v_cmp_eq_u32_e64 s[38:39], 4, v71
	v_cndmask_b32_e64 v55, v55, v12, s[90:91]
	v_cmp_eq_u32_e64 s[36:37], 5, v71
	v_cndmask_b32_e64 v54, v54, v29, s[38:39]
	v_cndmask_b32_e64 v55, v55, v13, s[88:89]
	v_cndmask_b32_e64 v54, v54, v28, s[36:37]
	;; [unrolled: 6-line block ×3, first 2 shown]
	v_cmp_eq_u32_e64 s[28:29], 8, v71
	ds_bpermute_b32 v55, v87, v55
	v_cmp_eq_u32_e64 s[26:27], 9, v71
	v_cndmask_b32_e64 v54, v54, v25, s[28:29]
	v_cmp_eq_u32_e64 s[24:25], 10, v71
	v_cndmask_b32_e64 v54, v54, v24, s[26:27]
	;; [unrolled: 2-line block ×4, first 2 shown]
	s_waitcnt lgkmcnt(0)
	v_cndmask_b32_e64 v15, v15, v55, s[82:83]
	v_cndmask_b32_e64 v54, v54, v21, s[58:59]
	v_cmp_eq_u32_e64 s[82:83], 13, v71
	v_cndmask_b32_e64 v14, v14, v55, s[84:85]
	v_cmp_eq_u32_e64 s[84:85], 14, v71
	v_cndmask_b32_e64 v54, v54, v20, s[82:83]
	v_cndmask_b32_e64 v1, v1, v55, s[2:3]
	;; [unrolled: 1-line block ×6, first 2 shown]
	v_cmp_eq_u32_e64 s[90:91], 15, v71
	v_cndmask_b32_e64 v11, v11, v55, s[86:87]
	v_cndmask_b32_e64 v10, v10, v55, s[0:1]
	v_cndmask_b32_e32 v9, v9, v55, vcc
	v_cndmask_b32_e64 v8, v8, v55, s[4:5]
	v_cndmask_b32_e64 v7, v7, v55, s[96:97]
	;; [unrolled: 1-line block ×10, first 2 shown]
	ds_bpermute_b32 v54, v87, v54
	v_cndmask_b32_e64 v55, v55, v3, s[74:75]
	v_cndmask_b32_e64 v55, v55, v4, s[72:73]
	v_cndmask_b32_e64 v55, v55, v5, s[68:69]
	v_cmp_eq_u32_e64 s[54:55], 0, v71
	v_cndmask_b32_e64 v55, v55, v6, s[64:65]
	v_cndmask_b32_e64 v55, v55, v7, s[60:61]
	v_writelane_b32 v99, s54, 35
	s_waitcnt lgkmcnt(0)
	v_cndmask_b32_e64 v17, v17, v54, s[46:47]
	v_cndmask_b32_e64 v55, v55, v8, s[56:57]
	v_writelane_b32 v99, s55, 36
	v_cndmask_b32_e64 v16, v16, v54, s[54:55]
	v_cmp_eq_u32_e64 s[54:55], 1, v72
	v_cndmask_b32_e64 v18, v18, v54, s[90:91]
	v_cndmask_b32_e64 v19, v19, v54, s[84:85]
	;; [unrolled: 1-line block ×15, first 2 shown]
	v_cmp_eq_u32_e64 s[0:1], 2, v72
	v_cndmask_b32_e64 v55, v55, v9, s[52:53]
	v_cmp_eq_u32_e64 s[4:5], 3, v72
	v_cndmask_b32_e64 v54, v54, v31, s[0:1]
	v_cndmask_b32_e64 v55, v55, v10, s[50:51]
	v_cndmask_b32_e64 v54, v54, v30, s[4:5]
	v_cmp_eq_u32_e64 s[96:97], 4, v72
	v_cndmask_b32_e64 v55, v55, v11, s[70:71]
	v_cmp_eq_u32_e64 s[14:15], 5, v72
	v_cndmask_b32_e64 v54, v54, v29, s[96:97]
	v_cndmask_b32_e64 v55, v55, v12, s[66:67]
	v_cndmask_b32_e64 v54, v54, v28, s[14:15]
	;; [unrolled: 6-line block ×3, first 2 shown]
	v_cmp_eq_u32_e64 s[8:9], 8, v72
	v_cndmask_b32_e64 v55, v55, v15, s[94:95]
	v_cmp_eq_u32_e64 s[6:7], 9, v72
	v_cndmask_b32_e64 v54, v54, v25, s[8:9]
	ds_bpermute_b32 v55, v87, v55
	v_cndmask_b32_e64 v54, v54, v24, s[6:7]
	v_cmp_eq_u32_e32 vcc, 10, v72
	v_cmp_eq_u32_e64 s[80:81], 11, v72
	v_cmp_eq_u32_e64 s[86:87], 12, v72
	v_cndmask_b32_e32 v54, v54, v23, vcc
	v_cndmask_b32_e64 v54, v54, v22, s[80:81]
	v_cndmask_b32_e64 v54, v54, v21, s[86:87]
	v_cmp_eq_u32_e64 s[88:89], 13, v72
	s_waitcnt lgkmcnt(0)
	v_cndmask_b32_e64 v13, v13, v55, s[62:63]
	v_cmp_eq_u32_e64 s[62:63], 14, v72
	v_cndmask_b32_e64 v54, v54, v20, s[88:89]
	v_cndmask_b32_e64 v12, v12, v55, s[66:67]
	;; [unrolled: 1-line block ×3, first 2 shown]
	v_cmp_eq_u32_e64 s[66:67], 15, v72
	v_cndmask_b32_e64 v57, v11, v55, s[70:71]
	v_cmp_eq_u32_e64 s[70:71], 0, v72
	v_cndmask_b32_e64 v54, v54, v18, s[66:67]
	ds_bpermute_b32 v54, v87, v54
	v_cndmask_b32_e64 v15, v15, v55, s[94:95]
	v_cndmask_b32_e64 v14, v14, v55, s[92:93]
	;; [unrolled: 1-line block ×4, first 2 shown]
	s_waitcnt lgkmcnt(0)
	v_cndmask_b32_e64 v18, v18, v54, s[66:67]
	v_cndmask_b32_e64 v19, v19, v54, s[62:63]
	;; [unrolled: 1-line block ×5, first 2 shown]
	v_cndmask_b32_e32 v23, v23, v54, vcc
	v_cndmask_b32_e64 v24, v24, v54, s[6:7]
	v_cndmask_b32_e64 v25, v25, v54, s[8:9]
	;; [unrolled: 1-line block ×28, first 2 shown]
	v_cmp_eq_u32_e64 s[50:51], 1, v73
	v_cndmask_b32_e64 v0, v0, v54, s[24:25]
	v_cmp_eq_u32_e64 s[52:53], 2, v73
	v_cndmask_b32_e64 v10, v16, v17, s[50:51]
	v_cndmask_b32_e64 v0, v0, v57, s[40:41]
	v_cndmask_b32_e64 v9, v10, v31, s[52:53]
	v_cmp_eq_u32_e64 s[56:57], 3, v73
	v_cndmask_b32_e64 v0, v0, v12, s[58:59]
	v_cmp_eq_u32_e64 s[60:61], 4, v73
	v_cndmask_b32_e64 v8, v9, v30, s[56:57]
	v_cndmask_b32_e64 v0, v0, v13, s[82:83]
	v_cndmask_b32_e64 v7, v8, v29, s[60:61]
	;; [unrolled: 6-line block ×3, first 2 shown]
	v_cmp_eq_u32_e64 s[72:73], 7, v73
	ds_bpermute_b32 v94, v87, v0
	v_cmp_eq_u32_e64 s[74:75], 8, v73
	v_cndmask_b32_e64 v4, v5, v26, s[72:73]
	v_cmp_eq_u32_e64 s[76:77], 9, v73
	v_cndmask_b32_e64 v3, v4, v25, s[74:75]
	;; [unrolled: 2-line block ×4, first 2 shown]
	s_waitcnt lgkmcnt(0)
	v_cndmask_b32_e64 v95, v15, v94, s[90:91]
	v_cndmask_b32_e64 v0, v0, v22, s[78:79]
	v_cmp_eq_u32_e64 s[90:91], 12, v73
	v_cndmask_b32_e64 v96, v14, v94, s[84:85]
	v_cmp_eq_u32_e64 s[84:85], 13, v73
	v_cndmask_b32_e64 v0, v0, v21, s[90:91]
	v_cndmask_b32_e64 v97, v13, v94, s[82:83]
	;; [unrolled: 1-line block ×3, first 2 shown]
	v_cmp_eq_u32_e64 s[82:83], 14, v73
	v_cndmask_b32_e64 v98, v12, v94, s[58:59]
	v_cmp_eq_u32_e64 s[58:59], 15, v73
	v_cndmask_b32_e64 v0, v0, v19, s[82:83]
	v_readlane_b32 s2, v99, 35
	v_cndmask_b32_e64 v0, v0, v18, s[58:59]
	ds_bpermute_b32 v1, v87, v0
	v_readlane_b32 s3, v99, 36
	s_waitcnt lgkmcnt(0)
	v_cndmask_b32_e64 v11, v27, v1, s[68:69]
	v_cndmask_b32_e64 v12, v28, v1, s[64:65]
	;; [unrolled: 1-line block ×4, first 2 shown]
	s_mov_b64 s[2:3], s[54:55]
	v_cndmask_b32_e64 v10, v26, v1, s[72:73]
	v_cndmask_b32_e64 v13, v29, v1, s[60:61]
	;; [unrolled: 1-line block ×25, first 2 shown]
	v_cmp_eq_u32_e64 s[40:41], 0, v73
	v_cndmask_b32_e64 v19, v58, v94, s[26:27]
	v_cndmask_b32_e64 v29, v29, v20, s[8:9]
	;; [unrolled: 1-line block ×8, first 2 shown]
	v_cndmask_b32_e32 v29, v29, v16, vcc
	v_cndmask_b32_e64 v29, v29, v17, s[80:81]
	v_cndmask_b32_e64 v29, v29, v98, s[86:87]
	;; [unrolled: 1-line block ×5, first 2 shown]
	ds_bpermute_b32 v29, v87, v29
	v_cmp_eq_u32_e64 s[24:25], 1, v74
	v_cmp_eq_u32_e64 s[26:27], 2, v74
	;; [unrolled: 1-line block ×3, first 2 shown]
	v_cndmask_b32_e64 v18, v1, v0, s[24:25]
	s_waitcnt lgkmcnt(0)
	v_cndmask_b32_e64 v92, v27, v29, s[2:3]
	v_cndmask_b32_e64 v93, v28, v29, s[70:71]
	;; [unrolled: 1-line block ×18, first 2 shown]
	v_cndmask_b32_e32 v16, v16, v29, vcc
	v_cndmask_b32_e64 v19, v19, v57, s[76:77]
	v_cndmask_b32_e64 v17, v17, v29, s[80:81]
	;; [unrolled: 1-line block ×12, first 2 shown]
	ds_bpermute_b32 v94, v87, v19
	v_cndmask_b32_e64 v18, v18, v15, s[26:27]
	v_cndmask_b32_e64 v18, v18, v14, s[28:29]
	v_cmp_eq_u32_e64 s[30:31], 4, v74
	v_cmp_eq_u32_e64 s[34:35], 5, v74
	s_waitcnt lgkmcnt(0)
	v_cndmask_b32_e64 v23, v17, v94, s[78:79]
	v_cndmask_b32_e64 v24, v16, v94, s[48:49]
	;; [unrolled: 1-line block ×18, first 2 shown]
	v_cmp_eq_u32_e64 s[36:37], 6, v74
	v_cndmask_b32_e64 v28, v60, v94, s[68:69]
	v_cndmask_b32_e64 v55, v55, v29, s[34:35]
	v_cndmask_b32_e64 v18, v18, v11, s[36:37]
	v_cmp_eq_u32_e64 s[38:39], 7, v74
	v_cndmask_b32_e64 v27, v59, v94, s[72:73]
	v_cndmask_b32_e64 v55, v55, v28, s[36:37]
	v_cndmask_b32_e64 v18, v18, v10, s[38:39]
	;; [unrolled: 4-line block ×4, first 2 shown]
	v_cmp_eq_u32_e64 s[46:47], 10, v74
	v_cndmask_b32_e64 v55, v55, v25, s[44:45]
	v_cmp_eq_u32_e64 s[54:55], 11, v74
	v_cndmask_b32_e64 v18, v18, v7, s[46:47]
	v_cndmask_b32_e64 v55, v55, v24, s[46:47]
	;; [unrolled: 1-line block ×3, first 2 shown]
	v_cmp_eq_u32_e64 s[66:67], 12, v74
	v_cndmask_b32_e64 v55, v55, v23, s[54:55]
	v_cmp_eq_u32_e64 s[62:63], 13, v74
	v_cndmask_b32_e64 v18, v18, v5, s[66:67]
	v_cndmask_b32_e64 v55, v55, v22, s[66:67]
	;; [unrolled: 1-line block ×3, first 2 shown]
	v_cmp_eq_u32_e32 vcc, 14, v74
	v_cndmask_b32_e64 v55, v55, v21, s[62:63]
	v_cmp_eq_u32_e64 s[6:7], 15, v74
	v_cndmask_b32_e32 v18, v18, v3, vcc
	v_cndmask_b32_e32 v55, v55, v20, vcc
	v_cndmask_b32_e64 v18, v18, v2, s[6:7]
	v_cndmask_b32_e64 v55, v55, v19, s[6:7]
	ds_bpermute_b32 v18, v87, v18
	ds_bpermute_b32 v58, v87, v55
	v_readlane_b32 s53, v99, 32
	s_nop 1
	v_cmp_lt_i32_e32 vcc, s53, v76
	s_and_saveexec_b64 s[40:41], vcc
	v_readlane_b32 s44, v99, 2
	v_readlane_b32 s45, v99, 3
	;; [unrolled: 1-line block ×11, first 2 shown]
	s_cbranch_execz .LBB176_32
; %bb.24:                               ;   in Loop: Header=BB176_7 Depth=1
	s_mul_i32 s0, s52, s17
	s_ashr_i32 s1, s0, 31
	s_lshl_b64 s[0:1], s[0:1], 1
	s_add_u32 s2, s48, s0
	v_cmp_eq_u32_e64 s[34:35], 1, v74
	v_cmp_eq_u32_e64 s[36:37], 0, v74
	s_addc_u32 s3, s49, s1
	s_ashr_i32 s55, s54, 31
	s_waitcnt lgkmcnt(1)
	v_cndmask_b32_e64 v55, v0, v18, s[34:35]
	v_cndmask_b32_e64 v57, v1, v18, s[36:37]
	s_lshl_b64 s[0:1], s[54:55], 1
	s_waitcnt lgkmcnt(0)
	v_cndmask_b32_e64 v59, v16, v58, s[34:35]
	v_cndmask_b32_e64 v60, v17, v58, s[36:37]
	v_cvt_f16_f32_e32 v57, v57
	v_cvt_f16_f32_sdwa v55, v55 dst_sel:WORD_1 dst_unused:UNUSED_PAD src0_sel:DWORD
	s_add_u32 s42, s2, s0
	v_cvt_f16_f32_e32 v60, v60
	v_cvt_f16_f32_sdwa v59, v59 dst_sel:WORD_1 dst_unused:UNUSED_PAD src0_sel:DWORD
	s_addc_u32 s43, s3, s1
	v_lshl_add_u64 v[0:1], s[42:43], 0, v[32:33]
	v_cmp_eq_u32_e32 vcc, 15, v74
	v_cmp_eq_u32_e64 s[6:7], 14, v74
	v_cmp_eq_u32_e64 s[8:9], 13, v74
	;; [unrolled: 1-line block ×13, first 2 shown]
	v_lshl_add_u64 v[16:17], v[34:35], 1, v[0:1]
	v_or_b32_e32 v55, v55, v57
	v_cmp_lt_i32_e64 s[34:35], s53, v77
	;;#ASMSTART
	global_atomic_pk_add_f16 v[16:17], v55, off
	
	;;#ASMEND
	v_lshl_add_u64 v[16:17], v[16:17], 0, 64
	v_or_b32_e32 v55, v59, v60
	;;#ASMSTART
	global_atomic_pk_add_f16 v[16:17], v55, off
	
	;;#ASMEND
	s_and_b64 exec, exec, s[34:35]
	s_cbranch_execz .LBB176_32
; %bb.25:                               ;   in Loop: Header=BB176_7 Depth=1
	v_cndmask_b32_e32 v2, v2, v18, vcc
	v_cndmask_b32_e64 v3, v3, v18, s[6:7]
	v_cndmask_b32_e64 v16, v4, v18, s[8:9]
	;; [unrolled: 1-line block ×19, first 2 shown]
	v_cvt_f16_f32_e32 v22, v18
	v_cvt_f16_f32_sdwa v23, v92 dst_sel:WORD_1 dst_unused:UNUSED_PAD src0_sel:DWORD
	v_cvt_f16_f32_e32 v21, v21
	v_cvt_f16_f32_sdwa v20, v20 dst_sel:WORD_1 dst_unused:UNUSED_PAD src0_sel:DWORD
	v_cndmask_b32_e32 v4, v19, v58, vcc
	v_cndmask_b32_e64 v9, v24, v58, s[14:15]
	v_cndmask_b32_e64 v10, v25, v58, s[0:1]
	;; [unrolled: 1-line block ×7, first 2 shown]
	v_lshl_add_u64 v[18:19], v[36:37], 1, v[0:1]
	v_cmp_lt_i32_e32 vcc, s53, v78
	v_or_b32_e32 v22, v23, v22
	;;#ASMSTART
	global_atomic_pk_add_f16 v[18:19], v22, off
	
	;;#ASMEND
	v_lshl_add_u64 v[18:19], v[18:19], 0, 64
	v_or_b32_e32 v20, v20, v21
	;;#ASMSTART
	global_atomic_pk_add_f16 v[18:19], v20, off
	
	;;#ASMEND
	s_and_b64 exec, exec, vcc
	s_cbranch_execz .LBB176_32
; %bb.26:                               ;   in Loop: Header=BB176_7 Depth=1
	v_cvt_f16_f32_e32 v20, v91
	v_cvt_f16_f32_sdwa v21, v90 dst_sel:WORD_1 dst_unused:UNUSED_PAD src0_sel:DWORD
	v_cvt_f16_f32_e32 v22, v15
	v_cvt_f16_f32_sdwa v23, v14 dst_sel:WORD_1 dst_unused:UNUSED_PAD src0_sel:DWORD
	v_lshl_add_u64 v[18:19], v[38:39], 1, v[0:1]
	v_or_b32_e32 v14, v21, v20
	v_cmp_lt_i32_e32 vcc, s53, v79
	;;#ASMSTART
	global_atomic_pk_add_f16 v[18:19], v14, off
	
	;;#ASMEND
	v_lshl_add_u64 v[14:15], v[18:19], 0, 64
	v_or_b32_e32 v18, v23, v22
	;;#ASMSTART
	global_atomic_pk_add_f16 v[14:15], v18, off
	
	;;#ASMEND
	s_and_b64 exec, exec, vcc
	s_cbranch_execz .LBB176_32
; %bb.27:                               ;   in Loop: Header=BB176_7 Depth=1
	v_cvt_f16_f32_e32 v18, v89
	v_cvt_f16_f32_sdwa v19, v61 dst_sel:WORD_1 dst_unused:UNUSED_PAD src0_sel:DWORD
	v_cvt_f16_f32_e32 v20, v13
	v_cvt_f16_f32_sdwa v21, v12 dst_sel:WORD_1 dst_unused:UNUSED_PAD src0_sel:DWORD
	v_lshl_add_u64 v[14:15], v[40:41], 1, v[0:1]
	v_or_b32_e32 v12, v19, v18
	v_cmp_lt_i32_e32 vcc, s53, v80
	;; [unrolled: 20-line block ×5, first 2 shown]
	;;#ASMSTART
	global_atomic_pk_add_f16 v[8:9], v6, off
	
	;;#ASMEND
	v_lshl_add_u64 v[6:7], v[8:9], 0, 64
	v_or_b32_e32 v8, v13, v12
	;;#ASMSTART
	global_atomic_pk_add_f16 v[6:7], v8, off
	
	;;#ASMEND
	s_and_b64 exec, exec, vcc
	s_cbranch_execz .LBB176_32
; %bb.31:                               ;   in Loop: Header=BB176_7 Depth=1
	v_cvt_f16_f32_e32 v3, v3
	v_cvt_f16_f32_sdwa v2, v2 dst_sel:WORD_1 dst_unused:UNUSED_PAD src0_sel:DWORD
	v_cvt_f16_f32_e32 v5, v5
	v_cvt_f16_f32_sdwa v4, v4 dst_sel:WORD_1 dst_unused:UNUSED_PAD src0_sel:DWORD
	v_lshl_add_u64 v[0:1], v[48:49], 1, v[0:1]
	v_or_b32_e32 v2, v2, v3
	;;#ASMSTART
	global_atomic_pk_add_f16 v[0:1], v2, off
	
	;;#ASMEND
	v_lshl_add_u64 v[0:1], v[0:1], 0, 64
	v_or_b32_e32 v2, v4, v5
	;;#ASMSTART
	global_atomic_pk_add_f16 v[0:1], v2, off
	
	;;#ASMEND
.LBB176_32:                             ;   in Loop: Header=BB176_7 Depth=1
	s_or_b64 exec, exec, s[40:41]
	v_readlane_b32 s14, v99, 10
	v_readlane_b32 s24, v99, 12
	;; [unrolled: 1-line block ×6, first 2 shown]
	v_subrev_u32_e32 v88, s99, v88
	v_readlane_b32 s11, v99, 0
	v_readlane_b32 s12, v99, 1
	;; [unrolled: 1-line block ×17, first 2 shown]
.LBB176_33:                             ;   in Loop: Header=BB176_7 Depth=1
	s_or_b64 exec, exec, s[2:3]
.LBB176_34:                             ;   in Loop: Header=BB176_7 Depth=1
	s_andn2_saveexec_b64 s[0:1], s[4:5]
	s_cbranch_execz .LBB176_43
; %bb.35:                               ;   in Loop: Header=BB176_7 Depth=1
	s_lshl_b32 s10, s99, 1
	v_cmp_gt_i32_e32 vcc, s10, v88
	s_and_saveexec_b64 s[2:3], vcc
	s_cbranch_execz .LBB176_42
; %bb.36:                               ;   in Loop: Header=BB176_7 Depth=1
	s_mul_i32 s4, s54, s19
	s_ashr_i32 s5, s4, 31
	s_add_u32 s4, s46, s4
	s_addc_u32 s5, s47, s5
	s_ashr_i32 s6, s37, 31
	s_add_u32 s4, s4, s37
	s_addc_u32 s5, s5, s6
	v_lshl_add_u64 v[0:1], s[4:5], 0, v[52:53]
	v_lshl_add_u64 v[8:9], v[0:1], 0, v[50:51]
	s_mov_b64 s[4:5], 0
	s_branch .LBB176_38
.LBB176_37:                             ;   in Loop: Header=BB176_38 Depth=2
	s_or_b64 exec, exec, s[6:7]
	v_lshl_add_u32 v12, v10, 11, v84
	;;#ASMSTART
	s_waitcnt vmcnt(1)
	;;#ASMEND
	ds_write2_b32 v12, v4, v5 offset1:32
	ds_write2_b32 v12, v6, v7 offset0:64 offset1:96
	v_add_u32_e32 v4, 0x400, v12
	v_add_u32_e32 v88, s22, v88
	;;#ASMSTART
	s_waitcnt vmcnt(0)
	;;#ASMEND
	ds_write2_b32 v4, v0, v1 offset1:32
	ds_write2_b32 v4, v2, v3 offset0:64 offset1:96
	v_add_u32_e32 v0, 1, v63
	v_add_u32_e32 v56, s22, v10
	v_cmp_le_i32_e32 vcc, s10, v88
	ds_write_b32 v11, v0 offset:24
	v_add_u32_e32 v0, 2, v63
	s_or_b64 s[4:5], vcc, s[4:5]
	v_cmp_lt_i32_e32 vcc, 5, v56
	s_nop 1
	v_cndmask_b32_e32 v63, v63, v0, vcc
	s_andn2_b64 exec, exec, s[4:5]
	s_cbranch_execz .LBB176_41
.LBB176_38:                             ;   Parent Loop BB176_7 Depth=1
                                        ; =>  This Loop Header: Depth=2
                                        ;       Child Loop BB176_40 Depth 3
	v_cmp_gt_i32_e32 vcc, 6, v56
	s_nop 1
	v_cndmask_b32_e64 v0, -6, 0, vcc
	v_add_u32_e32 v10, v0, v56
	v_lshrrev_b32_e32 v0, 31, v88
	v_add_u32_e32 v0, v88, v0
	v_and_b32_e32 v1, -2, v0
	v_lshlrev_b32_e32 v0, 5, v0
	v_sub_u32_e32 v2, v88, v1
	v_and_b32_e32 v0, 0xffffffc0, v0
	v_ashrrev_i32_e32 v1, 31, v0
	v_mul_lo_u32 v2, s30, v2
	v_lshl_add_u64 v[0:1], v[8:9], 0, v[0:1]
	v_ashrrev_i32_e32 v3, 31, v2
	v_lshl_add_u64 v[0:1], v[0:1], 0, v[2:3]
	v_lshlrev_b32_e32 v11, 2, v10
	;;#ASMSTART
	global_load_dwordx4 v[4:7], v[0:1], off offset:0   sc0 sc1 nt  
	global_load_dwordx4 v[0:3], v[0:1], off offset:32  sc0 sc1 nt  
	
	;;#ASMEND
	ds_read_b32 v12, v11 offset:24600
	v_add_u32_e32 v11, 0x6000, v11
	s_waitcnt lgkmcnt(0)
	v_cmp_ne_u32_e32 vcc, v12, v63
	s_and_saveexec_b64 s[6:7], vcc
	s_cbranch_execz .LBB176_37
; %bb.39:                               ;   in Loop: Header=BB176_38 Depth=2
	s_mov_b64 s[8:9], 0
.LBB176_40:                             ;   Parent Loop BB176_7 Depth=1
                                        ;     Parent Loop BB176_38 Depth=2
                                        ; =>    This Inner Loop Header: Depth=3
	;;#ASMSTART
	s_sleep 0
	;;#ASMEND
	ds_read_b32 v12, v11 offset:24
	s_waitcnt lgkmcnt(0)
	v_cmp_eq_u32_e32 vcc, v12, v63
	s_or_b64 s[8:9], vcc, s[8:9]
	s_andn2_b64 exec, exec, s[8:9]
	s_cbranch_execnz .LBB176_40
	s_branch .LBB176_37
.LBB176_41:                             ;   in Loop: Header=BB176_7 Depth=1
	s_or_b64 exec, exec, s[4:5]
.LBB176_42:                             ;   in Loop: Header=BB176_7 Depth=1
	s_or_b64 exec, exec, s[2:3]
	v_subrev_u32_e32 v88, s10, v88
.LBB176_43:                             ;   in Loop: Header=BB176_7 Depth=1
	s_or_b64 exec, exec, s[0:1]
.LBB176_44:                             ;   in Loop: Header=BB176_7 Depth=1
	s_andn2_saveexec_b64 s[0:1], s[38:39]
	s_cbranch_execz .LBB176_6
; %bb.45:                               ;   in Loop: Header=BB176_7 Depth=1
	s_lshl_b32 s10, s99, 1
	v_cmp_gt_i32_e32 vcc, s10, v88
	s_and_saveexec_b64 s[2:3], vcc
	s_cbranch_execz .LBB176_5
; %bb.46:                               ;   in Loop: Header=BB176_7 Depth=1
	s_mul_i32 s4, s52, s18
	s_max_i32 s6, s53, 0
	s_ashr_i32 s5, s4, 31
	s_add_u32 s4, s44, s4
	v_add_u32_e32 v2, s6, v64
	s_addc_u32 s5, s45, s5
	s_ashr_i32 s7, s37, 31
	v_cmp_gt_u32_e32 vcc, 64, v2
	s_add_u32 s4, s4, s37
	s_addc_u32 s5, s5, s7
	v_cndmask_b32_e32 v0, 0, v85, vcc
	v_ashrrev_i32_e32 v1, 31, v0
	v_lshl_add_u64 v[0:1], s[4:5], 0, v[0:1]
	v_lshl_add_u64 v[8:9], v[0:1], 0, v[50:51]
	v_sub_u32_e32 v10, 63, v2
	s_mov_b64 s[4:5], 0
	s_branch .LBB176_48
.LBB176_47:                             ;   in Loop: Header=BB176_48 Depth=2
	s_or_b64 exec, exec, s[6:7]
	v_lshl_or_b32 v13, v11, 11, v86
	;;#ASMSTART
	s_waitcnt vmcnt(1)
	;;#ASMEND
	ds_write2_b32 v13, v4, v5 offset1:32
	ds_write2_b32 v13, v6, v7 offset0:64 offset1:96
	v_add_u32_e32 v4, 0x400, v13
	v_add_u32_e32 v88, s21, v88
	;;#ASMSTART
	s_waitcnt vmcnt(0)
	;;#ASMEND
	ds_write2_b32 v4, v0, v1 offset1:32
	ds_write2_b32 v4, v2, v3 offset0:64 offset1:96
	v_add_u32_e32 v0, 1, v63
	v_add_u32_e32 v56, s21, v11
	v_cmp_le_i32_e32 vcc, s10, v88
	ds_write_b32 v12, v0
	v_add_u32_e32 v0, 2, v63
	s_or_b64 s[4:5], vcc, s[4:5]
	v_cmp_lt_i32_e32 vcc, 5, v56
	s_nop 1
	v_cndmask_b32_e32 v63, v63, v0, vcc
	s_andn2_b64 exec, exec, s[4:5]
	s_cbranch_execz .LBB176_4
.LBB176_48:                             ;   Parent Loop BB176_7 Depth=1
                                        ; =>  This Loop Header: Depth=2
                                        ;       Child Loop BB176_50 Depth 3
	v_cmp_gt_i32_e32 vcc, 6, v56
	s_nop 1
	v_cndmask_b32_e64 v0, -6, 0, vcc
	v_add_u32_e32 v11, v0, v56
	v_lshrrev_b32_e32 v0, 31, v88
	v_add_u32_e32 v0, v88, v0
	v_and_b32_e32 v1, 0x7fffffe, v0
	v_sub_u32_e32 v1, v88, v1
	v_lshlrev_b32_e32 v1, 5, v1
	v_cmp_le_i32_e32 vcc, v1, v10
	v_lshlrev_b32_e32 v0, 5, v0
	v_and_b32_e32 v0, 0xffffffc0, v0
	v_cndmask_b32_e32 v2, 0, v1, vcc
	v_ashrrev_i32_e32 v1, 31, v0
	v_mul_lo_u32 v2, v2, s18
	v_lshl_add_u64 v[0:1], v[8:9], 0, v[0:1]
	v_ashrrev_i32_e32 v3, 31, v2
	v_lshl_add_u64 v[0:1], v[0:1], 0, v[2:3]
	v_lshlrev_b32_e32 v12, 2, v11
	;;#ASMSTART
	global_load_dwordx4 v[4:7], v[0:1], off offset:0   
	global_load_dwordx4 v[0:3], v[0:1], off offset:32  
	
	;;#ASMEND
	ds_read_b32 v13, v12 offset:24576
	v_add_u32_e32 v12, 0x6000, v12
	s_waitcnt lgkmcnt(0)
	v_cmp_ne_u32_e32 vcc, v13, v63
	s_and_saveexec_b64 s[6:7], vcc
	s_cbranch_execz .LBB176_47
; %bb.49:                               ;   in Loop: Header=BB176_48 Depth=2
	s_mov_b64 s[8:9], 0
.LBB176_50:                             ;   Parent Loop BB176_7 Depth=1
                                        ;     Parent Loop BB176_48 Depth=2
                                        ; =>    This Inner Loop Header: Depth=3
	;;#ASMSTART
	s_sleep 0
	;;#ASMEND
	ds_read_b32 v13, v12
	s_waitcnt lgkmcnt(0)
	v_cmp_eq_u32_e32 vcc, v13, v63
	s_or_b64 s[8:9], vcc, s[8:9]
	s_andn2_b64 exec, exec, s[8:9]
	s_cbranch_execnz .LBB176_50
	s_branch .LBB176_47
.LBB176_51:
	s_endpgm
	.section	.rodata,"a",@progbits
	.p2align	6, 0x0
	.amdhsa_kernel _Z19_skinny_gemm_kernelILi2ELi2ELi3ELi32ELi4EEvPKhS1_P6__halfPKfiiiiiiii
		.amdhsa_group_segment_fixed_size 24624
		.amdhsa_private_segment_fixed_size 0
		.amdhsa_kernarg_size 64
		.amdhsa_user_sgpr_count 2
		.amdhsa_user_sgpr_dispatch_ptr 0
		.amdhsa_user_sgpr_queue_ptr 0
		.amdhsa_user_sgpr_kernarg_segment_ptr 1
		.amdhsa_user_sgpr_dispatch_id 0
		.amdhsa_user_sgpr_kernarg_preload_length 0
		.amdhsa_user_sgpr_kernarg_preload_offset 0
		.amdhsa_user_sgpr_private_segment_size 0
		.amdhsa_uses_dynamic_stack 0
		.amdhsa_enable_private_segment 0
		.amdhsa_system_sgpr_workgroup_id_x 1
		.amdhsa_system_sgpr_workgroup_id_y 0
		.amdhsa_system_sgpr_workgroup_id_z 0
		.amdhsa_system_sgpr_workgroup_info 0
		.amdhsa_system_vgpr_workitem_id 0
		.amdhsa_next_free_vgpr 100
		.amdhsa_next_free_sgpr 100
		.amdhsa_accum_offset 100
		.amdhsa_reserve_vcc 1
		.amdhsa_float_round_mode_32 0
		.amdhsa_float_round_mode_16_64 0
		.amdhsa_float_denorm_mode_32 3
		.amdhsa_float_denorm_mode_16_64 3
		.amdhsa_dx10_clamp 1
		.amdhsa_ieee_mode 1
		.amdhsa_fp16_overflow 0
		.amdhsa_tg_split 0
		.amdhsa_exception_fp_ieee_invalid_op 0
		.amdhsa_exception_fp_denorm_src 0
		.amdhsa_exception_fp_ieee_div_zero 0
		.amdhsa_exception_fp_ieee_overflow 0
		.amdhsa_exception_fp_ieee_underflow 0
		.amdhsa_exception_fp_ieee_inexact 0
		.amdhsa_exception_int_div_zero 0
	.end_amdhsa_kernel
	.section	.text._Z19_skinny_gemm_kernelILi2ELi2ELi3ELi32ELi4EEvPKhS1_P6__halfPKfiiiiiiii,"axG",@progbits,_Z19_skinny_gemm_kernelILi2ELi2ELi3ELi32ELi4EEvPKhS1_P6__halfPKfiiiiiiii,comdat
.Lfunc_end176:
	.size	_Z19_skinny_gemm_kernelILi2ELi2ELi3ELi32ELi4EEvPKhS1_P6__halfPKfiiiiiiii, .Lfunc_end176-_Z19_skinny_gemm_kernelILi2ELi2ELi3ELi32ELi4EEvPKhS1_P6__halfPKfiiiiiiii
                                        ; -- End function
	.set _Z19_skinny_gemm_kernelILi2ELi2ELi3ELi32ELi4EEvPKhS1_P6__halfPKfiiiiiiii.num_vgpr, 100
	.set _Z19_skinny_gemm_kernelILi2ELi2ELi3ELi32ELi4EEvPKhS1_P6__halfPKfiiiiiiii.num_agpr, 0
	.set _Z19_skinny_gemm_kernelILi2ELi2ELi3ELi32ELi4EEvPKhS1_P6__halfPKfiiiiiiii.numbered_sgpr, 100
	.set _Z19_skinny_gemm_kernelILi2ELi2ELi3ELi32ELi4EEvPKhS1_P6__halfPKfiiiiiiii.num_named_barrier, 0
	.set _Z19_skinny_gemm_kernelILi2ELi2ELi3ELi32ELi4EEvPKhS1_P6__halfPKfiiiiiiii.private_seg_size, 0
	.set _Z19_skinny_gemm_kernelILi2ELi2ELi3ELi32ELi4EEvPKhS1_P6__halfPKfiiiiiiii.uses_vcc, 1
	.set _Z19_skinny_gemm_kernelILi2ELi2ELi3ELi32ELi4EEvPKhS1_P6__halfPKfiiiiiiii.uses_flat_scratch, 0
	.set _Z19_skinny_gemm_kernelILi2ELi2ELi3ELi32ELi4EEvPKhS1_P6__halfPKfiiiiiiii.has_dyn_sized_stack, 0
	.set _Z19_skinny_gemm_kernelILi2ELi2ELi3ELi32ELi4EEvPKhS1_P6__halfPKfiiiiiiii.has_recursion, 0
	.set _Z19_skinny_gemm_kernelILi2ELi2ELi3ELi32ELi4EEvPKhS1_P6__halfPKfiiiiiiii.has_indirect_call, 0
	.section	.AMDGPU.csdata,"",@progbits
; Kernel info:
; codeLenInByte = 9648
; TotalNumSgprs: 106
; NumVgprs: 100
; NumAgprs: 0
; TotalNumVgprs: 100
; ScratchSize: 0
; MemoryBound: 0
; FloatMode: 240
; IeeeMode: 1
; LDSByteSize: 24624 bytes/workgroup (compile time only)
; SGPRBlocks: 13
; VGPRBlocks: 12
; NumSGPRsForWavesPerEU: 106
; NumVGPRsForWavesPerEU: 100
; AccumOffset: 100
; Occupancy: 4
; WaveLimiterHint : 0
; COMPUTE_PGM_RSRC2:SCRATCH_EN: 0
; COMPUTE_PGM_RSRC2:USER_SGPR: 2
; COMPUTE_PGM_RSRC2:TRAP_HANDLER: 0
; COMPUTE_PGM_RSRC2:TGID_X_EN: 1
; COMPUTE_PGM_RSRC2:TGID_Y_EN: 0
; COMPUTE_PGM_RSRC2:TGID_Z_EN: 0
; COMPUTE_PGM_RSRC2:TIDIG_COMP_CNT: 0
; COMPUTE_PGM_RSRC3_GFX90A:ACCUM_OFFSET: 24
; COMPUTE_PGM_RSRC3_GFX90A:TG_SPLIT: 0
	.section	.text._Z19_skinny_gemm_kernelILi2ELi2ELi3ELi32ELi8EEvPKhS1_P6__halfPKfiiiiiiii,"axG",@progbits,_Z19_skinny_gemm_kernelILi2ELi2ELi3ELi32ELi8EEvPKhS1_P6__halfPKfiiiiiiii,comdat
	.protected	_Z19_skinny_gemm_kernelILi2ELi2ELi3ELi32ELi8EEvPKhS1_P6__halfPKfiiiiiiii ; -- Begin function _Z19_skinny_gemm_kernelILi2ELi2ELi3ELi32ELi8EEvPKhS1_P6__halfPKfiiiiiiii
	.globl	_Z19_skinny_gemm_kernelILi2ELi2ELi3ELi32ELi8EEvPKhS1_P6__halfPKfiiiiiiii
	.p2align	8
	.type	_Z19_skinny_gemm_kernelILi2ELi2ELi3ELi32ELi8EEvPKhS1_P6__halfPKfiiiiiiii,@function
_Z19_skinny_gemm_kernelILi2ELi2ELi3ELi32ELi8EEvPKhS1_P6__halfPKfiiiiiiii: ; @_Z19_skinny_gemm_kernelILi2ELi2ELi3ELi32ELi8EEvPKhS1_P6__halfPKfiiiiiiii
; %bb.0:
	v_cmp_gt_u32_e32 vcc, 12, v0
	s_and_saveexec_b64 s[4:5], vcc
; %bb.1:
	v_lshlrev_b32_e32 v1, 2, v0
	v_mov_b32_e32 v2, 0
	ds_write_b32 v1, v2 offset:49152
; %bb.2:
	s_or_b64 exec, exec, s[4:5]
	s_load_dwordx8 s[16:23], s[0:1], 0x20
	s_waitcnt lgkmcnt(0)
	s_barrier
	s_add_i32 s3, s16, 63
	s_ashr_i32 s5, s3, 31
	s_add_i32 s4, s17, 63
	s_lshr_b32 s5, s5, 26
	s_ashr_i32 s6, s4, 31
	s_add_i32 s3, s3, s5
	s_ashr_i32 s11, s3, 6
	s_lshr_b32 s3, s6, 26
	s_add_i32 s4, s4, s3
	s_ashr_i32 s12, s4, 6
	s_mul_i32 s3, s12, s11
	s_mul_i32 s3, s3, s20
	s_add_i32 s4, s3, 0x12f
	s_mul_hi_i32 s4, s4, 0x6bca1af3
	s_lshr_b32 s5, s4, 31
	s_ashr_i32 s4, s4, 7
	s_add_i32 s4, s4, s5
	s_add_i32 s5, s2, 1
	s_mul_i32 s5, s4, s5
	v_cvt_f64_i32_e32 v[2:3], s3
	v_cvt_f64_u32_e32 v[4:5], s5
	v_min_f64 v[2:3], v[2:3], v[4:5]
	v_cvt_i32_f64_e32 v70, v[2:3]
	s_mul_i32 s33, s4, s2
	v_cmp_ge_i32_e32 vcc, s33, v70
	s_cbranch_vccnz .LBB177_51
; %bb.3:
	s_load_dwordx8 s[44:51], s[0:1], 0x0
	v_lshrrev_b32_e32 v1, 6, v0
	s_add_i32 s0, s22, s21
	v_cmp_le_i32_e64 s[14:15], s0, v1
	v_mov_b32_e32 v2, s21
	v_cmp_le_i32_e64 s[24:25], s21, v1
	v_mov_b32_e32 v3, s22
	v_cndmask_b32_e64 v3, 0, v3, s[14:15]
	v_cndmask_b32_e64 v2, 0, v2, s[24:25]
	s_abs_i32 s1, s20
	v_add_u32_e32 v2, v2, v3
	v_cvt_f32_u32_e32 v3, s1
	v_sub_u32_e32 v56, v1, v2
	s_ashr_i32 s2, s18, 31
	s_lshr_b32 s2, s2, 25
	v_rcp_iflag_f32_e32 v2, v3
	s_sub_i32 s5, 0, s1
	s_add_i32 s2, s18, s2
	s_ashr_i32 s2, s2, 7
	v_mul_f32_e32 v2, 0x4f7ffffe, v2
	v_cvt_u32_f32_e32 v2, v2
	s_abs_i32 s4, s2
	s_xor_b32 s3, s2, s20
	s_ashr_i32 s3, s3, 31
	v_readfirstlane_b32 s6, v2
	s_mul_i32 s5, s5, s6
	s_mul_hi_u32 s5, s6, s5
	s_add_i32 s6, s6, s5
	s_mul_hi_u32 s5, s4, s6
	s_mul_i32 s6, s5, s1
	s_sub_i32 s4, s4, s6
	s_add_i32 s6, s5, 1
	s_sub_i32 s7, s4, s1
	s_cmp_ge_u32 s4, s1
	s_cselect_b32 s5, s6, s5
	s_cselect_b32 s4, s7, s4
	s_add_i32 s6, s5, 1
	s_cmp_ge_u32 s4, s1
	s_cselect_b32 s1, s6, s5
	s_add_i32 s0, s0, s23
	v_and_b32_e32 v72, 31, v0
	v_lshrrev_b32_e32 v2, 3, v0
	v_cmp_gt_i32_e64 s[28:29], s0, v1
	v_lshlrev_b32_e32 v1, 2, v72
	v_and_b32_e32 v3, 4, v2
	v_and_b32_e32 v5, 1, v0
	v_lshlrev_b32_e32 v2, 6, v3
	v_or_b32_e32 v4, 0x6000, v1
	v_or_b32_e32 v3, v3, v5
	;; [unrolled: 1-line block ×4, first 2 shown]
	v_lshlrev_b32_e32 v2, 1, v5
	v_or_b32_e32 v5, 2, v3
	v_sub_u32_e32 v85, 32, v5
	v_or_b32_e32 v5, 8, v3
	v_sub_u32_e32 v86, 32, v5
	;; [unrolled: 2-line block ×3, first 2 shown]
	v_or_b32_e32 v5, 16, v3
                                        ; implicit-def: $vgpr105 : SGPR spill to VGPR lane
	v_sub_u32_e32 v88, 32, v5
	v_or_b32_e32 v5, 18, v3
	v_writelane_b32 v105, s11, 0
	v_sub_u32_e32 v84, 32, v3
	v_mul_lo_u32 v34, s17, v3
	v_sub_u32_e32 v89, 32, v5
	v_or_b32_e32 v5, 24, v3
	v_or_b32_e32 v3, 26, v3
	v_writelane_b32 v105, s12, 1
	v_sub_u32_e32 v91, 32, v3
	v_lshrrev_b32_e32 v3, 1, v0
	s_abs_i32 s30, s11
	s_waitcnt lgkmcnt(0)
	v_writelane_b32 v105, s44, 2
	v_and_b32_e32 v50, 16, v3
	v_cvt_f32_u32_e32 v3, s30
	v_writelane_b32 v105, s45, 3
	v_sub_u32_e32 v2, v0, v2
	v_writelane_b32 v105, s46, 4
	v_add_u32_e32 v2, 1, v2
	v_writelane_b32 v105, s47, 5
	v_and_b32_e32 v6, 63, v2
	v_bitop3_b32 v75, v0, 1, v0 bitop3:0xc
	v_bitop3_b32 v76, v0, 3, 1 bitop3:0x6c
	;; [unrolled: 1-line block ×8, first 2 shown]
	v_and_b32_e32 v2, 30, v0
	v_lshlrev_b32_e32 v0, 4, v0
	v_writelane_b32 v105, s48, 6
	v_and_b32_e32 v0, 0x200, v0
	v_rcp_iflag_f32_e32 v3, v3
	s_abs_i32 s34, s12
	v_writelane_b32 v105, s49, 7
	s_xor_b32 s1, s1, s3
	v_or_b32_e32 v94, v1, v0
	v_cvt_f32_u32_e32 v1, s34
	v_writelane_b32 v105, s50, 8
	s_sub_i32 s13, s1, s3
	s_add_i32 s26, s20, -1
	v_writelane_b32 v105, s51, 9
	v_cndmask_b32_e64 v71, 0, 1, s[14:15]
	s_mul_i32 s1, s13, s26
	s_lshl_b32 s0, s17, 1
	v_writelane_b32 v105, s14, 10
	s_sub_i32 s27, s2, s1
	v_add_u32_e32 v36, s0, v34
	s_mul_i32 s1, s17, 6
	v_or_b32_e32 v92, v4, v0
	v_mul_f32_e32 v0, 0x4f7ffffe, v3
	v_writelane_b32 v105, s15, 11
	v_add_u32_e32 v38, s1, v36
	v_cvt_u32_f32_e32 v0, v0
	v_rcp_iflag_f32_e32 v1, v1
	v_writelane_b32 v105, s24, 12
	v_add_u32_e32 v40, s0, v38
	v_add_u32_e32 v42, s1, v40
	v_writelane_b32 v105, s25, 13
	v_writelane_b32 v105, s13, 14
	v_add_u32_e32 v44, s0, v42
	v_writelane_b32 v105, s26, 15
	v_add_u32_e32 v46, s1, v44
	v_readfirstlane_b32 s1, v0
	v_mul_f32_e32 v0, 0x4f7ffffe, v1
	v_writelane_b32 v105, s27, 16
	v_cvt_u32_f32_e32 v0, v0
	v_writelane_b32 v105, s28, 17
	v_add_u32_e32 v48, s0, v46
	s_sub_i32 s0, 0, s30
	v_writelane_b32 v105, s29, 18
	s_lshl_b32 s31, s19, 5
	s_mul_i32 s0, s0, s1
	v_writelane_b32 v105, s30, 19
	s_mul_hi_u32 s0, s1, s0
	v_writelane_b32 v105, s31, 20
	s_ashr_i32 s35, s11, 31
	s_add_i32 s36, s1, s0
	s_sub_i32 s0, 0, s34
	v_readfirstlane_b32 s1, v0
	v_mbcnt_lo_u32_b32 v0, -1, 0
	v_writelane_b32 v105, s34, 21
	s_mul_i32 s0, s0, s1
	v_mbcnt_hi_u32_b32 v0, -1, v0
	v_writelane_b32 v105, s35, 22
	v_mov_b32_e32 v33, 0
	v_mul_lo_u32 v52, s19, v72
	s_ashr_i32 s37, s12, 31
	s_mul_hi_u32 s0, s1, s0
	v_and_or_b32 v0, v0, 64, v6
	v_writelane_b32 v105, s36, 23
	v_or_b32_e32 v83, 32, v72
	v_ashrrev_i32_e32 v35, 31, v34
	v_ashrrev_i32_e32 v37, 31, v36
	;; [unrolled: 1-line block ×6, first 2 shown]
	v_sub_u32_e32 v90, 32, v5
	v_ashrrev_i32_e32 v47, 31, v46
	v_ashrrev_i32_e32 v49, 31, v48
	;; [unrolled: 1-line block ×3, first 2 shown]
	v_mov_b32_e32 v51, v33
	v_mul_lo_u32 v93, s18, v72
	s_add_i32 s38, s1, s0
	v_lshlrev_b32_e32 v32, 1, v2
	v_lshlrev_b32_e32 v95, 2, v0
	v_mov_b32_e32 v96, v56
	v_writelane_b32 v105, s37, 24
	v_writelane_b32 v105, s38, 25
	s_branch .LBB177_7
.LBB177_4:                              ;   in Loop: Header=BB177_7 Depth=1
	s_or_b64 exec, exec, s[4:5]
.LBB177_5:                              ;   in Loop: Header=BB177_7 Depth=1
	s_or_b64 exec, exec, s[2:3]
	v_subrev_u32_e32 v96, s10, v96
.LBB177_6:                              ;   in Loop: Header=BB177_7 Depth=1
	s_or_b64 exec, exec, s[0:1]
	s_add_i32 s33, s33, 1
	v_cmp_ge_i32_e32 vcc, s33, v70
	s_cbranch_vccnz .LBB177_51
.LBB177_7:                              ; =>This Loop Header: Depth=1
                                        ;     Child Loop BB177_13 Depth 2
                                        ;       Child Loop BB177_15 Depth 3
                                        ;       Child Loop BB177_18 Depth 3
	;; [unrolled: 1-line block ×3, first 2 shown]
                                        ;     Child Loop BB177_38 Depth 2
                                        ;       Child Loop BB177_40 Depth 3
                                        ;     Child Loop BB177_48 Depth 2
                                        ;       Child Loop BB177_50 Depth 3
	s_abs_i32 s1, s33
	s_mul_hi_u32 s2, s1, s36
	s_mul_i32 s3, s2, s30
	s_ashr_i32 s0, s33, 31
	s_sub_i32 s1, s1, s3
	s_xor_b32 s0, s0, s35
	s_add_i32 s3, s2, 1
	s_sub_i32 s4, s1, s30
	s_cmp_ge_u32 s1, s30
	s_cselect_b32 s2, s3, s2
	s_cselect_b32 s1, s4, s1
	s_add_i32 s3, s2, 1
	s_cmp_ge_u32 s1, s30
	s_cselect_b32 s1, s3, s2
	s_xor_b32 s1, s1, s0
	s_sub_i32 s0, s1, s0
	s_abs_i32 s2, s0
	s_mul_i32 s1, s0, s11
	s_mul_hi_u32 s3, s2, s38
	s_sub_i32 s1, s33, s1
	s_mul_i32 s4, s3, s34
	s_lshl_b32 s52, s1, 6
	s_ashr_i32 s1, s0, 31
	s_sub_i32 s2, s2, s4
	s_xor_b32 s1, s1, s37
	s_add_i32 s4, s3, 1
	s_sub_i32 s5, s2, s34
	s_cmp_ge_u32 s2, s34
	s_cselect_b32 s3, s4, s3
	s_cselect_b32 s2, s5, s2
	s_add_i32 s4, s3, 1
	s_cmp_ge_u32 s2, s34
	s_cselect_b32 s2, s4, s3
	s_xor_b32 s2, s2, s1
	s_sub_i32 s1, s2, s1
	s_mul_i32 s2, s1, s13
	s_lshl_b32 s39, s2, 7
	s_cmp_eq_u32 s1, s26
	s_cselect_b32 s20, s27, s13
	s_sub_i32 s2, s52, s16
	s_add_i32 s53, s2, 64
	s_and_saveexec_b64 s[2:3], s[24:25]
	s_xor_b64 s[40:41], exec, s[2:3]
	s_cbranch_execz .LBB177_44
; %bb.8:                                ;   in Loop: Header=BB177_7 Depth=1
	s_mul_i32 s1, s1, s12
	s_sub_i32 s0, s0, s1
	s_lshl_b32 s0, s0, 6
	s_sub_i32 s90, s0, s17
	s_add_i32 s90, s90, 64
	s_max_i32 s1, s90, 0
	s_sub_i32 s54, s0, s1
	s_and_saveexec_b64 s[0:1], s[14:15]
	s_xor_b64 s[4:5], exec, s[0:1]
	s_cbranch_execz .LBB177_34
; %bb.9:                                ;   in Loop: Header=BB177_7 Depth=1
	s_and_saveexec_b64 s[2:3], s[28:29]
	s_cbranch_execz .LBB177_33
; %bb.10:                               ;   in Loop: Header=BB177_7 Depth=1
	global_load_dword v97, v33, s[50:51]
	v_writelane_b32 v105, s2, 26
	v_mov_b32_e32 v31, 0
	v_cmp_gt_i32_e32 vcc, s20, v96
	v_writelane_b32 v105, s3, 27
	v_writelane_b32 v105, s4, 28
	v_mov_b32_e32 v30, v31
	v_mov_b32_e32 v29, v31
	;; [unrolled: 1-line block ×12, first 2 shown]
	s_waitcnt lgkmcnt(1)
	v_mov_b32_e32 v18, v31
	v_mov_b32_e32 v17, v31
	;; [unrolled: 1-line block ×19, first 2 shown]
	v_writelane_b32 v105, s5, 29
	s_and_saveexec_b64 s[0:1], vcc
	s_cbranch_execz .LBB177_23
; %bb.11:                               ;   in Loop: Header=BB177_7 Depth=1
	v_mov_b32_e32 v0, 0
	s_mov_b64 s[2:3], 0
	v_mov_b32_e32 v1, v0
	v_mov_b32_e32 v2, v0
	;; [unrolled: 1-line block ×31, first 2 shown]
	s_branch .LBB177_13
.LBB177_12:                             ;   in Loop: Header=BB177_13 Depth=2
	s_or_b64 exec, exec, s[4:5]
	v_add_u32_e32 v104, 0x1000, v101
	ds_read2_b32 v[102:103], v104 offset1:32
	v_add_u32_e32 v96, s23, v96
	s_waitcnt lgkmcnt(0)
	v_mfma_f32_32x32x16_fp8_fp8 v[0:15], v[68:69], v[102:103], v[0:15]
	ds_read2_b32 v[68:69], v104 offset0:128 offset1:160
	s_waitcnt lgkmcnt(0)
	v_mfma_f32_32x32x16_fp8_fp8 v[0:15], v[66:67], v[68:69], v[0:15]
	v_add_u32_e32 v68, 0x1400, v101
	ds_read2_b32 v[66:67], v68 offset1:32
	s_waitcnt lgkmcnt(0)
	v_mfma_f32_32x32x16_fp8_fp8 v[0:15], v[64:65], v[66:67], v[0:15]
	ds_read2_b32 v[64:65], v68 offset0:128 offset1:160
	s_waitcnt lgkmcnt(0)
	v_mfma_f32_32x32x16_fp8_fp8 v[0:15], v[62:63], v[64:65], v[0:15]
	v_add_u32_e32 v64, 0x1800, v101
	ds_read2_b32 v[62:63], v64 offset1:32
	;; [unrolled: 7-line block ×3, first 2 shown]
	ds_read2_b32 v[60:61], v60 offset0:128 offset1:160
	ds_write_b32 v99, v100 offset:49164
	s_waitcnt lgkmcnt(2)
	v_mfma_f32_32x32x16_fp8_fp8 v[0:15], v[56:57], v[58:59], v[0:15]
	v_add_u32_e32 v56, s23, v98
	v_add_u32_e32 v57, 2, v71
	v_cmp_lt_i32_e32 vcc, 2, v56
	s_nop 1
	v_cndmask_b32_e32 v71, v71, v57, vcc
	v_cmp_le_i32_e32 vcc, s20, v96
	s_waitcnt lgkmcnt(1)
	v_mfma_f32_32x32x16_fp8_fp8 v[0:15], v[54:55], v[60:61], v[0:15]
	s_or_b64 s[2:3], vcc, s[2:3]
	s_andn2_b64 exec, exec, s[2:3]
	s_cbranch_execz .LBB177_22
.LBB177_13:                             ;   Parent Loop BB177_7 Depth=1
                                        ; =>  This Loop Header: Depth=2
                                        ;       Child Loop BB177_15 Depth 3
                                        ;       Child Loop BB177_18 Depth 3
	;; [unrolled: 1-line block ×3, first 2 shown]
	v_cmp_gt_i32_e32 vcc, 3, v56
	s_nop 1
	v_cndmask_b32_e64 v54, -3, 0, vcc
	v_add_u32_e32 v98, v54, v56
	v_lshlrev_b32_e32 v99, 4, v98
	ds_read_b32 v54, v99 offset:49152
	s_waitcnt lgkmcnt(0)
	v_cmp_ne_u32_e32 vcc, v54, v71
	s_and_saveexec_b64 s[4:5], vcc
	s_cbranch_execz .LBB177_16
; %bb.14:                               ;   in Loop: Header=BB177_13 Depth=2
	s_mov_b64 s[6:7], 0
.LBB177_15:                             ;   Parent Loop BB177_7 Depth=1
                                        ;     Parent Loop BB177_13 Depth=2
                                        ; =>    This Inner Loop Header: Depth=3
	;;#ASMSTART
	s_sleep 0
	;;#ASMEND
	ds_read_b32 v54, v99 offset:49152
	s_waitcnt lgkmcnt(0)
	v_cmp_eq_u32_e32 vcc, v54, v71
	s_or_b64 s[6:7], vcc, s[6:7]
	s_andn2_b64 exec, exec, s[6:7]
	s_cbranch_execnz .LBB177_15
.LBB177_16:                             ;   in Loop: Header=BB177_13 Depth=2
	s_or_b64 exec, exec, s[4:5]
	v_lshl_or_b32 v54, v98, 12, v73
	v_add_u32_e32 v55, 0x400, v54
	ds_read2_b32 v[68:69], v54 offset1:32
	ds_read2_b32 v[66:67], v54 offset0:128 offset1:160
	ds_read2_b32 v[64:65], v55 offset1:32
	ds_read2_b32 v[62:63], v55 offset0:128 offset1:160
	v_add_u32_e32 v55, 0x800, v54
	v_add_u32_e32 v54, 0xc00, v54
	ds_read2_b32 v[60:61], v55 offset1:32
	ds_read2_b32 v[58:59], v55 offset0:128 offset1:160
	ds_read2_b32 v[56:57], v54 offset1:32
	ds_read_b32 v101, v99 offset:49156
	ds_read2_b32 v[54:55], v54 offset0:128 offset1:160
	v_add_u32_e32 v100, 1, v71
	ds_write_b32 v99, v100 offset:49152
	s_waitcnt lgkmcnt(2)
	v_cmp_ne_u32_e32 vcc, v101, v71
	s_and_saveexec_b64 s[4:5], vcc
	s_cbranch_execz .LBB177_19
; %bb.17:                               ;   in Loop: Header=BB177_13 Depth=2
	s_mov_b64 s[6:7], 0
.LBB177_18:                             ;   Parent Loop BB177_7 Depth=1
                                        ;     Parent Loop BB177_13 Depth=2
                                        ; =>    This Inner Loop Header: Depth=3
	;;#ASMSTART
	s_sleep 0
	;;#ASMEND
	ds_read_b32 v101, v99 offset:49156
	s_waitcnt lgkmcnt(0)
	v_cmp_eq_u32_e32 vcc, v101, v71
	s_or_b64 s[6:7], vcc, s[6:7]
	s_andn2_b64 exec, exec, s[6:7]
	s_cbranch_execnz .LBB177_18
.LBB177_19:                             ;   in Loop: Header=BB177_13 Depth=2
	s_or_b64 exec, exec, s[4:5]
	v_lshlrev_b32_e32 v101, 13, v98
	v_add_u32_e32 v101, v74, v101
	ds_read2_b32 v[102:103], v101 offset1:32
	v_add_u32_e32 v104, 0x400, v101
	ds_write_b32 v99, v100 offset:49156
	s_waitcnt lgkmcnt(1)
	v_mfma_f32_32x32x16_fp8_fp8 v[16:31], v[68:69], v[102:103], v[16:31]
	ds_read2_b32 v[102:103], v101 offset0:128 offset1:160
	s_waitcnt lgkmcnt(0)
	v_mfma_f32_32x32x16_fp8_fp8 v[16:31], v[66:67], v[102:103], v[16:31]
	ds_read2_b32 v[102:103], v104 offset1:32
	s_waitcnt lgkmcnt(0)
	v_mfma_f32_32x32x16_fp8_fp8 v[16:31], v[64:65], v[102:103], v[16:31]
	ds_read2_b32 v[102:103], v104 offset0:128 offset1:160
	v_add_u32_e32 v104, 0x800, v101
	s_waitcnt lgkmcnt(0)
	v_mfma_f32_32x32x16_fp8_fp8 v[16:31], v[62:63], v[102:103], v[16:31]
	ds_read2_b32 v[102:103], v104 offset1:32
	s_waitcnt lgkmcnt(0)
	v_mfma_f32_32x32x16_fp8_fp8 v[16:31], v[60:61], v[102:103], v[16:31]
	ds_read2_b32 v[102:103], v104 offset0:128 offset1:160
	v_add_u32_e32 v104, 0xc00, v101
	s_waitcnt lgkmcnt(0)
	v_mfma_f32_32x32x16_fp8_fp8 v[16:31], v[58:59], v[102:103], v[16:31]
	ds_read2_b32 v[102:103], v104 offset1:32
	s_waitcnt lgkmcnt(0)
	v_mfma_f32_32x32x16_fp8_fp8 v[16:31], v[56:57], v[102:103], v[16:31]
	ds_read2_b32 v[102:103], v104 offset0:128 offset1:160
	ds_read_b32 v104, v99 offset:49164
	s_waitcnt lgkmcnt(0)
	v_cmp_ne_u32_e32 vcc, v104, v71
	v_mfma_f32_32x32x16_fp8_fp8 v[16:31], v[54:55], v[102:103], v[16:31]
	s_and_saveexec_b64 s[4:5], vcc
	s_cbranch_execz .LBB177_12
; %bb.20:                               ;   in Loop: Header=BB177_13 Depth=2
	s_mov_b64 s[6:7], 0
.LBB177_21:                             ;   Parent Loop BB177_7 Depth=1
                                        ;     Parent Loop BB177_13 Depth=2
                                        ; =>    This Inner Loop Header: Depth=3
	;;#ASMSTART
	s_sleep 0
	;;#ASMEND
	ds_read_b32 v102, v99 offset:49164
	s_waitcnt lgkmcnt(0)
	v_cmp_eq_u32_e32 vcc, v102, v71
	s_or_b64 s[6:7], vcc, s[6:7]
	s_andn2_b64 exec, exec, s[6:7]
	s_cbranch_execnz .LBB177_21
	s_branch .LBB177_12
.LBB177_22:                             ;   in Loop: Header=BB177_7 Depth=1
	s_or_b64 exec, exec, s[2:3]
.LBB177_23:                             ;   in Loop: Header=BB177_7 Depth=1
	v_writelane_b32 v105, s54, 30
	s_nop 1
	v_writelane_b32 v105, s55, 31
	v_writelane_b32 v105, s40, 32
	s_nop 1
	v_writelane_b32 v105, s41, 33
	v_writelane_b32 v105, s53, 34
	;; [unrolled: 1-line block ×4, first 2 shown]
	s_or_b64 exec, exec, s[0:1]
	v_cmp_le_i32_e32 vcc, s90, v72
	v_cmp_eq_u32_e64 s[86:87], 1, v75
	v_cmp_eq_u32_e64 s[50:51], 2, v75
	s_waitcnt vmcnt(0)
	v_cndmask_b32_e32 v54, 0, v97, vcc
	v_pk_mul_f32 v[16:17], v[54:55], v[16:17] op_sel_hi:[0,1]
	v_pk_mul_f32 v[30:31], v[54:55], v[30:31] op_sel_hi:[0,1]
	;; [unrolled: 1-line block ×8, first 2 shown]
	v_cndmask_b32_e64 v54, v16, v17, s[86:87]
	v_cndmask_b32_e64 v54, v54, v18, s[50:51]
	v_cmp_eq_u32_e64 s[52:53], 3, v75
	v_cmp_eq_u32_e64 s[56:57], 4, v75
	v_cmp_eq_u32_e64 s[60:61], 5, v75
	v_cndmask_b32_e64 v54, v54, v19, s[52:53]
	v_cndmask_b32_e64 v54, v54, v20, s[56:57]
	v_cndmask_b32_e64 v54, v54, v21, s[60:61]
	v_cmp_eq_u32_e64 s[64:65], 6, v75
	v_cmp_eq_u32_e64 s[68:69], 7, v75
	v_cmp_eq_u32_e64 s[72:73], 8, v75
	v_cndmask_b32_e64 v54, v54, v22, s[64:65]
	;; [unrolled: 6-line block ×5, first 2 shown]
	ds_bpermute_b32 v54, v95, v54
	v_cmp_eq_u32_e64 s[26:27], 2, v76
	v_cmp_eq_u32_e64 s[28:29], 3, v76
	;; [unrolled: 1-line block ×4, first 2 shown]
	s_waitcnt lgkmcnt(0)
	v_cndmask_b32_e64 v62, v17, v54, s[86:87]
	v_cndmask_b32_e64 v16, v16, v54, s[70:71]
	;; [unrolled: 1-line block ×12, first 2 shown]
	v_cmp_eq_u32_e64 s[36:37], 6, v76
	v_cndmask_b32_e64 v55, v23, v54, s[68:69]
	v_cmp_eq_u32_e64 s[38:39], 7, v76
	v_cndmask_b32_e64 v17, v17, v57, s[36:37]
	v_cndmask_b32_e64 v24, v24, v54, s[72:73]
	v_cndmask_b32_e64 v17, v17, v55, s[38:39]
	v_cmp_eq_u32_e64 s[42:43], 8, v76
	v_cndmask_b32_e64 v25, v25, v54, s[74:75]
	v_cmp_eq_u32_e64 s[44:45], 9, v76
	v_cndmask_b32_e64 v17, v17, v24, s[42:43]
	v_cndmask_b32_e64 v26, v26, v54, s[76:77]
	v_cndmask_b32_e64 v17, v17, v25, s[44:45]
	;; [unrolled: 6-line block ×4, first 2 shown]
	v_cmp_eq_u32_e64 s[62:63], 14, v76
	v_cndmask_b32_e64 v31, v31, v54, s[88:89]
	v_cmp_eq_u32_e64 s[66:67], 15, v76
	v_cndmask_b32_e64 v17, v17, v30, s[62:63]
	v_cmp_le_i32_e64 s[90:91], s90, v83
	v_cndmask_b32_e64 v17, v17, v31, s[66:67]
	ds_bpermute_b32 v54, v95, v17
	v_cmp_eq_u32_e64 s[40:41], 0, v76
	v_cmp_eq_u32_e64 s[4:5], 1, v77
	;; [unrolled: 1-line block ×4, first 2 shown]
	s_waitcnt lgkmcnt(0)
	v_cndmask_b32_e64 v21, v27, v54, s[48:49]
	v_cndmask_b32_e64 v27, v58, v54, s[34:35]
	;; [unrolled: 1-line block ×3, first 2 shown]
	v_pk_mul_f32 v[0:1], v[58:59], v[0:1] op_sel_hi:[0,1]
	v_cndmask_b32_e64 v23, v25, v54, s[44:45]
	v_cndmask_b32_e64 v25, v55, v54, s[38:39]
	v_pk_mul_f32 v[2:3], v[58:59], v[2:3] op_sel_hi:[0,1]
	v_cndmask_b32_e64 v55, v0, v1, s[86:87]
	v_cndmask_b32_e64 v55, v55, v2, s[50:51]
	;; [unrolled: 3-line block ×6, first 2 shown]
	v_cndmask_b32_e64 v17, v31, v54, s[66:67]
	v_cndmask_b32_e64 v31, v62, v54, s[24:25]
	;; [unrolled: 1-line block ×3, first 2 shown]
	v_pk_mul_f32 v[12:13], v[58:59], v[12:13] op_sel_hi:[0,1]
	v_cndmask_b32_e64 v55, v55, v11, s[78:79]
	v_cndmask_b32_e64 v18, v30, v54, s[62:63]
	;; [unrolled: 1-line block ×13, first 2 shown]
	v_pk_mul_f32 v[14:15], v[58:59], v[14:15] op_sel_hi:[0,1]
	v_cndmask_b32_e64 v55, v55, v13, s[82:83]
	v_cndmask_b32_e64 v54, v54, v29, s[8:9]
	v_cmp_eq_u32_e64 s[10:11], 4, v77
	v_cndmask_b32_e64 v55, v55, v14, s[84:85]
	v_cmp_eq_u32_e64 s[12:13], 5, v77
	v_cndmask_b32_e64 v54, v54, v28, s[10:11]
	v_cndmask_b32_e64 v55, v55, v15, s[88:89]
	;; [unrolled: 1-line block ×3, first 2 shown]
	v_cmp_eq_u32_e64 s[14:15], 6, v77
	ds_bpermute_b32 v55, v95, v55
	v_cmp_eq_u32_e64 s[96:97], 7, v77
	v_cndmask_b32_e64 v54, v54, v26, s[14:15]
	v_cmp_eq_u32_e64 s[98:99], 8, v77
	v_cndmask_b32_e64 v54, v54, v25, s[96:97]
	v_cmp_eq_u32_e32 vcc, 9, v77
	v_cndmask_b32_e64 v54, v54, v24, s[98:99]
	v_cmp_eq_u32_e64 s[0:1], 10, v77
	v_cndmask_b32_e32 v54, v54, v23, vcc
	v_cmp_eq_u32_e64 s[86:87], 11, v77
	v_cndmask_b32_e64 v54, v54, v22, s[0:1]
	s_waitcnt lgkmcnt(0)
	v_cndmask_b32_e64 v2, v2, v55, s[50:51]
	v_cmp_ne_u32_e64 s[50:51], 0, v75
	v_cndmask_b32_e64 v54, v54, v21, s[86:87]
	v_cmp_eq_u32_e64 s[90:91], 12, v77
	v_cndmask_b32_e64 v1, v1, v55, s[50:51]
	v_cndmask_b32_e64 v0, v0, v55, s[70:71]
	;; [unrolled: 1-line block ×4, first 2 shown]
	v_cmp_eq_u32_e64 s[88:89], 13, v77
	v_cndmask_b32_e64 v14, v14, v55, s[84:85]
	v_cndmask_b32_e64 v13, v13, v55, s[82:83]
	;; [unrolled: 1-line block ×14, first 2 shown]
	v_cmp_eq_u32_e64 s[84:85], 14, v77
	v_cndmask_b32_e64 v55, v55, v2, s[26:27]
	v_cmp_eq_u32_e64 s[82:83], 15, v77
	v_cndmask_b32_e64 v54, v54, v18, s[84:85]
	v_cndmask_b32_e64 v55, v55, v3, s[28:29]
	;; [unrolled: 1-line block ×4, first 2 shown]
	ds_bpermute_b32 v54, v95, v54
	v_cndmask_b32_e64 v55, v55, v5, s[34:35]
	v_cndmask_b32_e64 v55, v55, v6, s[36:37]
	;; [unrolled: 1-line block ×4, first 2 shown]
	v_cmp_eq_u32_e64 s[80:81], 0, v77
	v_cndmask_b32_e64 v55, v55, v9, s[44:45]
	s_waitcnt lgkmcnt(0)
	v_cndmask_b32_e64 v31, v31, v54, s[4:5]
	v_cndmask_b32_e64 v16, v16, v54, s[80:81]
	v_cmp_eq_u32_e64 s[78:79], 1, v78
	v_cndmask_b32_e64 v55, v55, v10, s[46:47]
	v_cndmask_b32_e64 v17, v17, v54, s[82:83]
	;; [unrolled: 1-line block ×7, first 2 shown]
	v_cndmask_b32_e32 v23, v23, v54, vcc
	v_cndmask_b32_e64 v24, v24, v54, s[98:99]
	v_cndmask_b32_e64 v25, v25, v54, s[96:97]
	;; [unrolled: 1-line block ×8, first 2 shown]
	v_cmp_eq_u32_e64 s[76:77], 2, v78
	v_cndmask_b32_e64 v55, v55, v11, s[48:49]
	v_cmp_eq_u32_e64 s[74:75], 3, v78
	v_cndmask_b32_e64 v54, v54, v30, s[76:77]
	v_cndmask_b32_e64 v55, v55, v12, s[54:55]
	;; [unrolled: 1-line block ×3, first 2 shown]
	v_cmp_eq_u32_e64 s[72:73], 4, v78
	v_cndmask_b32_e64 v55, v55, v13, s[58:59]
	v_cmp_eq_u32_e64 s[68:69], 5, v78
	v_cndmask_b32_e64 v54, v54, v28, s[72:73]
	v_cndmask_b32_e64 v55, v55, v14, s[62:63]
	;; [unrolled: 1-line block ×3, first 2 shown]
	v_cmp_eq_u32_e64 s[64:65], 6, v78
	v_cndmask_b32_e64 v55, v55, v15, s[66:67]
	v_cmp_eq_u32_e64 s[60:61], 7, v78
	v_cndmask_b32_e64 v54, v54, v26, s[64:65]
	ds_bpermute_b32 v55, v95, v55
	v_cndmask_b32_e64 v54, v54, v25, s[60:61]
	v_cmp_eq_u32_e64 s[56:57], 8, v78
	v_cmp_eq_u32_e64 s[52:53], 9, v78
	;; [unrolled: 1-line block ×3, first 2 shown]
	v_cndmask_b32_e64 v54, v54, v24, s[56:57]
	v_cndmask_b32_e64 v54, v54, v23, s[52:53]
	;; [unrolled: 1-line block ×3, first 2 shown]
	v_cmp_eq_u32_e64 s[70:71], 11, v78
	s_waitcnt lgkmcnt(0)
	v_cndmask_b32_e64 v15, v15, v55, s[66:67]
	v_cmp_eq_u32_e64 s[66:67], 12, v78
	v_cndmask_b32_e64 v54, v54, v21, s[70:71]
	v_cndmask_b32_e64 v14, v14, v55, s[62:63]
	;; [unrolled: 1-line block ×3, first 2 shown]
	v_cmp_eq_u32_e64 s[62:63], 13, v78
	v_cndmask_b32_e64 v1, v1, v55, s[24:25]
	v_cndmask_b32_e64 v0, v0, v55, s[40:41]
	;; [unrolled: 1-line block ×4, first 2 shown]
	v_cmp_eq_u32_e64 s[92:93], 14, v78
	v_cndmask_b32_e64 v12, v12, v55, s[54:55]
	v_cndmask_b32_e64 v11, v11, v55, s[48:49]
	;; [unrolled: 1-line block ×13, first 2 shown]
	v_cmp_eq_u32_e64 s[94:95], 15, v78
	v_cndmask_b32_e64 v55, v55, v2, s[6:7]
	v_cndmask_b32_e64 v55, v55, v3, s[8:9]
	;; [unrolled: 1-line block ×3, first 2 shown]
	ds_bpermute_b32 v54, v95, v54
	v_cndmask_b32_e64 v55, v55, v4, s[10:11]
	v_cndmask_b32_e64 v55, v55, v5, s[12:13]
	;; [unrolled: 1-line block ×4, first 2 shown]
	v_cmp_eq_u32_e64 s[48:49], 0, v78
	v_cndmask_b32_e64 v55, v55, v8, s[98:99]
	s_waitcnt lgkmcnt(0)
	v_cndmask_b32_e64 v31, v31, v54, s[78:79]
	v_cndmask_b32_e64 v16, v16, v54, s[48:49]
	v_cmp_eq_u32_e64 s[46:47], 1, v79
	v_cndmask_b32_e32 v55, v55, v9, vcc
	v_cndmask_b32_e64 v17, v17, v54, s[94:95]
	v_cndmask_b32_e64 v18, v18, v54, s[92:93]
	;; [unrolled: 1-line block ×15, first 2 shown]
	v_cmp_eq_u32_e64 s[44:45], 2, v79
	v_cndmask_b32_e64 v55, v55, v10, s[0:1]
	v_cmp_eq_u32_e64 s[42:43], 3, v79
	v_cndmask_b32_e64 v54, v54, v30, s[44:45]
	v_cndmask_b32_e64 v55, v55, v11, s[86:87]
	v_cndmask_b32_e64 v54, v54, v29, s[42:43]
	v_cmp_eq_u32_e64 s[38:39], 4, v79
	v_cndmask_b32_e64 v55, v55, v12, s[90:91]
	v_cmp_eq_u32_e64 s[36:37], 5, v79
	v_cndmask_b32_e64 v54, v54, v28, s[38:39]
	v_cndmask_b32_e64 v55, v55, v13, s[88:89]
	v_cndmask_b32_e64 v54, v54, v27, s[36:37]
	;; [unrolled: 6-line block ×3, first 2 shown]
	v_cmp_eq_u32_e64 s[28:29], 8, v79
	ds_bpermute_b32 v55, v95, v55
	v_cmp_eq_u32_e64 s[26:27], 9, v79
	v_cndmask_b32_e64 v54, v54, v24, s[28:29]
	v_cmp_eq_u32_e64 s[24:25], 10, v79
	v_cndmask_b32_e64 v54, v54, v23, s[26:27]
	;; [unrolled: 2-line block ×4, first 2 shown]
	s_waitcnt lgkmcnt(0)
	v_cndmask_b32_e64 v15, v15, v55, s[82:83]
	v_cndmask_b32_e64 v54, v54, v20, s[58:59]
	v_cmp_eq_u32_e64 s[82:83], 13, v79
	v_cndmask_b32_e64 v14, v14, v55, s[84:85]
	v_cmp_eq_u32_e64 s[84:85], 14, v79
	v_cndmask_b32_e64 v54, v54, v19, s[82:83]
	v_cndmask_b32_e64 v1, v1, v55, s[4:5]
	;; [unrolled: 1-line block ×6, first 2 shown]
	v_cmp_eq_u32_e64 s[90:91], 15, v79
	v_cndmask_b32_e64 v11, v11, v55, s[86:87]
	v_cndmask_b32_e64 v10, v10, v55, s[0:1]
	v_cndmask_b32_e32 v9, v9, v55, vcc
	v_cndmask_b32_e64 v8, v8, v55, s[98:99]
	v_cndmask_b32_e64 v7, v7, v55, s[96:97]
	;; [unrolled: 1-line block ×10, first 2 shown]
	ds_bpermute_b32 v54, v95, v54
	v_cndmask_b32_e64 v55, v55, v3, s[74:75]
	v_cndmask_b32_e64 v55, v55, v4, s[72:73]
	;; [unrolled: 1-line block ×4, first 2 shown]
	v_cmp_eq_u32_e64 s[54:55], 0, v79
	v_cndmask_b32_e64 v55, v55, v7, s[60:61]
	s_waitcnt lgkmcnt(0)
	v_cndmask_b32_e64 v31, v31, v54, s[46:47]
	v_cndmask_b32_e64 v16, v16, v54, s[54:55]
	v_cmp_eq_u32_e64 s[0:1], 1, v80
	v_cndmask_b32_e64 v55, v55, v8, s[56:57]
	v_cndmask_b32_e64 v17, v17, v54, s[90:91]
	;; [unrolled: 1-line block ×16, first 2 shown]
	v_cmp_eq_u32_e64 s[2:3], 2, v80
	v_cndmask_b32_e64 v55, v55, v9, s[52:53]
	v_cmp_eq_u32_e64 s[98:99], 3, v80
	v_cndmask_b32_e64 v54, v54, v30, s[2:3]
	v_cndmask_b32_e64 v55, v55, v10, s[50:51]
	v_cndmask_b32_e64 v54, v54, v29, s[98:99]
	v_cmp_eq_u32_e64 s[96:97], 4, v80
	v_cndmask_b32_e64 v55, v55, v11, s[70:71]
	v_cmp_eq_u32_e64 s[14:15], 5, v80
	v_cndmask_b32_e64 v54, v54, v28, s[96:97]
	v_cndmask_b32_e64 v55, v55, v12, s[66:67]
	v_cndmask_b32_e64 v54, v54, v27, s[14:15]
	;; [unrolled: 6-line block ×3, first 2 shown]
	v_cmp_eq_u32_e64 s[8:9], 8, v80
	v_cndmask_b32_e64 v55, v55, v15, s[94:95]
	v_cmp_eq_u32_e64 s[6:7], 9, v80
	v_cndmask_b32_e64 v54, v54, v24, s[8:9]
	ds_bpermute_b32 v55, v95, v55
	v_cndmask_b32_e64 v54, v54, v23, s[6:7]
	v_cmp_eq_u32_e32 vcc, 10, v80
	v_cmp_eq_u32_e64 s[80:81], 11, v80
	v_cmp_eq_u32_e64 s[86:87], 12, v80
	v_cndmask_b32_e32 v54, v54, v22, vcc
	v_cndmask_b32_e64 v54, v54, v21, s[80:81]
	v_cndmask_b32_e64 v54, v54, v20, s[86:87]
	v_cmp_eq_u32_e64 s[88:89], 13, v80
	s_waitcnt lgkmcnt(0)
	v_cndmask_b32_e64 v13, v13, v55, s[62:63]
	v_cmp_eq_u32_e64 s[62:63], 14, v80
	v_cndmask_b32_e64 v54, v54, v19, s[88:89]
	v_cndmask_b32_e64 v12, v12, v55, s[66:67]
	;; [unrolled: 1-line block ×3, first 2 shown]
	v_cmp_eq_u32_e64 s[66:67], 15, v80
	v_cndmask_b32_e64 v57, v11, v55, s[70:71]
	v_cmp_eq_u32_e64 s[70:71], 0, v80
	v_cndmask_b32_e64 v54, v54, v17, s[66:67]
	ds_bpermute_b32 v54, v95, v54
	v_cndmask_b32_e64 v15, v15, v55, s[94:95]
	v_cndmask_b32_e64 v14, v14, v55, s[92:93]
	;; [unrolled: 1-line block ×4, first 2 shown]
	s_waitcnt lgkmcnt(0)
	v_cndmask_b32_e64 v17, v17, v54, s[66:67]
	v_cndmask_b32_e64 v18, v18, v54, s[62:63]
	v_cndmask_b32_e64 v19, v19, v54, s[88:89]
	v_cndmask_b32_e64 v20, v20, v54, s[86:87]
	v_cndmask_b32_e64 v21, v21, v54, s[80:81]
	v_cndmask_b32_e32 v22, v22, v54, vcc
	v_cndmask_b32_e64 v23, v23, v54, s[6:7]
	v_cndmask_b32_e64 v24, v24, v54, s[8:9]
	;; [unrolled: 1-line block ×28, first 2 shown]
	v_cmp_eq_u32_e64 s[50:51], 1, v81
	v_cndmask_b32_e64 v0, v0, v54, s[24:25]
	v_cmp_eq_u32_e64 s[52:53], 2, v81
	v_cndmask_b32_e64 v10, v16, v31, s[50:51]
	v_cndmask_b32_e64 v0, v0, v57, s[40:41]
	v_cndmask_b32_e64 v9, v10, v30, s[52:53]
	v_cmp_eq_u32_e64 s[56:57], 3, v81
	v_cndmask_b32_e64 v0, v0, v12, s[58:59]
	v_cmp_eq_u32_e64 s[60:61], 4, v81
	v_cndmask_b32_e64 v8, v9, v29, s[56:57]
	v_cndmask_b32_e64 v0, v0, v13, s[82:83]
	v_cndmask_b32_e64 v7, v8, v28, s[60:61]
	v_cmp_eq_u32_e64 s[64:65], 5, v81
	v_cndmask_b32_e64 v0, v0, v14, s[84:85]
	v_cmp_eq_u32_e64 s[68:69], 6, v81
	v_cndmask_b32_e64 v6, v7, v27, s[64:65]
	v_cndmask_b32_e64 v0, v0, v15, s[90:91]
	v_cndmask_b32_e64 v5, v6, v26, s[68:69]
	v_cmp_eq_u32_e64 s[72:73], 7, v81
	ds_bpermute_b32 v67, v95, v0
	v_cmp_eq_u32_e64 s[74:75], 8, v81
	v_cndmask_b32_e64 v4, v5, v25, s[72:73]
	v_cmp_eq_u32_e64 s[76:77], 9, v81
	v_cndmask_b32_e64 v3, v4, v24, s[74:75]
	;; [unrolled: 2-line block ×4, first 2 shown]
	s_waitcnt lgkmcnt(0)
	v_cndmask_b32_e64 v68, v15, v67, s[90:91]
	v_cndmask_b32_e64 v0, v0, v21, s[78:79]
	v_cmp_eq_u32_e64 s[90:91], 12, v81
	v_cndmask_b32_e64 v69, v14, v67, s[84:85]
	v_cmp_eq_u32_e64 s[84:85], 13, v81
	v_cndmask_b32_e64 v0, v0, v20, s[90:91]
	v_cndmask_b32_e64 v97, v13, v67, s[82:83]
	;; [unrolled: 1-line block ×3, first 2 shown]
	v_cmp_eq_u32_e64 s[82:83], 14, v81
	v_cndmask_b32_e64 v98, v12, v67, s[58:59]
	v_cmp_eq_u32_e64 s[58:59], 15, v81
	v_cndmask_b32_e64 v0, v0, v18, s[82:83]
	s_nop 0
	v_cndmask_b32_e64 v0, v0, v17, s[58:59]
	ds_bpermute_b32 v1, v95, v0
	s_waitcnt lgkmcnt(0)
	v_cndmask_b32_e64 v12, v27, v1, s[64:65]
	v_cndmask_b32_e64 v13, v28, v1, s[60:61]
	;; [unrolled: 1-line block ×29, first 2 shown]
	v_cmp_eq_u32_e64 s[40:41], 0, v81
	v_cndmask_b32_e64 v19, v58, v67, s[26:27]
	v_cndmask_b32_e64 v29, v29, v20, s[8:9]
	;; [unrolled: 1-line block ×8, first 2 shown]
	v_cndmask_b32_e32 v29, v29, v16, vcc
	v_cndmask_b32_e64 v29, v29, v17, s[80:81]
	v_cndmask_b32_e64 v29, v29, v98, s[86:87]
	;; [unrolled: 1-line block ×5, first 2 shown]
	ds_bpermute_b32 v29, v95, v29
	v_cmp_eq_u32_e64 s[24:25], 1, v82
	v_cmp_eq_u32_e64 s[26:27], 2, v82
	;; [unrolled: 1-line block ×3, first 2 shown]
	v_cndmask_b32_e64 v18, v1, v0, s[24:25]
	s_waitcnt lgkmcnt(0)
	v_cndmask_b32_e64 v65, v27, v29, s[0:1]
	v_cndmask_b32_e64 v66, v28, v29, s[70:71]
	v_cndmask_b32_e64 v57, v19, v29, s[6:7]
	v_cndmask_b32_e64 v64, v26, v29, s[2:3]
	v_cndmask_b32_e64 v19, v66, v65, s[50:51]
	v_cndmask_b32_e64 v63, v25, v29, s[98:99]
	v_cndmask_b32_e64 v19, v19, v64, s[52:53]
	v_cndmask_b32_e64 v62, v24, v29, s[96:97]
	v_cndmask_b32_e64 v19, v19, v63, s[56:57]
	v_cndmask_b32_e64 v61, v23, v29, s[14:15]
	v_cndmask_b32_e64 v19, v19, v62, s[60:61]
	v_cndmask_b32_e64 v60, v22, v29, s[12:13]
	v_cndmask_b32_e64 v19, v19, v61, s[64:65]
	v_cndmask_b32_e64 v59, v21, v29, s[10:11]
	v_cndmask_b32_e64 v19, v19, v60, s[68:69]
	v_cndmask_b32_e64 v58, v20, v29, s[8:9]
	v_cndmask_b32_e64 v19, v19, v59, s[72:73]
	v_cndmask_b32_e64 v19, v19, v58, s[74:75]
	v_cndmask_b32_e32 v16, v16, v29, vcc
	v_cndmask_b32_e64 v19, v19, v57, s[76:77]
	v_cndmask_b32_e64 v17, v17, v29, s[80:81]
	;; [unrolled: 1-line block ×12, first 2 shown]
	ds_bpermute_b32 v67, v95, v19
	v_cndmask_b32_e64 v18, v18, v15, s[26:27]
	v_cndmask_b32_e64 v18, v18, v14, s[28:29]
	v_cmp_eq_u32_e64 s[30:31], 4, v82
	v_cmp_eq_u32_e64 s[34:35], 5, v82
	s_waitcnt lgkmcnt(0)
	v_cndmask_b32_e64 v23, v17, v67, s[78:79]
	v_cndmask_b32_e64 v24, v16, v67, s[48:49]
	;; [unrolled: 1-line block ×18, first 2 shown]
	v_cmp_eq_u32_e64 s[36:37], 6, v82
	v_cndmask_b32_e64 v28, v60, v67, s[68:69]
	v_cndmask_b32_e64 v55, v55, v29, s[34:35]
	v_cndmask_b32_e64 v18, v18, v11, s[36:37]
	v_cmp_eq_u32_e64 s[38:39], 7, v82
	v_cndmask_b32_e64 v27, v59, v67, s[72:73]
	v_cndmask_b32_e64 v55, v55, v28, s[36:37]
	v_cndmask_b32_e64 v18, v18, v10, s[38:39]
	;; [unrolled: 4-line block ×4, first 2 shown]
	v_cmp_eq_u32_e64 s[46:47], 10, v82
	v_cndmask_b32_e64 v55, v55, v25, s[44:45]
	v_cmp_eq_u32_e64 s[54:55], 11, v82
	v_cndmask_b32_e64 v18, v18, v7, s[46:47]
	v_cndmask_b32_e64 v55, v55, v24, s[46:47]
	;; [unrolled: 1-line block ×3, first 2 shown]
	v_cmp_eq_u32_e64 s[66:67], 12, v82
	v_cndmask_b32_e64 v55, v55, v23, s[54:55]
	v_cmp_eq_u32_e64 s[62:63], 13, v82
	v_cndmask_b32_e64 v18, v18, v5, s[66:67]
	v_cndmask_b32_e64 v55, v55, v22, s[66:67]
	v_cndmask_b32_e64 v18, v18, v4, s[62:63]
	v_cmp_eq_u32_e32 vcc, 14, v82
	v_cndmask_b32_e64 v55, v55, v21, s[62:63]
	v_cmp_eq_u32_e64 s[6:7], 15, v82
	v_cndmask_b32_e32 v18, v18, v3, vcc
	v_cndmask_b32_e32 v55, v55, v20, vcc
	v_cndmask_b32_e64 v18, v18, v2, s[6:7]
	v_cndmask_b32_e64 v55, v55, v19, s[6:7]
	ds_bpermute_b32 v18, v95, v18
	ds_bpermute_b32 v58, v95, v55
	v_readlane_b32 s53, v105, 34
	s_nop 1
	v_cmp_lt_i32_e32 vcc, s53, v84
	s_and_saveexec_b64 s[40:41], vcc
	v_readlane_b32 s44, v105, 2
	v_readlane_b32 s45, v105, 3
	;; [unrolled: 1-line block ×11, first 2 shown]
	s_cbranch_execz .LBB177_32
; %bb.24:                               ;   in Loop: Header=BB177_7 Depth=1
	s_mul_i32 s0, s52, s17
	s_ashr_i32 s1, s0, 31
	s_lshl_b64 s[0:1], s[0:1], 1
	s_add_u32 s2, s48, s0
	v_cmp_eq_u32_e64 s[34:35], 1, v82
	v_cmp_eq_u32_e64 s[36:37], 0, v82
	s_addc_u32 s3, s49, s1
	s_ashr_i32 s55, s54, 31
	s_waitcnt lgkmcnt(1)
	v_cndmask_b32_e64 v55, v0, v18, s[34:35]
	v_cndmask_b32_e64 v57, v1, v18, s[36:37]
	s_lshl_b64 s[0:1], s[54:55], 1
	s_waitcnt lgkmcnt(0)
	v_cndmask_b32_e64 v59, v16, v58, s[34:35]
	v_cndmask_b32_e64 v60, v17, v58, s[36:37]
	v_cvt_f16_f32_e32 v57, v57
	v_cvt_f16_f32_sdwa v55, v55 dst_sel:WORD_1 dst_unused:UNUSED_PAD src0_sel:DWORD
	s_add_u32 s42, s2, s0
	v_cvt_f16_f32_e32 v60, v60
	v_cvt_f16_f32_sdwa v59, v59 dst_sel:WORD_1 dst_unused:UNUSED_PAD src0_sel:DWORD
	s_addc_u32 s43, s3, s1
	v_lshl_add_u64 v[0:1], s[42:43], 0, v[32:33]
	v_cmp_eq_u32_e32 vcc, 15, v82
	v_cmp_eq_u32_e64 s[6:7], 14, v82
	v_cmp_eq_u32_e64 s[8:9], 13, v82
	;; [unrolled: 1-line block ×13, first 2 shown]
	v_lshl_add_u64 v[16:17], v[34:35], 1, v[0:1]
	v_or_b32_e32 v55, v55, v57
	v_cmp_lt_i32_e64 s[34:35], s53, v85
	;;#ASMSTART
	global_atomic_pk_add_f16 v[16:17], v55, off
	
	;;#ASMEND
	v_lshl_add_u64 v[16:17], v[16:17], 0, 64
	v_or_b32_e32 v55, v59, v60
	;;#ASMSTART
	global_atomic_pk_add_f16 v[16:17], v55, off
	
	;;#ASMEND
	s_and_b64 exec, exec, s[34:35]
	s_cbranch_execz .LBB177_32
; %bb.25:                               ;   in Loop: Header=BB177_7 Depth=1
	v_cndmask_b32_e32 v2, v2, v18, vcc
	v_cndmask_b32_e64 v3, v3, v18, s[6:7]
	v_cndmask_b32_e64 v16, v4, v18, s[8:9]
	;; [unrolled: 1-line block ×19, first 2 shown]
	v_cvt_f16_f32_e32 v22, v18
	v_cvt_f16_f32_sdwa v23, v65 dst_sel:WORD_1 dst_unused:UNUSED_PAD src0_sel:DWORD
	v_cvt_f16_f32_e32 v21, v21
	v_cvt_f16_f32_sdwa v20, v20 dst_sel:WORD_1 dst_unused:UNUSED_PAD src0_sel:DWORD
	v_cndmask_b32_e32 v4, v19, v58, vcc
	v_cndmask_b32_e64 v9, v24, v58, s[14:15]
	v_cndmask_b32_e64 v10, v25, v58, s[0:1]
	;; [unrolled: 1-line block ×7, first 2 shown]
	v_lshl_add_u64 v[18:19], v[36:37], 1, v[0:1]
	v_cmp_lt_i32_e32 vcc, s53, v86
	v_or_b32_e32 v22, v23, v22
	;;#ASMSTART
	global_atomic_pk_add_f16 v[18:19], v22, off
	
	;;#ASMEND
	v_lshl_add_u64 v[18:19], v[18:19], 0, 64
	v_or_b32_e32 v20, v20, v21
	;;#ASMSTART
	global_atomic_pk_add_f16 v[18:19], v20, off
	
	;;#ASMEND
	s_and_b64 exec, exec, vcc
	s_cbranch_execz .LBB177_32
; %bb.26:                               ;   in Loop: Header=BB177_7 Depth=1
	v_cvt_f16_f32_e32 v20, v64
	v_cvt_f16_f32_sdwa v21, v63 dst_sel:WORD_1 dst_unused:UNUSED_PAD src0_sel:DWORD
	v_cvt_f16_f32_e32 v22, v15
	v_cvt_f16_f32_sdwa v23, v14 dst_sel:WORD_1 dst_unused:UNUSED_PAD src0_sel:DWORD
	v_lshl_add_u64 v[18:19], v[38:39], 1, v[0:1]
	v_or_b32_e32 v14, v21, v20
	v_cmp_lt_i32_e32 vcc, s53, v87
	;;#ASMSTART
	global_atomic_pk_add_f16 v[18:19], v14, off
	
	;;#ASMEND
	v_lshl_add_u64 v[14:15], v[18:19], 0, 64
	v_or_b32_e32 v18, v23, v22
	;;#ASMSTART
	global_atomic_pk_add_f16 v[14:15], v18, off
	
	;;#ASMEND
	s_and_b64 exec, exec, vcc
	s_cbranch_execz .LBB177_32
; %bb.27:                               ;   in Loop: Header=BB177_7 Depth=1
	v_cvt_f16_f32_e32 v18, v62
	v_cvt_f16_f32_sdwa v19, v61 dst_sel:WORD_1 dst_unused:UNUSED_PAD src0_sel:DWORD
	v_cvt_f16_f32_e32 v20, v13
	v_cvt_f16_f32_sdwa v21, v12 dst_sel:WORD_1 dst_unused:UNUSED_PAD src0_sel:DWORD
	v_lshl_add_u64 v[14:15], v[40:41], 1, v[0:1]
	v_or_b32_e32 v12, v19, v18
	v_cmp_lt_i32_e32 vcc, s53, v88
	;; [unrolled: 20-line block ×5, first 2 shown]
	;;#ASMSTART
	global_atomic_pk_add_f16 v[8:9], v6, off
	
	;;#ASMEND
	v_lshl_add_u64 v[6:7], v[8:9], 0, 64
	v_or_b32_e32 v8, v13, v12
	;;#ASMSTART
	global_atomic_pk_add_f16 v[6:7], v8, off
	
	;;#ASMEND
	s_and_b64 exec, exec, vcc
	s_cbranch_execz .LBB177_32
; %bb.31:                               ;   in Loop: Header=BB177_7 Depth=1
	v_cvt_f16_f32_e32 v3, v3
	v_cvt_f16_f32_sdwa v2, v2 dst_sel:WORD_1 dst_unused:UNUSED_PAD src0_sel:DWORD
	v_cvt_f16_f32_e32 v5, v5
	v_cvt_f16_f32_sdwa v4, v4 dst_sel:WORD_1 dst_unused:UNUSED_PAD src0_sel:DWORD
	v_lshl_add_u64 v[0:1], v[48:49], 1, v[0:1]
	v_or_b32_e32 v2, v2, v3
	;;#ASMSTART
	global_atomic_pk_add_f16 v[0:1], v2, off
	
	;;#ASMEND
	v_lshl_add_u64 v[0:1], v[0:1], 0, 64
	v_or_b32_e32 v2, v4, v5
	;;#ASMSTART
	global_atomic_pk_add_f16 v[0:1], v2, off
	
	;;#ASMEND
.LBB177_32:                             ;   in Loop: Header=BB177_7 Depth=1
	s_or_b64 exec, exec, s[40:41]
	v_readlane_b32 s14, v105, 10
	v_readlane_b32 s24, v105, 12
	;; [unrolled: 1-line block ×6, first 2 shown]
	v_subrev_u32_e32 v96, s20, v96
	v_readlane_b32 s11, v105, 0
	v_readlane_b32 s12, v105, 1
	;; [unrolled: 1-line block ×19, first 2 shown]
.LBB177_33:                             ;   in Loop: Header=BB177_7 Depth=1
	s_or_b64 exec, exec, s[2:3]
.LBB177_34:                             ;   in Loop: Header=BB177_7 Depth=1
	s_andn2_saveexec_b64 s[0:1], s[4:5]
	s_cbranch_execz .LBB177_43
; %bb.35:                               ;   in Loop: Header=BB177_7 Depth=1
	s_lshl_b32 s10, s20, 1
	v_cmp_gt_i32_e32 vcc, s10, v96
	s_and_saveexec_b64 s[2:3], vcc
	s_cbranch_execz .LBB177_42
; %bb.36:                               ;   in Loop: Header=BB177_7 Depth=1
	s_mul_i32 s4, s54, s19
	s_ashr_i32 s5, s4, 31
	s_add_u32 s4, s46, s4
	s_addc_u32 s5, s47, s5
	s_ashr_i32 s6, s39, 31
	s_add_u32 s4, s4, s39
	s_addc_u32 s5, s5, s6
	v_lshl_add_u64 v[0:1], s[4:5], 0, v[52:53]
	v_lshl_add_u64 v[16:17], v[0:1], 0, v[50:51]
	s_mov_b64 s[4:5], 0
	s_branch .LBB177_38
.LBB177_37:                             ;   in Loop: Header=BB177_38 Depth=2
	s_or_b64 exec, exec, s[6:7]
	v_lshl_add_u32 v20, v18, 12, v92
	;;#ASMSTART
	s_waitcnt vmcnt(3)
	;;#ASMEND
	ds_write2_b32 v20, v12, v13 offset1:32
	ds_write2_b32 v20, v14, v15 offset0:64 offset1:96
	v_add_u32_e32 v12, 0x400, v20
	;;#ASMSTART
	s_waitcnt vmcnt(2)
	;;#ASMEND
	ds_write2_b32 v12, v8, v9 offset1:32
	ds_write2_b32 v12, v10, v11 offset0:64 offset1:96
	v_add_u32_e32 v8, 0x800, v20
	;; [unrolled: 6-line block ×3, first 2 shown]
	v_add_u32_e32 v96, s22, v96
	;;#ASMSTART
	s_waitcnt vmcnt(0)
	;;#ASMEND
	ds_write2_b32 v4, v0, v1 offset1:32
	ds_write2_b32 v4, v2, v3 offset0:64 offset1:96
	v_add_u32_e32 v0, 1, v71
	v_add_u32_e32 v56, s22, v18
	v_cmp_le_i32_e32 vcc, s10, v96
	ds_write_b32 v19, v0 offset:24
	v_add_u32_e32 v0, 2, v71
	s_or_b64 s[4:5], vcc, s[4:5]
	v_cmp_lt_i32_e32 vcc, 5, v56
	s_nop 1
	v_cndmask_b32_e32 v71, v71, v0, vcc
	s_andn2_b64 exec, exec, s[4:5]
	s_cbranch_execz .LBB177_41
.LBB177_38:                             ;   Parent Loop BB177_7 Depth=1
                                        ; =>  This Loop Header: Depth=2
                                        ;       Child Loop BB177_40 Depth 3
	v_cmp_gt_i32_e32 vcc, 6, v56
	s_nop 1
	v_cndmask_b32_e64 v0, -6, 0, vcc
	s_waitcnt lgkmcnt(1)
	v_add_u32_e32 v18, v0, v56
	v_lshrrev_b32_e32 v0, 31, v96
	v_add_u32_e32 v0, v96, v0
	v_and_b32_e32 v1, -2, v0
	v_lshlrev_b32_e32 v0, 6, v0
	v_sub_u32_e32 v2, v96, v1
	v_and_b32_e32 v0, 0xffffff80, v0
	v_ashrrev_i32_e32 v1, 31, v0
	v_mul_lo_u32 v2, s31, v2
	v_lshl_add_u64 v[0:1], v[16:17], 0, v[0:1]
	v_ashrrev_i32_e32 v3, 31, v2
	v_lshl_add_u64 v[0:1], v[0:1], 0, v[2:3]
	v_lshlrev_b32_e32 v19, 2, v18
	;;#ASMSTART
	global_load_dwordx4 v[12:15], v[0:1], off offset:0   sc0 sc1 nt  
	global_load_dwordx4 v[8:11], v[0:1], off offset:32  sc0 sc1 nt  
	global_load_dwordx4 v[4:7], v[0:1], off offset:64  sc0 sc1 nt  
	;; [unrolled: 1-line block ×3, first 2 shown]
	
	;;#ASMEND
	ds_read_b32 v20, v19 offset:49176
	v_add_u32_e32 v19, 0xc000, v19
	s_waitcnt lgkmcnt(0)
	v_cmp_ne_u32_e32 vcc, v20, v71
	s_and_saveexec_b64 s[6:7], vcc
	s_cbranch_execz .LBB177_37
; %bb.39:                               ;   in Loop: Header=BB177_38 Depth=2
	s_mov_b64 s[8:9], 0
.LBB177_40:                             ;   Parent Loop BB177_7 Depth=1
                                        ;     Parent Loop BB177_38 Depth=2
                                        ; =>    This Inner Loop Header: Depth=3
	;;#ASMSTART
	s_sleep 0
	;;#ASMEND
	ds_read_b32 v20, v19 offset:24
	s_waitcnt lgkmcnt(0)
	v_cmp_eq_u32_e32 vcc, v20, v71
	s_or_b64 s[8:9], vcc, s[8:9]
	s_andn2_b64 exec, exec, s[8:9]
	s_cbranch_execnz .LBB177_40
	s_branch .LBB177_37
.LBB177_41:                             ;   in Loop: Header=BB177_7 Depth=1
	s_or_b64 exec, exec, s[4:5]
.LBB177_42:                             ;   in Loop: Header=BB177_7 Depth=1
	s_or_b64 exec, exec, s[2:3]
	v_subrev_u32_e32 v96, s10, v96
.LBB177_43:                             ;   in Loop: Header=BB177_7 Depth=1
	s_or_b64 exec, exec, s[0:1]
.LBB177_44:                             ;   in Loop: Header=BB177_7 Depth=1
	s_andn2_saveexec_b64 s[0:1], s[40:41]
	s_cbranch_execz .LBB177_6
; %bb.45:                               ;   in Loop: Header=BB177_7 Depth=1
	s_lshl_b32 s10, s20, 1
	v_cmp_gt_i32_e32 vcc, s10, v96
	s_and_saveexec_b64 s[2:3], vcc
	s_cbranch_execz .LBB177_5
; %bb.46:                               ;   in Loop: Header=BB177_7 Depth=1
	s_mul_i32 s4, s52, s18
	s_max_i32 s6, s53, 0
	s_ashr_i32 s5, s4, 31
	s_add_u32 s4, s44, s4
	v_add_u32_e32 v2, s6, v72
	s_addc_u32 s5, s45, s5
	s_ashr_i32 s7, s39, 31
	v_cmp_gt_u32_e32 vcc, 64, v2
	s_add_u32 s4, s4, s39
	s_addc_u32 s5, s5, s7
	v_cndmask_b32_e32 v0, 0, v93, vcc
	v_ashrrev_i32_e32 v1, 31, v0
	v_lshl_add_u64 v[0:1], s[4:5], 0, v[0:1]
	v_lshl_add_u64 v[16:17], v[0:1], 0, v[50:51]
	s_waitcnt lgkmcnt(1)
	v_sub_u32_e32 v18, 63, v2
	s_mov_b64 s[4:5], 0
	s_branch .LBB177_48
.LBB177_47:                             ;   in Loop: Header=BB177_48 Depth=2
	s_or_b64 exec, exec, s[6:7]
	v_lshl_or_b32 v21, v19, 12, v94
	;;#ASMSTART
	s_waitcnt vmcnt(3)
	;;#ASMEND
	ds_write2_b32 v21, v12, v13 offset1:32
	ds_write2_b32 v21, v14, v15 offset0:64 offset1:96
	v_add_u32_e32 v12, 0x400, v21
	;;#ASMSTART
	s_waitcnt vmcnt(2)
	;;#ASMEND
	ds_write2_b32 v12, v8, v9 offset1:32
	ds_write2_b32 v12, v10, v11 offset0:64 offset1:96
	v_add_u32_e32 v8, 0x800, v21
	;; [unrolled: 6-line block ×3, first 2 shown]
	v_add_u32_e32 v96, s21, v96
	;;#ASMSTART
	s_waitcnt vmcnt(0)
	;;#ASMEND
	ds_write2_b32 v4, v0, v1 offset1:32
	ds_write2_b32 v4, v2, v3 offset0:64 offset1:96
	v_add_u32_e32 v0, 1, v71
	v_add_u32_e32 v56, s21, v19
	v_cmp_le_i32_e32 vcc, s10, v96
	ds_write_b32 v20, v0
	v_add_u32_e32 v0, 2, v71
	s_or_b64 s[4:5], vcc, s[4:5]
	v_cmp_lt_i32_e32 vcc, 5, v56
	s_nop 1
	v_cndmask_b32_e32 v71, v71, v0, vcc
	s_andn2_b64 exec, exec, s[4:5]
	s_cbranch_execz .LBB177_4
.LBB177_48:                             ;   Parent Loop BB177_7 Depth=1
                                        ; =>  This Loop Header: Depth=2
                                        ;       Child Loop BB177_50 Depth 3
	v_cmp_gt_i32_e32 vcc, 6, v56
	s_nop 1
	v_cndmask_b32_e64 v0, -6, 0, vcc
	v_add_u32_e32 v19, v0, v56
	v_lshrrev_b32_e32 v0, 31, v96
	v_add_u32_e32 v0, v96, v0
	v_and_b32_e32 v1, 0x7fffffe, v0
	v_sub_u32_e32 v1, v96, v1
	v_lshlrev_b32_e32 v1, 5, v1
	v_cmp_le_i32_e32 vcc, v1, v18
	v_lshlrev_b32_e32 v0, 6, v0
	v_and_b32_e32 v0, 0xffffff80, v0
	v_cndmask_b32_e32 v2, 0, v1, vcc
	v_ashrrev_i32_e32 v1, 31, v0
	v_mul_lo_u32 v2, v2, s18
	v_lshl_add_u64 v[0:1], v[16:17], 0, v[0:1]
	v_ashrrev_i32_e32 v3, 31, v2
	v_lshl_add_u64 v[0:1], v[0:1], 0, v[2:3]
	v_lshlrev_b32_e32 v20, 2, v19
	;;#ASMSTART
	global_load_dwordx4 v[12:15], v[0:1], off offset:0   
	global_load_dwordx4 v[8:11], v[0:1], off offset:32  
	;; [unrolled: 1-line block ×4, first 2 shown]
	
	;;#ASMEND
	ds_read_b32 v21, v20 offset:49152
	v_add_u32_e32 v20, 0xc000, v20
	s_waitcnt lgkmcnt(0)
	v_cmp_ne_u32_e32 vcc, v21, v71
	s_and_saveexec_b64 s[6:7], vcc
	s_cbranch_execz .LBB177_47
; %bb.49:                               ;   in Loop: Header=BB177_48 Depth=2
	s_mov_b64 s[8:9], 0
.LBB177_50:                             ;   Parent Loop BB177_7 Depth=1
                                        ;     Parent Loop BB177_48 Depth=2
                                        ; =>    This Inner Loop Header: Depth=3
	;;#ASMSTART
	s_sleep 0
	;;#ASMEND
	ds_read_b32 v21, v20
	s_waitcnt lgkmcnt(0)
	v_cmp_eq_u32_e32 vcc, v21, v71
	s_or_b64 s[8:9], vcc, s[8:9]
	s_andn2_b64 exec, exec, s[8:9]
	s_cbranch_execnz .LBB177_50
	s_branch .LBB177_47
.LBB177_51:
	s_endpgm
	.section	.rodata,"a",@progbits
	.p2align	6, 0x0
	.amdhsa_kernel _Z19_skinny_gemm_kernelILi2ELi2ELi3ELi32ELi8EEvPKhS1_P6__halfPKfiiiiiiii
		.amdhsa_group_segment_fixed_size 49200
		.amdhsa_private_segment_fixed_size 0
		.amdhsa_kernarg_size 64
		.amdhsa_user_sgpr_count 2
		.amdhsa_user_sgpr_dispatch_ptr 0
		.amdhsa_user_sgpr_queue_ptr 0
		.amdhsa_user_sgpr_kernarg_segment_ptr 1
		.amdhsa_user_sgpr_dispatch_id 0
		.amdhsa_user_sgpr_kernarg_preload_length 0
		.amdhsa_user_sgpr_kernarg_preload_offset 0
		.amdhsa_user_sgpr_private_segment_size 0
		.amdhsa_uses_dynamic_stack 0
		.amdhsa_enable_private_segment 0
		.amdhsa_system_sgpr_workgroup_id_x 1
		.amdhsa_system_sgpr_workgroup_id_y 0
		.amdhsa_system_sgpr_workgroup_id_z 0
		.amdhsa_system_sgpr_workgroup_info 0
		.amdhsa_system_vgpr_workitem_id 0
		.amdhsa_next_free_vgpr 106
		.amdhsa_next_free_sgpr 100
		.amdhsa_accum_offset 108
		.amdhsa_reserve_vcc 1
		.amdhsa_float_round_mode_32 0
		.amdhsa_float_round_mode_16_64 0
		.amdhsa_float_denorm_mode_32 3
		.amdhsa_float_denorm_mode_16_64 3
		.amdhsa_dx10_clamp 1
		.amdhsa_ieee_mode 1
		.amdhsa_fp16_overflow 0
		.amdhsa_tg_split 0
		.amdhsa_exception_fp_ieee_invalid_op 0
		.amdhsa_exception_fp_denorm_src 0
		.amdhsa_exception_fp_ieee_div_zero 0
		.amdhsa_exception_fp_ieee_overflow 0
		.amdhsa_exception_fp_ieee_underflow 0
		.amdhsa_exception_fp_ieee_inexact 0
		.amdhsa_exception_int_div_zero 0
	.end_amdhsa_kernel
	.section	.text._Z19_skinny_gemm_kernelILi2ELi2ELi3ELi32ELi8EEvPKhS1_P6__halfPKfiiiiiiii,"axG",@progbits,_Z19_skinny_gemm_kernelILi2ELi2ELi3ELi32ELi8EEvPKhS1_P6__halfPKfiiiiiiii,comdat
.Lfunc_end177:
	.size	_Z19_skinny_gemm_kernelILi2ELi2ELi3ELi32ELi8EEvPKhS1_P6__halfPKfiiiiiiii, .Lfunc_end177-_Z19_skinny_gemm_kernelILi2ELi2ELi3ELi32ELi8EEvPKhS1_P6__halfPKfiiiiiiii
                                        ; -- End function
	.set _Z19_skinny_gemm_kernelILi2ELi2ELi3ELi32ELi8EEvPKhS1_P6__halfPKfiiiiiiii.num_vgpr, 106
	.set _Z19_skinny_gemm_kernelILi2ELi2ELi3ELi32ELi8EEvPKhS1_P6__halfPKfiiiiiiii.num_agpr, 0
	.set _Z19_skinny_gemm_kernelILi2ELi2ELi3ELi32ELi8EEvPKhS1_P6__halfPKfiiiiiiii.numbered_sgpr, 100
	.set _Z19_skinny_gemm_kernelILi2ELi2ELi3ELi32ELi8EEvPKhS1_P6__halfPKfiiiiiiii.num_named_barrier, 0
	.set _Z19_skinny_gemm_kernelILi2ELi2ELi3ELi32ELi8EEvPKhS1_P6__halfPKfiiiiiiii.private_seg_size, 0
	.set _Z19_skinny_gemm_kernelILi2ELi2ELi3ELi32ELi8EEvPKhS1_P6__halfPKfiiiiiiii.uses_vcc, 1
	.set _Z19_skinny_gemm_kernelILi2ELi2ELi3ELi32ELi8EEvPKhS1_P6__halfPKfiiiiiiii.uses_flat_scratch, 0
	.set _Z19_skinny_gemm_kernelILi2ELi2ELi3ELi32ELi8EEvPKhS1_P6__halfPKfiiiiiiii.has_dyn_sized_stack, 0
	.set _Z19_skinny_gemm_kernelILi2ELi2ELi3ELi32ELi8EEvPKhS1_P6__halfPKfiiiiiiii.has_recursion, 0
	.set _Z19_skinny_gemm_kernelILi2ELi2ELi3ELi32ELi8EEvPKhS1_P6__halfPKfiiiiiiii.has_indirect_call, 0
	.section	.AMDGPU.csdata,"",@progbits
; Kernel info:
; codeLenInByte = 10120
; TotalNumSgprs: 106
; NumVgprs: 106
; NumAgprs: 0
; TotalNumVgprs: 106
; ScratchSize: 0
; MemoryBound: 0
; FloatMode: 240
; IeeeMode: 1
; LDSByteSize: 49200 bytes/workgroup (compile time only)
; SGPRBlocks: 13
; VGPRBlocks: 13
; NumSGPRsForWavesPerEU: 106
; NumVGPRsForWavesPerEU: 106
; AccumOffset: 108
; Occupancy: 4
; WaveLimiterHint : 0
; COMPUTE_PGM_RSRC2:SCRATCH_EN: 0
; COMPUTE_PGM_RSRC2:USER_SGPR: 2
; COMPUTE_PGM_RSRC2:TRAP_HANDLER: 0
; COMPUTE_PGM_RSRC2:TGID_X_EN: 1
; COMPUTE_PGM_RSRC2:TGID_Y_EN: 0
; COMPUTE_PGM_RSRC2:TGID_Z_EN: 0
; COMPUTE_PGM_RSRC2:TIDIG_COMP_CNT: 0
; COMPUTE_PGM_RSRC3_GFX90A:ACCUM_OFFSET: 26
; COMPUTE_PGM_RSRC3_GFX90A:TG_SPLIT: 0
	.section	.text._Z19_skinny_gemm_kernelILi2ELi2ELi4ELi16ELi4EEvPKhS1_P6__halfPKfiiiiiiii,"axG",@progbits,_Z19_skinny_gemm_kernelILi2ELi2ELi4ELi16ELi4EEvPKhS1_P6__halfPKfiiiiiiii,comdat
	.protected	_Z19_skinny_gemm_kernelILi2ELi2ELi4ELi16ELi4EEvPKhS1_P6__halfPKfiiiiiiii ; -- Begin function _Z19_skinny_gemm_kernelILi2ELi2ELi4ELi16ELi4EEvPKhS1_P6__halfPKfiiiiiiii
	.globl	_Z19_skinny_gemm_kernelILi2ELi2ELi4ELi16ELi4EEvPKhS1_P6__halfPKfiiiiiiii
	.p2align	8
	.type	_Z19_skinny_gemm_kernelILi2ELi2ELi4ELi16ELi4EEvPKhS1_P6__halfPKfiiiiiiii,@function
_Z19_skinny_gemm_kernelILi2ELi2ELi4ELi16ELi4EEvPKhS1_P6__halfPKfiiiiiiii: ; @_Z19_skinny_gemm_kernelILi2ELi2ELi4ELi16ELi4EEvPKhS1_P6__halfPKfiiiiiiii
; %bb.0:
	v_cmp_gt_u32_e32 vcc, 16, v0
	v_lshlrev_b32_e32 v1, 2, v0
	s_and_saveexec_b64 s[4:5], vcc
; %bb.1:
	v_mov_b32_e32 v2, 0
	ds_write_b32 v1, v2 offset:32768
; %bb.2:
	s_or_b64 exec, exec, s[4:5]
	s_load_dwordx8 s[16:23], s[0:1], 0x20
	s_waitcnt lgkmcnt(0)
	s_barrier
	s_add_i32 s3, s16, 31
	s_ashr_i32 s5, s3, 31
	s_add_i32 s4, s17, 31
	s_lshr_b32 s5, s5, 27
	s_ashr_i32 s6, s4, 31
	s_add_i32 s3, s3, s5
	s_ashr_i32 s33, s3, 5
	s_lshr_b32 s3, s6, 27
	s_add_i32 s4, s4, s3
	s_ashr_i32 s48, s4, 5
	s_mul_i32 s3, s48, s33
	s_mul_i32 s3, s3, s20
	s_add_i32 s4, s3, 0x12f
	s_mul_hi_i32 s4, s4, 0x6bca1af3
	s_lshr_b32 s5, s4, 31
	s_ashr_i32 s4, s4, 7
	s_add_i32 s4, s4, s5
	s_add_i32 s5, s2, 1
	s_mul_i32 s5, s4, s5
	v_cvt_f64_i32_e32 v[2:3], s3
	v_cvt_f64_u32_e32 v[4:5], s5
	v_min_f64 v[2:3], v[2:3], v[4:5]
	v_cvt_i32_f64_e32 v17, v[2:3]
	s_mul_i32 s49, s4, s2
	v_cmp_ge_i32_e32 vcc, s49, v17
	s_cbranch_vccnz .LBB178_50
; %bb.3:
	v_lshrrev_b32_e32 v2, 6, v0
	s_add_i32 s4, s22, s21
	s_load_dwordx8 s[24:31], s[0:1], 0x0
	v_cmp_le_i32_e64 s[0:1], s4, v2
	v_mov_b32_e32 v3, s21
	v_cmp_le_i32_e64 s[2:3], s21, v2
	v_mov_b32_e32 v4, s22
	v_cndmask_b32_e64 v4, 0, v4, s[0:1]
	v_cndmask_b32_e64 v3, 0, v3, s[2:3]
	s_abs_i32 s5, s20
	v_add_u32_e32 v3, v3, v4
	v_cvt_f32_u32_e32 v4, s5
	v_sub_u32_e32 v28, v2, v3
	s_ashr_i32 s6, s18, 31
	s_lshr_b32 s6, s6, 25
	v_rcp_iflag_f32_e32 v3, v4
	s_sub_i32 s9, 0, s5
	s_add_i32 s6, s18, s6
	s_ashr_i32 s6, s6, 7
	v_mul_f32_e32 v3, 0x4f7ffffe, v3
	v_cvt_u32_f32_e32 v3, v3
	s_abs_i32 s8, s6
	s_xor_b32 s7, s6, s20
	s_ashr_i32 s7, s7, 31
	v_readfirstlane_b32 s10, v3
	s_mul_i32 s9, s9, s10
	s_mul_hi_u32 s9, s10, s9
	s_add_i32 s10, s10, s9
	s_mul_hi_u32 s9, s8, s10
	s_mul_i32 s10, s9, s5
	s_sub_i32 s8, s8, s10
	s_add_i32 s10, s9, 1
	s_sub_i32 s11, s8, s5
	s_cmp_ge_u32 s8, s5
	s_cselect_b32 s9, s10, s9
	s_cselect_b32 s8, s11, s8
	s_add_i32 s10, s9, 1
	s_cmp_ge_u32 s8, s5
	s_cselect_b32 s5, s10, s9
	s_xor_b32 s5, s5, s7
	s_sub_i32 s50, s5, s7
	s_add_i32 s20, s20, -1
	s_mul_i32 s5, s50, s20
	s_add_i32 s4, s4, s23
	s_sub_i32 s51, s6, s5
	v_cmp_gt_i32_e64 s[4:5], s4, v2
	v_lshlrev_b32_e32 v2, 1, v0
	v_lshlrev_b32_e32 v3, 4, v0
	s_abs_i32 s52, s33
	v_and_b32_e32 v1, 60, v1
	v_and_b32_e32 v2, 64, v2
	;; [unrolled: 1-line block ×4, first 2 shown]
	v_cvt_f32_u32_e32 v3, s52
	v_or3_b32 v47, v1, v2, v4
	v_and_b32_e32 v1, 1, v0
	v_lshlrev_b32_e32 v2, 1, v1
	v_lshrrev_b32_e32 v4, 2, v0
	v_and_b32_e32 v16, 14, v0
	v_sub_u32_e32 v2, v0, v2
	v_bitop3_b32 v48, v0, 1, v0 bitop3:0xc
	v_bitop3_b32 v49, v0, 3, 1 bitop3:0x6c
	v_and_or_b32 v50, v4, 12, v1
	v_bfe_u32 v51, v0, 2, 4
	v_and_b32_e32 v1, 60, v0
	v_lshlrev_b32_e32 v4, 8, v0
	v_lshlrev_b32_e32 v0, 6, v0
	v_and_b32_e32 v4, 0x200, v4
	v_rcp_iflag_f32_e32 v3, v3
	v_and_b32_e32 v0, 64, v0
	s_abs_i32 s54, s48
	v_or3_b32 v52, v1, v4, v0
	v_cvt_f32_u32_e32 v1, s54
	v_mul_f32_e32 v0, 0x4f7ffffe, v3
	v_cvt_u32_f32_e32 v0, v0
	v_mad_u64_u32 v[18:19], s[6:7], s17, v50, v[16:17]
	v_rcp_iflag_f32_e32 v1, v1
	v_readfirstlane_b32 s7, v0
	s_sub_i32 s6, 0, s52
	s_mul_i32 s6, s6, s7
	v_mul_f32_e32 v0, 0x4f7ffffe, v1
	v_cvt_u32_f32_e32 v0, v0
	s_mul_hi_u32 s6, s7, s6
	v_add_u32_e32 v2, 1, v2
	s_add_i32 s56, s7, s6
	s_sub_i32 s6, 0, s54
	v_readfirstlane_b32 s7, v0
	v_mbcnt_lo_u32_b32 v0, -1, 0
	v_and_b32_e32 v2, 63, v2
	s_mul_i32 s6, s6, s7
	v_mbcnt_hi_u32_b32 v0, -1, v0
	v_lshl_add_u32 v20, s17, 4, v18
	v_mul_lo_u32 v24, s19, v51
	s_mul_hi_u32 s6, s7, s6
	v_and_or_b32 v0, v0, 64, v2
	v_cndmask_b32_e64 v46, 0, 1, s[0:1]
	s_ashr_i32 s35, s17, 31
	s_mov_b32 s34, s17
	v_ashrrev_i32_e32 v19, 31, v18
	v_ashrrev_i32_e32 v21, 31, v20
	v_ashrrev_i32_e32 v25, 31, v24
	v_mov_b32_e32 v23, 0
	s_lshl_b32 s53, s19, 4
	s_ashr_i32 s55, s33, 31
	s_ashr_i32 s57, s48, 31
	s_add_i32 s58, s7, s6
	v_lshlrev_b32_e32 v53, 2, v0
	v_mov_b32_e32 v54, v28
	s_branch .LBB178_7
.LBB178_4:                              ;   in Loop: Header=BB178_7 Depth=1
	s_or_b64 exec, exec, s[10:11]
.LBB178_5:                              ;   in Loop: Header=BB178_7 Depth=1
	s_or_b64 exec, exec, s[8:9]
	v_subrev_u32_e32 v54, s36, v54
.LBB178_6:                              ;   in Loop: Header=BB178_7 Depth=1
	s_or_b64 exec, exec, s[6:7]
	s_add_i32 s49, s49, 1
	v_cmp_ge_i32_e32 vcc, s49, v17
	s_cbranch_vccnz .LBB178_50
.LBB178_7:                              ; =>This Loop Header: Depth=1
                                        ;     Child Loop BB178_13 Depth 2
                                        ;       Child Loop BB178_15 Depth 3
                                        ;       Child Loop BB178_18 Depth 3
	;; [unrolled: 1-line block ×4, first 2 shown]
                                        ;     Child Loop BB178_37 Depth 2
                                        ;       Child Loop BB178_39 Depth 3
                                        ;     Child Loop BB178_47 Depth 2
                                        ;       Child Loop BB178_49 Depth 3
	s_abs_i32 s7, s49
	s_mul_hi_u32 s8, s7, s56
	s_mul_i32 s9, s8, s52
	s_ashr_i32 s6, s49, 31
	s_sub_i32 s7, s7, s9
	s_xor_b32 s6, s6, s55
	s_add_i32 s9, s8, 1
	s_sub_i32 s10, s7, s52
	s_cmp_ge_u32 s7, s52
	s_cselect_b32 s8, s9, s8
	s_cselect_b32 s7, s10, s7
	s_add_i32 s9, s8, 1
	s_cmp_ge_u32 s7, s52
	s_cselect_b32 s7, s9, s8
	s_xor_b32 s7, s7, s6
	s_sub_i32 s6, s7, s6
	s_abs_i32 s8, s6
	s_mul_i32 s7, s6, s33
	s_mul_hi_u32 s9, s8, s58
	s_sub_i32 s7, s49, s7
	s_mul_i32 s10, s9, s54
	s_lshl_b32 s59, s7, 5
	s_ashr_i32 s7, s6, 31
	s_sub_i32 s8, s8, s10
	s_xor_b32 s7, s7, s57
	s_add_i32 s10, s9, 1
	s_sub_i32 s11, s8, s54
	s_cmp_ge_u32 s8, s54
	s_cselect_b32 s9, s10, s9
	s_cselect_b32 s8, s11, s8
	s_add_i32 s10, s9, 1
	s_cmp_ge_u32 s8, s54
	s_cselect_b32 s8, s10, s9
	s_xor_b32 s8, s8, s7
	s_sub_i32 s7, s8, s7
	s_mul_i32 s8, s7, s50
	s_lshl_b32 s60, s8, 7
	s_cmp_eq_u32 s7, s20
	s_cselect_b32 s62, s51, s50
	s_sub_i32 s8, s59, s16
	s_add_i32 s8, s8, 32
	s_max_i32 s61, s8, 0
	s_and_saveexec_b64 s[8:9], s[2:3]
	s_xor_b64 s[36:37], exec, s[8:9]
	s_cbranch_execz .LBB178_43
; %bb.8:                                ;   in Loop: Header=BB178_7 Depth=1
	s_mul_i32 s7, s7, s48
	s_sub_i32 s6, s6, s7
	s_lshl_b32 s6, s6, 5
	s_sub_i32 s14, s6, s17
	s_add_i32 s14, s14, 32
	s_max_i32 s7, s14, 0
	s_sub_i32 s38, s6, s7
	s_and_saveexec_b64 s[6:7], s[0:1]
	s_xor_b64 s[40:41], exec, s[6:7]
	s_cbranch_execz .LBB178_33
; %bb.9:                                ;   in Loop: Header=BB178_7 Depth=1
	s_and_saveexec_b64 s[42:43], s[4:5]
	s_cbranch_execz .LBB178_32
; %bb.10:                               ;   in Loop: Header=BB178_7 Depth=1
	s_waitcnt lgkmcnt(0)
	global_load_dword v55, v23, s[30:31]
	v_mov_b32_e32 v15, 0
	v_cmp_gt_i32_e32 vcc, s62, v54
	v_mov_b32_e32 v14, v15
	v_mov_b32_e32 v13, v15
	;; [unrolled: 1-line block ×15, first 2 shown]
	s_and_saveexec_b64 s[6:7], vcc
	s_cbranch_execz .LBB178_26
; %bb.11:                               ;   in Loop: Header=BB178_7 Depth=1
	v_mov_b32_e32 v0, 0
	s_mov_b64 s[8:9], 0
	v_mov_b32_e32 v1, v0
	v_mov_b32_e32 v2, v0
	;; [unrolled: 1-line block ×15, first 2 shown]
	s_branch .LBB178_13
.LBB178_12:                             ;   in Loop: Header=BB178_13 Depth=2
	s_or_b64 exec, exec, s[10:11]
	v_add_u32_e32 v34, 0x800, v58
	ds_read2_b32 v[28:29], v34 offset1:32
	v_add_u32_e32 v58, 0xc00, v58
	v_add_u32_e32 v54, s23, v54
	s_waitcnt lgkmcnt(0)
	v_mfma_f32_16x16x32_fp8_fp8 v[8:11], v[26:27], v[28:29], v[8:11]
	ds_read2_b32 v[26:27], v34 offset0:128 offset1:160
	ds_read2_b32 v[34:35], v58 offset1:32
	v_mfma_f32_16x16x32_fp8_fp8 v[0:3], v[42:43], v[28:29], v[0:3]
	v_add_u32_e32 v28, s23, v56
	v_cmp_lt_i32_e32 vcc, 3, v28
	s_waitcnt lgkmcnt(1)
	v_mfma_f32_16x16x32_fp8_fp8 v[8:11], v[36:37], v[26:27], v[8:11]
	ds_read2_b32 v[36:37], v58 offset0:128 offset1:160
	;;#ASMSTART
	s_waitcnt lgkmcnt(0)
	;;#ASMEND
	ds_write_b32 v57, v59 offset:32804
	v_mfma_f32_16x16x32_fp8_fp8 v[0:3], v[44:45], v[26:27], v[0:3]
	v_add_u32_e32 v26, 2, v46
	v_cndmask_b32_e32 v46, v46, v26, vcc
	v_cmp_le_i32_e32 vcc, s62, v54
	s_waitcnt lgkmcnt(2)
	v_mfma_f32_16x16x32_fp8_fp8 v[8:11], v[38:39], v[34:35], v[8:11]
	s_or_b64 s[8:9], vcc, s[8:9]
	v_mfma_f32_16x16x32_fp8_fp8 v[0:3], v[32:33], v[34:35], v[0:3]
	s_waitcnt lgkmcnt(1)
	v_mfma_f32_16x16x32_fp8_fp8 v[8:11], v[40:41], v[36:37], v[8:11]
	v_mfma_f32_16x16x32_fp8_fp8 v[0:3], v[30:31], v[36:37], v[0:3]
	s_andn2_b64 exec, exec, s[8:9]
	s_cbranch_execz .LBB178_25
.LBB178_13:                             ;   Parent Loop BB178_7 Depth=1
                                        ; =>  This Loop Header: Depth=2
                                        ;       Child Loop BB178_15 Depth 3
                                        ;       Child Loop BB178_18 Depth 3
	;; [unrolled: 1-line block ×4, first 2 shown]
	v_cmp_gt_i32_e32 vcc, 4, v28
	s_nop 1
	v_cndmask_b32_e64 v26, -4, 0, vcc
	v_add_u32_e32 v56, v26, v28
	v_lshlrev_b32_e32 v57, 3, v56
	ds_read_b32 v26, v57 offset:32800
	s_waitcnt lgkmcnt(0)
	v_cmp_ne_u32_e32 vcc, v26, v46
	s_and_saveexec_b64 s[10:11], vcc
	s_cbranch_execz .LBB178_16
; %bb.14:                               ;   in Loop: Header=BB178_13 Depth=2
	s_mov_b64 s[12:13], 0
.LBB178_15:                             ;   Parent Loop BB178_7 Depth=1
                                        ;     Parent Loop BB178_13 Depth=2
                                        ; =>    This Inner Loop Header: Depth=3
	;;#ASMSTART
	s_sleep 0
	;;#ASMEND
	ds_read_b32 v26, v57 offset:32800
	s_waitcnt lgkmcnt(0)
	v_cmp_eq_u32_e32 vcc, v26, v46
	s_or_b64 s[12:13], vcc, s[12:13]
	s_andn2_b64 exec, exec, s[12:13]
	s_cbranch_execnz .LBB178_15
.LBB178_16:                             ;   in Loop: Header=BB178_13 Depth=2
	s_or_b64 exec, exec, s[10:11]
	v_lshlrev_b32_e32 v26, 12, v56
	v_or_b32_e32 v27, 0x4000, v47
	v_add_u32_e32 v58, v27, v26
	v_add_u32_e32 v27, 0x400, v58
	ds_read2_b32 v[32:33], v58 offset1:32
	ds_read2_b32 v[30:31], v58 offset0:128 offset1:160
	ds_read2_b32 v[34:35], v27 offset1:32
	ds_read2_b32 v[28:29], v27 offset0:128 offset1:160
	;;#ASMSTART
	s_waitcnt lgkmcnt(0)
	;;#ASMEND
	ds_read_b32 v27, v57 offset:32768
	v_add_u32_e32 v59, 1, v46
	ds_write_b32 v57, v59 offset:32800
	s_waitcnt lgkmcnt(1)
	v_cmp_ne_u32_e32 vcc, v27, v46
	s_and_saveexec_b64 s[10:11], vcc
	s_cbranch_execz .LBB178_19
; %bb.17:                               ;   in Loop: Header=BB178_13 Depth=2
	s_mov_b64 s[12:13], 0
.LBB178_18:                             ;   Parent Loop BB178_7 Depth=1
                                        ;     Parent Loop BB178_13 Depth=2
                                        ; =>    This Inner Loop Header: Depth=3
	;;#ASMSTART
	s_sleep 0
	;;#ASMEND
	ds_read_b32 v27, v57 offset:32768
	s_waitcnt lgkmcnt(0)
	v_cmp_eq_u32_e32 vcc, v27, v46
	s_or_b64 s[12:13], vcc, s[12:13]
	s_andn2_b64 exec, exec, s[12:13]
	s_cbranch_execnz .LBB178_18
.LBB178_19:                             ;   in Loop: Header=BB178_13 Depth=2
	s_or_b64 exec, exec, s[10:11]
	v_add_u32_e32 v60, v47, v26
	ds_read2_b32 v[26:27], v60 offset1:32
	ds_read2_b32 v[36:37], v60 offset0:128 offset1:160
	v_add_u32_e32 v40, 0x400, v60
	ds_read2_b32 v[38:39], v40 offset1:32
	ds_read2_b32 v[40:41], v40 offset0:128 offset1:160
	ds_read_b32 v42, v57 offset:32772
	ds_write_b32 v57, v59 offset:32768
	s_waitcnt lgkmcnt(5)
	v_mfma_f32_16x16x32_fp8_fp8 v[12:15], v[26:27], v[32:33], v[12:15]
	s_waitcnt lgkmcnt(1)
	v_cmp_ne_u32_e32 vcc, v42, v46
	v_mfma_f32_16x16x32_fp8_fp8 v[12:15], v[36:37], v[30:31], v[12:15]
	v_mfma_f32_16x16x32_fp8_fp8 v[12:15], v[38:39], v[34:35], v[12:15]
	;; [unrolled: 1-line block ×3, first 2 shown]
	s_and_saveexec_b64 s[10:11], vcc
	s_cbranch_execz .LBB178_22
; %bb.20:                               ;   in Loop: Header=BB178_13 Depth=2
	s_mov_b64 s[12:13], 0
.LBB178_21:                             ;   Parent Loop BB178_7 Depth=1
                                        ;     Parent Loop BB178_13 Depth=2
                                        ; =>    This Inner Loop Header: Depth=3
	;;#ASMSTART
	s_sleep 0
	;;#ASMEND
	ds_read_b32 v42, v57 offset:32772
	s_waitcnt lgkmcnt(0)
	v_cmp_eq_u32_e32 vcc, v42, v46
	s_or_b64 s[12:13], vcc, s[12:13]
	s_andn2_b64 exec, exec, s[12:13]
	s_cbranch_execnz .LBB178_21
.LBB178_22:                             ;   in Loop: Header=BB178_13 Depth=2
	s_or_b64 exec, exec, s[10:11]
	v_add_u32_e32 v44, 0x800, v60
	ds_read2_b32 v[42:43], v44 offset1:32
	ds_read2_b32 v[44:45], v44 offset0:128 offset1:160
	v_add_u32_e32 v60, 0xc00, v60
	s_waitcnt lgkmcnt(1)
	v_mfma_f32_16x16x32_fp8_fp8 v[4:7], v[42:43], v[32:33], v[4:7]
	ds_read2_b32 v[32:33], v60 offset1:32
	s_waitcnt lgkmcnt(1)
	v_mfma_f32_16x16x32_fp8_fp8 v[4:7], v[44:45], v[30:31], v[4:7]
	s_waitcnt lgkmcnt(0)
	v_mfma_f32_16x16x32_fp8_fp8 v[4:7], v[32:33], v[34:35], v[4:7]
	ds_read2_b32 v[30:31], v60 offset0:128 offset1:160
	ds_read_b32 v34, v57 offset:32804
	ds_write_b32 v57, v59 offset:32772
	s_waitcnt lgkmcnt(1)
	v_cmp_ne_u32_e32 vcc, v34, v46
	v_mfma_f32_16x16x32_fp8_fp8 v[4:7], v[30:31], v[28:29], v[4:7]
	s_and_saveexec_b64 s[10:11], vcc
	s_cbranch_execz .LBB178_12
; %bb.23:                               ;   in Loop: Header=BB178_13 Depth=2
	s_mov_b64 s[12:13], 0
.LBB178_24:                             ;   Parent Loop BB178_7 Depth=1
                                        ;     Parent Loop BB178_13 Depth=2
                                        ; =>    This Inner Loop Header: Depth=3
	;;#ASMSTART
	s_sleep 0
	;;#ASMEND
	ds_read_b32 v28, v57 offset:32804
	s_waitcnt lgkmcnt(0)
	v_cmp_eq_u32_e32 vcc, v28, v46
	s_or_b64 s[12:13], vcc, s[12:13]
	s_andn2_b64 exec, exec, s[12:13]
	s_cbranch_execnz .LBB178_24
	s_branch .LBB178_12
.LBB178_25:                             ;   in Loop: Header=BB178_7 Depth=1
	s_or_b64 exec, exec, s[8:9]
.LBB178_26:                             ;   in Loop: Header=BB178_7 Depth=1
	s_or_b64 exec, exec, s[6:7]
	v_cmp_le_i32_e32 vcc, s14, v16
	v_cmp_eq_u32_e64 s[6:7], 2, v48
	v_cmp_eq_u32_e64 s[8:9], 3, v48
	s_waitcnt vmcnt(0)
	v_cndmask_b32_e32 v26, 0, v55, vcc
	v_pk_mul_f32 v[12:13], v[26:27], v[12:13] op_sel_hi:[0,1]
	v_cmp_eq_u32_e32 vcc, 1, v48
	v_pk_mul_f32 v[30:31], v[26:27], v[14:15] op_sel_hi:[0,1]
	v_cmp_eq_u32_e64 s[10:11], 0, v48
	v_cndmask_b32_e32 v14, v12, v13, vcc
	v_cndmask_b32_e64 v14, v14, v30, s[6:7]
	v_cndmask_b32_e64 v14, v14, v31, s[8:9]
	ds_bpermute_b32 v27, v53, v14
	v_cmp_eq_u32_e64 s[12:13], 1, v49
	s_waitcnt lgkmcnt(0)
	v_cndmask_b32_e64 v14, v31, v27, s[8:9]
	v_cndmask_b32_e64 v15, v30, v27, s[6:7]
	v_cndmask_b32_e32 v13, v13, v27, vcc
	v_cndmask_b32_e64 v27, v12, v27, s[10:11]
	v_or_b32_e32 v12, 16, v16
	v_cmp_le_i32_e64 s[14:15], s14, v12
	v_cndmask_b32_e64 v29, v27, v13, s[12:13]
	s_nop 0
	v_cndmask_b32_e64 v12, 0, v55, s[14:15]
	v_pk_mul_f32 v[32:33], v[12:13], v[8:9] op_sel_hi:[0,1]
	v_pk_mul_f32 v[30:31], v[12:13], v[10:11] op_sel_hi:[0,1]
	v_cndmask_b32_e32 v8, v32, v33, vcc
	v_cndmask_b32_e64 v8, v8, v30, s[6:7]
	v_cndmask_b32_e64 v8, v8, v31, s[8:9]
	ds_bpermute_b32 v9, v53, v8
	v_cmp_eq_u32_e32 vcc, 2, v49
	v_cmp_eq_u32_e64 s[14:15], 3, v49
	s_waitcnt lgkmcnt(0)
	v_cndmask_b32_e64 v11, v30, v9, s[6:7]
	v_cndmask_b32_e32 v8, v29, v15, vcc
	v_cndmask_b32_e64 v8, v8, v14, s[14:15]
	v_cmp_ne_u32_e64 s[6:7], 0, v48
	ds_bpermute_b32 v29, v53, v8
	v_cndmask_b32_e64 v10, v31, v9, s[8:9]
	v_cndmask_b32_e64 v8, v33, v9, s[6:7]
	;; [unrolled: 1-line block ×4, first 2 shown]
	v_cndmask_b32_e32 v30, v30, v11, vcc
	v_cndmask_b32_e64 v30, v30, v10, s[14:15]
	ds_bpermute_b32 v30, v53, v30
	v_add_u32_e32 v31, s61, v50
	v_cmp_gt_u32_e32 vcc, 32, v31
	s_and_saveexec_b64 s[44:45], vcc
	s_cbranch_execz .LBB178_31
; %bb.27:                               ;   in Loop: Header=BB178_7 Depth=1
	v_cmp_eq_u32_e64 s[8:9], 1, v49
	v_cmp_eq_u32_e64 s[10:11], 0, v49
	v_cmp_eq_u32_e32 vcc, 3, v49
	s_waitcnt lgkmcnt(1)
	v_cndmask_b32_e64 v13, v13, v29, s[8:9]
	s_waitcnt lgkmcnt(0)
	v_cndmask_b32_e64 v32, v8, v30, s[8:9]
	s_mul_i32 s8, s59, s17
	s_ashr_i32 s9, s8, 31
	s_lshl_b64 s[8:9], s[8:9], 1
	v_cndmask_b32_e64 v27, v27, v29, s[10:11]
	v_cndmask_b32_e64 v33, v9, v30, s[10:11]
	s_add_u32 s10, s28, s8
	s_addc_u32 s11, s29, s9
	s_ashr_i32 s39, s38, 31
	v_cvt_f16_f32_e32 v27, v27
	v_cvt_f16_f32_sdwa v13, v13 dst_sel:WORD_1 dst_unused:UNUSED_PAD src0_sel:DWORD
	s_lshl_b64 s[8:9], s[38:39], 1
	v_cvt_f16_f32_e32 v34, v33
	v_cvt_f16_f32_sdwa v35, v32 dst_sel:WORD_1 dst_unused:UNUSED_PAD src0_sel:DWORD
	s_add_u32 s46, s10, s8
	s_addc_u32 s47, s11, s9
	v_cmp_eq_u32_e64 s[6:7], 2, v49
	v_lshl_add_u64 v[8:9], v[18:19], 1, s[46:47]
	v_or_b32_e32 v13, v13, v27
	v_cmp_gt_u32_e64 s[8:9], 30, v31
	;;#ASMSTART
	global_atomic_pk_add_f16 v[8:9], v13, off
	
	;;#ASMEND
	v_lshl_add_u64 v[32:33], v[8:9], 0, 32
	v_or_b32_e32 v13, v35, v34
	;;#ASMSTART
	global_atomic_pk_add_f16 v[32:33], v13, off
	
	;;#ASMEND
	s_and_b64 exec, exec, s[8:9]
	s_cbranch_execz .LBB178_31
; %bb.28:                               ;   in Loop: Header=BB178_7 Depth=1
	v_mov_b32_e32 v27, v26
	v_cndmask_b32_e32 v14, v14, v29, vcc
	v_cndmask_b32_e64 v15, v15, v29, s[6:7]
	v_cndmask_b32_e32 v29, v10, v30, vcc
	v_cndmask_b32_e64 v30, v11, v30, s[6:7]
	v_mov_b32_e32 v10, v26
	v_mov_b32_e32 v11, v26
	v_pk_mul_f32 v[6:7], v[10:11], v[6:7]
	v_pk_mul_f32 v[10:11], v[26:27], v[4:5]
	v_cmp_eq_u32_e32 vcc, 1, v48
	v_cmp_eq_u32_e64 s[6:7], 2, v48
	v_cmp_eq_u32_e64 s[8:9], 3, v48
	v_cndmask_b32_e32 v4, v10, v11, vcc
	v_cndmask_b32_e64 v4, v4, v6, s[6:7]
	v_cndmask_b32_e64 v4, v4, v7, s[8:9]
	v_cvt_f16_f32_e32 v15, v15
	v_cvt_f16_f32_sdwa v14, v14 dst_sel:WORD_1 dst_unused:UNUSED_PAD src0_sel:DWORD
	ds_bpermute_b32 v26, v53, v4
	v_mov_b32_e32 v13, v12
	v_lshl_add_u64 v[8:9], s[34:35], 2, v[8:9]
	v_or_b32_e32 v14, v14, v15
	v_cmp_eq_u32_e64 s[10:11], 0, v48
	;;#ASMSTART
	global_atomic_pk_add_f16 v[8:9], v14, off
	
	;;#ASMEND
	v_lshl_add_u64 v[14:15], v[8:9], 0, 32
	s_waitcnt lgkmcnt(0)
	v_cndmask_b32_e64 v4, v7, v26, s[8:9]
	v_cndmask_b32_e64 v5, v6, v26, s[6:7]
	v_cndmask_b32_e32 v6, v11, v26, vcc
	v_cndmask_b32_e64 v7, v10, v26, s[10:11]
	v_mov_b32_e32 v8, v12
	v_mov_b32_e32 v9, v12
	v_pk_mul_f32 v[10:11], v[12:13], v[0:1]
	v_pk_mul_f32 v[8:9], v[8:9], v[2:3]
	v_cndmask_b32_e32 v0, v10, v11, vcc
	v_cndmask_b32_e64 v0, v0, v8, s[6:7]
	v_cndmask_b32_e64 v0, v0, v9, s[8:9]
	ds_bpermute_b32 v1, v53, v0
	v_cmp_eq_u32_e64 s[12:13], 1, v49
	v_cmp_eq_u32_e32 vcc, 2, v49
	v_cmp_eq_u32_e64 s[14:15], 3, v49
	v_cndmask_b32_e64 v26, v7, v6, s[12:13]
	v_cndmask_b32_e32 v0, v26, v5, vcc
	v_cndmask_b32_e64 v0, v0, v4, s[14:15]
	s_waitcnt lgkmcnt(0)
	v_cndmask_b32_e64 v8, v8, v1, s[6:7]
	v_cmp_ne_u32_e64 s[6:7], 0, v48
	ds_bpermute_b32 v2, v53, v0
	v_cndmask_b32_e64 v3, v9, v1, s[8:9]
	v_cndmask_b32_e64 v0, v11, v1, s[6:7]
	;; [unrolled: 1-line block ×3, first 2 shown]
	v_cvt_f16_f32_e32 v27, v30
	v_cvt_f16_f32_sdwa v29, v29 dst_sel:WORD_1 dst_unused:UNUSED_PAD src0_sel:DWORD
	v_cndmask_b32_e64 v9, v1, v0, s[12:13]
	v_cndmask_b32_e32 v9, v9, v8, vcc
	v_cndmask_b32_e64 v9, v9, v3, s[14:15]
	ds_bpermute_b32 v9, v53, v9
	v_or_b32_e32 v10, v29, v27
	;;#ASMSTART
	global_atomic_pk_add_f16 v[14:15], v10, off
	
	;;#ASMEND
	v_or_b32_e32 v10, 16, v50
	v_add_u32_e32 v10, s61, v10
	v_cmp_gt_u32_e32 vcc, 32, v10
	s_and_b64 exec, exec, vcc
	s_cbranch_execz .LBB178_31
; %bb.29:                               ;   in Loop: Header=BB178_7 Depth=1
	v_cmp_eq_u32_e64 s[8:9], 1, v49
	v_cmp_eq_u32_e64 s[10:11], 0, v49
	v_cmp_eq_u32_e32 vcc, 3, v49
	s_waitcnt lgkmcnt(1)
	v_cndmask_b32_e64 v6, v6, v2, s[8:9]
	v_cndmask_b32_e64 v7, v7, v2, s[10:11]
	s_waitcnt lgkmcnt(0)
	v_cndmask_b32_e64 v11, v0, v9, s[8:9]
	v_cndmask_b32_e64 v12, v1, v9, s[10:11]
	v_cvt_f16_f32_e32 v7, v7
	v_cvt_f16_f32_sdwa v6, v6 dst_sel:WORD_1 dst_unused:UNUSED_PAD src0_sel:DWORD
	v_cvt_f16_f32_e32 v12, v12
	v_cvt_f16_f32_sdwa v11, v11 dst_sel:WORD_1 dst_unused:UNUSED_PAD src0_sel:DWORD
	v_cmp_eq_u32_e64 s[6:7], 2, v49
	v_lshl_add_u64 v[0:1], v[20:21], 1, s[46:47]
	v_or_b32_e32 v6, v6, v7
	v_cmp_gt_u32_e64 s[8:9], 30, v10
	;;#ASMSTART
	global_atomic_pk_add_f16 v[0:1], v6, off
	
	;;#ASMEND
	v_lshl_add_u64 v[6:7], v[0:1], 0, 32
	v_or_b32_e32 v11, v11, v12
	;;#ASMSTART
	global_atomic_pk_add_f16 v[6:7], v11, off
	
	;;#ASMEND
	s_and_b64 exec, exec, s[8:9]
	s_cbranch_execz .LBB178_31
; %bb.30:                               ;   in Loop: Header=BB178_7 Depth=1
	v_cndmask_b32_e32 v4, v4, v2, vcc
	v_cndmask_b32_e64 v2, v5, v2, s[6:7]
	v_cndmask_b32_e32 v3, v3, v9, vcc
	v_cndmask_b32_e64 v5, v8, v9, s[6:7]
	v_cvt_f16_f32_e32 v2, v2
	v_cvt_f16_f32_sdwa v4, v4 dst_sel:WORD_1 dst_unused:UNUSED_PAD src0_sel:DWORD
	v_cvt_f16_f32_e32 v5, v5
	v_cvt_f16_f32_sdwa v3, v3 dst_sel:WORD_1 dst_unused:UNUSED_PAD src0_sel:DWORD
	v_lshl_add_u64 v[0:1], s[34:35], 2, v[0:1]
	v_or_b32_e32 v2, v4, v2
	;;#ASMSTART
	global_atomic_pk_add_f16 v[0:1], v2, off
	
	;;#ASMEND
	v_lshl_add_u64 v[0:1], v[0:1], 0, 32
	v_or_b32_e32 v2, v3, v5
	;;#ASMSTART
	global_atomic_pk_add_f16 v[0:1], v2, off
	
	;;#ASMEND
.LBB178_31:                             ;   in Loop: Header=BB178_7 Depth=1
	s_or_b64 exec, exec, s[44:45]
	v_subrev_u32_e32 v54, s62, v54
.LBB178_32:                             ;   in Loop: Header=BB178_7 Depth=1
	s_or_b64 exec, exec, s[42:43]
.LBB178_33:                             ;   in Loop: Header=BB178_7 Depth=1
	s_andn2_saveexec_b64 s[6:7], s[40:41]
	s_cbranch_execz .LBB178_42
; %bb.34:                               ;   in Loop: Header=BB178_7 Depth=1
	s_lshl_b32 s39, s62, 1
	v_cmp_gt_i32_e32 vcc, s39, v54
	s_and_saveexec_b64 s[8:9], vcc
	s_cbranch_execz .LBB178_41
; %bb.35:                               ;   in Loop: Header=BB178_7 Depth=1
	s_mul_i32 s10, s38, s19
	s_ashr_i32 s11, s10, 31
	s_waitcnt lgkmcnt(0)
	s_add_u32 s10, s26, s10
	s_addc_u32 s11, s27, s11
	s_ashr_i32 s12, s60, 31
	s_add_u32 s10, s10, s60
	s_addc_u32 s11, s11, s12
	v_lshl_add_u64 v[0:1], s[10:11], 0, v[24:25]
	v_lshl_add_u64 v[8:9], v[0:1], 0, v[22:23]
	s_mov_b64 s[10:11], 0
	s_branch .LBB178_37
.LBB178_36:                             ;   in Loop: Header=BB178_37 Depth=2
	s_or_b64 exec, exec, s[12:13]
	v_or_b32_e32 v12, 0x4000, v52
	v_lshl_add_u32 v12, v10, 11, v12
	;;#ASMSTART
	s_waitcnt vmcnt(1)
	;;#ASMEND
	ds_write2_b32 v12, v4, v5 offset1:32
	ds_write2_b32 v12, v6, v7 offset0:64 offset1:96
	v_add_u32_e32 v4, 0x400, v12
	v_add_u32_e32 v54, s22, v54
	;;#ASMSTART
	s_waitcnt vmcnt(0)
	;;#ASMEND
	ds_write2_b32 v4, v0, v1 offset1:32
	ds_write2_b32 v4, v2, v3 offset0:64 offset1:96
	v_add_u32_e32 v0, 1, v46
	v_add_u32_e32 v28, s22, v10
	v_cmp_le_i32_e32 vcc, s39, v54
	ds_write_b32 v11, v0 offset:32
	v_add_u32_e32 v0, 2, v46
	s_or_b64 s[10:11], vcc, s[10:11]
	v_cmp_lt_i32_e32 vcc, 7, v28
	s_nop 1
	v_cndmask_b32_e32 v46, v46, v0, vcc
	s_andn2_b64 exec, exec, s[10:11]
	s_cbranch_execz .LBB178_40
.LBB178_37:                             ;   Parent Loop BB178_7 Depth=1
                                        ; =>  This Loop Header: Depth=2
                                        ;       Child Loop BB178_39 Depth 3
	v_cmp_gt_i32_e32 vcc, 8, v28
	s_nop 1
	v_cndmask_b32_e64 v0, -8, 0, vcc
	v_add_u32_e32 v10, v0, v28
	v_lshrrev_b32_e32 v0, 31, v54
	v_add_u32_e32 v0, v54, v0
	v_and_b32_e32 v1, -2, v0
	v_lshlrev_b32_e32 v0, 6, v0
	v_sub_u32_e32 v2, v54, v1
	v_and_b32_e32 v0, 0xffffff80, v0
	v_ashrrev_i32_e32 v1, 31, v0
	v_mul_lo_u32 v2, s53, v2
	v_lshl_add_u64 v[0:1], v[8:9], 0, v[0:1]
	v_ashrrev_i32_e32 v3, 31, v2
	v_lshl_add_u64 v[0:1], v[0:1], 0, v[2:3]
	v_lshlrev_b32_e32 v11, 2, v10
	;;#ASMSTART
	global_load_dwordx4 v[4:7], v[0:1], off offset:0   sc0 sc1 nt  
	global_load_dwordx4 v[0:3], v[0:1], off offset:64  sc0 sc1 nt  
	
	;;#ASMEND
	ds_read_b32 v12, v11 offset:32800
	v_add_u32_e32 v11, 0x8000, v11
	s_waitcnt lgkmcnt(0)
	v_cmp_ne_u32_e32 vcc, v12, v46
	s_and_saveexec_b64 s[12:13], vcc
	s_cbranch_execz .LBB178_36
; %bb.38:                               ;   in Loop: Header=BB178_37 Depth=2
	s_mov_b64 s[14:15], 0
.LBB178_39:                             ;   Parent Loop BB178_7 Depth=1
                                        ;     Parent Loop BB178_37 Depth=2
                                        ; =>    This Inner Loop Header: Depth=3
	;;#ASMSTART
	s_sleep 0
	;;#ASMEND
	ds_read_b32 v12, v11 offset:32
	s_waitcnt lgkmcnt(0)
	v_cmp_eq_u32_e32 vcc, v12, v46
	s_or_b64 s[14:15], vcc, s[14:15]
	s_andn2_b64 exec, exec, s[14:15]
	s_cbranch_execnz .LBB178_39
	s_branch .LBB178_36
.LBB178_40:                             ;   in Loop: Header=BB178_7 Depth=1
	s_or_b64 exec, exec, s[10:11]
.LBB178_41:                             ;   in Loop: Header=BB178_7 Depth=1
	s_or_b64 exec, exec, s[8:9]
	v_subrev_u32_e32 v54, s39, v54
.LBB178_42:                             ;   in Loop: Header=BB178_7 Depth=1
	s_or_b64 exec, exec, s[6:7]
.LBB178_43:                             ;   in Loop: Header=BB178_7 Depth=1
	s_andn2_saveexec_b64 s[6:7], s[36:37]
	s_cbranch_execz .LBB178_6
; %bb.44:                               ;   in Loop: Header=BB178_7 Depth=1
	s_lshl_b32 s36, s62, 1
	v_cmp_gt_i32_e32 vcc, s36, v54
	s_and_saveexec_b64 s[8:9], vcc
	s_cbranch_execz .LBB178_5
; %bb.45:                               ;   in Loop: Header=BB178_7 Depth=1
	s_mul_i32 s59, s59, s18
	s_ashr_i32 s10, s59, 31
	s_waitcnt lgkmcnt(0)
	s_add_u32 s11, s24, s59
	v_add_u32_e32 v2, s61, v51
	s_addc_u32 s12, s25, s10
	s_ashr_i32 s13, s60, 31
	v_mul_lo_u32 v0, s18, v51
	v_cmp_gt_u32_e32 vcc, 32, v2
	s_add_u32 s10, s11, s60
	s_addc_u32 s11, s12, s13
	v_cndmask_b32_e32 v0, 0, v0, vcc
	v_ashrrev_i32_e32 v1, 31, v0
	v_lshl_add_u64 v[0:1], s[10:11], 0, v[0:1]
	v_lshl_add_u64 v[8:9], v[0:1], 0, v[22:23]
	v_sub_u32_e32 v10, 31, v2
	s_mov_b64 s[10:11], 0
	s_branch .LBB178_47
.LBB178_46:                             ;   in Loop: Header=BB178_47 Depth=2
	s_or_b64 exec, exec, s[12:13]
	v_lshl_or_b32 v13, v11, 11, v52
	;;#ASMSTART
	s_waitcnt vmcnt(1)
	;;#ASMEND
	ds_write2_b32 v13, v4, v5 offset1:32
	ds_write2_b32 v13, v6, v7 offset0:64 offset1:96
	v_add_u32_e32 v4, 0x400, v13
	v_add_u32_e32 v54, s21, v54
	;;#ASMSTART
	s_waitcnt vmcnt(0)
	;;#ASMEND
	ds_write2_b32 v4, v0, v1 offset1:32
	ds_write2_b32 v4, v2, v3 offset0:64 offset1:96
	v_add_u32_e32 v0, 1, v46
	v_add_u32_e32 v28, s21, v11
	v_cmp_le_i32_e32 vcc, s36, v54
	ds_write_b32 v12, v0
	v_add_u32_e32 v0, 2, v46
	s_or_b64 s[10:11], vcc, s[10:11]
	v_cmp_lt_i32_e32 vcc, 7, v28
	s_nop 1
	v_cndmask_b32_e32 v46, v46, v0, vcc
	s_andn2_b64 exec, exec, s[10:11]
	s_cbranch_execz .LBB178_4
.LBB178_47:                             ;   Parent Loop BB178_7 Depth=1
                                        ; =>  This Loop Header: Depth=2
                                        ;       Child Loop BB178_49 Depth 3
	v_cmp_gt_i32_e32 vcc, 8, v28
	s_nop 1
	v_cndmask_b32_e64 v0, -8, 0, vcc
	v_add_u32_e32 v11, v0, v28
	v_lshrrev_b32_e32 v0, 31, v54
	v_add_u32_e32 v0, v54, v0
	v_and_b32_e32 v1, 0xffffffe, v0
	v_sub_u32_e32 v1, v54, v1
	v_lshlrev_b32_e32 v1, 4, v1
	v_cmp_le_i32_e32 vcc, v1, v10
	v_lshlrev_b32_e32 v0, 6, v0
	v_and_b32_e32 v0, 0xffffff80, v0
	v_cndmask_b32_e32 v2, 0, v1, vcc
	v_ashrrev_i32_e32 v1, 31, v0
	v_mul_lo_u32 v2, v2, s18
	v_lshl_add_u64 v[0:1], v[8:9], 0, v[0:1]
	v_ashrrev_i32_e32 v3, 31, v2
	v_lshl_add_u64 v[0:1], v[0:1], 0, v[2:3]
	v_lshlrev_b32_e32 v12, 2, v11
	;;#ASMSTART
	global_load_dwordx4 v[4:7], v[0:1], off offset:0   
	global_load_dwordx4 v[0:3], v[0:1], off offset:64  
	
	;;#ASMEND
	ds_read_b32 v13, v12 offset:32768
	v_add_u32_e32 v12, 0x8000, v12
	s_waitcnt lgkmcnt(0)
	v_cmp_ne_u32_e32 vcc, v13, v46
	s_and_saveexec_b64 s[12:13], vcc
	s_cbranch_execz .LBB178_46
; %bb.48:                               ;   in Loop: Header=BB178_47 Depth=2
	s_mov_b64 s[14:15], 0
.LBB178_49:                             ;   Parent Loop BB178_7 Depth=1
                                        ;     Parent Loop BB178_47 Depth=2
                                        ; =>    This Inner Loop Header: Depth=3
	;;#ASMSTART
	s_sleep 0
	;;#ASMEND
	ds_read_b32 v13, v12
	s_waitcnt lgkmcnt(0)
	v_cmp_eq_u32_e32 vcc, v13, v46
	s_or_b64 s[14:15], vcc, s[14:15]
	s_andn2_b64 exec, exec, s[14:15]
	s_cbranch_execnz .LBB178_49
	s_branch .LBB178_46
.LBB178_50:
	s_endpgm
	.section	.rodata,"a",@progbits
	.p2align	6, 0x0
	.amdhsa_kernel _Z19_skinny_gemm_kernelILi2ELi2ELi4ELi16ELi4EEvPKhS1_P6__halfPKfiiiiiiii
		.amdhsa_group_segment_fixed_size 32832
		.amdhsa_private_segment_fixed_size 0
		.amdhsa_kernarg_size 64
		.amdhsa_user_sgpr_count 2
		.amdhsa_user_sgpr_dispatch_ptr 0
		.amdhsa_user_sgpr_queue_ptr 0
		.amdhsa_user_sgpr_kernarg_segment_ptr 1
		.amdhsa_user_sgpr_dispatch_id 0
		.amdhsa_user_sgpr_kernarg_preload_length 0
		.amdhsa_user_sgpr_kernarg_preload_offset 0
		.amdhsa_user_sgpr_private_segment_size 0
		.amdhsa_uses_dynamic_stack 0
		.amdhsa_enable_private_segment 0
		.amdhsa_system_sgpr_workgroup_id_x 1
		.amdhsa_system_sgpr_workgroup_id_y 0
		.amdhsa_system_sgpr_workgroup_id_z 0
		.amdhsa_system_sgpr_workgroup_info 0
		.amdhsa_system_vgpr_workitem_id 0
		.amdhsa_next_free_vgpr 61
		.amdhsa_next_free_sgpr 63
		.amdhsa_accum_offset 64
		.amdhsa_reserve_vcc 1
		.amdhsa_float_round_mode_32 0
		.amdhsa_float_round_mode_16_64 0
		.amdhsa_float_denorm_mode_32 3
		.amdhsa_float_denorm_mode_16_64 3
		.amdhsa_dx10_clamp 1
		.amdhsa_ieee_mode 1
		.amdhsa_fp16_overflow 0
		.amdhsa_tg_split 0
		.amdhsa_exception_fp_ieee_invalid_op 0
		.amdhsa_exception_fp_denorm_src 0
		.amdhsa_exception_fp_ieee_div_zero 0
		.amdhsa_exception_fp_ieee_overflow 0
		.amdhsa_exception_fp_ieee_underflow 0
		.amdhsa_exception_fp_ieee_inexact 0
		.amdhsa_exception_int_div_zero 0
	.end_amdhsa_kernel
	.section	.text._Z19_skinny_gemm_kernelILi2ELi2ELi4ELi16ELi4EEvPKhS1_P6__halfPKfiiiiiiii,"axG",@progbits,_Z19_skinny_gemm_kernelILi2ELi2ELi4ELi16ELi4EEvPKhS1_P6__halfPKfiiiiiiii,comdat
.Lfunc_end178:
	.size	_Z19_skinny_gemm_kernelILi2ELi2ELi4ELi16ELi4EEvPKhS1_P6__halfPKfiiiiiiii, .Lfunc_end178-_Z19_skinny_gemm_kernelILi2ELi2ELi4ELi16ELi4EEvPKhS1_P6__halfPKfiiiiiiii
                                        ; -- End function
	.set _Z19_skinny_gemm_kernelILi2ELi2ELi4ELi16ELi4EEvPKhS1_P6__halfPKfiiiiiiii.num_vgpr, 61
	.set _Z19_skinny_gemm_kernelILi2ELi2ELi4ELi16ELi4EEvPKhS1_P6__halfPKfiiiiiiii.num_agpr, 0
	.set _Z19_skinny_gemm_kernelILi2ELi2ELi4ELi16ELi4EEvPKhS1_P6__halfPKfiiiiiiii.numbered_sgpr, 63
	.set _Z19_skinny_gemm_kernelILi2ELi2ELi4ELi16ELi4EEvPKhS1_P6__halfPKfiiiiiiii.num_named_barrier, 0
	.set _Z19_skinny_gemm_kernelILi2ELi2ELi4ELi16ELi4EEvPKhS1_P6__halfPKfiiiiiiii.private_seg_size, 0
	.set _Z19_skinny_gemm_kernelILi2ELi2ELi4ELi16ELi4EEvPKhS1_P6__halfPKfiiiiiiii.uses_vcc, 1
	.set _Z19_skinny_gemm_kernelILi2ELi2ELi4ELi16ELi4EEvPKhS1_P6__halfPKfiiiiiiii.uses_flat_scratch, 0
	.set _Z19_skinny_gemm_kernelILi2ELi2ELi4ELi16ELi4EEvPKhS1_P6__halfPKfiiiiiiii.has_dyn_sized_stack, 0
	.set _Z19_skinny_gemm_kernelILi2ELi2ELi4ELi16ELi4EEvPKhS1_P6__halfPKfiiiiiiii.has_recursion, 0
	.set _Z19_skinny_gemm_kernelILi2ELi2ELi4ELi16ELi4EEvPKhS1_P6__halfPKfiiiiiiii.has_indirect_call, 0
	.section	.AMDGPU.csdata,"",@progbits
; Kernel info:
; codeLenInByte = 4028
; TotalNumSgprs: 69
; NumVgprs: 61
; NumAgprs: 0
; TotalNumVgprs: 61
; ScratchSize: 0
; MemoryBound: 0
; FloatMode: 240
; IeeeMode: 1
; LDSByteSize: 32832 bytes/workgroup (compile time only)
; SGPRBlocks: 8
; VGPRBlocks: 7
; NumSGPRsForWavesPerEU: 69
; NumVGPRsForWavesPerEU: 61
; AccumOffset: 64
; Occupancy: 8
; WaveLimiterHint : 0
; COMPUTE_PGM_RSRC2:SCRATCH_EN: 0
; COMPUTE_PGM_RSRC2:USER_SGPR: 2
; COMPUTE_PGM_RSRC2:TRAP_HANDLER: 0
; COMPUTE_PGM_RSRC2:TGID_X_EN: 1
; COMPUTE_PGM_RSRC2:TGID_Y_EN: 0
; COMPUTE_PGM_RSRC2:TGID_Z_EN: 0
; COMPUTE_PGM_RSRC2:TIDIG_COMP_CNT: 0
; COMPUTE_PGM_RSRC3_GFX90A:ACCUM_OFFSET: 15
; COMPUTE_PGM_RSRC3_GFX90A:TG_SPLIT: 0
	.section	.text._Z19_skinny_gemm_kernelILi2ELi2ELi4ELi32ELi4EEvPKhS1_P6__halfPKfiiiiiiii,"axG",@progbits,_Z19_skinny_gemm_kernelILi2ELi2ELi4ELi32ELi4EEvPKhS1_P6__halfPKfiiiiiiii,comdat
	.protected	_Z19_skinny_gemm_kernelILi2ELi2ELi4ELi32ELi4EEvPKhS1_P6__halfPKfiiiiiiii ; -- Begin function _Z19_skinny_gemm_kernelILi2ELi2ELi4ELi32ELi4EEvPKhS1_P6__halfPKfiiiiiiii
	.globl	_Z19_skinny_gemm_kernelILi2ELi2ELi4ELi32ELi4EEvPKhS1_P6__halfPKfiiiiiiii
	.p2align	8
	.type	_Z19_skinny_gemm_kernelILi2ELi2ELi4ELi32ELi4EEvPKhS1_P6__halfPKfiiiiiiii,@function
_Z19_skinny_gemm_kernelILi2ELi2ELi4ELi32ELi4EEvPKhS1_P6__halfPKfiiiiiiii: ; @_Z19_skinny_gemm_kernelILi2ELi2ELi4ELi32ELi4EEvPKhS1_P6__halfPKfiiiiiiii
; %bb.0:
	v_cmp_gt_u32_e32 vcc, 16, v0
	s_and_saveexec_b64 s[4:5], vcc
; %bb.1:
	v_lshlrev_b32_e32 v1, 2, v0
	v_mov_b32_e32 v2, 0
	ds_write_b32 v1, v2 offset:32768
; %bb.2:
	s_or_b64 exec, exec, s[4:5]
	s_load_dwordx8 s[16:23], s[0:1], 0x20
	s_waitcnt lgkmcnt(0)
	s_barrier
	s_add_i32 s3, s16, 63
	s_ashr_i32 s5, s3, 31
	s_add_i32 s4, s17, 63
	s_lshr_b32 s5, s5, 26
	s_ashr_i32 s6, s4, 31
	s_add_i32 s3, s3, s5
	s_ashr_i32 s11, s3, 6
	s_lshr_b32 s3, s6, 26
	s_add_i32 s4, s4, s3
	s_ashr_i32 s12, s4, 6
	s_mul_i32 s3, s12, s11
	s_mul_i32 s3, s3, s20
	s_add_i32 s4, s3, 0x12f
	s_mul_hi_i32 s4, s4, 0x6bca1af3
	s_lshr_b32 s5, s4, 31
	s_ashr_i32 s4, s4, 7
	s_add_i32 s4, s4, s5
	s_add_i32 s5, s2, 1
	s_mul_i32 s5, s4, s5
	v_cvt_f64_i32_e32 v[2:3], s3
	v_cvt_f64_u32_e32 v[4:5], s5
	v_min_f64 v[2:3], v[2:3], v[4:5]
	v_cvt_i32_f64_e32 v62, v[2:3]
	s_mul_i32 s33, s4, s2
	v_cmp_ge_i32_e32 vcc, s33, v62
	s_cbranch_vccnz .LBB179_51
; %bb.3:
	s_load_dwordx8 s[44:51], s[0:1], 0x0
	v_lshrrev_b32_e32 v1, 6, v0
	s_add_i32 s0, s22, s21
	v_cmp_le_i32_e64 s[14:15], s0, v1
	v_mov_b32_e32 v2, s21
	v_cmp_le_i32_e64 s[24:25], s21, v1
	v_mov_b32_e32 v3, s22
	v_cndmask_b32_e64 v3, 0, v3, s[14:15]
	v_cndmask_b32_e64 v2, 0, v2, s[24:25]
	s_abs_i32 s1, s20
	v_add_u32_e32 v2, v2, v3
	v_cvt_f32_u32_e32 v3, s1
	v_sub_u32_e32 v56, v1, v2
	s_ashr_i32 s2, s18, 31
	s_lshr_b32 s2, s2, 26
	v_rcp_iflag_f32_e32 v2, v3
	s_sub_i32 s5, 0, s1
	s_add_i32 s2, s18, s2
	s_ashr_i32 s2, s2, 6
	v_mul_f32_e32 v2, 0x4f7ffffe, v2
	v_cvt_u32_f32_e32 v2, v2
	s_abs_i32 s4, s2
	s_xor_b32 s3, s2, s20
	s_ashr_i32 s3, s3, 31
	v_readfirstlane_b32 s6, v2
	s_mul_i32 s5, s5, s6
	s_mul_hi_u32 s5, s6, s5
	s_add_i32 s6, s6, s5
	s_mul_hi_u32 s5, s4, s6
	s_mul_i32 s6, s5, s1
	s_sub_i32 s4, s4, s6
	s_add_i32 s6, s5, 1
	s_sub_i32 s7, s4, s1
	s_cmp_ge_u32 s4, s1
	s_cselect_b32 s5, s6, s5
	s_cselect_b32 s4, s7, s4
	s_add_i32 s6, s5, 1
	s_cmp_ge_u32 s4, s1
	s_cselect_b32 s1, s6, s5
	s_add_i32 s0, s0, s23
	v_and_b32_e32 v64, 31, v0
	v_lshrrev_b32_e32 v2, 3, v0
	v_cmp_gt_i32_e64 s[28:29], s0, v1
	v_lshlrev_b32_e32 v1, 2, v64
	v_and_b32_e32 v3, 4, v2
	v_and_b32_e32 v5, 1, v0
	v_lshlrev_b32_e32 v2, 6, v3
	v_or_b32_e32 v4, 0x4000, v1
	v_or_b32_e32 v3, v3, v5
	;; [unrolled: 1-line block ×4, first 2 shown]
	v_lshlrev_b32_e32 v2, 1, v5
	v_or_b32_e32 v5, 2, v3
	v_sub_u32_e32 v77, 32, v5
	v_or_b32_e32 v5, 8, v3
	v_sub_u32_e32 v78, 32, v5
	;; [unrolled: 2-line block ×5, first 2 shown]
	v_mul_lo_u32 v34, s17, v3
	v_sub_u32_e32 v81, 32, v5
	v_or_b32_e32 v5, 24, v3
	v_or_b32_e32 v3, 26, v3
                                        ; implicit-def: $vgpr99 : SGPR spill to VGPR lane
	s_add_i32 s26, s20, -1
	v_sub_u32_e32 v83, 32, v3
	v_lshrrev_b32_e32 v3, 1, v0
	s_abs_i32 s20, s11
	v_writelane_b32 v99, s11, 0
	v_and_b32_e32 v50, 16, v3
	v_cvt_f32_u32_e32 v3, s20
	v_writelane_b32 v99, s12, 1
	v_sub_u32_e32 v2, v0, v2
	s_waitcnt lgkmcnt(0)
	v_writelane_b32 v99, s44, 2
	v_add_u32_e32 v2, 1, v2
	v_and_b32_e32 v6, 63, v2
	v_writelane_b32 v99, s45, 3
	v_bitop3_b32 v67, v0, 1, v0 bitop3:0xc
	v_bitop3_b32 v68, v0, 3, 1 bitop3:0x6c
	;; [unrolled: 1-line block ×8, first 2 shown]
	v_and_b32_e32 v2, 30, v0
	v_lshlrev_b32_e32 v0, 4, v0
	v_writelane_b32 v99, s46, 4
	v_and_b32_e32 v0, 0x200, v0
	v_rcp_iflag_f32_e32 v3, v3
	s_abs_i32 s98, s12
	v_writelane_b32 v99, s47, 5
	s_xor_b32 s1, s1, s3
	v_or_b32_e32 v86, v1, v0
	v_cvt_f32_u32_e32 v1, s98
	v_writelane_b32 v99, s48, 6
	s_sub_i32 s13, s1, s3
	v_writelane_b32 v99, s49, 7
	s_mul_i32 s1, s13, s26
	s_lshl_b32 s0, s17, 1
	v_writelane_b32 v99, s50, 8
	s_sub_i32 s27, s2, s1
	v_add_u32_e32 v36, s0, v34
	s_mul_i32 s1, s17, 6
	v_or_b32_e32 v84, v4, v0
	v_mul_f32_e32 v0, 0x4f7ffffe, v3
	v_writelane_b32 v99, s51, 9
	v_cndmask_b32_e64 v63, 0, 1, s[14:15]
	v_add_u32_e32 v38, s1, v36
	v_cvt_u32_f32_e32 v0, v0
	v_rcp_iflag_f32_e32 v1, v1
	v_writelane_b32 v99, s14, 10
	v_add_u32_e32 v40, s0, v38
	v_add_u32_e32 v42, s1, v40
	v_writelane_b32 v99, s15, 11
	v_writelane_b32 v99, s24, 12
	v_add_u32_e32 v44, s0, v42
	v_add_u32_e32 v46, s1, v44
	v_writelane_b32 v99, s25, 13
	v_readfirstlane_b32 s1, v0
	v_mul_f32_e32 v0, 0x4f7ffffe, v1
	v_writelane_b32 v99, s13, 14
	v_cvt_u32_f32_e32 v0, v0
	v_writelane_b32 v99, s26, 15
	v_add_u32_e32 v48, s0, v46
	s_sub_i32 s0, 0, s20
	v_writelane_b32 v99, s27, 16
	s_mul_i32 s0, s0, s1
	v_writelane_b32 v99, s28, 17
	s_lshl_b32 s30, s19, 5
	s_mul_hi_u32 s0, s1, s0
	v_writelane_b32 v99, s29, 18
	s_ashr_i32 s31, s11, 31
	s_add_i32 s34, s1, s0
	s_sub_i32 s0, 0, s98
	v_readfirstlane_b32 s1, v0
	v_mbcnt_lo_u32_b32 v0, -1, 0
	v_writelane_b32 v99, s30, 19
	s_mul_i32 s0, s0, s1
	v_mbcnt_hi_u32_b32 v0, -1, v0
	v_writelane_b32 v99, s31, 20
	v_mov_b32_e32 v33, 0
	v_mul_lo_u32 v52, s19, v64
	s_ashr_i32 s35, s12, 31
	s_mul_hi_u32 s0, s1, s0
	v_and_or_b32 v0, v0, 64, v6
	v_writelane_b32 v99, s34, 21
	v_or_b32_e32 v75, 32, v64
	v_ashrrev_i32_e32 v35, 31, v34
	v_ashrrev_i32_e32 v37, 31, v36
	;; [unrolled: 1-line block ×6, first 2 shown]
	v_sub_u32_e32 v82, 32, v5
	v_ashrrev_i32_e32 v47, 31, v46
	v_ashrrev_i32_e32 v49, 31, v48
	;; [unrolled: 1-line block ×3, first 2 shown]
	v_mov_b32_e32 v51, v33
	v_mul_lo_u32 v85, s18, v64
	s_add_i32 s36, s1, s0
	v_lshlrev_b32_e32 v32, 1, v2
	v_lshlrev_b32_e32 v87, 2, v0
	v_mov_b32_e32 v88, v56
	v_writelane_b32 v99, s35, 22
	v_writelane_b32 v99, s36, 23
	s_branch .LBB179_7
.LBB179_4:                              ;   in Loop: Header=BB179_7 Depth=1
	s_or_b64 exec, exec, s[4:5]
.LBB179_5:                              ;   in Loop: Header=BB179_7 Depth=1
	s_or_b64 exec, exec, s[2:3]
	v_subrev_u32_e32 v88, s10, v88
.LBB179_6:                              ;   in Loop: Header=BB179_7 Depth=1
	s_or_b64 exec, exec, s[0:1]
	s_add_i32 s33, s33, 1
	v_cmp_ge_i32_e32 vcc, s33, v62
	s_cbranch_vccnz .LBB179_51
.LBB179_7:                              ; =>This Loop Header: Depth=1
                                        ;     Child Loop BB179_13 Depth 2
                                        ;       Child Loop BB179_15 Depth 3
                                        ;       Child Loop BB179_18 Depth 3
	;; [unrolled: 1-line block ×3, first 2 shown]
                                        ;     Child Loop BB179_38 Depth 2
                                        ;       Child Loop BB179_40 Depth 3
                                        ;     Child Loop BB179_48 Depth 2
                                        ;       Child Loop BB179_50 Depth 3
	s_abs_i32 s1, s33
	s_mul_hi_u32 s2, s1, s34
	s_mul_i32 s3, s2, s20
	s_ashr_i32 s0, s33, 31
	s_sub_i32 s1, s1, s3
	s_xor_b32 s0, s0, s31
	s_add_i32 s3, s2, 1
	s_sub_i32 s4, s1, s20
	s_cmp_ge_u32 s1, s20
	s_cselect_b32 s2, s3, s2
	s_cselect_b32 s1, s4, s1
	s_add_i32 s3, s2, 1
	s_cmp_ge_u32 s1, s20
	s_cselect_b32 s1, s3, s2
	s_xor_b32 s1, s1, s0
	s_sub_i32 s0, s1, s0
	s_abs_i32 s2, s0
	s_mul_i32 s1, s0, s11
	s_mul_hi_u32 s3, s2, s36
	s_sub_i32 s1, s33, s1
	s_mul_i32 s4, s3, s98
	s_lshl_b32 s52, s1, 6
	s_ashr_i32 s1, s0, 31
	s_sub_i32 s2, s2, s4
	s_xor_b32 s1, s1, s35
	s_add_i32 s4, s3, 1
	s_sub_i32 s5, s2, s98
	s_cmp_ge_u32 s2, s98
	s_cselect_b32 s3, s4, s3
	s_cselect_b32 s2, s5, s2
	s_add_i32 s4, s3, 1
	s_cmp_ge_u32 s2, s98
	s_cselect_b32 s2, s4, s3
	s_xor_b32 s2, s2, s1
	s_sub_i32 s1, s2, s1
	s_mul_i32 s2, s1, s13
	s_lshl_b32 s37, s2, 6
	s_cmp_eq_u32 s1, s26
	s_cselect_b32 s99, s27, s13
	s_sub_i32 s2, s52, s16
	s_add_i32 s53, s2, 64
	s_and_saveexec_b64 s[2:3], s[24:25]
	s_xor_b64 s[38:39], exec, s[2:3]
	s_cbranch_execz .LBB179_44
; %bb.8:                                ;   in Loop: Header=BB179_7 Depth=1
	s_mul_i32 s1, s1, s12
	s_sub_i32 s0, s0, s1
	s_lshl_b32 s0, s0, 6
	s_sub_i32 s90, s0, s17
	s_add_i32 s90, s90, 64
	s_max_i32 s1, s90, 0
	s_sub_i32 s54, s0, s1
	s_and_saveexec_b64 s[0:1], s[14:15]
	s_xor_b64 s[4:5], exec, s[0:1]
	s_cbranch_execz .LBB179_34
; %bb.9:                                ;   in Loop: Header=BB179_7 Depth=1
	s_and_saveexec_b64 s[2:3], s[28:29]
	s_cbranch_execz .LBB179_33
; %bb.10:                               ;   in Loop: Header=BB179_7 Depth=1
	global_load_dword v89, v33, s[50:51]
	v_writelane_b32 v99, s2, 24
	v_mov_b32_e32 v31, 0
	v_cmp_gt_i32_e32 vcc, s99, v88
	v_writelane_b32 v99, s3, 25
	v_writelane_b32 v99, s4, 26
	v_mov_b32_e32 v30, v31
	v_mov_b32_e32 v29, v31
	;; [unrolled: 1-line block ×12, first 2 shown]
	s_waitcnt lgkmcnt(1)
	v_mov_b32_e32 v18, v31
	v_mov_b32_e32 v17, v31
	;; [unrolled: 1-line block ×19, first 2 shown]
	v_writelane_b32 v99, s5, 27
	s_and_saveexec_b64 s[0:1], vcc
	s_cbranch_execz .LBB179_23
; %bb.11:                               ;   in Loop: Header=BB179_7 Depth=1
	v_mov_b32_e32 v0, 0
	s_mov_b64 s[2:3], 0
	v_mov_b32_e32 v1, v0
	v_mov_b32_e32 v2, v0
	;; [unrolled: 1-line block ×31, first 2 shown]
	s_branch .LBB179_13
.LBB179_12:                             ;   in Loop: Header=BB179_13 Depth=2
	s_or_b64 exec, exec, s[4:5]
	v_add_u32_e32 v96, 0x800, v93
	ds_read2_b32 v[94:95], v96 offset1:32
	v_add_u32_e32 v88, s23, v88
	s_waitcnt lgkmcnt(0)
	v_mfma_f32_32x32x16_fp8_fp8 v[0:15], v[60:61], v[94:95], v[0:15]
	ds_read2_b32 v[60:61], v96 offset0:128 offset1:160
	s_waitcnt lgkmcnt(0)
	v_mfma_f32_32x32x16_fp8_fp8 v[0:15], v[58:59], v[60:61], v[0:15]
	v_add_u32_e32 v60, 0xc00, v93
	ds_read2_b32 v[58:59], v60 offset1:32
	ds_read2_b32 v[60:61], v60 offset0:128 offset1:160
	ds_write_b32 v91, v92 offset:32780
	s_waitcnt lgkmcnt(2)
	v_mfma_f32_32x32x16_fp8_fp8 v[0:15], v[56:57], v[58:59], v[0:15]
	v_add_u32_e32 v56, s23, v90
	v_add_u32_e32 v57, 2, v63
	v_cmp_lt_i32_e32 vcc, 3, v56
	s_nop 1
	v_cndmask_b32_e32 v63, v63, v57, vcc
	v_cmp_le_i32_e32 vcc, s99, v88
	s_waitcnt lgkmcnt(1)
	v_mfma_f32_32x32x16_fp8_fp8 v[0:15], v[54:55], v[60:61], v[0:15]
	s_or_b64 s[2:3], vcc, s[2:3]
	s_andn2_b64 exec, exec, s[2:3]
	s_cbranch_execz .LBB179_22
.LBB179_13:                             ;   Parent Loop BB179_7 Depth=1
                                        ; =>  This Loop Header: Depth=2
                                        ;       Child Loop BB179_15 Depth 3
                                        ;       Child Loop BB179_18 Depth 3
	;; [unrolled: 1-line block ×3, first 2 shown]
	v_cmp_gt_i32_e32 vcc, 4, v56
	s_nop 1
	v_cndmask_b32_e64 v54, -4, 0, vcc
	v_add_u32_e32 v90, v54, v56
	v_lshlrev_b32_e32 v91, 4, v90
	ds_read_b32 v54, v91 offset:32768
	s_waitcnt lgkmcnt(0)
	v_cmp_ne_u32_e32 vcc, v54, v63
	s_and_saveexec_b64 s[4:5], vcc
	s_cbranch_execz .LBB179_16
; %bb.14:                               ;   in Loop: Header=BB179_13 Depth=2
	s_mov_b64 s[6:7], 0
.LBB179_15:                             ;   Parent Loop BB179_7 Depth=1
                                        ;     Parent Loop BB179_13 Depth=2
                                        ; =>    This Inner Loop Header: Depth=3
	;;#ASMSTART
	s_sleep 0
	;;#ASMEND
	ds_read_b32 v54, v91 offset:32768
	s_waitcnt lgkmcnt(0)
	v_cmp_eq_u32_e32 vcc, v54, v63
	s_or_b64 s[6:7], vcc, s[6:7]
	s_andn2_b64 exec, exec, s[6:7]
	s_cbranch_execnz .LBB179_15
.LBB179_16:                             ;   in Loop: Header=BB179_13 Depth=2
	s_or_b64 exec, exec, s[4:5]
	v_lshl_or_b32 v54, v90, 11, v65
	ds_read2_b32 v[60:61], v54 offset1:32
	ds_read2_b32 v[58:59], v54 offset0:128 offset1:160
	v_add_u32_e32 v54, 0x400, v54
	ds_read2_b32 v[56:57], v54 offset1:32
	ds_read_b32 v93, v91 offset:32772
	ds_read2_b32 v[54:55], v54 offset0:128 offset1:160
	v_add_u32_e32 v92, 1, v63
	ds_write_b32 v91, v92 offset:32768
	s_waitcnt lgkmcnt(2)
	v_cmp_ne_u32_e32 vcc, v93, v63
	s_and_saveexec_b64 s[4:5], vcc
	s_cbranch_execz .LBB179_19
; %bb.17:                               ;   in Loop: Header=BB179_13 Depth=2
	s_mov_b64 s[6:7], 0
.LBB179_18:                             ;   Parent Loop BB179_7 Depth=1
                                        ;     Parent Loop BB179_13 Depth=2
                                        ; =>    This Inner Loop Header: Depth=3
	;;#ASMSTART
	s_sleep 0
	;;#ASMEND
	ds_read_b32 v93, v91 offset:32772
	s_waitcnt lgkmcnt(0)
	v_cmp_eq_u32_e32 vcc, v93, v63
	s_or_b64 s[6:7], vcc, s[6:7]
	s_andn2_b64 exec, exec, s[6:7]
	s_cbranch_execnz .LBB179_18
.LBB179_19:                             ;   in Loop: Header=BB179_13 Depth=2
	s_or_b64 exec, exec, s[4:5]
	v_lshlrev_b32_e32 v93, 12, v90
	v_add_u32_e32 v93, v66, v93
	ds_read2_b32 v[94:95], v93 offset1:32
	v_add_u32_e32 v96, 0x400, v93
	ds_write_b32 v91, v92 offset:32772
	s_waitcnt lgkmcnt(1)
	v_mfma_f32_32x32x16_fp8_fp8 v[16:31], v[60:61], v[94:95], v[16:31]
	ds_read2_b32 v[94:95], v93 offset0:128 offset1:160
	s_waitcnt lgkmcnt(0)
	v_mfma_f32_32x32x16_fp8_fp8 v[16:31], v[58:59], v[94:95], v[16:31]
	ds_read2_b32 v[94:95], v96 offset1:32
	s_waitcnt lgkmcnt(0)
	v_mfma_f32_32x32x16_fp8_fp8 v[16:31], v[56:57], v[94:95], v[16:31]
	ds_read2_b32 v[94:95], v96 offset0:128 offset1:160
	ds_read_b32 v96, v91 offset:32780
	s_waitcnt lgkmcnt(0)
	v_cmp_ne_u32_e32 vcc, v96, v63
	v_mfma_f32_32x32x16_fp8_fp8 v[16:31], v[54:55], v[94:95], v[16:31]
	s_and_saveexec_b64 s[4:5], vcc
	s_cbranch_execz .LBB179_12
; %bb.20:                               ;   in Loop: Header=BB179_13 Depth=2
	s_mov_b64 s[6:7], 0
.LBB179_21:                             ;   Parent Loop BB179_7 Depth=1
                                        ;     Parent Loop BB179_13 Depth=2
                                        ; =>    This Inner Loop Header: Depth=3
	;;#ASMSTART
	s_sleep 0
	;;#ASMEND
	ds_read_b32 v94, v91 offset:32780
	s_waitcnt lgkmcnt(0)
	v_cmp_eq_u32_e32 vcc, v94, v63
	s_or_b64 s[6:7], vcc, s[6:7]
	s_andn2_b64 exec, exec, s[6:7]
	s_cbranch_execnz .LBB179_21
	s_branch .LBB179_12
.LBB179_22:                             ;   in Loop: Header=BB179_7 Depth=1
	s_or_b64 exec, exec, s[2:3]
.LBB179_23:                             ;   in Loop: Header=BB179_7 Depth=1
	v_writelane_b32 v99, s54, 28
	s_nop 1
	v_writelane_b32 v99, s55, 29
	v_writelane_b32 v99, s38, 30
	s_nop 1
	v_writelane_b32 v99, s39, 31
	v_writelane_b32 v99, s53, 32
	;; [unrolled: 1-line block ×4, first 2 shown]
	s_or_b64 exec, exec, s[0:1]
	v_cmp_le_i32_e32 vcc, s90, v64
	v_cmp_eq_u32_e64 s[86:87], 1, v67
	v_cmp_eq_u32_e64 s[50:51], 2, v67
	s_waitcnt vmcnt(0)
	v_cndmask_b32_e32 v54, 0, v89, vcc
	v_pk_mul_f32 v[16:17], v[54:55], v[16:17] op_sel_hi:[0,1]
	v_pk_mul_f32 v[30:31], v[54:55], v[30:31] op_sel_hi:[0,1]
	;; [unrolled: 1-line block ×8, first 2 shown]
	v_cndmask_b32_e64 v54, v16, v17, s[86:87]
	v_cndmask_b32_e64 v54, v54, v18, s[50:51]
	v_cmp_eq_u32_e64 s[52:53], 3, v67
	v_cmp_eq_u32_e64 s[56:57], 4, v67
	v_cmp_eq_u32_e64 s[60:61], 5, v67
	v_cndmask_b32_e64 v54, v54, v19, s[52:53]
	v_cndmask_b32_e64 v54, v54, v20, s[56:57]
	v_cndmask_b32_e64 v54, v54, v21, s[60:61]
	v_cmp_eq_u32_e64 s[64:65], 6, v67
	v_cmp_eq_u32_e64 s[68:69], 7, v67
	v_cmp_eq_u32_e64 s[72:73], 8, v67
	v_cndmask_b32_e64 v54, v54, v22, s[64:65]
	;; [unrolled: 6-line block ×5, first 2 shown]
	ds_bpermute_b32 v54, v87, v54
	v_cmp_eq_u32_e64 s[26:27], 2, v68
	v_cmp_eq_u32_e64 s[28:29], 3, v68
	;; [unrolled: 1-line block ×4, first 2 shown]
	s_waitcnt lgkmcnt(0)
	v_cndmask_b32_e64 v17, v17, v54, s[86:87]
	v_cndmask_b32_e64 v16, v16, v54, s[70:71]
	;; [unrolled: 1-line block ×12, first 2 shown]
	v_cmp_eq_u32_e64 s[36:37], 6, v68
	v_cndmask_b32_e64 v57, v23, v54, s[68:69]
	v_cmp_eq_u32_e64 s[38:39], 7, v68
	v_cndmask_b32_e64 v18, v18, v58, s[36:37]
	v_cndmask_b32_e64 v55, v24, v54, s[72:73]
	v_cndmask_b32_e64 v18, v18, v57, s[38:39]
	v_cmp_eq_u32_e64 s[42:43], 8, v68
	v_cndmask_b32_e64 v25, v25, v54, s[74:75]
	v_cmp_eq_u32_e64 s[44:45], 9, v68
	v_cndmask_b32_e64 v18, v18, v55, s[42:43]
	v_cndmask_b32_e64 v26, v26, v54, s[76:77]
	v_cndmask_b32_e64 v18, v18, v25, s[44:45]
	;; [unrolled: 6-line block ×4, first 2 shown]
	v_cmp_eq_u32_e64 s[62:63], 14, v68
	v_cndmask_b32_e64 v31, v31, v54, s[88:89]
	v_cmp_eq_u32_e64 s[66:67], 15, v68
	v_cndmask_b32_e64 v18, v18, v30, s[62:63]
	v_cmp_le_i32_e64 s[90:91], s90, v75
	v_cndmask_b32_e64 v18, v18, v31, s[66:67]
	ds_bpermute_b32 v54, v87, v18
	v_cmp_eq_u32_e64 s[40:41], 0, v68
	v_cmp_eq_u32_e64 s[2:3], 1, v69
	;; [unrolled: 1-line block ×4, first 2 shown]
	s_waitcnt lgkmcnt(0)
	v_cndmask_b32_e64 v22, v27, v54, s[48:49]
	v_cndmask_b32_e64 v27, v58, v54, s[36:37]
	v_cndmask_b32_e64 v58, 0, v89, s[90:91]
	v_pk_mul_f32 v[0:1], v[58:59], v[0:1] op_sel_hi:[0,1]
	v_cndmask_b32_e64 v24, v25, v54, s[44:45]
	v_cndmask_b32_e64 v25, v55, v54, s[42:43]
	v_pk_mul_f32 v[2:3], v[58:59], v[2:3] op_sel_hi:[0,1]
	v_cndmask_b32_e64 v55, v0, v1, s[86:87]
	v_cndmask_b32_e64 v55, v55, v2, s[50:51]
	;; [unrolled: 3-line block ×6, first 2 shown]
	v_cndmask_b32_e64 v17, v17, v54, s[24:25]
	v_cndmask_b32_e64 v16, v16, v54, s[40:41]
	v_pk_mul_f32 v[12:13], v[58:59], v[12:13] op_sel_hi:[0,1]
	v_cndmask_b32_e64 v55, v55, v11, s[78:79]
	v_cndmask_b32_e64 v18, v31, v54, s[66:67]
	;; [unrolled: 1-line block ×14, first 2 shown]
	v_pk_mul_f32 v[14:15], v[58:59], v[14:15] op_sel_hi:[0,1]
	v_cndmask_b32_e64 v55, v55, v13, s[82:83]
	v_cndmask_b32_e64 v54, v54, v30, s[8:9]
	v_cmp_eq_u32_e64 s[10:11], 4, v69
	v_cndmask_b32_e64 v55, v55, v14, s[84:85]
	v_cmp_eq_u32_e64 s[12:13], 5, v69
	v_cndmask_b32_e64 v54, v54, v29, s[10:11]
	v_cndmask_b32_e64 v55, v55, v15, s[88:89]
	;; [unrolled: 1-line block ×3, first 2 shown]
	v_cmp_eq_u32_e64 s[14:15], 6, v69
	ds_bpermute_b32 v55, v87, v55
	v_cmp_eq_u32_e64 s[96:97], 7, v69
	v_cndmask_b32_e64 v54, v54, v27, s[14:15]
	v_cmp_eq_u32_e64 s[4:5], 8, v69
	v_cndmask_b32_e64 v54, v54, v26, s[96:97]
	v_cmp_eq_u32_e32 vcc, 9, v69
	v_cndmask_b32_e64 v54, v54, v25, s[4:5]
	v_cmp_eq_u32_e64 s[0:1], 10, v69
	v_cndmask_b32_e32 v54, v54, v24, vcc
	v_cmp_eq_u32_e64 s[86:87], 11, v69
	v_cndmask_b32_e64 v54, v54, v23, s[0:1]
	s_waitcnt lgkmcnt(0)
	v_cndmask_b32_e64 v2, v2, v55, s[50:51]
	v_cmp_ne_u32_e64 s[50:51], 0, v67
	v_cndmask_b32_e64 v54, v54, v22, s[86:87]
	v_cmp_eq_u32_e64 s[90:91], 12, v69
	v_cndmask_b32_e64 v1, v1, v55, s[50:51]
	v_cndmask_b32_e64 v0, v0, v55, s[70:71]
	;; [unrolled: 1-line block ×4, first 2 shown]
	v_cmp_eq_u32_e64 s[88:89], 13, v69
	v_cndmask_b32_e64 v14, v14, v55, s[84:85]
	v_cndmask_b32_e64 v13, v13, v55, s[82:83]
	;; [unrolled: 1-line block ×14, first 2 shown]
	v_cmp_eq_u32_e64 s[84:85], 14, v69
	v_cndmask_b32_e64 v55, v55, v2, s[26:27]
	v_cmp_eq_u32_e64 s[82:83], 15, v69
	v_cndmask_b32_e64 v54, v54, v19, s[84:85]
	v_cndmask_b32_e64 v55, v55, v3, s[28:29]
	;; [unrolled: 1-line block ×4, first 2 shown]
	ds_bpermute_b32 v54, v87, v54
	v_cndmask_b32_e64 v55, v55, v5, s[34:35]
	v_cndmask_b32_e64 v55, v55, v6, s[36:37]
	;; [unrolled: 1-line block ×4, first 2 shown]
	v_cmp_eq_u32_e64 s[80:81], 0, v69
	v_cndmask_b32_e64 v55, v55, v9, s[44:45]
	s_waitcnt lgkmcnt(0)
	v_cndmask_b32_e64 v17, v17, v54, s[2:3]
	v_cndmask_b32_e64 v16, v16, v54, s[80:81]
	v_cmp_eq_u32_e64 s[78:79], 1, v70
	v_cndmask_b32_e64 v55, v55, v10, s[46:47]
	v_cndmask_b32_e64 v18, v18, v54, s[82:83]
	;; [unrolled: 1-line block ×7, first 2 shown]
	v_cndmask_b32_e32 v24, v24, v54, vcc
	v_cndmask_b32_e64 v25, v25, v54, s[4:5]
	v_cndmask_b32_e64 v26, v26, v54, s[96:97]
	;; [unrolled: 1-line block ×8, first 2 shown]
	v_cmp_eq_u32_e64 s[76:77], 2, v70
	v_cndmask_b32_e64 v55, v55, v11, s[48:49]
	v_cmp_eq_u32_e64 s[74:75], 3, v70
	v_cndmask_b32_e64 v54, v54, v31, s[76:77]
	v_cndmask_b32_e64 v55, v55, v12, s[54:55]
	;; [unrolled: 1-line block ×3, first 2 shown]
	v_cmp_eq_u32_e64 s[72:73], 4, v70
	v_cndmask_b32_e64 v55, v55, v13, s[58:59]
	v_cmp_eq_u32_e64 s[68:69], 5, v70
	v_cndmask_b32_e64 v54, v54, v29, s[72:73]
	v_cndmask_b32_e64 v55, v55, v14, s[62:63]
	;; [unrolled: 1-line block ×3, first 2 shown]
	v_cmp_eq_u32_e64 s[64:65], 6, v70
	v_cndmask_b32_e64 v55, v55, v15, s[66:67]
	v_cmp_eq_u32_e64 s[60:61], 7, v70
	v_cndmask_b32_e64 v54, v54, v27, s[64:65]
	ds_bpermute_b32 v55, v87, v55
	v_cndmask_b32_e64 v54, v54, v26, s[60:61]
	v_cmp_eq_u32_e64 s[56:57], 8, v70
	v_cmp_eq_u32_e64 s[52:53], 9, v70
	;; [unrolled: 1-line block ×3, first 2 shown]
	v_cndmask_b32_e64 v54, v54, v25, s[56:57]
	v_cndmask_b32_e64 v54, v54, v24, s[52:53]
	v_cndmask_b32_e64 v54, v54, v23, s[50:51]
	v_cmp_eq_u32_e64 s[70:71], 11, v70
	s_waitcnt lgkmcnt(0)
	v_cndmask_b32_e64 v15, v15, v55, s[66:67]
	v_cmp_eq_u32_e64 s[66:67], 12, v70
	v_cndmask_b32_e64 v54, v54, v22, s[70:71]
	v_cndmask_b32_e64 v14, v14, v55, s[62:63]
	;; [unrolled: 1-line block ×3, first 2 shown]
	v_cmp_eq_u32_e64 s[62:63], 13, v70
	v_cndmask_b32_e64 v1, v1, v55, s[24:25]
	v_cndmask_b32_e64 v0, v0, v55, s[40:41]
	;; [unrolled: 1-line block ×4, first 2 shown]
	v_cmp_eq_u32_e64 s[92:93], 14, v70
	v_cndmask_b32_e64 v12, v12, v55, s[54:55]
	v_cndmask_b32_e64 v11, v11, v55, s[48:49]
	;; [unrolled: 1-line block ×13, first 2 shown]
	v_cmp_eq_u32_e64 s[94:95], 15, v70
	v_cndmask_b32_e64 v55, v55, v2, s[6:7]
	v_cndmask_b32_e64 v55, v55, v3, s[8:9]
	;; [unrolled: 1-line block ×3, first 2 shown]
	ds_bpermute_b32 v54, v87, v54
	v_cndmask_b32_e64 v55, v55, v4, s[10:11]
	v_cndmask_b32_e64 v55, v55, v5, s[12:13]
	;; [unrolled: 1-line block ×4, first 2 shown]
	v_cmp_eq_u32_e64 s[48:49], 0, v70
	v_cndmask_b32_e64 v55, v55, v8, s[4:5]
	s_waitcnt lgkmcnt(0)
	v_cndmask_b32_e64 v17, v17, v54, s[78:79]
	v_cndmask_b32_e64 v16, v16, v54, s[48:49]
	v_cmp_eq_u32_e64 s[46:47], 1, v71
	v_cndmask_b32_e32 v55, v55, v9, vcc
	v_cndmask_b32_e64 v18, v18, v54, s[94:95]
	v_cndmask_b32_e64 v19, v19, v54, s[92:93]
	;; [unrolled: 1-line block ×15, first 2 shown]
	v_cmp_eq_u32_e64 s[44:45], 2, v71
	v_cndmask_b32_e64 v55, v55, v10, s[0:1]
	v_cmp_eq_u32_e64 s[42:43], 3, v71
	v_cndmask_b32_e64 v54, v54, v31, s[44:45]
	v_cndmask_b32_e64 v55, v55, v11, s[86:87]
	v_cndmask_b32_e64 v54, v54, v30, s[42:43]
	v_cmp_eq_u32_e64 s[38:39], 4, v71
	v_cndmask_b32_e64 v55, v55, v12, s[90:91]
	v_cmp_eq_u32_e64 s[36:37], 5, v71
	v_cndmask_b32_e64 v54, v54, v29, s[38:39]
	v_cndmask_b32_e64 v55, v55, v13, s[88:89]
	v_cndmask_b32_e64 v54, v54, v28, s[36:37]
	;; [unrolled: 6-line block ×3, first 2 shown]
	v_cmp_eq_u32_e64 s[28:29], 8, v71
	ds_bpermute_b32 v55, v87, v55
	v_cmp_eq_u32_e64 s[26:27], 9, v71
	v_cndmask_b32_e64 v54, v54, v25, s[28:29]
	v_cmp_eq_u32_e64 s[24:25], 10, v71
	v_cndmask_b32_e64 v54, v54, v24, s[26:27]
	;; [unrolled: 2-line block ×4, first 2 shown]
	s_waitcnt lgkmcnt(0)
	v_cndmask_b32_e64 v15, v15, v55, s[82:83]
	v_cndmask_b32_e64 v54, v54, v21, s[58:59]
	v_cmp_eq_u32_e64 s[82:83], 13, v71
	v_cndmask_b32_e64 v14, v14, v55, s[84:85]
	v_cmp_eq_u32_e64 s[84:85], 14, v71
	v_cndmask_b32_e64 v54, v54, v20, s[82:83]
	v_cndmask_b32_e64 v1, v1, v55, s[2:3]
	;; [unrolled: 1-line block ×6, first 2 shown]
	v_cmp_eq_u32_e64 s[90:91], 15, v71
	v_cndmask_b32_e64 v11, v11, v55, s[86:87]
	v_cndmask_b32_e64 v10, v10, v55, s[0:1]
	v_cndmask_b32_e32 v9, v9, v55, vcc
	v_cndmask_b32_e64 v8, v8, v55, s[4:5]
	v_cndmask_b32_e64 v7, v7, v55, s[96:97]
	;; [unrolled: 1-line block ×10, first 2 shown]
	ds_bpermute_b32 v54, v87, v54
	v_cndmask_b32_e64 v55, v55, v3, s[74:75]
	v_cndmask_b32_e64 v55, v55, v4, s[72:73]
	;; [unrolled: 1-line block ×3, first 2 shown]
	v_cmp_eq_u32_e64 s[54:55], 0, v71
	v_cndmask_b32_e64 v55, v55, v6, s[64:65]
	v_cndmask_b32_e64 v55, v55, v7, s[60:61]
	v_writelane_b32 v99, s54, 35
	s_waitcnt lgkmcnt(0)
	v_cndmask_b32_e64 v17, v17, v54, s[46:47]
	v_cndmask_b32_e64 v55, v55, v8, s[56:57]
	v_writelane_b32 v99, s55, 36
	v_cndmask_b32_e64 v16, v16, v54, s[54:55]
	v_cmp_eq_u32_e64 s[54:55], 1, v72
	v_cndmask_b32_e64 v18, v18, v54, s[90:91]
	v_cndmask_b32_e64 v19, v19, v54, s[84:85]
	;; [unrolled: 1-line block ×15, first 2 shown]
	v_cmp_eq_u32_e64 s[0:1], 2, v72
	v_cndmask_b32_e64 v55, v55, v9, s[52:53]
	v_cmp_eq_u32_e64 s[4:5], 3, v72
	v_cndmask_b32_e64 v54, v54, v31, s[0:1]
	v_cndmask_b32_e64 v55, v55, v10, s[50:51]
	v_cndmask_b32_e64 v54, v54, v30, s[4:5]
	v_cmp_eq_u32_e64 s[96:97], 4, v72
	v_cndmask_b32_e64 v55, v55, v11, s[70:71]
	v_cmp_eq_u32_e64 s[14:15], 5, v72
	v_cndmask_b32_e64 v54, v54, v29, s[96:97]
	v_cndmask_b32_e64 v55, v55, v12, s[66:67]
	v_cndmask_b32_e64 v54, v54, v28, s[14:15]
	;; [unrolled: 6-line block ×3, first 2 shown]
	v_cmp_eq_u32_e64 s[8:9], 8, v72
	v_cndmask_b32_e64 v55, v55, v15, s[94:95]
	v_cmp_eq_u32_e64 s[6:7], 9, v72
	v_cndmask_b32_e64 v54, v54, v25, s[8:9]
	ds_bpermute_b32 v55, v87, v55
	v_cndmask_b32_e64 v54, v54, v24, s[6:7]
	v_cmp_eq_u32_e32 vcc, 10, v72
	v_cmp_eq_u32_e64 s[80:81], 11, v72
	v_cmp_eq_u32_e64 s[86:87], 12, v72
	v_cndmask_b32_e32 v54, v54, v23, vcc
	v_cndmask_b32_e64 v54, v54, v22, s[80:81]
	v_cndmask_b32_e64 v54, v54, v21, s[86:87]
	v_cmp_eq_u32_e64 s[88:89], 13, v72
	s_waitcnt lgkmcnt(0)
	v_cndmask_b32_e64 v13, v13, v55, s[62:63]
	v_cmp_eq_u32_e64 s[62:63], 14, v72
	v_cndmask_b32_e64 v54, v54, v20, s[88:89]
	v_cndmask_b32_e64 v12, v12, v55, s[66:67]
	;; [unrolled: 1-line block ×3, first 2 shown]
	v_cmp_eq_u32_e64 s[66:67], 15, v72
	v_cndmask_b32_e64 v57, v11, v55, s[70:71]
	v_cmp_eq_u32_e64 s[70:71], 0, v72
	v_cndmask_b32_e64 v54, v54, v18, s[66:67]
	ds_bpermute_b32 v54, v87, v54
	v_cndmask_b32_e64 v15, v15, v55, s[94:95]
	v_cndmask_b32_e64 v14, v14, v55, s[92:93]
	;; [unrolled: 1-line block ×4, first 2 shown]
	s_waitcnt lgkmcnt(0)
	v_cndmask_b32_e64 v18, v18, v54, s[66:67]
	v_cndmask_b32_e64 v19, v19, v54, s[62:63]
	;; [unrolled: 1-line block ×5, first 2 shown]
	v_cndmask_b32_e32 v23, v23, v54, vcc
	v_cndmask_b32_e64 v24, v24, v54, s[6:7]
	v_cndmask_b32_e64 v25, v25, v54, s[8:9]
	;; [unrolled: 1-line block ×28, first 2 shown]
	v_cmp_eq_u32_e64 s[50:51], 1, v73
	v_cndmask_b32_e64 v0, v0, v54, s[24:25]
	v_cmp_eq_u32_e64 s[52:53], 2, v73
	v_cndmask_b32_e64 v10, v16, v17, s[50:51]
	v_cndmask_b32_e64 v0, v0, v57, s[40:41]
	v_cndmask_b32_e64 v9, v10, v31, s[52:53]
	v_cmp_eq_u32_e64 s[56:57], 3, v73
	v_cndmask_b32_e64 v0, v0, v12, s[58:59]
	v_cmp_eq_u32_e64 s[60:61], 4, v73
	v_cndmask_b32_e64 v8, v9, v30, s[56:57]
	v_cndmask_b32_e64 v0, v0, v13, s[82:83]
	v_cndmask_b32_e64 v7, v8, v29, s[60:61]
	;; [unrolled: 6-line block ×3, first 2 shown]
	v_cmp_eq_u32_e64 s[72:73], 7, v73
	ds_bpermute_b32 v94, v87, v0
	v_cmp_eq_u32_e64 s[74:75], 8, v73
	v_cndmask_b32_e64 v4, v5, v26, s[72:73]
	v_cmp_eq_u32_e64 s[76:77], 9, v73
	v_cndmask_b32_e64 v3, v4, v25, s[74:75]
	;; [unrolled: 2-line block ×4, first 2 shown]
	s_waitcnt lgkmcnt(0)
	v_cndmask_b32_e64 v95, v15, v94, s[90:91]
	v_cndmask_b32_e64 v0, v0, v22, s[78:79]
	v_cmp_eq_u32_e64 s[90:91], 12, v73
	v_cndmask_b32_e64 v96, v14, v94, s[84:85]
	v_cmp_eq_u32_e64 s[84:85], 13, v73
	v_cndmask_b32_e64 v0, v0, v21, s[90:91]
	v_cndmask_b32_e64 v97, v13, v94, s[82:83]
	;; [unrolled: 1-line block ×3, first 2 shown]
	v_cmp_eq_u32_e64 s[82:83], 14, v73
	v_cndmask_b32_e64 v98, v12, v94, s[58:59]
	v_cmp_eq_u32_e64 s[58:59], 15, v73
	v_cndmask_b32_e64 v0, v0, v19, s[82:83]
	v_readlane_b32 s2, v99, 35
	v_cndmask_b32_e64 v0, v0, v18, s[58:59]
	ds_bpermute_b32 v1, v87, v0
	v_readlane_b32 s3, v99, 36
	s_waitcnt lgkmcnt(0)
	v_cndmask_b32_e64 v11, v27, v1, s[68:69]
	v_cndmask_b32_e64 v12, v28, v1, s[64:65]
	;; [unrolled: 1-line block ×4, first 2 shown]
	s_mov_b64 s[2:3], s[54:55]
	v_cndmask_b32_e64 v10, v26, v1, s[72:73]
	v_cndmask_b32_e64 v13, v29, v1, s[60:61]
	;; [unrolled: 1-line block ×25, first 2 shown]
	v_cmp_eq_u32_e64 s[40:41], 0, v73
	v_cndmask_b32_e64 v19, v58, v94, s[26:27]
	v_cndmask_b32_e64 v29, v29, v20, s[8:9]
	;; [unrolled: 1-line block ×8, first 2 shown]
	v_cndmask_b32_e32 v29, v29, v16, vcc
	v_cndmask_b32_e64 v29, v29, v17, s[80:81]
	v_cndmask_b32_e64 v29, v29, v98, s[86:87]
	;; [unrolled: 1-line block ×5, first 2 shown]
	ds_bpermute_b32 v29, v87, v29
	v_cmp_eq_u32_e64 s[24:25], 1, v74
	v_cmp_eq_u32_e64 s[26:27], 2, v74
	;; [unrolled: 1-line block ×3, first 2 shown]
	v_cndmask_b32_e64 v18, v1, v0, s[24:25]
	s_waitcnt lgkmcnt(0)
	v_cndmask_b32_e64 v92, v27, v29, s[2:3]
	v_cndmask_b32_e64 v93, v28, v29, s[70:71]
	;; [unrolled: 1-line block ×18, first 2 shown]
	v_cndmask_b32_e32 v16, v16, v29, vcc
	v_cndmask_b32_e64 v19, v19, v57, s[76:77]
	v_cndmask_b32_e64 v17, v17, v29, s[80:81]
	;; [unrolled: 1-line block ×12, first 2 shown]
	ds_bpermute_b32 v94, v87, v19
	v_cndmask_b32_e64 v18, v18, v15, s[26:27]
	v_cndmask_b32_e64 v18, v18, v14, s[28:29]
	v_cmp_eq_u32_e64 s[30:31], 4, v74
	v_cmp_eq_u32_e64 s[34:35], 5, v74
	s_waitcnt lgkmcnt(0)
	v_cndmask_b32_e64 v23, v17, v94, s[78:79]
	v_cndmask_b32_e64 v24, v16, v94, s[48:49]
	;; [unrolled: 1-line block ×18, first 2 shown]
	v_cmp_eq_u32_e64 s[36:37], 6, v74
	v_cndmask_b32_e64 v28, v60, v94, s[68:69]
	v_cndmask_b32_e64 v55, v55, v29, s[34:35]
	v_cndmask_b32_e64 v18, v18, v11, s[36:37]
	v_cmp_eq_u32_e64 s[38:39], 7, v74
	v_cndmask_b32_e64 v27, v59, v94, s[72:73]
	v_cndmask_b32_e64 v55, v55, v28, s[36:37]
	v_cndmask_b32_e64 v18, v18, v10, s[38:39]
	;; [unrolled: 4-line block ×4, first 2 shown]
	v_cmp_eq_u32_e64 s[46:47], 10, v74
	v_cndmask_b32_e64 v55, v55, v25, s[44:45]
	v_cmp_eq_u32_e64 s[54:55], 11, v74
	v_cndmask_b32_e64 v18, v18, v7, s[46:47]
	v_cndmask_b32_e64 v55, v55, v24, s[46:47]
	;; [unrolled: 1-line block ×3, first 2 shown]
	v_cmp_eq_u32_e64 s[66:67], 12, v74
	v_cndmask_b32_e64 v55, v55, v23, s[54:55]
	v_cmp_eq_u32_e64 s[62:63], 13, v74
	v_cndmask_b32_e64 v18, v18, v5, s[66:67]
	v_cndmask_b32_e64 v55, v55, v22, s[66:67]
	;; [unrolled: 1-line block ×3, first 2 shown]
	v_cmp_eq_u32_e32 vcc, 14, v74
	v_cndmask_b32_e64 v55, v55, v21, s[62:63]
	v_cmp_eq_u32_e64 s[6:7], 15, v74
	v_cndmask_b32_e32 v18, v18, v3, vcc
	v_cndmask_b32_e32 v55, v55, v20, vcc
	v_cndmask_b32_e64 v18, v18, v2, s[6:7]
	v_cndmask_b32_e64 v55, v55, v19, s[6:7]
	ds_bpermute_b32 v18, v87, v18
	ds_bpermute_b32 v58, v87, v55
	v_readlane_b32 s53, v99, 32
	s_nop 1
	v_cmp_lt_i32_e32 vcc, s53, v76
	s_and_saveexec_b64 s[40:41], vcc
	v_readlane_b32 s44, v99, 2
	v_readlane_b32 s45, v99, 3
	;; [unrolled: 1-line block ×11, first 2 shown]
	s_cbranch_execz .LBB179_32
; %bb.24:                               ;   in Loop: Header=BB179_7 Depth=1
	s_mul_i32 s0, s52, s17
	s_ashr_i32 s1, s0, 31
	s_lshl_b64 s[0:1], s[0:1], 1
	s_add_u32 s2, s48, s0
	v_cmp_eq_u32_e64 s[34:35], 1, v74
	v_cmp_eq_u32_e64 s[36:37], 0, v74
	s_addc_u32 s3, s49, s1
	s_ashr_i32 s55, s54, 31
	s_waitcnt lgkmcnt(1)
	v_cndmask_b32_e64 v55, v0, v18, s[34:35]
	v_cndmask_b32_e64 v57, v1, v18, s[36:37]
	s_lshl_b64 s[0:1], s[54:55], 1
	s_waitcnt lgkmcnt(0)
	v_cndmask_b32_e64 v59, v16, v58, s[34:35]
	v_cndmask_b32_e64 v60, v17, v58, s[36:37]
	v_cvt_f16_f32_e32 v57, v57
	v_cvt_f16_f32_sdwa v55, v55 dst_sel:WORD_1 dst_unused:UNUSED_PAD src0_sel:DWORD
	s_add_u32 s42, s2, s0
	v_cvt_f16_f32_e32 v60, v60
	v_cvt_f16_f32_sdwa v59, v59 dst_sel:WORD_1 dst_unused:UNUSED_PAD src0_sel:DWORD
	s_addc_u32 s43, s3, s1
	v_lshl_add_u64 v[0:1], s[42:43], 0, v[32:33]
	v_cmp_eq_u32_e32 vcc, 15, v74
	v_cmp_eq_u32_e64 s[6:7], 14, v74
	v_cmp_eq_u32_e64 s[8:9], 13, v74
	;; [unrolled: 1-line block ×13, first 2 shown]
	v_lshl_add_u64 v[16:17], v[34:35], 1, v[0:1]
	v_or_b32_e32 v55, v55, v57
	v_cmp_lt_i32_e64 s[34:35], s53, v77
	;;#ASMSTART
	global_atomic_pk_add_f16 v[16:17], v55, off
	
	;;#ASMEND
	v_lshl_add_u64 v[16:17], v[16:17], 0, 64
	v_or_b32_e32 v55, v59, v60
	;;#ASMSTART
	global_atomic_pk_add_f16 v[16:17], v55, off
	
	;;#ASMEND
	s_and_b64 exec, exec, s[34:35]
	s_cbranch_execz .LBB179_32
; %bb.25:                               ;   in Loop: Header=BB179_7 Depth=1
	v_cndmask_b32_e32 v2, v2, v18, vcc
	v_cndmask_b32_e64 v3, v3, v18, s[6:7]
	v_cndmask_b32_e64 v16, v4, v18, s[8:9]
	;; [unrolled: 1-line block ×19, first 2 shown]
	v_cvt_f16_f32_e32 v22, v18
	v_cvt_f16_f32_sdwa v23, v92 dst_sel:WORD_1 dst_unused:UNUSED_PAD src0_sel:DWORD
	v_cvt_f16_f32_e32 v21, v21
	v_cvt_f16_f32_sdwa v20, v20 dst_sel:WORD_1 dst_unused:UNUSED_PAD src0_sel:DWORD
	v_cndmask_b32_e32 v4, v19, v58, vcc
	v_cndmask_b32_e64 v9, v24, v58, s[14:15]
	v_cndmask_b32_e64 v10, v25, v58, s[0:1]
	;; [unrolled: 1-line block ×7, first 2 shown]
	v_lshl_add_u64 v[18:19], v[36:37], 1, v[0:1]
	v_cmp_lt_i32_e32 vcc, s53, v78
	v_or_b32_e32 v22, v23, v22
	;;#ASMSTART
	global_atomic_pk_add_f16 v[18:19], v22, off
	
	;;#ASMEND
	v_lshl_add_u64 v[18:19], v[18:19], 0, 64
	v_or_b32_e32 v20, v20, v21
	;;#ASMSTART
	global_atomic_pk_add_f16 v[18:19], v20, off
	
	;;#ASMEND
	s_and_b64 exec, exec, vcc
	s_cbranch_execz .LBB179_32
; %bb.26:                               ;   in Loop: Header=BB179_7 Depth=1
	v_cvt_f16_f32_e32 v20, v91
	v_cvt_f16_f32_sdwa v21, v90 dst_sel:WORD_1 dst_unused:UNUSED_PAD src0_sel:DWORD
	v_cvt_f16_f32_e32 v22, v15
	v_cvt_f16_f32_sdwa v23, v14 dst_sel:WORD_1 dst_unused:UNUSED_PAD src0_sel:DWORD
	v_lshl_add_u64 v[18:19], v[38:39], 1, v[0:1]
	v_or_b32_e32 v14, v21, v20
	v_cmp_lt_i32_e32 vcc, s53, v79
	;;#ASMSTART
	global_atomic_pk_add_f16 v[18:19], v14, off
	
	;;#ASMEND
	v_lshl_add_u64 v[14:15], v[18:19], 0, 64
	v_or_b32_e32 v18, v23, v22
	;;#ASMSTART
	global_atomic_pk_add_f16 v[14:15], v18, off
	
	;;#ASMEND
	s_and_b64 exec, exec, vcc
	s_cbranch_execz .LBB179_32
; %bb.27:                               ;   in Loop: Header=BB179_7 Depth=1
	v_cvt_f16_f32_e32 v18, v89
	v_cvt_f16_f32_sdwa v19, v61 dst_sel:WORD_1 dst_unused:UNUSED_PAD src0_sel:DWORD
	v_cvt_f16_f32_e32 v20, v13
	v_cvt_f16_f32_sdwa v21, v12 dst_sel:WORD_1 dst_unused:UNUSED_PAD src0_sel:DWORD
	v_lshl_add_u64 v[14:15], v[40:41], 1, v[0:1]
	v_or_b32_e32 v12, v19, v18
	v_cmp_lt_i32_e32 vcc, s53, v80
	;; [unrolled: 20-line block ×5, first 2 shown]
	;;#ASMSTART
	global_atomic_pk_add_f16 v[8:9], v6, off
	
	;;#ASMEND
	v_lshl_add_u64 v[6:7], v[8:9], 0, 64
	v_or_b32_e32 v8, v13, v12
	;;#ASMSTART
	global_atomic_pk_add_f16 v[6:7], v8, off
	
	;;#ASMEND
	s_and_b64 exec, exec, vcc
	s_cbranch_execz .LBB179_32
; %bb.31:                               ;   in Loop: Header=BB179_7 Depth=1
	v_cvt_f16_f32_e32 v3, v3
	v_cvt_f16_f32_sdwa v2, v2 dst_sel:WORD_1 dst_unused:UNUSED_PAD src0_sel:DWORD
	v_cvt_f16_f32_e32 v5, v5
	v_cvt_f16_f32_sdwa v4, v4 dst_sel:WORD_1 dst_unused:UNUSED_PAD src0_sel:DWORD
	v_lshl_add_u64 v[0:1], v[48:49], 1, v[0:1]
	v_or_b32_e32 v2, v2, v3
	;;#ASMSTART
	global_atomic_pk_add_f16 v[0:1], v2, off
	
	;;#ASMEND
	v_lshl_add_u64 v[0:1], v[0:1], 0, 64
	v_or_b32_e32 v2, v4, v5
	;;#ASMSTART
	global_atomic_pk_add_f16 v[0:1], v2, off
	
	;;#ASMEND
.LBB179_32:                             ;   in Loop: Header=BB179_7 Depth=1
	s_or_b64 exec, exec, s[40:41]
	v_readlane_b32 s14, v99, 10
	v_readlane_b32 s24, v99, 12
	;; [unrolled: 1-line block ×6, first 2 shown]
	v_subrev_u32_e32 v88, s99, v88
	v_readlane_b32 s11, v99, 0
	v_readlane_b32 s12, v99, 1
	;; [unrolled: 1-line block ×17, first 2 shown]
.LBB179_33:                             ;   in Loop: Header=BB179_7 Depth=1
	s_or_b64 exec, exec, s[2:3]
.LBB179_34:                             ;   in Loop: Header=BB179_7 Depth=1
	s_andn2_saveexec_b64 s[0:1], s[4:5]
	s_cbranch_execz .LBB179_43
; %bb.35:                               ;   in Loop: Header=BB179_7 Depth=1
	s_lshl_b32 s10, s99, 1
	v_cmp_gt_i32_e32 vcc, s10, v88
	s_and_saveexec_b64 s[2:3], vcc
	s_cbranch_execz .LBB179_42
; %bb.36:                               ;   in Loop: Header=BB179_7 Depth=1
	s_mul_i32 s4, s54, s19
	s_ashr_i32 s5, s4, 31
	s_add_u32 s4, s46, s4
	s_addc_u32 s5, s47, s5
	s_ashr_i32 s6, s37, 31
	s_add_u32 s4, s4, s37
	s_addc_u32 s5, s5, s6
	v_lshl_add_u64 v[0:1], s[4:5], 0, v[52:53]
	v_lshl_add_u64 v[8:9], v[0:1], 0, v[50:51]
	s_mov_b64 s[4:5], 0
	s_branch .LBB179_38
.LBB179_37:                             ;   in Loop: Header=BB179_38 Depth=2
	s_or_b64 exec, exec, s[6:7]
	v_lshl_add_u32 v12, v10, 11, v84
	;;#ASMSTART
	s_waitcnt vmcnt(1)
	;;#ASMEND
	ds_write2_b32 v12, v4, v5 offset1:32
	ds_write2_b32 v12, v6, v7 offset0:64 offset1:96
	v_add_u32_e32 v4, 0x400, v12
	v_add_u32_e32 v88, s22, v88
	;;#ASMSTART
	s_waitcnt vmcnt(0)
	;;#ASMEND
	ds_write2_b32 v4, v0, v1 offset1:32
	ds_write2_b32 v4, v2, v3 offset0:64 offset1:96
	v_add_u32_e32 v0, 1, v63
	v_add_u32_e32 v56, s22, v10
	v_cmp_le_i32_e32 vcc, s10, v88
	ds_write_b32 v11, v0 offset:32
	v_add_u32_e32 v0, 2, v63
	s_or_b64 s[4:5], vcc, s[4:5]
	v_cmp_lt_i32_e32 vcc, 7, v56
	s_nop 1
	v_cndmask_b32_e32 v63, v63, v0, vcc
	s_andn2_b64 exec, exec, s[4:5]
	s_cbranch_execz .LBB179_41
.LBB179_38:                             ;   Parent Loop BB179_7 Depth=1
                                        ; =>  This Loop Header: Depth=2
                                        ;       Child Loop BB179_40 Depth 3
	v_cmp_gt_i32_e32 vcc, 8, v56
	s_nop 1
	v_cndmask_b32_e64 v0, -8, 0, vcc
	v_add_u32_e32 v10, v0, v56
	v_lshrrev_b32_e32 v0, 31, v88
	v_add_u32_e32 v0, v88, v0
	v_and_b32_e32 v1, -2, v0
	v_lshlrev_b32_e32 v0, 5, v0
	v_sub_u32_e32 v2, v88, v1
	v_and_b32_e32 v0, 0xffffffc0, v0
	v_ashrrev_i32_e32 v1, 31, v0
	v_mul_lo_u32 v2, s30, v2
	v_lshl_add_u64 v[0:1], v[8:9], 0, v[0:1]
	v_ashrrev_i32_e32 v3, 31, v2
	v_lshl_add_u64 v[0:1], v[0:1], 0, v[2:3]
	v_lshlrev_b32_e32 v11, 2, v10
	;;#ASMSTART
	global_load_dwordx4 v[4:7], v[0:1], off offset:0   sc0 sc1 nt  
	global_load_dwordx4 v[0:3], v[0:1], off offset:32  sc0 sc1 nt  
	
	;;#ASMEND
	ds_read_b32 v12, v11 offset:32800
	v_add_u32_e32 v11, 0x8000, v11
	s_waitcnt lgkmcnt(0)
	v_cmp_ne_u32_e32 vcc, v12, v63
	s_and_saveexec_b64 s[6:7], vcc
	s_cbranch_execz .LBB179_37
; %bb.39:                               ;   in Loop: Header=BB179_38 Depth=2
	s_mov_b64 s[8:9], 0
.LBB179_40:                             ;   Parent Loop BB179_7 Depth=1
                                        ;     Parent Loop BB179_38 Depth=2
                                        ; =>    This Inner Loop Header: Depth=3
	;;#ASMSTART
	s_sleep 0
	;;#ASMEND
	ds_read_b32 v12, v11 offset:32
	s_waitcnt lgkmcnt(0)
	v_cmp_eq_u32_e32 vcc, v12, v63
	s_or_b64 s[8:9], vcc, s[8:9]
	s_andn2_b64 exec, exec, s[8:9]
	s_cbranch_execnz .LBB179_40
	s_branch .LBB179_37
.LBB179_41:                             ;   in Loop: Header=BB179_7 Depth=1
	s_or_b64 exec, exec, s[4:5]
.LBB179_42:                             ;   in Loop: Header=BB179_7 Depth=1
	s_or_b64 exec, exec, s[2:3]
	v_subrev_u32_e32 v88, s10, v88
.LBB179_43:                             ;   in Loop: Header=BB179_7 Depth=1
	s_or_b64 exec, exec, s[0:1]
.LBB179_44:                             ;   in Loop: Header=BB179_7 Depth=1
	s_andn2_saveexec_b64 s[0:1], s[38:39]
	s_cbranch_execz .LBB179_6
; %bb.45:                               ;   in Loop: Header=BB179_7 Depth=1
	s_lshl_b32 s10, s99, 1
	v_cmp_gt_i32_e32 vcc, s10, v88
	s_and_saveexec_b64 s[2:3], vcc
	s_cbranch_execz .LBB179_5
; %bb.46:                               ;   in Loop: Header=BB179_7 Depth=1
	s_mul_i32 s4, s52, s18
	s_max_i32 s6, s53, 0
	s_ashr_i32 s5, s4, 31
	s_add_u32 s4, s44, s4
	v_add_u32_e32 v2, s6, v64
	s_addc_u32 s5, s45, s5
	s_ashr_i32 s7, s37, 31
	v_cmp_gt_u32_e32 vcc, 64, v2
	s_add_u32 s4, s4, s37
	s_addc_u32 s5, s5, s7
	v_cndmask_b32_e32 v0, 0, v85, vcc
	v_ashrrev_i32_e32 v1, 31, v0
	v_lshl_add_u64 v[0:1], s[4:5], 0, v[0:1]
	v_lshl_add_u64 v[8:9], v[0:1], 0, v[50:51]
	v_sub_u32_e32 v10, 63, v2
	s_mov_b64 s[4:5], 0
	s_branch .LBB179_48
.LBB179_47:                             ;   in Loop: Header=BB179_48 Depth=2
	s_or_b64 exec, exec, s[6:7]
	v_lshl_or_b32 v13, v11, 11, v86
	;;#ASMSTART
	s_waitcnt vmcnt(1)
	;;#ASMEND
	ds_write2_b32 v13, v4, v5 offset1:32
	ds_write2_b32 v13, v6, v7 offset0:64 offset1:96
	v_add_u32_e32 v4, 0x400, v13
	v_add_u32_e32 v88, s21, v88
	;;#ASMSTART
	s_waitcnt vmcnt(0)
	;;#ASMEND
	ds_write2_b32 v4, v0, v1 offset1:32
	ds_write2_b32 v4, v2, v3 offset0:64 offset1:96
	v_add_u32_e32 v0, 1, v63
	v_add_u32_e32 v56, s21, v11
	v_cmp_le_i32_e32 vcc, s10, v88
	ds_write_b32 v12, v0
	v_add_u32_e32 v0, 2, v63
	s_or_b64 s[4:5], vcc, s[4:5]
	v_cmp_lt_i32_e32 vcc, 7, v56
	s_nop 1
	v_cndmask_b32_e32 v63, v63, v0, vcc
	s_andn2_b64 exec, exec, s[4:5]
	s_cbranch_execz .LBB179_4
.LBB179_48:                             ;   Parent Loop BB179_7 Depth=1
                                        ; =>  This Loop Header: Depth=2
                                        ;       Child Loop BB179_50 Depth 3
	v_cmp_gt_i32_e32 vcc, 8, v56
	s_nop 1
	v_cndmask_b32_e64 v0, -8, 0, vcc
	v_add_u32_e32 v11, v0, v56
	v_lshrrev_b32_e32 v0, 31, v88
	v_add_u32_e32 v0, v88, v0
	v_and_b32_e32 v1, 0x7fffffe, v0
	v_sub_u32_e32 v1, v88, v1
	v_lshlrev_b32_e32 v1, 5, v1
	v_cmp_le_i32_e32 vcc, v1, v10
	v_lshlrev_b32_e32 v0, 5, v0
	v_and_b32_e32 v0, 0xffffffc0, v0
	v_cndmask_b32_e32 v2, 0, v1, vcc
	v_ashrrev_i32_e32 v1, 31, v0
	v_mul_lo_u32 v2, v2, s18
	v_lshl_add_u64 v[0:1], v[8:9], 0, v[0:1]
	v_ashrrev_i32_e32 v3, 31, v2
	v_lshl_add_u64 v[0:1], v[0:1], 0, v[2:3]
	v_lshlrev_b32_e32 v12, 2, v11
	;;#ASMSTART
	global_load_dwordx4 v[4:7], v[0:1], off offset:0   
	global_load_dwordx4 v[0:3], v[0:1], off offset:32  
	
	;;#ASMEND
	ds_read_b32 v13, v12 offset:32768
	v_add_u32_e32 v12, 0x8000, v12
	s_waitcnt lgkmcnt(0)
	v_cmp_ne_u32_e32 vcc, v13, v63
	s_and_saveexec_b64 s[6:7], vcc
	s_cbranch_execz .LBB179_47
; %bb.49:                               ;   in Loop: Header=BB179_48 Depth=2
	s_mov_b64 s[8:9], 0
.LBB179_50:                             ;   Parent Loop BB179_7 Depth=1
                                        ;     Parent Loop BB179_48 Depth=2
                                        ; =>    This Inner Loop Header: Depth=3
	;;#ASMSTART
	s_sleep 0
	;;#ASMEND
	ds_read_b32 v13, v12
	s_waitcnt lgkmcnt(0)
	v_cmp_eq_u32_e32 vcc, v13, v63
	s_or_b64 s[8:9], vcc, s[8:9]
	s_andn2_b64 exec, exec, s[8:9]
	s_cbranch_execnz .LBB179_50
	s_branch .LBB179_47
.LBB179_51:
	s_endpgm
	.section	.rodata,"a",@progbits
	.p2align	6, 0x0
	.amdhsa_kernel _Z19_skinny_gemm_kernelILi2ELi2ELi4ELi32ELi4EEvPKhS1_P6__halfPKfiiiiiiii
		.amdhsa_group_segment_fixed_size 32832
		.amdhsa_private_segment_fixed_size 0
		.amdhsa_kernarg_size 64
		.amdhsa_user_sgpr_count 2
		.amdhsa_user_sgpr_dispatch_ptr 0
		.amdhsa_user_sgpr_queue_ptr 0
		.amdhsa_user_sgpr_kernarg_segment_ptr 1
		.amdhsa_user_sgpr_dispatch_id 0
		.amdhsa_user_sgpr_kernarg_preload_length 0
		.amdhsa_user_sgpr_kernarg_preload_offset 0
		.amdhsa_user_sgpr_private_segment_size 0
		.amdhsa_uses_dynamic_stack 0
		.amdhsa_enable_private_segment 0
		.amdhsa_system_sgpr_workgroup_id_x 1
		.amdhsa_system_sgpr_workgroup_id_y 0
		.amdhsa_system_sgpr_workgroup_id_z 0
		.amdhsa_system_sgpr_workgroup_info 0
		.amdhsa_system_vgpr_workitem_id 0
		.amdhsa_next_free_vgpr 100
		.amdhsa_next_free_sgpr 100
		.amdhsa_accum_offset 100
		.amdhsa_reserve_vcc 1
		.amdhsa_float_round_mode_32 0
		.amdhsa_float_round_mode_16_64 0
		.amdhsa_float_denorm_mode_32 3
		.amdhsa_float_denorm_mode_16_64 3
		.amdhsa_dx10_clamp 1
		.amdhsa_ieee_mode 1
		.amdhsa_fp16_overflow 0
		.amdhsa_tg_split 0
		.amdhsa_exception_fp_ieee_invalid_op 0
		.amdhsa_exception_fp_denorm_src 0
		.amdhsa_exception_fp_ieee_div_zero 0
		.amdhsa_exception_fp_ieee_overflow 0
		.amdhsa_exception_fp_ieee_underflow 0
		.amdhsa_exception_fp_ieee_inexact 0
		.amdhsa_exception_int_div_zero 0
	.end_amdhsa_kernel
	.section	.text._Z19_skinny_gemm_kernelILi2ELi2ELi4ELi32ELi4EEvPKhS1_P6__halfPKfiiiiiiii,"axG",@progbits,_Z19_skinny_gemm_kernelILi2ELi2ELi4ELi32ELi4EEvPKhS1_P6__halfPKfiiiiiiii,comdat
.Lfunc_end179:
	.size	_Z19_skinny_gemm_kernelILi2ELi2ELi4ELi32ELi4EEvPKhS1_P6__halfPKfiiiiiiii, .Lfunc_end179-_Z19_skinny_gemm_kernelILi2ELi2ELi4ELi32ELi4EEvPKhS1_P6__halfPKfiiiiiiii
                                        ; -- End function
	.set _Z19_skinny_gemm_kernelILi2ELi2ELi4ELi32ELi4EEvPKhS1_P6__halfPKfiiiiiiii.num_vgpr, 100
	.set _Z19_skinny_gemm_kernelILi2ELi2ELi4ELi32ELi4EEvPKhS1_P6__halfPKfiiiiiiii.num_agpr, 0
	.set _Z19_skinny_gemm_kernelILi2ELi2ELi4ELi32ELi4EEvPKhS1_P6__halfPKfiiiiiiii.numbered_sgpr, 100
	.set _Z19_skinny_gemm_kernelILi2ELi2ELi4ELi32ELi4EEvPKhS1_P6__halfPKfiiiiiiii.num_named_barrier, 0
	.set _Z19_skinny_gemm_kernelILi2ELi2ELi4ELi32ELi4EEvPKhS1_P6__halfPKfiiiiiiii.private_seg_size, 0
	.set _Z19_skinny_gemm_kernelILi2ELi2ELi4ELi32ELi4EEvPKhS1_P6__halfPKfiiiiiiii.uses_vcc, 1
	.set _Z19_skinny_gemm_kernelILi2ELi2ELi4ELi32ELi4EEvPKhS1_P6__halfPKfiiiiiiii.uses_flat_scratch, 0
	.set _Z19_skinny_gemm_kernelILi2ELi2ELi4ELi32ELi4EEvPKhS1_P6__halfPKfiiiiiiii.has_dyn_sized_stack, 0
	.set _Z19_skinny_gemm_kernelILi2ELi2ELi4ELi32ELi4EEvPKhS1_P6__halfPKfiiiiiiii.has_recursion, 0
	.set _Z19_skinny_gemm_kernelILi2ELi2ELi4ELi32ELi4EEvPKhS1_P6__halfPKfiiiiiiii.has_indirect_call, 0
	.section	.AMDGPU.csdata,"",@progbits
; Kernel info:
; codeLenInByte = 9648
; TotalNumSgprs: 106
; NumVgprs: 100
; NumAgprs: 0
; TotalNumVgprs: 100
; ScratchSize: 0
; MemoryBound: 0
; FloatMode: 240
; IeeeMode: 1
; LDSByteSize: 32832 bytes/workgroup (compile time only)
; SGPRBlocks: 13
; VGPRBlocks: 12
; NumSGPRsForWavesPerEU: 106
; NumVGPRsForWavesPerEU: 100
; AccumOffset: 100
; Occupancy: 4
; WaveLimiterHint : 0
; COMPUTE_PGM_RSRC2:SCRATCH_EN: 0
; COMPUTE_PGM_RSRC2:USER_SGPR: 2
; COMPUTE_PGM_RSRC2:TRAP_HANDLER: 0
; COMPUTE_PGM_RSRC2:TGID_X_EN: 1
; COMPUTE_PGM_RSRC2:TGID_Y_EN: 0
; COMPUTE_PGM_RSRC2:TGID_Z_EN: 0
; COMPUTE_PGM_RSRC2:TIDIG_COMP_CNT: 0
; COMPUTE_PGM_RSRC3_GFX90A:ACCUM_OFFSET: 24
; COMPUTE_PGM_RSRC3_GFX90A:TG_SPLIT: 0
	.section	.text._Z19_skinny_gemm_kernelILi2ELi2ELi5ELi16ELi4EEvPKhS1_P6__halfPKfiiiiiiii,"axG",@progbits,_Z19_skinny_gemm_kernelILi2ELi2ELi5ELi16ELi4EEvPKhS1_P6__halfPKfiiiiiiii,comdat
	.protected	_Z19_skinny_gemm_kernelILi2ELi2ELi5ELi16ELi4EEvPKhS1_P6__halfPKfiiiiiiii ; -- Begin function _Z19_skinny_gemm_kernelILi2ELi2ELi5ELi16ELi4EEvPKhS1_P6__halfPKfiiiiiiii
	.globl	_Z19_skinny_gemm_kernelILi2ELi2ELi5ELi16ELi4EEvPKhS1_P6__halfPKfiiiiiiii
	.p2align	8
	.type	_Z19_skinny_gemm_kernelILi2ELi2ELi5ELi16ELi4EEvPKhS1_P6__halfPKfiiiiiiii,@function
_Z19_skinny_gemm_kernelILi2ELi2ELi5ELi16ELi4EEvPKhS1_P6__halfPKfiiiiiiii: ; @_Z19_skinny_gemm_kernelILi2ELi2ELi5ELi16ELi4EEvPKhS1_P6__halfPKfiiiiiiii
; %bb.0:
	v_cmp_gt_u32_e32 vcc, 20, v0
	v_lshlrev_b32_e32 v1, 2, v0
	s_and_saveexec_b64 s[4:5], vcc
; %bb.1:
	v_mov_b32_e32 v2, 0
	ds_write_b32 v1, v2 offset:40960
; %bb.2:
	s_or_b64 exec, exec, s[4:5]
	s_load_dwordx8 s[16:23], s[0:1], 0x20
	s_waitcnt lgkmcnt(0)
	s_barrier
	s_add_i32 s3, s16, 31
	s_ashr_i32 s5, s3, 31
	s_add_i32 s4, s17, 31
	s_lshr_b32 s5, s5, 27
	s_ashr_i32 s6, s4, 31
	s_add_i32 s3, s3, s5
	s_ashr_i32 s33, s3, 5
	s_lshr_b32 s3, s6, 27
	s_add_i32 s4, s4, s3
	s_ashr_i32 s48, s4, 5
	s_mul_i32 s3, s48, s33
	s_mul_i32 s3, s3, s20
	s_add_i32 s4, s3, 0x12f
	s_mul_hi_i32 s4, s4, 0x6bca1af3
	s_lshr_b32 s5, s4, 31
	s_ashr_i32 s4, s4, 7
	s_add_i32 s4, s4, s5
	s_add_i32 s5, s2, 1
	s_mul_i32 s5, s4, s5
	v_cvt_f64_i32_e32 v[2:3], s3
	v_cvt_f64_u32_e32 v[4:5], s5
	v_min_f64 v[2:3], v[2:3], v[4:5]
	v_cvt_i32_f64_e32 v17, v[2:3]
	s_mul_i32 s49, s4, s2
	v_cmp_ge_i32_e32 vcc, s49, v17
	s_cbranch_vccnz .LBB180_50
; %bb.3:
	v_lshrrev_b32_e32 v2, 6, v0
	s_add_i32 s4, s22, s21
	s_load_dwordx8 s[24:31], s[0:1], 0x0
	v_cmp_le_i32_e64 s[0:1], s4, v2
	v_mov_b32_e32 v3, s21
	v_cmp_le_i32_e64 s[2:3], s21, v2
	v_mov_b32_e32 v4, s22
	v_cndmask_b32_e64 v4, 0, v4, s[0:1]
	v_cndmask_b32_e64 v3, 0, v3, s[2:3]
	s_abs_i32 s5, s20
	v_add_u32_e32 v3, v3, v4
	v_cvt_f32_u32_e32 v4, s5
	v_sub_u32_e32 v28, v2, v3
	s_ashr_i32 s6, s18, 31
	s_lshr_b32 s6, s6, 25
	v_rcp_iflag_f32_e32 v3, v4
	s_sub_i32 s9, 0, s5
	s_add_i32 s6, s18, s6
	s_ashr_i32 s6, s6, 7
	v_mul_f32_e32 v3, 0x4f7ffffe, v3
	v_cvt_u32_f32_e32 v3, v3
	s_abs_i32 s8, s6
	s_xor_b32 s7, s6, s20
	s_ashr_i32 s7, s7, 31
	v_readfirstlane_b32 s10, v3
	s_mul_i32 s9, s9, s10
	s_mul_hi_u32 s9, s10, s9
	s_add_i32 s10, s10, s9
	s_mul_hi_u32 s9, s8, s10
	s_mul_i32 s10, s9, s5
	s_sub_i32 s8, s8, s10
	s_add_i32 s10, s9, 1
	s_sub_i32 s11, s8, s5
	s_cmp_ge_u32 s8, s5
	s_cselect_b32 s9, s10, s9
	s_cselect_b32 s8, s11, s8
	s_add_i32 s10, s9, 1
	s_cmp_ge_u32 s8, s5
	s_cselect_b32 s5, s10, s9
	s_xor_b32 s5, s5, s7
	s_sub_i32 s50, s5, s7
	s_add_i32 s20, s20, -1
	s_mul_i32 s5, s50, s20
	s_add_i32 s4, s4, s23
	s_sub_i32 s51, s6, s5
	v_cmp_gt_i32_e64 s[4:5], s4, v2
	v_lshlrev_b32_e32 v2, 1, v0
	v_lshlrev_b32_e32 v3, 4, v0
	s_abs_i32 s52, s33
	v_and_b32_e32 v1, 60, v1
	v_and_b32_e32 v2, 64, v2
	;; [unrolled: 1-line block ×4, first 2 shown]
	v_cvt_f32_u32_e32 v3, s52
	v_or3_b32 v47, v1, v2, v4
	v_and_b32_e32 v1, 1, v0
	v_lshlrev_b32_e32 v2, 1, v1
	v_lshrrev_b32_e32 v4, 2, v0
	v_and_b32_e32 v16, 14, v0
	v_sub_u32_e32 v2, v0, v2
	v_bitop3_b32 v48, v0, 1, v0 bitop3:0xc
	v_bitop3_b32 v49, v0, 3, 1 bitop3:0x6c
	v_and_or_b32 v50, v4, 12, v1
	v_bfe_u32 v51, v0, 2, 4
	v_and_b32_e32 v1, 60, v0
	v_lshlrev_b32_e32 v4, 8, v0
	v_lshlrev_b32_e32 v0, 6, v0
	v_and_b32_e32 v4, 0x200, v4
	v_rcp_iflag_f32_e32 v3, v3
	v_and_b32_e32 v0, 64, v0
	s_abs_i32 s54, s48
	v_or3_b32 v52, v1, v4, v0
	v_cvt_f32_u32_e32 v1, s54
	v_mul_f32_e32 v0, 0x4f7ffffe, v3
	v_cvt_u32_f32_e32 v0, v0
	v_mad_u64_u32 v[18:19], s[6:7], s17, v50, v[16:17]
	v_rcp_iflag_f32_e32 v1, v1
	v_readfirstlane_b32 s7, v0
	s_sub_i32 s6, 0, s52
	s_mul_i32 s6, s6, s7
	v_mul_f32_e32 v0, 0x4f7ffffe, v1
	v_cvt_u32_f32_e32 v0, v0
	s_mul_hi_u32 s6, s7, s6
	v_add_u32_e32 v2, 1, v2
	s_add_i32 s56, s7, s6
	s_sub_i32 s6, 0, s54
	v_readfirstlane_b32 s7, v0
	v_mbcnt_lo_u32_b32 v0, -1, 0
	v_and_b32_e32 v2, 63, v2
	s_mul_i32 s6, s6, s7
	v_mbcnt_hi_u32_b32 v0, -1, v0
	v_lshl_add_u32 v20, s17, 4, v18
	v_mul_lo_u32 v24, s19, v51
	s_mul_hi_u32 s6, s7, s6
	v_and_or_b32 v0, v0, 64, v2
	v_cndmask_b32_e64 v46, 0, 1, s[0:1]
	s_ashr_i32 s35, s17, 31
	s_mov_b32 s34, s17
	v_ashrrev_i32_e32 v19, 31, v18
	v_ashrrev_i32_e32 v21, 31, v20
	;; [unrolled: 1-line block ×3, first 2 shown]
	v_mov_b32_e32 v23, 0
	s_lshl_b32 s53, s19, 4
	s_ashr_i32 s55, s33, 31
	s_ashr_i32 s57, s48, 31
	s_add_i32 s58, s7, s6
	v_lshlrev_b32_e32 v53, 2, v0
	v_mov_b32_e32 v54, v28
	s_branch .LBB180_7
.LBB180_4:                              ;   in Loop: Header=BB180_7 Depth=1
	s_or_b64 exec, exec, s[10:11]
.LBB180_5:                              ;   in Loop: Header=BB180_7 Depth=1
	s_or_b64 exec, exec, s[8:9]
	v_subrev_u32_e32 v54, s36, v54
.LBB180_6:                              ;   in Loop: Header=BB180_7 Depth=1
	s_or_b64 exec, exec, s[6:7]
	s_add_i32 s49, s49, 1
	v_cmp_ge_i32_e32 vcc, s49, v17
	s_cbranch_vccnz .LBB180_50
.LBB180_7:                              ; =>This Loop Header: Depth=1
                                        ;     Child Loop BB180_13 Depth 2
                                        ;       Child Loop BB180_15 Depth 3
                                        ;       Child Loop BB180_18 Depth 3
	;; [unrolled: 1-line block ×4, first 2 shown]
                                        ;     Child Loop BB180_37 Depth 2
                                        ;       Child Loop BB180_39 Depth 3
                                        ;     Child Loop BB180_47 Depth 2
                                        ;       Child Loop BB180_49 Depth 3
	s_abs_i32 s7, s49
	s_mul_hi_u32 s8, s7, s56
	s_mul_i32 s9, s8, s52
	s_ashr_i32 s6, s49, 31
	s_sub_i32 s7, s7, s9
	s_xor_b32 s6, s6, s55
	s_add_i32 s9, s8, 1
	s_sub_i32 s10, s7, s52
	s_cmp_ge_u32 s7, s52
	s_cselect_b32 s8, s9, s8
	s_cselect_b32 s7, s10, s7
	s_add_i32 s9, s8, 1
	s_cmp_ge_u32 s7, s52
	s_cselect_b32 s7, s9, s8
	s_xor_b32 s7, s7, s6
	s_sub_i32 s6, s7, s6
	s_abs_i32 s8, s6
	s_mul_i32 s7, s6, s33
	s_mul_hi_u32 s9, s8, s58
	s_sub_i32 s7, s49, s7
	s_mul_i32 s10, s9, s54
	s_lshl_b32 s59, s7, 5
	s_ashr_i32 s7, s6, 31
	s_sub_i32 s8, s8, s10
	s_xor_b32 s7, s7, s57
	s_add_i32 s10, s9, 1
	s_sub_i32 s11, s8, s54
	s_cmp_ge_u32 s8, s54
	s_cselect_b32 s9, s10, s9
	s_cselect_b32 s8, s11, s8
	s_add_i32 s10, s9, 1
	s_cmp_ge_u32 s8, s54
	s_cselect_b32 s8, s10, s9
	s_xor_b32 s8, s8, s7
	s_sub_i32 s7, s8, s7
	s_mul_i32 s8, s7, s50
	s_lshl_b32 s60, s8, 7
	s_cmp_eq_u32 s7, s20
	s_cselect_b32 s62, s51, s50
	s_sub_i32 s8, s59, s16
	s_add_i32 s8, s8, 32
	s_max_i32 s61, s8, 0
	s_and_saveexec_b64 s[8:9], s[2:3]
	s_xor_b64 s[36:37], exec, s[8:9]
	s_cbranch_execz .LBB180_43
; %bb.8:                                ;   in Loop: Header=BB180_7 Depth=1
	s_mul_i32 s7, s7, s48
	s_sub_i32 s6, s6, s7
	s_lshl_b32 s6, s6, 5
	s_sub_i32 s14, s6, s17
	s_add_i32 s14, s14, 32
	s_max_i32 s7, s14, 0
	s_sub_i32 s38, s6, s7
	s_and_saveexec_b64 s[6:7], s[0:1]
	s_xor_b64 s[40:41], exec, s[6:7]
	s_cbranch_execz .LBB180_33
; %bb.9:                                ;   in Loop: Header=BB180_7 Depth=1
	s_and_saveexec_b64 s[42:43], s[4:5]
	s_cbranch_execz .LBB180_32
; %bb.10:                               ;   in Loop: Header=BB180_7 Depth=1
	s_waitcnt lgkmcnt(0)
	global_load_dword v55, v23, s[30:31]
	v_mov_b32_e32 v15, 0
	v_cmp_gt_i32_e32 vcc, s62, v54
	v_mov_b32_e32 v14, v15
	v_mov_b32_e32 v13, v15
	;; [unrolled: 1-line block ×15, first 2 shown]
	s_and_saveexec_b64 s[6:7], vcc
	s_cbranch_execz .LBB180_26
; %bb.11:                               ;   in Loop: Header=BB180_7 Depth=1
	v_mov_b32_e32 v0, 0
	s_mov_b64 s[8:9], 0
	v_mov_b32_e32 v1, v0
	v_mov_b32_e32 v2, v0
	v_mov_b32_e32 v3, v0
	v_mov_b32_e32 v4, v0
	v_mov_b32_e32 v5, v0
	v_mov_b32_e32 v6, v0
	v_mov_b32_e32 v7, v0
	v_mov_b32_e32 v8, v0
	v_mov_b32_e32 v9, v0
	v_mov_b32_e32 v10, v0
	v_mov_b32_e32 v11, v0
	v_mov_b32_e32 v12, v0
	v_mov_b32_e32 v13, v0
	v_mov_b32_e32 v14, v0
	v_mov_b32_e32 v15, v0
	s_branch .LBB180_13
.LBB180_12:                             ;   in Loop: Header=BB180_13 Depth=2
	s_or_b64 exec, exec, s[10:11]
	v_add_u32_e32 v34, 0x800, v58
	ds_read2_b32 v[28:29], v34 offset1:32
	v_add_u32_e32 v58, 0xc00, v58
	v_add_u32_e32 v54, s23, v54
	s_waitcnt lgkmcnt(0)
	v_mfma_f32_16x16x32_fp8_fp8 v[8:11], v[26:27], v[28:29], v[8:11]
	ds_read2_b32 v[26:27], v34 offset0:128 offset1:160
	ds_read2_b32 v[34:35], v58 offset1:32
	v_mfma_f32_16x16x32_fp8_fp8 v[0:3], v[42:43], v[28:29], v[0:3]
	v_add_u32_e32 v28, s23, v56
	v_cmp_lt_i32_e32 vcc, 4, v28
	s_waitcnt lgkmcnt(1)
	v_mfma_f32_16x16x32_fp8_fp8 v[8:11], v[36:37], v[26:27], v[8:11]
	ds_read2_b32 v[36:37], v58 offset0:128 offset1:160
	;;#ASMSTART
	s_waitcnt lgkmcnt(0)
	;;#ASMEND
	ds_write_b32 v57, v59 offset:41004
	v_mfma_f32_16x16x32_fp8_fp8 v[0:3], v[44:45], v[26:27], v[0:3]
	v_add_u32_e32 v26, 2, v46
	v_cndmask_b32_e32 v46, v46, v26, vcc
	v_cmp_le_i32_e32 vcc, s62, v54
	s_waitcnt lgkmcnt(2)
	v_mfma_f32_16x16x32_fp8_fp8 v[8:11], v[38:39], v[34:35], v[8:11]
	s_or_b64 s[8:9], vcc, s[8:9]
	v_mfma_f32_16x16x32_fp8_fp8 v[0:3], v[32:33], v[34:35], v[0:3]
	s_waitcnt lgkmcnt(1)
	v_mfma_f32_16x16x32_fp8_fp8 v[8:11], v[40:41], v[36:37], v[8:11]
	v_mfma_f32_16x16x32_fp8_fp8 v[0:3], v[30:31], v[36:37], v[0:3]
	s_andn2_b64 exec, exec, s[8:9]
	s_cbranch_execz .LBB180_25
.LBB180_13:                             ;   Parent Loop BB180_7 Depth=1
                                        ; =>  This Loop Header: Depth=2
                                        ;       Child Loop BB180_15 Depth 3
                                        ;       Child Loop BB180_18 Depth 3
	;; [unrolled: 1-line block ×4, first 2 shown]
	v_cmp_gt_i32_e32 vcc, 5, v28
	s_nop 1
	v_cndmask_b32_e64 v26, -5, 0, vcc
	v_add_u32_e32 v56, v26, v28
	v_lshlrev_b32_e32 v57, 3, v56
	ds_read_b32 v26, v57 offset:41000
	s_waitcnt lgkmcnt(0)
	v_cmp_ne_u32_e32 vcc, v26, v46
	s_and_saveexec_b64 s[10:11], vcc
	s_cbranch_execz .LBB180_16
; %bb.14:                               ;   in Loop: Header=BB180_13 Depth=2
	s_mov_b64 s[12:13], 0
.LBB180_15:                             ;   Parent Loop BB180_7 Depth=1
                                        ;     Parent Loop BB180_13 Depth=2
                                        ; =>    This Inner Loop Header: Depth=3
	;;#ASMSTART
	s_sleep 0
	;;#ASMEND
	ds_read_b32 v26, v57 offset:41000
	s_waitcnt lgkmcnt(0)
	v_cmp_eq_u32_e32 vcc, v26, v46
	s_or_b64 s[12:13], vcc, s[12:13]
	s_andn2_b64 exec, exec, s[12:13]
	s_cbranch_execnz .LBB180_15
.LBB180_16:                             ;   in Loop: Header=BB180_13 Depth=2
	s_or_b64 exec, exec, s[10:11]
	v_lshlrev_b32_e32 v26, 12, v56
	v_or_b32_e32 v27, 0x5000, v47
	v_add_u32_e32 v58, v27, v26
	v_add_u32_e32 v27, 0x400, v58
	ds_read2_b32 v[32:33], v58 offset1:32
	ds_read2_b32 v[30:31], v58 offset0:128 offset1:160
	ds_read2_b32 v[34:35], v27 offset1:32
	ds_read2_b32 v[28:29], v27 offset0:128 offset1:160
	;;#ASMSTART
	s_waitcnt lgkmcnt(0)
	;;#ASMEND
	ds_read_b32 v27, v57 offset:40960
	v_add_u32_e32 v59, 1, v46
	ds_write_b32 v57, v59 offset:41000
	s_waitcnt lgkmcnt(1)
	v_cmp_ne_u32_e32 vcc, v27, v46
	s_and_saveexec_b64 s[10:11], vcc
	s_cbranch_execz .LBB180_19
; %bb.17:                               ;   in Loop: Header=BB180_13 Depth=2
	s_mov_b64 s[12:13], 0
.LBB180_18:                             ;   Parent Loop BB180_7 Depth=1
                                        ;     Parent Loop BB180_13 Depth=2
                                        ; =>    This Inner Loop Header: Depth=3
	;;#ASMSTART
	s_sleep 0
	;;#ASMEND
	ds_read_b32 v27, v57 offset:40960
	s_waitcnt lgkmcnt(0)
	v_cmp_eq_u32_e32 vcc, v27, v46
	s_or_b64 s[12:13], vcc, s[12:13]
	s_andn2_b64 exec, exec, s[12:13]
	s_cbranch_execnz .LBB180_18
.LBB180_19:                             ;   in Loop: Header=BB180_13 Depth=2
	s_or_b64 exec, exec, s[10:11]
	v_add_u32_e32 v60, v47, v26
	ds_read2_b32 v[26:27], v60 offset1:32
	ds_read2_b32 v[36:37], v60 offset0:128 offset1:160
	v_add_u32_e32 v40, 0x400, v60
	ds_read2_b32 v[38:39], v40 offset1:32
	ds_read2_b32 v[40:41], v40 offset0:128 offset1:160
	ds_read_b32 v42, v57 offset:40964
	ds_write_b32 v57, v59 offset:40960
	s_waitcnt lgkmcnt(5)
	v_mfma_f32_16x16x32_fp8_fp8 v[12:15], v[26:27], v[32:33], v[12:15]
	s_waitcnt lgkmcnt(1)
	v_cmp_ne_u32_e32 vcc, v42, v46
	v_mfma_f32_16x16x32_fp8_fp8 v[12:15], v[36:37], v[30:31], v[12:15]
	v_mfma_f32_16x16x32_fp8_fp8 v[12:15], v[38:39], v[34:35], v[12:15]
	;; [unrolled: 1-line block ×3, first 2 shown]
	s_and_saveexec_b64 s[10:11], vcc
	s_cbranch_execz .LBB180_22
; %bb.20:                               ;   in Loop: Header=BB180_13 Depth=2
	s_mov_b64 s[12:13], 0
.LBB180_21:                             ;   Parent Loop BB180_7 Depth=1
                                        ;     Parent Loop BB180_13 Depth=2
                                        ; =>    This Inner Loop Header: Depth=3
	;;#ASMSTART
	s_sleep 0
	;;#ASMEND
	ds_read_b32 v42, v57 offset:40964
	s_waitcnt lgkmcnt(0)
	v_cmp_eq_u32_e32 vcc, v42, v46
	s_or_b64 s[12:13], vcc, s[12:13]
	s_andn2_b64 exec, exec, s[12:13]
	s_cbranch_execnz .LBB180_21
.LBB180_22:                             ;   in Loop: Header=BB180_13 Depth=2
	s_or_b64 exec, exec, s[10:11]
	v_add_u32_e32 v44, 0x800, v60
	ds_read2_b32 v[42:43], v44 offset1:32
	ds_read2_b32 v[44:45], v44 offset0:128 offset1:160
	v_add_u32_e32 v60, 0xc00, v60
	s_waitcnt lgkmcnt(1)
	v_mfma_f32_16x16x32_fp8_fp8 v[4:7], v[42:43], v[32:33], v[4:7]
	ds_read2_b32 v[32:33], v60 offset1:32
	s_waitcnt lgkmcnt(1)
	v_mfma_f32_16x16x32_fp8_fp8 v[4:7], v[44:45], v[30:31], v[4:7]
	s_waitcnt lgkmcnt(0)
	v_mfma_f32_16x16x32_fp8_fp8 v[4:7], v[32:33], v[34:35], v[4:7]
	ds_read2_b32 v[30:31], v60 offset0:128 offset1:160
	ds_read_b32 v34, v57 offset:41004
	ds_write_b32 v57, v59 offset:40964
	s_waitcnt lgkmcnt(1)
	v_cmp_ne_u32_e32 vcc, v34, v46
	v_mfma_f32_16x16x32_fp8_fp8 v[4:7], v[30:31], v[28:29], v[4:7]
	s_and_saveexec_b64 s[10:11], vcc
	s_cbranch_execz .LBB180_12
; %bb.23:                               ;   in Loop: Header=BB180_13 Depth=2
	s_mov_b64 s[12:13], 0
.LBB180_24:                             ;   Parent Loop BB180_7 Depth=1
                                        ;     Parent Loop BB180_13 Depth=2
                                        ; =>    This Inner Loop Header: Depth=3
	;;#ASMSTART
	s_sleep 0
	;;#ASMEND
	ds_read_b32 v28, v57 offset:41004
	s_waitcnt lgkmcnt(0)
	v_cmp_eq_u32_e32 vcc, v28, v46
	s_or_b64 s[12:13], vcc, s[12:13]
	s_andn2_b64 exec, exec, s[12:13]
	s_cbranch_execnz .LBB180_24
	s_branch .LBB180_12
.LBB180_25:                             ;   in Loop: Header=BB180_7 Depth=1
	s_or_b64 exec, exec, s[8:9]
.LBB180_26:                             ;   in Loop: Header=BB180_7 Depth=1
	s_or_b64 exec, exec, s[6:7]
	v_cmp_le_i32_e32 vcc, s14, v16
	v_cmp_eq_u32_e64 s[6:7], 2, v48
	v_cmp_eq_u32_e64 s[8:9], 3, v48
	s_waitcnt vmcnt(0)
	v_cndmask_b32_e32 v26, 0, v55, vcc
	v_pk_mul_f32 v[12:13], v[26:27], v[12:13] op_sel_hi:[0,1]
	v_cmp_eq_u32_e32 vcc, 1, v48
	v_pk_mul_f32 v[30:31], v[26:27], v[14:15] op_sel_hi:[0,1]
	v_cmp_eq_u32_e64 s[10:11], 0, v48
	v_cndmask_b32_e32 v14, v12, v13, vcc
	v_cndmask_b32_e64 v14, v14, v30, s[6:7]
	v_cndmask_b32_e64 v14, v14, v31, s[8:9]
	ds_bpermute_b32 v27, v53, v14
	v_cmp_eq_u32_e64 s[12:13], 1, v49
	s_waitcnt lgkmcnt(0)
	v_cndmask_b32_e64 v14, v31, v27, s[8:9]
	v_cndmask_b32_e64 v15, v30, v27, s[6:7]
	v_cndmask_b32_e32 v13, v13, v27, vcc
	v_cndmask_b32_e64 v27, v12, v27, s[10:11]
	v_or_b32_e32 v12, 16, v16
	v_cmp_le_i32_e64 s[14:15], s14, v12
	v_cndmask_b32_e64 v29, v27, v13, s[12:13]
	s_nop 0
	v_cndmask_b32_e64 v12, 0, v55, s[14:15]
	v_pk_mul_f32 v[32:33], v[12:13], v[8:9] op_sel_hi:[0,1]
	v_pk_mul_f32 v[30:31], v[12:13], v[10:11] op_sel_hi:[0,1]
	v_cndmask_b32_e32 v8, v32, v33, vcc
	v_cndmask_b32_e64 v8, v8, v30, s[6:7]
	v_cndmask_b32_e64 v8, v8, v31, s[8:9]
	ds_bpermute_b32 v9, v53, v8
	v_cmp_eq_u32_e32 vcc, 2, v49
	v_cmp_eq_u32_e64 s[14:15], 3, v49
	s_waitcnt lgkmcnt(0)
	v_cndmask_b32_e64 v11, v30, v9, s[6:7]
	v_cndmask_b32_e32 v8, v29, v15, vcc
	v_cndmask_b32_e64 v8, v8, v14, s[14:15]
	v_cmp_ne_u32_e64 s[6:7], 0, v48
	ds_bpermute_b32 v29, v53, v8
	v_cndmask_b32_e64 v10, v31, v9, s[8:9]
	v_cndmask_b32_e64 v8, v33, v9, s[6:7]
	;; [unrolled: 1-line block ×4, first 2 shown]
	v_cndmask_b32_e32 v30, v30, v11, vcc
	v_cndmask_b32_e64 v30, v30, v10, s[14:15]
	ds_bpermute_b32 v30, v53, v30
	v_add_u32_e32 v31, s61, v50
	v_cmp_gt_u32_e32 vcc, 32, v31
	s_and_saveexec_b64 s[44:45], vcc
	s_cbranch_execz .LBB180_31
; %bb.27:                               ;   in Loop: Header=BB180_7 Depth=1
	v_cmp_eq_u32_e64 s[8:9], 1, v49
	v_cmp_eq_u32_e64 s[10:11], 0, v49
	v_cmp_eq_u32_e32 vcc, 3, v49
	s_waitcnt lgkmcnt(1)
	v_cndmask_b32_e64 v13, v13, v29, s[8:9]
	s_waitcnt lgkmcnt(0)
	v_cndmask_b32_e64 v32, v8, v30, s[8:9]
	s_mul_i32 s8, s59, s17
	s_ashr_i32 s9, s8, 31
	s_lshl_b64 s[8:9], s[8:9], 1
	v_cndmask_b32_e64 v27, v27, v29, s[10:11]
	v_cndmask_b32_e64 v33, v9, v30, s[10:11]
	s_add_u32 s10, s28, s8
	s_addc_u32 s11, s29, s9
	s_ashr_i32 s39, s38, 31
	v_cvt_f16_f32_e32 v27, v27
	v_cvt_f16_f32_sdwa v13, v13 dst_sel:WORD_1 dst_unused:UNUSED_PAD src0_sel:DWORD
	s_lshl_b64 s[8:9], s[38:39], 1
	v_cvt_f16_f32_e32 v34, v33
	v_cvt_f16_f32_sdwa v35, v32 dst_sel:WORD_1 dst_unused:UNUSED_PAD src0_sel:DWORD
	s_add_u32 s46, s10, s8
	s_addc_u32 s47, s11, s9
	v_cmp_eq_u32_e64 s[6:7], 2, v49
	v_lshl_add_u64 v[8:9], v[18:19], 1, s[46:47]
	v_or_b32_e32 v13, v13, v27
	v_cmp_gt_u32_e64 s[8:9], 30, v31
	;;#ASMSTART
	global_atomic_pk_add_f16 v[8:9], v13, off
	
	;;#ASMEND
	v_lshl_add_u64 v[32:33], v[8:9], 0, 32
	v_or_b32_e32 v13, v35, v34
	;;#ASMSTART
	global_atomic_pk_add_f16 v[32:33], v13, off
	
	;;#ASMEND
	s_and_b64 exec, exec, s[8:9]
	s_cbranch_execz .LBB180_31
; %bb.28:                               ;   in Loop: Header=BB180_7 Depth=1
	v_mov_b32_e32 v27, v26
	v_cndmask_b32_e32 v14, v14, v29, vcc
	v_cndmask_b32_e64 v15, v15, v29, s[6:7]
	v_cndmask_b32_e32 v29, v10, v30, vcc
	v_cndmask_b32_e64 v30, v11, v30, s[6:7]
	v_mov_b32_e32 v10, v26
	v_mov_b32_e32 v11, v26
	v_pk_mul_f32 v[6:7], v[10:11], v[6:7]
	v_pk_mul_f32 v[10:11], v[26:27], v[4:5]
	v_cmp_eq_u32_e32 vcc, 1, v48
	v_cmp_eq_u32_e64 s[6:7], 2, v48
	v_cmp_eq_u32_e64 s[8:9], 3, v48
	v_cndmask_b32_e32 v4, v10, v11, vcc
	v_cndmask_b32_e64 v4, v4, v6, s[6:7]
	v_cndmask_b32_e64 v4, v4, v7, s[8:9]
	v_cvt_f16_f32_e32 v15, v15
	v_cvt_f16_f32_sdwa v14, v14 dst_sel:WORD_1 dst_unused:UNUSED_PAD src0_sel:DWORD
	ds_bpermute_b32 v26, v53, v4
	v_mov_b32_e32 v13, v12
	v_lshl_add_u64 v[8:9], s[34:35], 2, v[8:9]
	v_or_b32_e32 v14, v14, v15
	v_cmp_eq_u32_e64 s[10:11], 0, v48
	;;#ASMSTART
	global_atomic_pk_add_f16 v[8:9], v14, off
	
	;;#ASMEND
	v_lshl_add_u64 v[14:15], v[8:9], 0, 32
	s_waitcnt lgkmcnt(0)
	v_cndmask_b32_e64 v4, v7, v26, s[8:9]
	v_cndmask_b32_e64 v5, v6, v26, s[6:7]
	v_cndmask_b32_e32 v6, v11, v26, vcc
	v_cndmask_b32_e64 v7, v10, v26, s[10:11]
	v_mov_b32_e32 v8, v12
	v_mov_b32_e32 v9, v12
	v_pk_mul_f32 v[10:11], v[12:13], v[0:1]
	v_pk_mul_f32 v[8:9], v[8:9], v[2:3]
	v_cndmask_b32_e32 v0, v10, v11, vcc
	v_cndmask_b32_e64 v0, v0, v8, s[6:7]
	v_cndmask_b32_e64 v0, v0, v9, s[8:9]
	ds_bpermute_b32 v1, v53, v0
	v_cmp_eq_u32_e64 s[12:13], 1, v49
	v_cmp_eq_u32_e32 vcc, 2, v49
	v_cmp_eq_u32_e64 s[14:15], 3, v49
	v_cndmask_b32_e64 v26, v7, v6, s[12:13]
	v_cndmask_b32_e32 v0, v26, v5, vcc
	v_cndmask_b32_e64 v0, v0, v4, s[14:15]
	s_waitcnt lgkmcnt(0)
	v_cndmask_b32_e64 v8, v8, v1, s[6:7]
	v_cmp_ne_u32_e64 s[6:7], 0, v48
	ds_bpermute_b32 v2, v53, v0
	v_cndmask_b32_e64 v3, v9, v1, s[8:9]
	v_cndmask_b32_e64 v0, v11, v1, s[6:7]
	;; [unrolled: 1-line block ×3, first 2 shown]
	v_cvt_f16_f32_e32 v27, v30
	v_cvt_f16_f32_sdwa v29, v29 dst_sel:WORD_1 dst_unused:UNUSED_PAD src0_sel:DWORD
	v_cndmask_b32_e64 v9, v1, v0, s[12:13]
	v_cndmask_b32_e32 v9, v9, v8, vcc
	v_cndmask_b32_e64 v9, v9, v3, s[14:15]
	ds_bpermute_b32 v9, v53, v9
	v_or_b32_e32 v10, v29, v27
	;;#ASMSTART
	global_atomic_pk_add_f16 v[14:15], v10, off
	
	;;#ASMEND
	v_or_b32_e32 v10, 16, v50
	v_add_u32_e32 v10, s61, v10
	v_cmp_gt_u32_e32 vcc, 32, v10
	s_and_b64 exec, exec, vcc
	s_cbranch_execz .LBB180_31
; %bb.29:                               ;   in Loop: Header=BB180_7 Depth=1
	v_cmp_eq_u32_e64 s[8:9], 1, v49
	v_cmp_eq_u32_e64 s[10:11], 0, v49
	v_cmp_eq_u32_e32 vcc, 3, v49
	s_waitcnt lgkmcnt(1)
	v_cndmask_b32_e64 v6, v6, v2, s[8:9]
	v_cndmask_b32_e64 v7, v7, v2, s[10:11]
	s_waitcnt lgkmcnt(0)
	v_cndmask_b32_e64 v11, v0, v9, s[8:9]
	v_cndmask_b32_e64 v12, v1, v9, s[10:11]
	v_cvt_f16_f32_e32 v7, v7
	v_cvt_f16_f32_sdwa v6, v6 dst_sel:WORD_1 dst_unused:UNUSED_PAD src0_sel:DWORD
	v_cvt_f16_f32_e32 v12, v12
	v_cvt_f16_f32_sdwa v11, v11 dst_sel:WORD_1 dst_unused:UNUSED_PAD src0_sel:DWORD
	v_cmp_eq_u32_e64 s[6:7], 2, v49
	v_lshl_add_u64 v[0:1], v[20:21], 1, s[46:47]
	v_or_b32_e32 v6, v6, v7
	v_cmp_gt_u32_e64 s[8:9], 30, v10
	;;#ASMSTART
	global_atomic_pk_add_f16 v[0:1], v6, off
	
	;;#ASMEND
	v_lshl_add_u64 v[6:7], v[0:1], 0, 32
	v_or_b32_e32 v11, v11, v12
	;;#ASMSTART
	global_atomic_pk_add_f16 v[6:7], v11, off
	
	;;#ASMEND
	s_and_b64 exec, exec, s[8:9]
	s_cbranch_execz .LBB180_31
; %bb.30:                               ;   in Loop: Header=BB180_7 Depth=1
	v_cndmask_b32_e32 v4, v4, v2, vcc
	v_cndmask_b32_e64 v2, v5, v2, s[6:7]
	v_cndmask_b32_e32 v3, v3, v9, vcc
	v_cndmask_b32_e64 v5, v8, v9, s[6:7]
	v_cvt_f16_f32_e32 v2, v2
	v_cvt_f16_f32_sdwa v4, v4 dst_sel:WORD_1 dst_unused:UNUSED_PAD src0_sel:DWORD
	v_cvt_f16_f32_e32 v5, v5
	v_cvt_f16_f32_sdwa v3, v3 dst_sel:WORD_1 dst_unused:UNUSED_PAD src0_sel:DWORD
	v_lshl_add_u64 v[0:1], s[34:35], 2, v[0:1]
	v_or_b32_e32 v2, v4, v2
	;;#ASMSTART
	global_atomic_pk_add_f16 v[0:1], v2, off
	
	;;#ASMEND
	v_lshl_add_u64 v[0:1], v[0:1], 0, 32
	v_or_b32_e32 v2, v3, v5
	;;#ASMSTART
	global_atomic_pk_add_f16 v[0:1], v2, off
	
	;;#ASMEND
.LBB180_31:                             ;   in Loop: Header=BB180_7 Depth=1
	s_or_b64 exec, exec, s[44:45]
	v_subrev_u32_e32 v54, s62, v54
.LBB180_32:                             ;   in Loop: Header=BB180_7 Depth=1
	s_or_b64 exec, exec, s[42:43]
.LBB180_33:                             ;   in Loop: Header=BB180_7 Depth=1
	s_andn2_saveexec_b64 s[6:7], s[40:41]
	s_cbranch_execz .LBB180_42
; %bb.34:                               ;   in Loop: Header=BB180_7 Depth=1
	s_lshl_b32 s39, s62, 1
	v_cmp_gt_i32_e32 vcc, s39, v54
	s_and_saveexec_b64 s[8:9], vcc
	s_cbranch_execz .LBB180_41
; %bb.35:                               ;   in Loop: Header=BB180_7 Depth=1
	s_mul_i32 s10, s38, s19
	s_ashr_i32 s11, s10, 31
	s_waitcnt lgkmcnt(0)
	s_add_u32 s10, s26, s10
	s_addc_u32 s11, s27, s11
	s_ashr_i32 s12, s60, 31
	s_add_u32 s10, s10, s60
	s_addc_u32 s11, s11, s12
	v_lshl_add_u64 v[0:1], s[10:11], 0, v[24:25]
	v_lshl_add_u64 v[8:9], v[0:1], 0, v[22:23]
	s_mov_b64 s[10:11], 0
	s_branch .LBB180_37
.LBB180_36:                             ;   in Loop: Header=BB180_37 Depth=2
	s_or_b64 exec, exec, s[12:13]
	v_or_b32_e32 v12, 0x5000, v52
	v_lshl_add_u32 v12, v10, 11, v12
	;;#ASMSTART
	s_waitcnt vmcnt(1)
	;;#ASMEND
	ds_write2_b32 v12, v4, v5 offset1:32
	ds_write2_b32 v12, v6, v7 offset0:64 offset1:96
	v_add_u32_e32 v4, 0x400, v12
	v_add_u32_e32 v54, s22, v54
	;;#ASMSTART
	s_waitcnt vmcnt(0)
	;;#ASMEND
	ds_write2_b32 v4, v0, v1 offset1:32
	ds_write2_b32 v4, v2, v3 offset0:64 offset1:96
	v_add_u32_e32 v0, 1, v46
	v_add_u32_e32 v28, s22, v10
	v_cmp_le_i32_e32 vcc, s39, v54
	ds_write_b32 v11, v0 offset:40
	v_add_u32_e32 v0, 2, v46
	s_or_b64 s[10:11], vcc, s[10:11]
	v_cmp_lt_i32_e32 vcc, 9, v28
	s_nop 1
	v_cndmask_b32_e32 v46, v46, v0, vcc
	s_andn2_b64 exec, exec, s[10:11]
	s_cbranch_execz .LBB180_40
.LBB180_37:                             ;   Parent Loop BB180_7 Depth=1
                                        ; =>  This Loop Header: Depth=2
                                        ;       Child Loop BB180_39 Depth 3
	v_cmp_gt_i32_e32 vcc, 10, v28
	s_nop 1
	v_cndmask_b32_e64 v0, -10, 0, vcc
	v_add_u32_e32 v10, v0, v28
	v_lshrrev_b32_e32 v0, 31, v54
	v_add_u32_e32 v0, v54, v0
	v_and_b32_e32 v1, -2, v0
	v_lshlrev_b32_e32 v0, 6, v0
	v_sub_u32_e32 v2, v54, v1
	v_and_b32_e32 v0, 0xffffff80, v0
	v_ashrrev_i32_e32 v1, 31, v0
	v_mul_lo_u32 v2, s53, v2
	v_lshl_add_u64 v[0:1], v[8:9], 0, v[0:1]
	v_ashrrev_i32_e32 v3, 31, v2
	v_lshl_add_u64 v[0:1], v[0:1], 0, v[2:3]
	v_lshlrev_b32_e32 v11, 2, v10
	;;#ASMSTART
	global_load_dwordx4 v[4:7], v[0:1], off offset:0   sc0 sc1 nt  
	global_load_dwordx4 v[0:3], v[0:1], off offset:64  sc0 sc1 nt  
	
	;;#ASMEND
	ds_read_b32 v12, v11 offset:41000
	v_add_u32_e32 v11, 0xa000, v11
	s_waitcnt lgkmcnt(0)
	v_cmp_ne_u32_e32 vcc, v12, v46
	s_and_saveexec_b64 s[12:13], vcc
	s_cbranch_execz .LBB180_36
; %bb.38:                               ;   in Loop: Header=BB180_37 Depth=2
	s_mov_b64 s[14:15], 0
.LBB180_39:                             ;   Parent Loop BB180_7 Depth=1
                                        ;     Parent Loop BB180_37 Depth=2
                                        ; =>    This Inner Loop Header: Depth=3
	;;#ASMSTART
	s_sleep 0
	;;#ASMEND
	ds_read_b32 v12, v11 offset:40
	s_waitcnt lgkmcnt(0)
	v_cmp_eq_u32_e32 vcc, v12, v46
	s_or_b64 s[14:15], vcc, s[14:15]
	s_andn2_b64 exec, exec, s[14:15]
	s_cbranch_execnz .LBB180_39
	s_branch .LBB180_36
.LBB180_40:                             ;   in Loop: Header=BB180_7 Depth=1
	s_or_b64 exec, exec, s[10:11]
.LBB180_41:                             ;   in Loop: Header=BB180_7 Depth=1
	s_or_b64 exec, exec, s[8:9]
	v_subrev_u32_e32 v54, s39, v54
.LBB180_42:                             ;   in Loop: Header=BB180_7 Depth=1
	s_or_b64 exec, exec, s[6:7]
.LBB180_43:                             ;   in Loop: Header=BB180_7 Depth=1
	s_andn2_saveexec_b64 s[6:7], s[36:37]
	s_cbranch_execz .LBB180_6
; %bb.44:                               ;   in Loop: Header=BB180_7 Depth=1
	s_lshl_b32 s36, s62, 1
	v_cmp_gt_i32_e32 vcc, s36, v54
	s_and_saveexec_b64 s[8:9], vcc
	s_cbranch_execz .LBB180_5
; %bb.45:                               ;   in Loop: Header=BB180_7 Depth=1
	s_mul_i32 s59, s59, s18
	s_ashr_i32 s10, s59, 31
	s_waitcnt lgkmcnt(0)
	s_add_u32 s11, s24, s59
	v_add_u32_e32 v2, s61, v51
	s_addc_u32 s12, s25, s10
	s_ashr_i32 s13, s60, 31
	v_mul_lo_u32 v0, s18, v51
	v_cmp_gt_u32_e32 vcc, 32, v2
	s_add_u32 s10, s11, s60
	s_addc_u32 s11, s12, s13
	v_cndmask_b32_e32 v0, 0, v0, vcc
	v_ashrrev_i32_e32 v1, 31, v0
	v_lshl_add_u64 v[0:1], s[10:11], 0, v[0:1]
	v_lshl_add_u64 v[8:9], v[0:1], 0, v[22:23]
	v_sub_u32_e32 v10, 31, v2
	s_mov_b64 s[10:11], 0
	s_branch .LBB180_47
.LBB180_46:                             ;   in Loop: Header=BB180_47 Depth=2
	s_or_b64 exec, exec, s[12:13]
	v_lshl_or_b32 v13, v11, 11, v52
	;;#ASMSTART
	s_waitcnt vmcnt(1)
	;;#ASMEND
	ds_write2_b32 v13, v4, v5 offset1:32
	ds_write2_b32 v13, v6, v7 offset0:64 offset1:96
	v_add_u32_e32 v4, 0x400, v13
	v_add_u32_e32 v54, s21, v54
	;;#ASMSTART
	s_waitcnt vmcnt(0)
	;;#ASMEND
	ds_write2_b32 v4, v0, v1 offset1:32
	ds_write2_b32 v4, v2, v3 offset0:64 offset1:96
	v_add_u32_e32 v0, 1, v46
	v_add_u32_e32 v28, s21, v11
	v_cmp_le_i32_e32 vcc, s36, v54
	ds_write_b32 v12, v0
	v_add_u32_e32 v0, 2, v46
	s_or_b64 s[10:11], vcc, s[10:11]
	v_cmp_lt_i32_e32 vcc, 9, v28
	s_nop 1
	v_cndmask_b32_e32 v46, v46, v0, vcc
	s_andn2_b64 exec, exec, s[10:11]
	s_cbranch_execz .LBB180_4
.LBB180_47:                             ;   Parent Loop BB180_7 Depth=1
                                        ; =>  This Loop Header: Depth=2
                                        ;       Child Loop BB180_49 Depth 3
	v_cmp_gt_i32_e32 vcc, 10, v28
	s_nop 1
	v_cndmask_b32_e64 v0, -10, 0, vcc
	v_add_u32_e32 v11, v0, v28
	v_lshrrev_b32_e32 v0, 31, v54
	v_add_u32_e32 v0, v54, v0
	v_and_b32_e32 v1, 0xffffffe, v0
	v_sub_u32_e32 v1, v54, v1
	v_lshlrev_b32_e32 v1, 4, v1
	v_cmp_le_i32_e32 vcc, v1, v10
	v_lshlrev_b32_e32 v0, 6, v0
	v_and_b32_e32 v0, 0xffffff80, v0
	v_cndmask_b32_e32 v2, 0, v1, vcc
	v_ashrrev_i32_e32 v1, 31, v0
	v_mul_lo_u32 v2, v2, s18
	v_lshl_add_u64 v[0:1], v[8:9], 0, v[0:1]
	v_ashrrev_i32_e32 v3, 31, v2
	v_lshl_add_u64 v[0:1], v[0:1], 0, v[2:3]
	v_lshlrev_b32_e32 v12, 2, v11
	;;#ASMSTART
	global_load_dwordx4 v[4:7], v[0:1], off offset:0   
	global_load_dwordx4 v[0:3], v[0:1], off offset:64  
	
	;;#ASMEND
	ds_read_b32 v13, v12 offset:40960
	v_add_u32_e32 v12, 0xa000, v12
	s_waitcnt lgkmcnt(0)
	v_cmp_ne_u32_e32 vcc, v13, v46
	s_and_saveexec_b64 s[12:13], vcc
	s_cbranch_execz .LBB180_46
; %bb.48:                               ;   in Loop: Header=BB180_47 Depth=2
	s_mov_b64 s[14:15], 0
.LBB180_49:                             ;   Parent Loop BB180_7 Depth=1
                                        ;     Parent Loop BB180_47 Depth=2
                                        ; =>    This Inner Loop Header: Depth=3
	;;#ASMSTART
	s_sleep 0
	;;#ASMEND
	ds_read_b32 v13, v12
	s_waitcnt lgkmcnt(0)
	v_cmp_eq_u32_e32 vcc, v13, v46
	s_or_b64 s[14:15], vcc, s[14:15]
	s_andn2_b64 exec, exec, s[14:15]
	s_cbranch_execnz .LBB180_49
	s_branch .LBB180_46
.LBB180_50:
	s_endpgm
	.section	.rodata,"a",@progbits
	.p2align	6, 0x0
	.amdhsa_kernel _Z19_skinny_gemm_kernelILi2ELi2ELi5ELi16ELi4EEvPKhS1_P6__halfPKfiiiiiiii
		.amdhsa_group_segment_fixed_size 41040
		.amdhsa_private_segment_fixed_size 0
		.amdhsa_kernarg_size 64
		.amdhsa_user_sgpr_count 2
		.amdhsa_user_sgpr_dispatch_ptr 0
		.amdhsa_user_sgpr_queue_ptr 0
		.amdhsa_user_sgpr_kernarg_segment_ptr 1
		.amdhsa_user_sgpr_dispatch_id 0
		.amdhsa_user_sgpr_kernarg_preload_length 0
		.amdhsa_user_sgpr_kernarg_preload_offset 0
		.amdhsa_user_sgpr_private_segment_size 0
		.amdhsa_uses_dynamic_stack 0
		.amdhsa_enable_private_segment 0
		.amdhsa_system_sgpr_workgroup_id_x 1
		.amdhsa_system_sgpr_workgroup_id_y 0
		.amdhsa_system_sgpr_workgroup_id_z 0
		.amdhsa_system_sgpr_workgroup_info 0
		.amdhsa_system_vgpr_workitem_id 0
		.amdhsa_next_free_vgpr 61
		.amdhsa_next_free_sgpr 63
		.amdhsa_accum_offset 64
		.amdhsa_reserve_vcc 1
		.amdhsa_float_round_mode_32 0
		.amdhsa_float_round_mode_16_64 0
		.amdhsa_float_denorm_mode_32 3
		.amdhsa_float_denorm_mode_16_64 3
		.amdhsa_dx10_clamp 1
		.amdhsa_ieee_mode 1
		.amdhsa_fp16_overflow 0
		.amdhsa_tg_split 0
		.amdhsa_exception_fp_ieee_invalid_op 0
		.amdhsa_exception_fp_denorm_src 0
		.amdhsa_exception_fp_ieee_div_zero 0
		.amdhsa_exception_fp_ieee_overflow 0
		.amdhsa_exception_fp_ieee_underflow 0
		.amdhsa_exception_fp_ieee_inexact 0
		.amdhsa_exception_int_div_zero 0
	.end_amdhsa_kernel
	.section	.text._Z19_skinny_gemm_kernelILi2ELi2ELi5ELi16ELi4EEvPKhS1_P6__halfPKfiiiiiiii,"axG",@progbits,_Z19_skinny_gemm_kernelILi2ELi2ELi5ELi16ELi4EEvPKhS1_P6__halfPKfiiiiiiii,comdat
.Lfunc_end180:
	.size	_Z19_skinny_gemm_kernelILi2ELi2ELi5ELi16ELi4EEvPKhS1_P6__halfPKfiiiiiiii, .Lfunc_end180-_Z19_skinny_gemm_kernelILi2ELi2ELi5ELi16ELi4EEvPKhS1_P6__halfPKfiiiiiiii
                                        ; -- End function
	.set _Z19_skinny_gemm_kernelILi2ELi2ELi5ELi16ELi4EEvPKhS1_P6__halfPKfiiiiiiii.num_vgpr, 61
	.set _Z19_skinny_gemm_kernelILi2ELi2ELi5ELi16ELi4EEvPKhS1_P6__halfPKfiiiiiiii.num_agpr, 0
	.set _Z19_skinny_gemm_kernelILi2ELi2ELi5ELi16ELi4EEvPKhS1_P6__halfPKfiiiiiiii.numbered_sgpr, 63
	.set _Z19_skinny_gemm_kernelILi2ELi2ELi5ELi16ELi4EEvPKhS1_P6__halfPKfiiiiiiii.num_named_barrier, 0
	.set _Z19_skinny_gemm_kernelILi2ELi2ELi5ELi16ELi4EEvPKhS1_P6__halfPKfiiiiiiii.private_seg_size, 0
	.set _Z19_skinny_gemm_kernelILi2ELi2ELi5ELi16ELi4EEvPKhS1_P6__halfPKfiiiiiiii.uses_vcc, 1
	.set _Z19_skinny_gemm_kernelILi2ELi2ELi5ELi16ELi4EEvPKhS1_P6__halfPKfiiiiiiii.uses_flat_scratch, 0
	.set _Z19_skinny_gemm_kernelILi2ELi2ELi5ELi16ELi4EEvPKhS1_P6__halfPKfiiiiiiii.has_dyn_sized_stack, 0
	.set _Z19_skinny_gemm_kernelILi2ELi2ELi5ELi16ELi4EEvPKhS1_P6__halfPKfiiiiiiii.has_recursion, 0
	.set _Z19_skinny_gemm_kernelILi2ELi2ELi5ELi16ELi4EEvPKhS1_P6__halfPKfiiiiiiii.has_indirect_call, 0
	.section	.AMDGPU.csdata,"",@progbits
; Kernel info:
; codeLenInByte = 4028
; TotalNumSgprs: 69
; NumVgprs: 61
; NumAgprs: 0
; TotalNumVgprs: 61
; ScratchSize: 0
; MemoryBound: 0
; FloatMode: 240
; IeeeMode: 1
; LDSByteSize: 41040 bytes/workgroup (compile time only)
; SGPRBlocks: 8
; VGPRBlocks: 7
; NumSGPRsForWavesPerEU: 69
; NumVGPRsForWavesPerEU: 61
; AccumOffset: 64
; Occupancy: 8
; WaveLimiterHint : 0
; COMPUTE_PGM_RSRC2:SCRATCH_EN: 0
; COMPUTE_PGM_RSRC2:USER_SGPR: 2
; COMPUTE_PGM_RSRC2:TRAP_HANDLER: 0
; COMPUTE_PGM_RSRC2:TGID_X_EN: 1
; COMPUTE_PGM_RSRC2:TGID_Y_EN: 0
; COMPUTE_PGM_RSRC2:TGID_Z_EN: 0
; COMPUTE_PGM_RSRC2:TIDIG_COMP_CNT: 0
; COMPUTE_PGM_RSRC3_GFX90A:ACCUM_OFFSET: 15
; COMPUTE_PGM_RSRC3_GFX90A:TG_SPLIT: 0
	.section	.text._Z19_skinny_gemm_kernelILi2ELi2ELi5ELi32ELi4EEvPKhS1_P6__halfPKfiiiiiiii,"axG",@progbits,_Z19_skinny_gemm_kernelILi2ELi2ELi5ELi32ELi4EEvPKhS1_P6__halfPKfiiiiiiii,comdat
	.protected	_Z19_skinny_gemm_kernelILi2ELi2ELi5ELi32ELi4EEvPKhS1_P6__halfPKfiiiiiiii ; -- Begin function _Z19_skinny_gemm_kernelILi2ELi2ELi5ELi32ELi4EEvPKhS1_P6__halfPKfiiiiiiii
	.globl	_Z19_skinny_gemm_kernelILi2ELi2ELi5ELi32ELi4EEvPKhS1_P6__halfPKfiiiiiiii
	.p2align	8
	.type	_Z19_skinny_gemm_kernelILi2ELi2ELi5ELi32ELi4EEvPKhS1_P6__halfPKfiiiiiiii,@function
_Z19_skinny_gemm_kernelILi2ELi2ELi5ELi32ELi4EEvPKhS1_P6__halfPKfiiiiiiii: ; @_Z19_skinny_gemm_kernelILi2ELi2ELi5ELi32ELi4EEvPKhS1_P6__halfPKfiiiiiiii
; %bb.0:
	v_cmp_gt_u32_e32 vcc, 20, v0
	s_and_saveexec_b64 s[4:5], vcc
; %bb.1:
	v_lshlrev_b32_e32 v1, 2, v0
	v_mov_b32_e32 v2, 0
	ds_write_b32 v1, v2 offset:40960
; %bb.2:
	s_or_b64 exec, exec, s[4:5]
	s_load_dwordx8 s[16:23], s[0:1], 0x20
	s_waitcnt lgkmcnt(0)
	s_barrier
	s_add_i32 s3, s16, 63
	s_ashr_i32 s5, s3, 31
	s_add_i32 s4, s17, 63
	s_lshr_b32 s5, s5, 26
	s_ashr_i32 s6, s4, 31
	s_add_i32 s3, s3, s5
	s_ashr_i32 s11, s3, 6
	s_lshr_b32 s3, s6, 26
	s_add_i32 s4, s4, s3
	s_ashr_i32 s12, s4, 6
	s_mul_i32 s3, s12, s11
	s_mul_i32 s3, s3, s20
	s_add_i32 s4, s3, 0x12f
	s_mul_hi_i32 s4, s4, 0x6bca1af3
	s_lshr_b32 s5, s4, 31
	s_ashr_i32 s4, s4, 7
	s_add_i32 s4, s4, s5
	s_add_i32 s5, s2, 1
	s_mul_i32 s5, s4, s5
	v_cvt_f64_i32_e32 v[2:3], s3
	v_cvt_f64_u32_e32 v[4:5], s5
	v_min_f64 v[2:3], v[2:3], v[4:5]
	v_cvt_i32_f64_e32 v62, v[2:3]
	s_mul_i32 s33, s4, s2
	v_cmp_ge_i32_e32 vcc, s33, v62
	s_cbranch_vccnz .LBB181_51
; %bb.3:
	s_load_dwordx8 s[44:51], s[0:1], 0x0
	v_lshrrev_b32_e32 v1, 6, v0
	s_add_i32 s0, s22, s21
	v_cmp_le_i32_e64 s[14:15], s0, v1
	v_mov_b32_e32 v2, s21
	v_cmp_le_i32_e64 s[24:25], s21, v1
	v_mov_b32_e32 v3, s22
	v_cndmask_b32_e64 v3, 0, v3, s[14:15]
	v_cndmask_b32_e64 v2, 0, v2, s[24:25]
	s_abs_i32 s1, s20
	v_add_u32_e32 v2, v2, v3
	v_cvt_f32_u32_e32 v3, s1
	v_sub_u32_e32 v56, v1, v2
	s_ashr_i32 s2, s18, 31
	s_lshr_b32 s2, s2, 26
	v_rcp_iflag_f32_e32 v2, v3
	s_sub_i32 s5, 0, s1
	s_add_i32 s2, s18, s2
	s_ashr_i32 s2, s2, 6
	v_mul_f32_e32 v2, 0x4f7ffffe, v2
	v_cvt_u32_f32_e32 v2, v2
	s_abs_i32 s4, s2
	s_xor_b32 s3, s2, s20
	s_ashr_i32 s3, s3, 31
	v_readfirstlane_b32 s6, v2
	s_mul_i32 s5, s5, s6
	s_mul_hi_u32 s5, s6, s5
	s_add_i32 s6, s6, s5
	s_mul_hi_u32 s5, s4, s6
	s_mul_i32 s6, s5, s1
	s_sub_i32 s4, s4, s6
	s_add_i32 s6, s5, 1
	s_sub_i32 s7, s4, s1
	s_cmp_ge_u32 s4, s1
	s_cselect_b32 s5, s6, s5
	s_cselect_b32 s4, s7, s4
	s_add_i32 s6, s5, 1
	s_cmp_ge_u32 s4, s1
	s_cselect_b32 s1, s6, s5
	s_add_i32 s0, s0, s23
	v_and_b32_e32 v64, 31, v0
	v_lshrrev_b32_e32 v2, 3, v0
	v_cmp_gt_i32_e64 s[28:29], s0, v1
	v_lshlrev_b32_e32 v1, 2, v64
	v_and_b32_e32 v3, 4, v2
	v_and_b32_e32 v5, 1, v0
	v_lshlrev_b32_e32 v2, 6, v3
	v_or_b32_e32 v4, 0x5000, v1
	v_or_b32_e32 v3, v3, v5
	;; [unrolled: 1-line block ×4, first 2 shown]
	v_lshlrev_b32_e32 v2, 1, v5
	v_or_b32_e32 v5, 2, v3
	v_sub_u32_e32 v77, 32, v5
	v_or_b32_e32 v5, 8, v3
	v_sub_u32_e32 v78, 32, v5
	;; [unrolled: 2-line block ×5, first 2 shown]
	v_mul_lo_u32 v34, s17, v3
	v_sub_u32_e32 v81, 32, v5
	v_or_b32_e32 v5, 24, v3
	v_or_b32_e32 v3, 26, v3
                                        ; implicit-def: $vgpr99 : SGPR spill to VGPR lane
	s_add_i32 s26, s20, -1
	v_sub_u32_e32 v83, 32, v3
	v_lshrrev_b32_e32 v3, 1, v0
	s_abs_i32 s20, s11
	v_writelane_b32 v99, s11, 0
	v_and_b32_e32 v50, 16, v3
	v_cvt_f32_u32_e32 v3, s20
	v_writelane_b32 v99, s12, 1
	v_sub_u32_e32 v2, v0, v2
	s_waitcnt lgkmcnt(0)
	v_writelane_b32 v99, s44, 2
	v_add_u32_e32 v2, 1, v2
	v_and_b32_e32 v6, 63, v2
	v_writelane_b32 v99, s45, 3
	v_bitop3_b32 v67, v0, 1, v0 bitop3:0xc
	v_bitop3_b32 v68, v0, 3, 1 bitop3:0x6c
	;; [unrolled: 1-line block ×8, first 2 shown]
	v_and_b32_e32 v2, 30, v0
	v_lshlrev_b32_e32 v0, 4, v0
	v_writelane_b32 v99, s46, 4
	v_and_b32_e32 v0, 0x200, v0
	v_rcp_iflag_f32_e32 v3, v3
	s_abs_i32 s98, s12
	v_writelane_b32 v99, s47, 5
	s_xor_b32 s1, s1, s3
	v_or_b32_e32 v86, v1, v0
	v_cvt_f32_u32_e32 v1, s98
	v_writelane_b32 v99, s48, 6
	s_sub_i32 s13, s1, s3
	v_writelane_b32 v99, s49, 7
	s_mul_i32 s1, s13, s26
	s_lshl_b32 s0, s17, 1
	v_writelane_b32 v99, s50, 8
	s_sub_i32 s27, s2, s1
	v_add_u32_e32 v36, s0, v34
	s_mul_i32 s1, s17, 6
	v_or_b32_e32 v84, v4, v0
	v_mul_f32_e32 v0, 0x4f7ffffe, v3
	v_writelane_b32 v99, s51, 9
	v_cndmask_b32_e64 v63, 0, 1, s[14:15]
	v_add_u32_e32 v38, s1, v36
	v_cvt_u32_f32_e32 v0, v0
	v_rcp_iflag_f32_e32 v1, v1
	v_writelane_b32 v99, s14, 10
	v_add_u32_e32 v40, s0, v38
	v_add_u32_e32 v42, s1, v40
	v_writelane_b32 v99, s15, 11
	v_writelane_b32 v99, s24, 12
	v_add_u32_e32 v44, s0, v42
	v_add_u32_e32 v46, s1, v44
	v_writelane_b32 v99, s25, 13
	v_readfirstlane_b32 s1, v0
	v_mul_f32_e32 v0, 0x4f7ffffe, v1
	v_writelane_b32 v99, s13, 14
	v_cvt_u32_f32_e32 v0, v0
	v_writelane_b32 v99, s26, 15
	v_add_u32_e32 v48, s0, v46
	s_sub_i32 s0, 0, s20
	v_writelane_b32 v99, s27, 16
	s_mul_i32 s0, s0, s1
	v_writelane_b32 v99, s28, 17
	s_lshl_b32 s30, s19, 5
	s_mul_hi_u32 s0, s1, s0
	v_writelane_b32 v99, s29, 18
	s_ashr_i32 s31, s11, 31
	s_add_i32 s34, s1, s0
	s_sub_i32 s0, 0, s98
	v_readfirstlane_b32 s1, v0
	v_mbcnt_lo_u32_b32 v0, -1, 0
	v_writelane_b32 v99, s30, 19
	s_mul_i32 s0, s0, s1
	v_mbcnt_hi_u32_b32 v0, -1, v0
	v_writelane_b32 v99, s31, 20
	v_mov_b32_e32 v33, 0
	v_mul_lo_u32 v52, s19, v64
	s_ashr_i32 s35, s12, 31
	s_mul_hi_u32 s0, s1, s0
	v_and_or_b32 v0, v0, 64, v6
	v_writelane_b32 v99, s34, 21
	v_or_b32_e32 v75, 32, v64
	v_ashrrev_i32_e32 v35, 31, v34
	v_ashrrev_i32_e32 v37, 31, v36
	;; [unrolled: 1-line block ×6, first 2 shown]
	v_sub_u32_e32 v82, 32, v5
	v_ashrrev_i32_e32 v47, 31, v46
	v_ashrrev_i32_e32 v49, 31, v48
	;; [unrolled: 1-line block ×3, first 2 shown]
	v_mov_b32_e32 v51, v33
	v_mul_lo_u32 v85, s18, v64
	s_add_i32 s36, s1, s0
	v_lshlrev_b32_e32 v32, 1, v2
	v_lshlrev_b32_e32 v87, 2, v0
	v_mov_b32_e32 v88, v56
	v_writelane_b32 v99, s35, 22
	v_writelane_b32 v99, s36, 23
	s_branch .LBB181_7
.LBB181_4:                              ;   in Loop: Header=BB181_7 Depth=1
	s_or_b64 exec, exec, s[4:5]
.LBB181_5:                              ;   in Loop: Header=BB181_7 Depth=1
	s_or_b64 exec, exec, s[2:3]
	v_subrev_u32_e32 v88, s10, v88
.LBB181_6:                              ;   in Loop: Header=BB181_7 Depth=1
	s_or_b64 exec, exec, s[0:1]
	s_add_i32 s33, s33, 1
	v_cmp_ge_i32_e32 vcc, s33, v62
	s_cbranch_vccnz .LBB181_51
.LBB181_7:                              ; =>This Loop Header: Depth=1
                                        ;     Child Loop BB181_13 Depth 2
                                        ;       Child Loop BB181_15 Depth 3
                                        ;       Child Loop BB181_18 Depth 3
                                        ;       Child Loop BB181_21 Depth 3
                                        ;     Child Loop BB181_38 Depth 2
                                        ;       Child Loop BB181_40 Depth 3
                                        ;     Child Loop BB181_48 Depth 2
                                        ;       Child Loop BB181_50 Depth 3
	s_abs_i32 s1, s33
	s_mul_hi_u32 s2, s1, s34
	s_mul_i32 s3, s2, s20
	s_ashr_i32 s0, s33, 31
	s_sub_i32 s1, s1, s3
	s_xor_b32 s0, s0, s31
	s_add_i32 s3, s2, 1
	s_sub_i32 s4, s1, s20
	s_cmp_ge_u32 s1, s20
	s_cselect_b32 s2, s3, s2
	s_cselect_b32 s1, s4, s1
	s_add_i32 s3, s2, 1
	s_cmp_ge_u32 s1, s20
	s_cselect_b32 s1, s3, s2
	s_xor_b32 s1, s1, s0
	s_sub_i32 s0, s1, s0
	s_abs_i32 s2, s0
	s_mul_i32 s1, s0, s11
	s_mul_hi_u32 s3, s2, s36
	s_sub_i32 s1, s33, s1
	s_mul_i32 s4, s3, s98
	s_lshl_b32 s52, s1, 6
	s_ashr_i32 s1, s0, 31
	s_sub_i32 s2, s2, s4
	s_xor_b32 s1, s1, s35
	s_add_i32 s4, s3, 1
	s_sub_i32 s5, s2, s98
	s_cmp_ge_u32 s2, s98
	s_cselect_b32 s3, s4, s3
	s_cselect_b32 s2, s5, s2
	s_add_i32 s4, s3, 1
	s_cmp_ge_u32 s2, s98
	s_cselect_b32 s2, s4, s3
	s_xor_b32 s2, s2, s1
	s_sub_i32 s1, s2, s1
	s_mul_i32 s2, s1, s13
	s_lshl_b32 s37, s2, 6
	s_cmp_eq_u32 s1, s26
	s_cselect_b32 s99, s27, s13
	s_sub_i32 s2, s52, s16
	s_add_i32 s53, s2, 64
	s_and_saveexec_b64 s[2:3], s[24:25]
	s_xor_b64 s[38:39], exec, s[2:3]
	s_cbranch_execz .LBB181_44
; %bb.8:                                ;   in Loop: Header=BB181_7 Depth=1
	s_mul_i32 s1, s1, s12
	s_sub_i32 s0, s0, s1
	s_lshl_b32 s0, s0, 6
	s_sub_i32 s90, s0, s17
	s_add_i32 s90, s90, 64
	s_max_i32 s1, s90, 0
	s_sub_i32 s54, s0, s1
	s_and_saveexec_b64 s[0:1], s[14:15]
	s_xor_b64 s[4:5], exec, s[0:1]
	s_cbranch_execz .LBB181_34
; %bb.9:                                ;   in Loop: Header=BB181_7 Depth=1
	s_and_saveexec_b64 s[2:3], s[28:29]
	s_cbranch_execz .LBB181_33
; %bb.10:                               ;   in Loop: Header=BB181_7 Depth=1
	global_load_dword v89, v33, s[50:51]
	v_writelane_b32 v99, s2, 24
	v_mov_b32_e32 v31, 0
	v_cmp_gt_i32_e32 vcc, s99, v88
	v_writelane_b32 v99, s3, 25
	v_writelane_b32 v99, s4, 26
	v_mov_b32_e32 v30, v31
	v_mov_b32_e32 v29, v31
	;; [unrolled: 1-line block ×12, first 2 shown]
	s_waitcnt lgkmcnt(1)
	v_mov_b32_e32 v18, v31
	v_mov_b32_e32 v17, v31
	;; [unrolled: 1-line block ×19, first 2 shown]
	v_writelane_b32 v99, s5, 27
	s_and_saveexec_b64 s[0:1], vcc
	s_cbranch_execz .LBB181_23
; %bb.11:                               ;   in Loop: Header=BB181_7 Depth=1
	v_mov_b32_e32 v0, 0
	s_mov_b64 s[2:3], 0
	v_mov_b32_e32 v1, v0
	v_mov_b32_e32 v2, v0
	;; [unrolled: 1-line block ×31, first 2 shown]
	s_branch .LBB181_13
.LBB181_12:                             ;   in Loop: Header=BB181_13 Depth=2
	s_or_b64 exec, exec, s[4:5]
	v_add_u32_e32 v96, 0x800, v93
	ds_read2_b32 v[94:95], v96 offset1:32
	v_add_u32_e32 v88, s23, v88
	s_waitcnt lgkmcnt(0)
	v_mfma_f32_32x32x16_fp8_fp8 v[0:15], v[60:61], v[94:95], v[0:15]
	ds_read2_b32 v[60:61], v96 offset0:128 offset1:160
	s_waitcnt lgkmcnt(0)
	v_mfma_f32_32x32x16_fp8_fp8 v[0:15], v[58:59], v[60:61], v[0:15]
	v_add_u32_e32 v60, 0xc00, v93
	ds_read2_b32 v[58:59], v60 offset1:32
	ds_read2_b32 v[60:61], v60 offset0:128 offset1:160
	ds_write_b32 v91, v92 offset:40972
	s_waitcnt lgkmcnt(2)
	v_mfma_f32_32x32x16_fp8_fp8 v[0:15], v[56:57], v[58:59], v[0:15]
	v_add_u32_e32 v56, s23, v90
	v_add_u32_e32 v57, 2, v63
	v_cmp_lt_i32_e32 vcc, 4, v56
	s_nop 1
	v_cndmask_b32_e32 v63, v63, v57, vcc
	v_cmp_le_i32_e32 vcc, s99, v88
	s_waitcnt lgkmcnt(1)
	v_mfma_f32_32x32x16_fp8_fp8 v[0:15], v[54:55], v[60:61], v[0:15]
	s_or_b64 s[2:3], vcc, s[2:3]
	s_andn2_b64 exec, exec, s[2:3]
	s_cbranch_execz .LBB181_22
.LBB181_13:                             ;   Parent Loop BB181_7 Depth=1
                                        ; =>  This Loop Header: Depth=2
                                        ;       Child Loop BB181_15 Depth 3
                                        ;       Child Loop BB181_18 Depth 3
	;; [unrolled: 1-line block ×3, first 2 shown]
	v_cmp_gt_i32_e32 vcc, 5, v56
	s_nop 1
	v_cndmask_b32_e64 v54, -5, 0, vcc
	v_add_u32_e32 v90, v54, v56
	v_lshlrev_b32_e32 v91, 4, v90
	ds_read_b32 v54, v91 offset:40960
	s_waitcnt lgkmcnt(0)
	v_cmp_ne_u32_e32 vcc, v54, v63
	s_and_saveexec_b64 s[4:5], vcc
	s_cbranch_execz .LBB181_16
; %bb.14:                               ;   in Loop: Header=BB181_13 Depth=2
	s_mov_b64 s[6:7], 0
.LBB181_15:                             ;   Parent Loop BB181_7 Depth=1
                                        ;     Parent Loop BB181_13 Depth=2
                                        ; =>    This Inner Loop Header: Depth=3
	;;#ASMSTART
	s_sleep 0
	;;#ASMEND
	ds_read_b32 v54, v91 offset:40960
	s_waitcnt lgkmcnt(0)
	v_cmp_eq_u32_e32 vcc, v54, v63
	s_or_b64 s[6:7], vcc, s[6:7]
	s_andn2_b64 exec, exec, s[6:7]
	s_cbranch_execnz .LBB181_15
.LBB181_16:                             ;   in Loop: Header=BB181_13 Depth=2
	s_or_b64 exec, exec, s[4:5]
	v_lshl_or_b32 v54, v90, 11, v65
	ds_read2_b32 v[60:61], v54 offset1:32
	ds_read2_b32 v[58:59], v54 offset0:128 offset1:160
	v_add_u32_e32 v54, 0x400, v54
	ds_read2_b32 v[56:57], v54 offset1:32
	ds_read_b32 v93, v91 offset:40964
	ds_read2_b32 v[54:55], v54 offset0:128 offset1:160
	v_add_u32_e32 v92, 1, v63
	ds_write_b32 v91, v92 offset:40960
	s_waitcnt lgkmcnt(2)
	v_cmp_ne_u32_e32 vcc, v93, v63
	s_and_saveexec_b64 s[4:5], vcc
	s_cbranch_execz .LBB181_19
; %bb.17:                               ;   in Loop: Header=BB181_13 Depth=2
	s_mov_b64 s[6:7], 0
.LBB181_18:                             ;   Parent Loop BB181_7 Depth=1
                                        ;     Parent Loop BB181_13 Depth=2
                                        ; =>    This Inner Loop Header: Depth=3
	;;#ASMSTART
	s_sleep 0
	;;#ASMEND
	ds_read_b32 v93, v91 offset:40964
	s_waitcnt lgkmcnt(0)
	v_cmp_eq_u32_e32 vcc, v93, v63
	s_or_b64 s[6:7], vcc, s[6:7]
	s_andn2_b64 exec, exec, s[6:7]
	s_cbranch_execnz .LBB181_18
.LBB181_19:                             ;   in Loop: Header=BB181_13 Depth=2
	s_or_b64 exec, exec, s[4:5]
	v_lshlrev_b32_e32 v93, 12, v90
	v_add_u32_e32 v93, v66, v93
	ds_read2_b32 v[94:95], v93 offset1:32
	v_add_u32_e32 v96, 0x400, v93
	ds_write_b32 v91, v92 offset:40964
	s_waitcnt lgkmcnt(1)
	v_mfma_f32_32x32x16_fp8_fp8 v[16:31], v[60:61], v[94:95], v[16:31]
	ds_read2_b32 v[94:95], v93 offset0:128 offset1:160
	s_waitcnt lgkmcnt(0)
	v_mfma_f32_32x32x16_fp8_fp8 v[16:31], v[58:59], v[94:95], v[16:31]
	ds_read2_b32 v[94:95], v96 offset1:32
	s_waitcnt lgkmcnt(0)
	v_mfma_f32_32x32x16_fp8_fp8 v[16:31], v[56:57], v[94:95], v[16:31]
	ds_read2_b32 v[94:95], v96 offset0:128 offset1:160
	ds_read_b32 v96, v91 offset:40972
	s_waitcnt lgkmcnt(0)
	v_cmp_ne_u32_e32 vcc, v96, v63
	v_mfma_f32_32x32x16_fp8_fp8 v[16:31], v[54:55], v[94:95], v[16:31]
	s_and_saveexec_b64 s[4:5], vcc
	s_cbranch_execz .LBB181_12
; %bb.20:                               ;   in Loop: Header=BB181_13 Depth=2
	s_mov_b64 s[6:7], 0
.LBB181_21:                             ;   Parent Loop BB181_7 Depth=1
                                        ;     Parent Loop BB181_13 Depth=2
                                        ; =>    This Inner Loop Header: Depth=3
	;;#ASMSTART
	s_sleep 0
	;;#ASMEND
	ds_read_b32 v94, v91 offset:40972
	s_waitcnt lgkmcnt(0)
	v_cmp_eq_u32_e32 vcc, v94, v63
	s_or_b64 s[6:7], vcc, s[6:7]
	s_andn2_b64 exec, exec, s[6:7]
	s_cbranch_execnz .LBB181_21
	s_branch .LBB181_12
.LBB181_22:                             ;   in Loop: Header=BB181_7 Depth=1
	s_or_b64 exec, exec, s[2:3]
.LBB181_23:                             ;   in Loop: Header=BB181_7 Depth=1
	v_writelane_b32 v99, s54, 28
	s_nop 1
	v_writelane_b32 v99, s55, 29
	v_writelane_b32 v99, s38, 30
	s_nop 1
	v_writelane_b32 v99, s39, 31
	v_writelane_b32 v99, s53, 32
	;; [unrolled: 1-line block ×4, first 2 shown]
	s_or_b64 exec, exec, s[0:1]
	v_cmp_le_i32_e32 vcc, s90, v64
	v_cmp_eq_u32_e64 s[86:87], 1, v67
	v_cmp_eq_u32_e64 s[50:51], 2, v67
	s_waitcnt vmcnt(0)
	v_cndmask_b32_e32 v54, 0, v89, vcc
	v_pk_mul_f32 v[16:17], v[54:55], v[16:17] op_sel_hi:[0,1]
	v_pk_mul_f32 v[30:31], v[54:55], v[30:31] op_sel_hi:[0,1]
	;; [unrolled: 1-line block ×8, first 2 shown]
	v_cndmask_b32_e64 v54, v16, v17, s[86:87]
	v_cndmask_b32_e64 v54, v54, v18, s[50:51]
	v_cmp_eq_u32_e64 s[52:53], 3, v67
	v_cmp_eq_u32_e64 s[56:57], 4, v67
	v_cmp_eq_u32_e64 s[60:61], 5, v67
	v_cndmask_b32_e64 v54, v54, v19, s[52:53]
	v_cndmask_b32_e64 v54, v54, v20, s[56:57]
	v_cndmask_b32_e64 v54, v54, v21, s[60:61]
	v_cmp_eq_u32_e64 s[64:65], 6, v67
	v_cmp_eq_u32_e64 s[68:69], 7, v67
	v_cmp_eq_u32_e64 s[72:73], 8, v67
	v_cndmask_b32_e64 v54, v54, v22, s[64:65]
	;; [unrolled: 6-line block ×5, first 2 shown]
	ds_bpermute_b32 v54, v87, v54
	v_cmp_eq_u32_e64 s[26:27], 2, v68
	v_cmp_eq_u32_e64 s[28:29], 3, v68
	;; [unrolled: 1-line block ×4, first 2 shown]
	s_waitcnt lgkmcnt(0)
	v_cndmask_b32_e64 v17, v17, v54, s[86:87]
	v_cndmask_b32_e64 v16, v16, v54, s[70:71]
	;; [unrolled: 1-line block ×12, first 2 shown]
	v_cmp_eq_u32_e64 s[36:37], 6, v68
	v_cndmask_b32_e64 v57, v23, v54, s[68:69]
	v_cmp_eq_u32_e64 s[38:39], 7, v68
	v_cndmask_b32_e64 v18, v18, v58, s[36:37]
	v_cndmask_b32_e64 v55, v24, v54, s[72:73]
	v_cndmask_b32_e64 v18, v18, v57, s[38:39]
	v_cmp_eq_u32_e64 s[42:43], 8, v68
	v_cndmask_b32_e64 v25, v25, v54, s[74:75]
	v_cmp_eq_u32_e64 s[44:45], 9, v68
	v_cndmask_b32_e64 v18, v18, v55, s[42:43]
	v_cndmask_b32_e64 v26, v26, v54, s[76:77]
	v_cndmask_b32_e64 v18, v18, v25, s[44:45]
	v_cmp_eq_u32_e64 s[46:47], 10, v68
	v_cndmask_b32_e64 v27, v27, v54, s[78:79]
	v_cmp_eq_u32_e64 s[48:49], 11, v68
	v_cndmask_b32_e64 v18, v18, v26, s[46:47]
	v_cndmask_b32_e64 v28, v28, v54, s[80:81]
	v_cndmask_b32_e64 v18, v18, v27, s[48:49]
	v_cmp_eq_u32_e64 s[54:55], 12, v68
	v_cndmask_b32_e64 v29, v29, v54, s[82:83]
	v_cmp_eq_u32_e64 s[58:59], 13, v68
	v_cndmask_b32_e64 v18, v18, v28, s[54:55]
	v_cndmask_b32_e64 v30, v30, v54, s[84:85]
	v_cndmask_b32_e64 v18, v18, v29, s[58:59]
	v_cmp_eq_u32_e64 s[62:63], 14, v68
	v_cndmask_b32_e64 v31, v31, v54, s[88:89]
	v_cmp_eq_u32_e64 s[66:67], 15, v68
	v_cndmask_b32_e64 v18, v18, v30, s[62:63]
	v_cmp_le_i32_e64 s[90:91], s90, v75
	v_cndmask_b32_e64 v18, v18, v31, s[66:67]
	ds_bpermute_b32 v54, v87, v18
	v_cmp_eq_u32_e64 s[40:41], 0, v68
	v_cmp_eq_u32_e64 s[2:3], 1, v69
	;; [unrolled: 1-line block ×4, first 2 shown]
	s_waitcnt lgkmcnt(0)
	v_cndmask_b32_e64 v22, v27, v54, s[48:49]
	v_cndmask_b32_e64 v27, v58, v54, s[36:37]
	;; [unrolled: 1-line block ×3, first 2 shown]
	v_pk_mul_f32 v[0:1], v[58:59], v[0:1] op_sel_hi:[0,1]
	v_cndmask_b32_e64 v24, v25, v54, s[44:45]
	v_cndmask_b32_e64 v25, v55, v54, s[42:43]
	v_pk_mul_f32 v[2:3], v[58:59], v[2:3] op_sel_hi:[0,1]
	v_cndmask_b32_e64 v55, v0, v1, s[86:87]
	v_cndmask_b32_e64 v55, v55, v2, s[50:51]
	;; [unrolled: 3-line block ×6, first 2 shown]
	v_cndmask_b32_e64 v17, v17, v54, s[24:25]
	v_cndmask_b32_e64 v16, v16, v54, s[40:41]
	v_pk_mul_f32 v[12:13], v[58:59], v[12:13] op_sel_hi:[0,1]
	v_cndmask_b32_e64 v55, v55, v11, s[78:79]
	v_cndmask_b32_e64 v18, v31, v54, s[66:67]
	;; [unrolled: 1-line block ×14, first 2 shown]
	v_pk_mul_f32 v[14:15], v[58:59], v[14:15] op_sel_hi:[0,1]
	v_cndmask_b32_e64 v55, v55, v13, s[82:83]
	v_cndmask_b32_e64 v54, v54, v30, s[8:9]
	v_cmp_eq_u32_e64 s[10:11], 4, v69
	v_cndmask_b32_e64 v55, v55, v14, s[84:85]
	v_cmp_eq_u32_e64 s[12:13], 5, v69
	v_cndmask_b32_e64 v54, v54, v29, s[10:11]
	v_cndmask_b32_e64 v55, v55, v15, s[88:89]
	;; [unrolled: 1-line block ×3, first 2 shown]
	v_cmp_eq_u32_e64 s[14:15], 6, v69
	ds_bpermute_b32 v55, v87, v55
	v_cmp_eq_u32_e64 s[96:97], 7, v69
	v_cndmask_b32_e64 v54, v54, v27, s[14:15]
	v_cmp_eq_u32_e64 s[4:5], 8, v69
	v_cndmask_b32_e64 v54, v54, v26, s[96:97]
	v_cmp_eq_u32_e32 vcc, 9, v69
	v_cndmask_b32_e64 v54, v54, v25, s[4:5]
	v_cmp_eq_u32_e64 s[0:1], 10, v69
	v_cndmask_b32_e32 v54, v54, v24, vcc
	v_cmp_eq_u32_e64 s[86:87], 11, v69
	v_cndmask_b32_e64 v54, v54, v23, s[0:1]
	s_waitcnt lgkmcnt(0)
	v_cndmask_b32_e64 v2, v2, v55, s[50:51]
	v_cmp_ne_u32_e64 s[50:51], 0, v67
	v_cndmask_b32_e64 v54, v54, v22, s[86:87]
	v_cmp_eq_u32_e64 s[90:91], 12, v69
	v_cndmask_b32_e64 v1, v1, v55, s[50:51]
	v_cndmask_b32_e64 v0, v0, v55, s[70:71]
	;; [unrolled: 1-line block ×4, first 2 shown]
	v_cmp_eq_u32_e64 s[88:89], 13, v69
	v_cndmask_b32_e64 v14, v14, v55, s[84:85]
	v_cndmask_b32_e64 v13, v13, v55, s[82:83]
	;; [unrolled: 1-line block ×14, first 2 shown]
	v_cmp_eq_u32_e64 s[84:85], 14, v69
	v_cndmask_b32_e64 v55, v55, v2, s[26:27]
	v_cmp_eq_u32_e64 s[82:83], 15, v69
	v_cndmask_b32_e64 v54, v54, v19, s[84:85]
	v_cndmask_b32_e64 v55, v55, v3, s[28:29]
	;; [unrolled: 1-line block ×4, first 2 shown]
	ds_bpermute_b32 v54, v87, v54
	v_cndmask_b32_e64 v55, v55, v5, s[34:35]
	v_cndmask_b32_e64 v55, v55, v6, s[36:37]
	v_cndmask_b32_e64 v55, v55, v7, s[38:39]
	v_cndmask_b32_e64 v55, v55, v8, s[42:43]
	v_cmp_eq_u32_e64 s[80:81], 0, v69
	v_cndmask_b32_e64 v55, v55, v9, s[44:45]
	s_waitcnt lgkmcnt(0)
	v_cndmask_b32_e64 v17, v17, v54, s[2:3]
	v_cndmask_b32_e64 v16, v16, v54, s[80:81]
	v_cmp_eq_u32_e64 s[78:79], 1, v70
	v_cndmask_b32_e64 v55, v55, v10, s[46:47]
	v_cndmask_b32_e64 v18, v18, v54, s[82:83]
	;; [unrolled: 1-line block ×7, first 2 shown]
	v_cndmask_b32_e32 v24, v24, v54, vcc
	v_cndmask_b32_e64 v25, v25, v54, s[4:5]
	v_cndmask_b32_e64 v26, v26, v54, s[96:97]
	v_cndmask_b32_e64 v27, v27, v54, s[14:15]
	v_cndmask_b32_e64 v28, v28, v54, s[12:13]
	v_cndmask_b32_e64 v29, v29, v54, s[10:11]
	v_cndmask_b32_e64 v30, v30, v54, s[8:9]
	v_cndmask_b32_e64 v31, v31, v54, s[6:7]
	v_cndmask_b32_e64 v54, v16, v17, s[78:79]
	v_cmp_eq_u32_e64 s[76:77], 2, v70
	v_cndmask_b32_e64 v55, v55, v11, s[48:49]
	v_cmp_eq_u32_e64 s[74:75], 3, v70
	v_cndmask_b32_e64 v54, v54, v31, s[76:77]
	v_cndmask_b32_e64 v55, v55, v12, s[54:55]
	;; [unrolled: 1-line block ×3, first 2 shown]
	v_cmp_eq_u32_e64 s[72:73], 4, v70
	v_cndmask_b32_e64 v55, v55, v13, s[58:59]
	v_cmp_eq_u32_e64 s[68:69], 5, v70
	v_cndmask_b32_e64 v54, v54, v29, s[72:73]
	v_cndmask_b32_e64 v55, v55, v14, s[62:63]
	;; [unrolled: 1-line block ×3, first 2 shown]
	v_cmp_eq_u32_e64 s[64:65], 6, v70
	v_cndmask_b32_e64 v55, v55, v15, s[66:67]
	v_cmp_eq_u32_e64 s[60:61], 7, v70
	v_cndmask_b32_e64 v54, v54, v27, s[64:65]
	ds_bpermute_b32 v55, v87, v55
	v_cndmask_b32_e64 v54, v54, v26, s[60:61]
	v_cmp_eq_u32_e64 s[56:57], 8, v70
	v_cmp_eq_u32_e64 s[52:53], 9, v70
	;; [unrolled: 1-line block ×3, first 2 shown]
	v_cndmask_b32_e64 v54, v54, v25, s[56:57]
	v_cndmask_b32_e64 v54, v54, v24, s[52:53]
	;; [unrolled: 1-line block ×3, first 2 shown]
	v_cmp_eq_u32_e64 s[70:71], 11, v70
	s_waitcnt lgkmcnt(0)
	v_cndmask_b32_e64 v15, v15, v55, s[66:67]
	v_cmp_eq_u32_e64 s[66:67], 12, v70
	v_cndmask_b32_e64 v54, v54, v22, s[70:71]
	v_cndmask_b32_e64 v14, v14, v55, s[62:63]
	;; [unrolled: 1-line block ×3, first 2 shown]
	v_cmp_eq_u32_e64 s[62:63], 13, v70
	v_cndmask_b32_e64 v1, v1, v55, s[24:25]
	v_cndmask_b32_e64 v0, v0, v55, s[40:41]
	;; [unrolled: 1-line block ×4, first 2 shown]
	v_cmp_eq_u32_e64 s[92:93], 14, v70
	v_cndmask_b32_e64 v12, v12, v55, s[54:55]
	v_cndmask_b32_e64 v11, v11, v55, s[48:49]
	;; [unrolled: 1-line block ×13, first 2 shown]
	v_cmp_eq_u32_e64 s[94:95], 15, v70
	v_cndmask_b32_e64 v55, v55, v2, s[6:7]
	v_cndmask_b32_e64 v55, v55, v3, s[8:9]
	;; [unrolled: 1-line block ×3, first 2 shown]
	ds_bpermute_b32 v54, v87, v54
	v_cndmask_b32_e64 v55, v55, v4, s[10:11]
	v_cndmask_b32_e64 v55, v55, v5, s[12:13]
	;; [unrolled: 1-line block ×4, first 2 shown]
	v_cmp_eq_u32_e64 s[48:49], 0, v70
	v_cndmask_b32_e64 v55, v55, v8, s[4:5]
	s_waitcnt lgkmcnt(0)
	v_cndmask_b32_e64 v17, v17, v54, s[78:79]
	v_cndmask_b32_e64 v16, v16, v54, s[48:49]
	v_cmp_eq_u32_e64 s[46:47], 1, v71
	v_cndmask_b32_e32 v55, v55, v9, vcc
	v_cndmask_b32_e64 v18, v18, v54, s[94:95]
	v_cndmask_b32_e64 v19, v19, v54, s[92:93]
	;; [unrolled: 1-line block ×15, first 2 shown]
	v_cmp_eq_u32_e64 s[44:45], 2, v71
	v_cndmask_b32_e64 v55, v55, v10, s[0:1]
	v_cmp_eq_u32_e64 s[42:43], 3, v71
	v_cndmask_b32_e64 v54, v54, v31, s[44:45]
	v_cndmask_b32_e64 v55, v55, v11, s[86:87]
	v_cndmask_b32_e64 v54, v54, v30, s[42:43]
	v_cmp_eq_u32_e64 s[38:39], 4, v71
	v_cndmask_b32_e64 v55, v55, v12, s[90:91]
	v_cmp_eq_u32_e64 s[36:37], 5, v71
	v_cndmask_b32_e64 v54, v54, v29, s[38:39]
	v_cndmask_b32_e64 v55, v55, v13, s[88:89]
	v_cndmask_b32_e64 v54, v54, v28, s[36:37]
	;; [unrolled: 6-line block ×3, first 2 shown]
	v_cmp_eq_u32_e64 s[28:29], 8, v71
	ds_bpermute_b32 v55, v87, v55
	v_cmp_eq_u32_e64 s[26:27], 9, v71
	v_cndmask_b32_e64 v54, v54, v25, s[28:29]
	v_cmp_eq_u32_e64 s[24:25], 10, v71
	v_cndmask_b32_e64 v54, v54, v24, s[26:27]
	;; [unrolled: 2-line block ×4, first 2 shown]
	s_waitcnt lgkmcnt(0)
	v_cndmask_b32_e64 v15, v15, v55, s[82:83]
	v_cndmask_b32_e64 v54, v54, v21, s[58:59]
	v_cmp_eq_u32_e64 s[82:83], 13, v71
	v_cndmask_b32_e64 v14, v14, v55, s[84:85]
	v_cmp_eq_u32_e64 s[84:85], 14, v71
	v_cndmask_b32_e64 v54, v54, v20, s[82:83]
	v_cndmask_b32_e64 v1, v1, v55, s[2:3]
	v_cndmask_b32_e64 v0, v0, v55, s[80:81]
	v_cndmask_b32_e64 v13, v13, v55, s[88:89]
	v_cndmask_b32_e64 v54, v54, v19, s[84:85]
	v_cndmask_b32_e64 v12, v12, v55, s[90:91]
	v_cmp_eq_u32_e64 s[90:91], 15, v71
	v_cndmask_b32_e64 v11, v11, v55, s[86:87]
	v_cndmask_b32_e64 v10, v10, v55, s[0:1]
	v_cndmask_b32_e32 v9, v9, v55, vcc
	v_cndmask_b32_e64 v8, v8, v55, s[4:5]
	v_cndmask_b32_e64 v7, v7, v55, s[96:97]
	;; [unrolled: 1-line block ×10, first 2 shown]
	ds_bpermute_b32 v54, v87, v54
	v_cndmask_b32_e64 v55, v55, v3, s[74:75]
	v_cndmask_b32_e64 v55, v55, v4, s[72:73]
	;; [unrolled: 1-line block ×3, first 2 shown]
	v_cmp_eq_u32_e64 s[54:55], 0, v71
	v_cndmask_b32_e64 v55, v55, v6, s[64:65]
	v_cndmask_b32_e64 v55, v55, v7, s[60:61]
	v_writelane_b32 v99, s54, 35
	s_waitcnt lgkmcnt(0)
	v_cndmask_b32_e64 v17, v17, v54, s[46:47]
	v_cndmask_b32_e64 v55, v55, v8, s[56:57]
	v_writelane_b32 v99, s55, 36
	v_cndmask_b32_e64 v16, v16, v54, s[54:55]
	v_cmp_eq_u32_e64 s[54:55], 1, v72
	v_cndmask_b32_e64 v18, v18, v54, s[90:91]
	v_cndmask_b32_e64 v19, v19, v54, s[84:85]
	;; [unrolled: 1-line block ×15, first 2 shown]
	v_cmp_eq_u32_e64 s[0:1], 2, v72
	v_cndmask_b32_e64 v55, v55, v9, s[52:53]
	v_cmp_eq_u32_e64 s[4:5], 3, v72
	v_cndmask_b32_e64 v54, v54, v31, s[0:1]
	v_cndmask_b32_e64 v55, v55, v10, s[50:51]
	v_cndmask_b32_e64 v54, v54, v30, s[4:5]
	v_cmp_eq_u32_e64 s[96:97], 4, v72
	v_cndmask_b32_e64 v55, v55, v11, s[70:71]
	v_cmp_eq_u32_e64 s[14:15], 5, v72
	v_cndmask_b32_e64 v54, v54, v29, s[96:97]
	v_cndmask_b32_e64 v55, v55, v12, s[66:67]
	v_cndmask_b32_e64 v54, v54, v28, s[14:15]
	;; [unrolled: 6-line block ×3, first 2 shown]
	v_cmp_eq_u32_e64 s[8:9], 8, v72
	v_cndmask_b32_e64 v55, v55, v15, s[94:95]
	v_cmp_eq_u32_e64 s[6:7], 9, v72
	v_cndmask_b32_e64 v54, v54, v25, s[8:9]
	ds_bpermute_b32 v55, v87, v55
	v_cndmask_b32_e64 v54, v54, v24, s[6:7]
	v_cmp_eq_u32_e32 vcc, 10, v72
	v_cmp_eq_u32_e64 s[80:81], 11, v72
	v_cmp_eq_u32_e64 s[86:87], 12, v72
	v_cndmask_b32_e32 v54, v54, v23, vcc
	v_cndmask_b32_e64 v54, v54, v22, s[80:81]
	v_cndmask_b32_e64 v54, v54, v21, s[86:87]
	v_cmp_eq_u32_e64 s[88:89], 13, v72
	s_waitcnt lgkmcnt(0)
	v_cndmask_b32_e64 v13, v13, v55, s[62:63]
	v_cmp_eq_u32_e64 s[62:63], 14, v72
	v_cndmask_b32_e64 v54, v54, v20, s[88:89]
	v_cndmask_b32_e64 v12, v12, v55, s[66:67]
	;; [unrolled: 1-line block ×3, first 2 shown]
	v_cmp_eq_u32_e64 s[66:67], 15, v72
	v_cndmask_b32_e64 v57, v11, v55, s[70:71]
	v_cmp_eq_u32_e64 s[70:71], 0, v72
	v_cndmask_b32_e64 v54, v54, v18, s[66:67]
	ds_bpermute_b32 v54, v87, v54
	v_cndmask_b32_e64 v15, v15, v55, s[94:95]
	v_cndmask_b32_e64 v14, v14, v55, s[92:93]
	;; [unrolled: 1-line block ×4, first 2 shown]
	s_waitcnt lgkmcnt(0)
	v_cndmask_b32_e64 v18, v18, v54, s[66:67]
	v_cndmask_b32_e64 v19, v19, v54, s[62:63]
	;; [unrolled: 1-line block ×5, first 2 shown]
	v_cndmask_b32_e32 v23, v23, v54, vcc
	v_cndmask_b32_e64 v24, v24, v54, s[6:7]
	v_cndmask_b32_e64 v25, v25, v54, s[8:9]
	;; [unrolled: 1-line block ×28, first 2 shown]
	v_cmp_eq_u32_e64 s[50:51], 1, v73
	v_cndmask_b32_e64 v0, v0, v54, s[24:25]
	v_cmp_eq_u32_e64 s[52:53], 2, v73
	v_cndmask_b32_e64 v10, v16, v17, s[50:51]
	v_cndmask_b32_e64 v0, v0, v57, s[40:41]
	v_cndmask_b32_e64 v9, v10, v31, s[52:53]
	v_cmp_eq_u32_e64 s[56:57], 3, v73
	v_cndmask_b32_e64 v0, v0, v12, s[58:59]
	v_cmp_eq_u32_e64 s[60:61], 4, v73
	v_cndmask_b32_e64 v8, v9, v30, s[56:57]
	v_cndmask_b32_e64 v0, v0, v13, s[82:83]
	v_cndmask_b32_e64 v7, v8, v29, s[60:61]
	;; [unrolled: 6-line block ×3, first 2 shown]
	v_cmp_eq_u32_e64 s[72:73], 7, v73
	ds_bpermute_b32 v94, v87, v0
	v_cmp_eq_u32_e64 s[74:75], 8, v73
	v_cndmask_b32_e64 v4, v5, v26, s[72:73]
	v_cmp_eq_u32_e64 s[76:77], 9, v73
	v_cndmask_b32_e64 v3, v4, v25, s[74:75]
	;; [unrolled: 2-line block ×4, first 2 shown]
	s_waitcnt lgkmcnt(0)
	v_cndmask_b32_e64 v95, v15, v94, s[90:91]
	v_cndmask_b32_e64 v0, v0, v22, s[78:79]
	v_cmp_eq_u32_e64 s[90:91], 12, v73
	v_cndmask_b32_e64 v96, v14, v94, s[84:85]
	v_cmp_eq_u32_e64 s[84:85], 13, v73
	v_cndmask_b32_e64 v0, v0, v21, s[90:91]
	v_cndmask_b32_e64 v97, v13, v94, s[82:83]
	;; [unrolled: 1-line block ×3, first 2 shown]
	v_cmp_eq_u32_e64 s[82:83], 14, v73
	v_cndmask_b32_e64 v98, v12, v94, s[58:59]
	v_cmp_eq_u32_e64 s[58:59], 15, v73
	v_cndmask_b32_e64 v0, v0, v19, s[82:83]
	v_readlane_b32 s2, v99, 35
	v_cndmask_b32_e64 v0, v0, v18, s[58:59]
	ds_bpermute_b32 v1, v87, v0
	v_readlane_b32 s3, v99, 36
	s_waitcnt lgkmcnt(0)
	v_cndmask_b32_e64 v11, v27, v1, s[68:69]
	v_cndmask_b32_e64 v12, v28, v1, s[64:65]
	;; [unrolled: 1-line block ×4, first 2 shown]
	s_mov_b64 s[2:3], s[54:55]
	v_cndmask_b32_e64 v10, v26, v1, s[72:73]
	v_cndmask_b32_e64 v13, v29, v1, s[60:61]
	;; [unrolled: 1-line block ×25, first 2 shown]
	v_cmp_eq_u32_e64 s[40:41], 0, v73
	v_cndmask_b32_e64 v19, v58, v94, s[26:27]
	v_cndmask_b32_e64 v29, v29, v20, s[8:9]
	;; [unrolled: 1-line block ×8, first 2 shown]
	v_cndmask_b32_e32 v29, v29, v16, vcc
	v_cndmask_b32_e64 v29, v29, v17, s[80:81]
	v_cndmask_b32_e64 v29, v29, v98, s[86:87]
	;; [unrolled: 1-line block ×5, first 2 shown]
	ds_bpermute_b32 v29, v87, v29
	v_cmp_eq_u32_e64 s[24:25], 1, v74
	v_cmp_eq_u32_e64 s[26:27], 2, v74
	;; [unrolled: 1-line block ×3, first 2 shown]
	v_cndmask_b32_e64 v18, v1, v0, s[24:25]
	s_waitcnt lgkmcnt(0)
	v_cndmask_b32_e64 v92, v27, v29, s[2:3]
	v_cndmask_b32_e64 v93, v28, v29, s[70:71]
	;; [unrolled: 1-line block ×18, first 2 shown]
	v_cndmask_b32_e32 v16, v16, v29, vcc
	v_cndmask_b32_e64 v19, v19, v57, s[76:77]
	v_cndmask_b32_e64 v17, v17, v29, s[80:81]
	;; [unrolled: 1-line block ×12, first 2 shown]
	ds_bpermute_b32 v94, v87, v19
	v_cndmask_b32_e64 v18, v18, v15, s[26:27]
	v_cndmask_b32_e64 v18, v18, v14, s[28:29]
	v_cmp_eq_u32_e64 s[30:31], 4, v74
	v_cmp_eq_u32_e64 s[34:35], 5, v74
	s_waitcnt lgkmcnt(0)
	v_cndmask_b32_e64 v23, v17, v94, s[78:79]
	v_cndmask_b32_e64 v24, v16, v94, s[48:49]
	;; [unrolled: 1-line block ×18, first 2 shown]
	v_cmp_eq_u32_e64 s[36:37], 6, v74
	v_cndmask_b32_e64 v28, v60, v94, s[68:69]
	v_cndmask_b32_e64 v55, v55, v29, s[34:35]
	v_cndmask_b32_e64 v18, v18, v11, s[36:37]
	v_cmp_eq_u32_e64 s[38:39], 7, v74
	v_cndmask_b32_e64 v27, v59, v94, s[72:73]
	v_cndmask_b32_e64 v55, v55, v28, s[36:37]
	v_cndmask_b32_e64 v18, v18, v10, s[38:39]
	;; [unrolled: 4-line block ×4, first 2 shown]
	v_cmp_eq_u32_e64 s[46:47], 10, v74
	v_cndmask_b32_e64 v55, v55, v25, s[44:45]
	v_cmp_eq_u32_e64 s[54:55], 11, v74
	v_cndmask_b32_e64 v18, v18, v7, s[46:47]
	v_cndmask_b32_e64 v55, v55, v24, s[46:47]
	;; [unrolled: 1-line block ×3, first 2 shown]
	v_cmp_eq_u32_e64 s[66:67], 12, v74
	v_cndmask_b32_e64 v55, v55, v23, s[54:55]
	v_cmp_eq_u32_e64 s[62:63], 13, v74
	v_cndmask_b32_e64 v18, v18, v5, s[66:67]
	v_cndmask_b32_e64 v55, v55, v22, s[66:67]
	;; [unrolled: 1-line block ×3, first 2 shown]
	v_cmp_eq_u32_e32 vcc, 14, v74
	v_cndmask_b32_e64 v55, v55, v21, s[62:63]
	v_cmp_eq_u32_e64 s[6:7], 15, v74
	v_cndmask_b32_e32 v18, v18, v3, vcc
	v_cndmask_b32_e32 v55, v55, v20, vcc
	v_cndmask_b32_e64 v18, v18, v2, s[6:7]
	v_cndmask_b32_e64 v55, v55, v19, s[6:7]
	ds_bpermute_b32 v18, v87, v18
	ds_bpermute_b32 v58, v87, v55
	v_readlane_b32 s53, v99, 32
	s_nop 1
	v_cmp_lt_i32_e32 vcc, s53, v76
	s_and_saveexec_b64 s[40:41], vcc
	v_readlane_b32 s44, v99, 2
	v_readlane_b32 s45, v99, 3
	;; [unrolled: 1-line block ×11, first 2 shown]
	s_cbranch_execz .LBB181_32
; %bb.24:                               ;   in Loop: Header=BB181_7 Depth=1
	s_mul_i32 s0, s52, s17
	s_ashr_i32 s1, s0, 31
	s_lshl_b64 s[0:1], s[0:1], 1
	s_add_u32 s2, s48, s0
	v_cmp_eq_u32_e64 s[34:35], 1, v74
	v_cmp_eq_u32_e64 s[36:37], 0, v74
	s_addc_u32 s3, s49, s1
	s_ashr_i32 s55, s54, 31
	s_waitcnt lgkmcnt(1)
	v_cndmask_b32_e64 v55, v0, v18, s[34:35]
	v_cndmask_b32_e64 v57, v1, v18, s[36:37]
	s_lshl_b64 s[0:1], s[54:55], 1
	s_waitcnt lgkmcnt(0)
	v_cndmask_b32_e64 v59, v16, v58, s[34:35]
	v_cndmask_b32_e64 v60, v17, v58, s[36:37]
	v_cvt_f16_f32_e32 v57, v57
	v_cvt_f16_f32_sdwa v55, v55 dst_sel:WORD_1 dst_unused:UNUSED_PAD src0_sel:DWORD
	s_add_u32 s42, s2, s0
	v_cvt_f16_f32_e32 v60, v60
	v_cvt_f16_f32_sdwa v59, v59 dst_sel:WORD_1 dst_unused:UNUSED_PAD src0_sel:DWORD
	s_addc_u32 s43, s3, s1
	v_lshl_add_u64 v[0:1], s[42:43], 0, v[32:33]
	v_cmp_eq_u32_e32 vcc, 15, v74
	v_cmp_eq_u32_e64 s[6:7], 14, v74
	v_cmp_eq_u32_e64 s[8:9], 13, v74
	;; [unrolled: 1-line block ×13, first 2 shown]
	v_lshl_add_u64 v[16:17], v[34:35], 1, v[0:1]
	v_or_b32_e32 v55, v55, v57
	v_cmp_lt_i32_e64 s[34:35], s53, v77
	;;#ASMSTART
	global_atomic_pk_add_f16 v[16:17], v55, off
	
	;;#ASMEND
	v_lshl_add_u64 v[16:17], v[16:17], 0, 64
	v_or_b32_e32 v55, v59, v60
	;;#ASMSTART
	global_atomic_pk_add_f16 v[16:17], v55, off
	
	;;#ASMEND
	s_and_b64 exec, exec, s[34:35]
	s_cbranch_execz .LBB181_32
; %bb.25:                               ;   in Loop: Header=BB181_7 Depth=1
	v_cndmask_b32_e32 v2, v2, v18, vcc
	v_cndmask_b32_e64 v3, v3, v18, s[6:7]
	v_cndmask_b32_e64 v16, v4, v18, s[8:9]
	;; [unrolled: 1-line block ×19, first 2 shown]
	v_cvt_f16_f32_e32 v22, v18
	v_cvt_f16_f32_sdwa v23, v92 dst_sel:WORD_1 dst_unused:UNUSED_PAD src0_sel:DWORD
	v_cvt_f16_f32_e32 v21, v21
	v_cvt_f16_f32_sdwa v20, v20 dst_sel:WORD_1 dst_unused:UNUSED_PAD src0_sel:DWORD
	v_cndmask_b32_e32 v4, v19, v58, vcc
	v_cndmask_b32_e64 v9, v24, v58, s[14:15]
	v_cndmask_b32_e64 v10, v25, v58, s[0:1]
	;; [unrolled: 1-line block ×7, first 2 shown]
	v_lshl_add_u64 v[18:19], v[36:37], 1, v[0:1]
	v_cmp_lt_i32_e32 vcc, s53, v78
	v_or_b32_e32 v22, v23, v22
	;;#ASMSTART
	global_atomic_pk_add_f16 v[18:19], v22, off
	
	;;#ASMEND
	v_lshl_add_u64 v[18:19], v[18:19], 0, 64
	v_or_b32_e32 v20, v20, v21
	;;#ASMSTART
	global_atomic_pk_add_f16 v[18:19], v20, off
	
	;;#ASMEND
	s_and_b64 exec, exec, vcc
	s_cbranch_execz .LBB181_32
; %bb.26:                               ;   in Loop: Header=BB181_7 Depth=1
	v_cvt_f16_f32_e32 v20, v91
	v_cvt_f16_f32_sdwa v21, v90 dst_sel:WORD_1 dst_unused:UNUSED_PAD src0_sel:DWORD
	v_cvt_f16_f32_e32 v22, v15
	v_cvt_f16_f32_sdwa v23, v14 dst_sel:WORD_1 dst_unused:UNUSED_PAD src0_sel:DWORD
	v_lshl_add_u64 v[18:19], v[38:39], 1, v[0:1]
	v_or_b32_e32 v14, v21, v20
	v_cmp_lt_i32_e32 vcc, s53, v79
	;;#ASMSTART
	global_atomic_pk_add_f16 v[18:19], v14, off
	
	;;#ASMEND
	v_lshl_add_u64 v[14:15], v[18:19], 0, 64
	v_or_b32_e32 v18, v23, v22
	;;#ASMSTART
	global_atomic_pk_add_f16 v[14:15], v18, off
	
	;;#ASMEND
	s_and_b64 exec, exec, vcc
	s_cbranch_execz .LBB181_32
; %bb.27:                               ;   in Loop: Header=BB181_7 Depth=1
	v_cvt_f16_f32_e32 v18, v89
	v_cvt_f16_f32_sdwa v19, v61 dst_sel:WORD_1 dst_unused:UNUSED_PAD src0_sel:DWORD
	v_cvt_f16_f32_e32 v20, v13
	v_cvt_f16_f32_sdwa v21, v12 dst_sel:WORD_1 dst_unused:UNUSED_PAD src0_sel:DWORD
	v_lshl_add_u64 v[14:15], v[40:41], 1, v[0:1]
	v_or_b32_e32 v12, v19, v18
	v_cmp_lt_i32_e32 vcc, s53, v80
	;; [unrolled: 20-line block ×5, first 2 shown]
	;;#ASMSTART
	global_atomic_pk_add_f16 v[8:9], v6, off
	
	;;#ASMEND
	v_lshl_add_u64 v[6:7], v[8:9], 0, 64
	v_or_b32_e32 v8, v13, v12
	;;#ASMSTART
	global_atomic_pk_add_f16 v[6:7], v8, off
	
	;;#ASMEND
	s_and_b64 exec, exec, vcc
	s_cbranch_execz .LBB181_32
; %bb.31:                               ;   in Loop: Header=BB181_7 Depth=1
	v_cvt_f16_f32_e32 v3, v3
	v_cvt_f16_f32_sdwa v2, v2 dst_sel:WORD_1 dst_unused:UNUSED_PAD src0_sel:DWORD
	v_cvt_f16_f32_e32 v5, v5
	v_cvt_f16_f32_sdwa v4, v4 dst_sel:WORD_1 dst_unused:UNUSED_PAD src0_sel:DWORD
	v_lshl_add_u64 v[0:1], v[48:49], 1, v[0:1]
	v_or_b32_e32 v2, v2, v3
	;;#ASMSTART
	global_atomic_pk_add_f16 v[0:1], v2, off
	
	;;#ASMEND
	v_lshl_add_u64 v[0:1], v[0:1], 0, 64
	v_or_b32_e32 v2, v4, v5
	;;#ASMSTART
	global_atomic_pk_add_f16 v[0:1], v2, off
	
	;;#ASMEND
.LBB181_32:                             ;   in Loop: Header=BB181_7 Depth=1
	s_or_b64 exec, exec, s[40:41]
	v_readlane_b32 s14, v99, 10
	v_readlane_b32 s24, v99, 12
	;; [unrolled: 1-line block ×6, first 2 shown]
	v_subrev_u32_e32 v88, s99, v88
	v_readlane_b32 s11, v99, 0
	v_readlane_b32 s12, v99, 1
	v_readlane_b32 s15, v99, 11
	v_readlane_b32 s25, v99, 13
	v_readlane_b32 s13, v99, 14
	v_readlane_b32 s26, v99, 15
	v_readlane_b32 s27, v99, 16
	v_readlane_b32 s29, v99, 18
	v_readlane_b32 s30, v99, 19
	v_readlane_b32 s31, v99, 20
	v_readlane_b32 s34, v99, 21
	v_readlane_b32 s35, v99, 22
	v_readlane_b32 s36, v99, 23
	v_readlane_b32 s37, v99, 33
	v_readlane_b32 s39, v99, 31
	v_readlane_b32 s5, v99, 27
	v_readlane_b32 s3, v99, 25
.LBB181_33:                             ;   in Loop: Header=BB181_7 Depth=1
	s_or_b64 exec, exec, s[2:3]
.LBB181_34:                             ;   in Loop: Header=BB181_7 Depth=1
	s_andn2_saveexec_b64 s[0:1], s[4:5]
	s_cbranch_execz .LBB181_43
; %bb.35:                               ;   in Loop: Header=BB181_7 Depth=1
	s_lshl_b32 s10, s99, 1
	v_cmp_gt_i32_e32 vcc, s10, v88
	s_and_saveexec_b64 s[2:3], vcc
	s_cbranch_execz .LBB181_42
; %bb.36:                               ;   in Loop: Header=BB181_7 Depth=1
	s_mul_i32 s4, s54, s19
	s_ashr_i32 s5, s4, 31
	s_add_u32 s4, s46, s4
	s_addc_u32 s5, s47, s5
	s_ashr_i32 s6, s37, 31
	s_add_u32 s4, s4, s37
	s_addc_u32 s5, s5, s6
	v_lshl_add_u64 v[0:1], s[4:5], 0, v[52:53]
	v_lshl_add_u64 v[8:9], v[0:1], 0, v[50:51]
	s_mov_b64 s[4:5], 0
	s_branch .LBB181_38
.LBB181_37:                             ;   in Loop: Header=BB181_38 Depth=2
	s_or_b64 exec, exec, s[6:7]
	v_lshl_add_u32 v12, v10, 11, v84
	;;#ASMSTART
	s_waitcnt vmcnt(1)
	;;#ASMEND
	ds_write2_b32 v12, v4, v5 offset1:32
	ds_write2_b32 v12, v6, v7 offset0:64 offset1:96
	v_add_u32_e32 v4, 0x400, v12
	v_add_u32_e32 v88, s22, v88
	;;#ASMSTART
	s_waitcnt vmcnt(0)
	;;#ASMEND
	ds_write2_b32 v4, v0, v1 offset1:32
	ds_write2_b32 v4, v2, v3 offset0:64 offset1:96
	v_add_u32_e32 v0, 1, v63
	v_add_u32_e32 v56, s22, v10
	v_cmp_le_i32_e32 vcc, s10, v88
	ds_write_b32 v11, v0 offset:40
	v_add_u32_e32 v0, 2, v63
	s_or_b64 s[4:5], vcc, s[4:5]
	v_cmp_lt_i32_e32 vcc, 9, v56
	s_nop 1
	v_cndmask_b32_e32 v63, v63, v0, vcc
	s_andn2_b64 exec, exec, s[4:5]
	s_cbranch_execz .LBB181_41
.LBB181_38:                             ;   Parent Loop BB181_7 Depth=1
                                        ; =>  This Loop Header: Depth=2
                                        ;       Child Loop BB181_40 Depth 3
	v_cmp_gt_i32_e32 vcc, 10, v56
	s_nop 1
	v_cndmask_b32_e64 v0, -10, 0, vcc
	v_add_u32_e32 v10, v0, v56
	v_lshrrev_b32_e32 v0, 31, v88
	v_add_u32_e32 v0, v88, v0
	v_and_b32_e32 v1, -2, v0
	v_lshlrev_b32_e32 v0, 5, v0
	v_sub_u32_e32 v2, v88, v1
	v_and_b32_e32 v0, 0xffffffc0, v0
	v_ashrrev_i32_e32 v1, 31, v0
	v_mul_lo_u32 v2, s30, v2
	v_lshl_add_u64 v[0:1], v[8:9], 0, v[0:1]
	v_ashrrev_i32_e32 v3, 31, v2
	v_lshl_add_u64 v[0:1], v[0:1], 0, v[2:3]
	v_lshlrev_b32_e32 v11, 2, v10
	;;#ASMSTART
	global_load_dwordx4 v[4:7], v[0:1], off offset:0   sc0 sc1 nt  
	global_load_dwordx4 v[0:3], v[0:1], off offset:32  sc0 sc1 nt  
	
	;;#ASMEND
	ds_read_b32 v12, v11 offset:41000
	v_add_u32_e32 v11, 0xa000, v11
	s_waitcnt lgkmcnt(0)
	v_cmp_ne_u32_e32 vcc, v12, v63
	s_and_saveexec_b64 s[6:7], vcc
	s_cbranch_execz .LBB181_37
; %bb.39:                               ;   in Loop: Header=BB181_38 Depth=2
	s_mov_b64 s[8:9], 0
.LBB181_40:                             ;   Parent Loop BB181_7 Depth=1
                                        ;     Parent Loop BB181_38 Depth=2
                                        ; =>    This Inner Loop Header: Depth=3
	;;#ASMSTART
	s_sleep 0
	;;#ASMEND
	ds_read_b32 v12, v11 offset:40
	s_waitcnt lgkmcnt(0)
	v_cmp_eq_u32_e32 vcc, v12, v63
	s_or_b64 s[8:9], vcc, s[8:9]
	s_andn2_b64 exec, exec, s[8:9]
	s_cbranch_execnz .LBB181_40
	s_branch .LBB181_37
.LBB181_41:                             ;   in Loop: Header=BB181_7 Depth=1
	s_or_b64 exec, exec, s[4:5]
.LBB181_42:                             ;   in Loop: Header=BB181_7 Depth=1
	s_or_b64 exec, exec, s[2:3]
	v_subrev_u32_e32 v88, s10, v88
.LBB181_43:                             ;   in Loop: Header=BB181_7 Depth=1
	s_or_b64 exec, exec, s[0:1]
.LBB181_44:                             ;   in Loop: Header=BB181_7 Depth=1
	s_andn2_saveexec_b64 s[0:1], s[38:39]
	s_cbranch_execz .LBB181_6
; %bb.45:                               ;   in Loop: Header=BB181_7 Depth=1
	s_lshl_b32 s10, s99, 1
	v_cmp_gt_i32_e32 vcc, s10, v88
	s_and_saveexec_b64 s[2:3], vcc
	s_cbranch_execz .LBB181_5
; %bb.46:                               ;   in Loop: Header=BB181_7 Depth=1
	s_mul_i32 s4, s52, s18
	s_max_i32 s6, s53, 0
	s_ashr_i32 s5, s4, 31
	s_add_u32 s4, s44, s4
	v_add_u32_e32 v2, s6, v64
	s_addc_u32 s5, s45, s5
	s_ashr_i32 s7, s37, 31
	v_cmp_gt_u32_e32 vcc, 64, v2
	s_add_u32 s4, s4, s37
	s_addc_u32 s5, s5, s7
	v_cndmask_b32_e32 v0, 0, v85, vcc
	v_ashrrev_i32_e32 v1, 31, v0
	v_lshl_add_u64 v[0:1], s[4:5], 0, v[0:1]
	v_lshl_add_u64 v[8:9], v[0:1], 0, v[50:51]
	v_sub_u32_e32 v10, 63, v2
	s_mov_b64 s[4:5], 0
	s_branch .LBB181_48
.LBB181_47:                             ;   in Loop: Header=BB181_48 Depth=2
	s_or_b64 exec, exec, s[6:7]
	v_lshl_or_b32 v13, v11, 11, v86
	;;#ASMSTART
	s_waitcnt vmcnt(1)
	;;#ASMEND
	ds_write2_b32 v13, v4, v5 offset1:32
	ds_write2_b32 v13, v6, v7 offset0:64 offset1:96
	v_add_u32_e32 v4, 0x400, v13
	v_add_u32_e32 v88, s21, v88
	;;#ASMSTART
	s_waitcnt vmcnt(0)
	;;#ASMEND
	ds_write2_b32 v4, v0, v1 offset1:32
	ds_write2_b32 v4, v2, v3 offset0:64 offset1:96
	v_add_u32_e32 v0, 1, v63
	v_add_u32_e32 v56, s21, v11
	v_cmp_le_i32_e32 vcc, s10, v88
	ds_write_b32 v12, v0
	v_add_u32_e32 v0, 2, v63
	s_or_b64 s[4:5], vcc, s[4:5]
	v_cmp_lt_i32_e32 vcc, 9, v56
	s_nop 1
	v_cndmask_b32_e32 v63, v63, v0, vcc
	s_andn2_b64 exec, exec, s[4:5]
	s_cbranch_execz .LBB181_4
.LBB181_48:                             ;   Parent Loop BB181_7 Depth=1
                                        ; =>  This Loop Header: Depth=2
                                        ;       Child Loop BB181_50 Depth 3
	v_cmp_gt_i32_e32 vcc, 10, v56
	s_nop 1
	v_cndmask_b32_e64 v0, -10, 0, vcc
	v_add_u32_e32 v11, v0, v56
	v_lshrrev_b32_e32 v0, 31, v88
	v_add_u32_e32 v0, v88, v0
	v_and_b32_e32 v1, 0x7fffffe, v0
	v_sub_u32_e32 v1, v88, v1
	v_lshlrev_b32_e32 v1, 5, v1
	v_cmp_le_i32_e32 vcc, v1, v10
	v_lshlrev_b32_e32 v0, 5, v0
	v_and_b32_e32 v0, 0xffffffc0, v0
	v_cndmask_b32_e32 v2, 0, v1, vcc
	v_ashrrev_i32_e32 v1, 31, v0
	v_mul_lo_u32 v2, v2, s18
	v_lshl_add_u64 v[0:1], v[8:9], 0, v[0:1]
	v_ashrrev_i32_e32 v3, 31, v2
	v_lshl_add_u64 v[0:1], v[0:1], 0, v[2:3]
	v_lshlrev_b32_e32 v12, 2, v11
	;;#ASMSTART
	global_load_dwordx4 v[4:7], v[0:1], off offset:0   
	global_load_dwordx4 v[0:3], v[0:1], off offset:32  
	
	;;#ASMEND
	ds_read_b32 v13, v12 offset:40960
	v_add_u32_e32 v12, 0xa000, v12
	s_waitcnt lgkmcnt(0)
	v_cmp_ne_u32_e32 vcc, v13, v63
	s_and_saveexec_b64 s[6:7], vcc
	s_cbranch_execz .LBB181_47
; %bb.49:                               ;   in Loop: Header=BB181_48 Depth=2
	s_mov_b64 s[8:9], 0
.LBB181_50:                             ;   Parent Loop BB181_7 Depth=1
                                        ;     Parent Loop BB181_48 Depth=2
                                        ; =>    This Inner Loop Header: Depth=3
	;;#ASMSTART
	s_sleep 0
	;;#ASMEND
	ds_read_b32 v13, v12
	s_waitcnt lgkmcnt(0)
	v_cmp_eq_u32_e32 vcc, v13, v63
	s_or_b64 s[8:9], vcc, s[8:9]
	s_andn2_b64 exec, exec, s[8:9]
	s_cbranch_execnz .LBB181_50
	s_branch .LBB181_47
.LBB181_51:
	s_endpgm
	.section	.rodata,"a",@progbits
	.p2align	6, 0x0
	.amdhsa_kernel _Z19_skinny_gemm_kernelILi2ELi2ELi5ELi32ELi4EEvPKhS1_P6__halfPKfiiiiiiii
		.amdhsa_group_segment_fixed_size 41040
		.amdhsa_private_segment_fixed_size 0
		.amdhsa_kernarg_size 64
		.amdhsa_user_sgpr_count 2
		.amdhsa_user_sgpr_dispatch_ptr 0
		.amdhsa_user_sgpr_queue_ptr 0
		.amdhsa_user_sgpr_kernarg_segment_ptr 1
		.amdhsa_user_sgpr_dispatch_id 0
		.amdhsa_user_sgpr_kernarg_preload_length 0
		.amdhsa_user_sgpr_kernarg_preload_offset 0
		.amdhsa_user_sgpr_private_segment_size 0
		.amdhsa_uses_dynamic_stack 0
		.amdhsa_enable_private_segment 0
		.amdhsa_system_sgpr_workgroup_id_x 1
		.amdhsa_system_sgpr_workgroup_id_y 0
		.amdhsa_system_sgpr_workgroup_id_z 0
		.amdhsa_system_sgpr_workgroup_info 0
		.amdhsa_system_vgpr_workitem_id 0
		.amdhsa_next_free_vgpr 100
		.amdhsa_next_free_sgpr 100
		.amdhsa_accum_offset 100
		.amdhsa_reserve_vcc 1
		.amdhsa_float_round_mode_32 0
		.amdhsa_float_round_mode_16_64 0
		.amdhsa_float_denorm_mode_32 3
		.amdhsa_float_denorm_mode_16_64 3
		.amdhsa_dx10_clamp 1
		.amdhsa_ieee_mode 1
		.amdhsa_fp16_overflow 0
		.amdhsa_tg_split 0
		.amdhsa_exception_fp_ieee_invalid_op 0
		.amdhsa_exception_fp_denorm_src 0
		.amdhsa_exception_fp_ieee_div_zero 0
		.amdhsa_exception_fp_ieee_overflow 0
		.amdhsa_exception_fp_ieee_underflow 0
		.amdhsa_exception_fp_ieee_inexact 0
		.amdhsa_exception_int_div_zero 0
	.end_amdhsa_kernel
	.section	.text._Z19_skinny_gemm_kernelILi2ELi2ELi5ELi32ELi4EEvPKhS1_P6__halfPKfiiiiiiii,"axG",@progbits,_Z19_skinny_gemm_kernelILi2ELi2ELi5ELi32ELi4EEvPKhS1_P6__halfPKfiiiiiiii,comdat
.Lfunc_end181:
	.size	_Z19_skinny_gemm_kernelILi2ELi2ELi5ELi32ELi4EEvPKhS1_P6__halfPKfiiiiiiii, .Lfunc_end181-_Z19_skinny_gemm_kernelILi2ELi2ELi5ELi32ELi4EEvPKhS1_P6__halfPKfiiiiiiii
                                        ; -- End function
	.set _Z19_skinny_gemm_kernelILi2ELi2ELi5ELi32ELi4EEvPKhS1_P6__halfPKfiiiiiiii.num_vgpr, 100
	.set _Z19_skinny_gemm_kernelILi2ELi2ELi5ELi32ELi4EEvPKhS1_P6__halfPKfiiiiiiii.num_agpr, 0
	.set _Z19_skinny_gemm_kernelILi2ELi2ELi5ELi32ELi4EEvPKhS1_P6__halfPKfiiiiiiii.numbered_sgpr, 100
	.set _Z19_skinny_gemm_kernelILi2ELi2ELi5ELi32ELi4EEvPKhS1_P6__halfPKfiiiiiiii.num_named_barrier, 0
	.set _Z19_skinny_gemm_kernelILi2ELi2ELi5ELi32ELi4EEvPKhS1_P6__halfPKfiiiiiiii.private_seg_size, 0
	.set _Z19_skinny_gemm_kernelILi2ELi2ELi5ELi32ELi4EEvPKhS1_P6__halfPKfiiiiiiii.uses_vcc, 1
	.set _Z19_skinny_gemm_kernelILi2ELi2ELi5ELi32ELi4EEvPKhS1_P6__halfPKfiiiiiiii.uses_flat_scratch, 0
	.set _Z19_skinny_gemm_kernelILi2ELi2ELi5ELi32ELi4EEvPKhS1_P6__halfPKfiiiiiiii.has_dyn_sized_stack, 0
	.set _Z19_skinny_gemm_kernelILi2ELi2ELi5ELi32ELi4EEvPKhS1_P6__halfPKfiiiiiiii.has_recursion, 0
	.set _Z19_skinny_gemm_kernelILi2ELi2ELi5ELi32ELi4EEvPKhS1_P6__halfPKfiiiiiiii.has_indirect_call, 0
	.section	.AMDGPU.csdata,"",@progbits
; Kernel info:
; codeLenInByte = 9648
; TotalNumSgprs: 106
; NumVgprs: 100
; NumAgprs: 0
; TotalNumVgprs: 100
; ScratchSize: 0
; MemoryBound: 0
; FloatMode: 240
; IeeeMode: 1
; LDSByteSize: 41040 bytes/workgroup (compile time only)
; SGPRBlocks: 13
; VGPRBlocks: 12
; NumSGPRsForWavesPerEU: 106
; NumVGPRsForWavesPerEU: 100
; AccumOffset: 100
; Occupancy: 4
; WaveLimiterHint : 0
; COMPUTE_PGM_RSRC2:SCRATCH_EN: 0
; COMPUTE_PGM_RSRC2:USER_SGPR: 2
; COMPUTE_PGM_RSRC2:TRAP_HANDLER: 0
; COMPUTE_PGM_RSRC2:TGID_X_EN: 1
; COMPUTE_PGM_RSRC2:TGID_Y_EN: 0
; COMPUTE_PGM_RSRC2:TGID_Z_EN: 0
; COMPUTE_PGM_RSRC2:TIDIG_COMP_CNT: 0
; COMPUTE_PGM_RSRC3_GFX90A:ACCUM_OFFSET: 24
; COMPUTE_PGM_RSRC3_GFX90A:TG_SPLIT: 0
	.section	.text._Z19_skinny_gemm_kernelILi2ELi2ELi6ELi16ELi4EEvPKhS1_P6__halfPKfiiiiiiii,"axG",@progbits,_Z19_skinny_gemm_kernelILi2ELi2ELi6ELi16ELi4EEvPKhS1_P6__halfPKfiiiiiiii,comdat
	.protected	_Z19_skinny_gemm_kernelILi2ELi2ELi6ELi16ELi4EEvPKhS1_P6__halfPKfiiiiiiii ; -- Begin function _Z19_skinny_gemm_kernelILi2ELi2ELi6ELi16ELi4EEvPKhS1_P6__halfPKfiiiiiiii
	.globl	_Z19_skinny_gemm_kernelILi2ELi2ELi6ELi16ELi4EEvPKhS1_P6__halfPKfiiiiiiii
	.p2align	8
	.type	_Z19_skinny_gemm_kernelILi2ELi2ELi6ELi16ELi4EEvPKhS1_P6__halfPKfiiiiiiii,@function
_Z19_skinny_gemm_kernelILi2ELi2ELi6ELi16ELi4EEvPKhS1_P6__halfPKfiiiiiiii: ; @_Z19_skinny_gemm_kernelILi2ELi2ELi6ELi16ELi4EEvPKhS1_P6__halfPKfiiiiiiii
; %bb.0:
	v_cmp_gt_u32_e32 vcc, 24, v0
	v_lshlrev_b32_e32 v1, 2, v0
	s_and_saveexec_b64 s[4:5], vcc
; %bb.1:
	v_mov_b32_e32 v2, 0
	ds_write_b32 v1, v2 offset:49152
; %bb.2:
	s_or_b64 exec, exec, s[4:5]
	s_load_dwordx8 s[16:23], s[0:1], 0x20
	s_waitcnt lgkmcnt(0)
	s_barrier
	s_add_i32 s3, s16, 31
	s_ashr_i32 s5, s3, 31
	s_add_i32 s4, s17, 31
	s_lshr_b32 s5, s5, 27
	s_ashr_i32 s6, s4, 31
	s_add_i32 s3, s3, s5
	s_ashr_i32 s33, s3, 5
	s_lshr_b32 s3, s6, 27
	s_add_i32 s4, s4, s3
	s_ashr_i32 s48, s4, 5
	s_mul_i32 s3, s48, s33
	s_mul_i32 s3, s3, s20
	s_add_i32 s4, s3, 0x12f
	s_mul_hi_i32 s4, s4, 0x6bca1af3
	s_lshr_b32 s5, s4, 31
	s_ashr_i32 s4, s4, 7
	s_add_i32 s4, s4, s5
	s_add_i32 s5, s2, 1
	s_mul_i32 s5, s4, s5
	v_cvt_f64_i32_e32 v[2:3], s3
	v_cvt_f64_u32_e32 v[4:5], s5
	v_min_f64 v[2:3], v[2:3], v[4:5]
	v_cvt_i32_f64_e32 v17, v[2:3]
	s_mul_i32 s49, s4, s2
	v_cmp_ge_i32_e32 vcc, s49, v17
	s_cbranch_vccnz .LBB182_50
; %bb.3:
	v_lshrrev_b32_e32 v2, 6, v0
	s_add_i32 s4, s22, s21
	s_load_dwordx8 s[24:31], s[0:1], 0x0
	v_cmp_le_i32_e64 s[0:1], s4, v2
	v_mov_b32_e32 v3, s21
	v_cmp_le_i32_e64 s[2:3], s21, v2
	v_mov_b32_e32 v4, s22
	v_cndmask_b32_e64 v4, 0, v4, s[0:1]
	v_cndmask_b32_e64 v3, 0, v3, s[2:3]
	s_abs_i32 s5, s20
	v_add_u32_e32 v3, v3, v4
	v_cvt_f32_u32_e32 v4, s5
	v_sub_u32_e32 v28, v2, v3
	s_ashr_i32 s6, s18, 31
	s_lshr_b32 s6, s6, 25
	v_rcp_iflag_f32_e32 v3, v4
	s_sub_i32 s9, 0, s5
	s_add_i32 s6, s18, s6
	s_ashr_i32 s6, s6, 7
	v_mul_f32_e32 v3, 0x4f7ffffe, v3
	v_cvt_u32_f32_e32 v3, v3
	s_abs_i32 s8, s6
	s_xor_b32 s7, s6, s20
	s_ashr_i32 s7, s7, 31
	v_readfirstlane_b32 s10, v3
	s_mul_i32 s9, s9, s10
	s_mul_hi_u32 s9, s10, s9
	s_add_i32 s10, s10, s9
	s_mul_hi_u32 s9, s8, s10
	s_mul_i32 s10, s9, s5
	s_sub_i32 s8, s8, s10
	s_add_i32 s10, s9, 1
	s_sub_i32 s11, s8, s5
	s_cmp_ge_u32 s8, s5
	s_cselect_b32 s9, s10, s9
	s_cselect_b32 s8, s11, s8
	s_add_i32 s10, s9, 1
	s_cmp_ge_u32 s8, s5
	s_cselect_b32 s5, s10, s9
	s_xor_b32 s5, s5, s7
	s_sub_i32 s50, s5, s7
	s_add_i32 s20, s20, -1
	s_mul_i32 s5, s50, s20
	s_add_i32 s4, s4, s23
	s_sub_i32 s51, s6, s5
	v_cmp_gt_i32_e64 s[4:5], s4, v2
	v_lshlrev_b32_e32 v2, 1, v0
	v_lshlrev_b32_e32 v3, 4, v0
	s_abs_i32 s52, s33
	v_and_b32_e32 v1, 60, v1
	v_and_b32_e32 v2, 64, v2
	;; [unrolled: 1-line block ×4, first 2 shown]
	v_cvt_f32_u32_e32 v3, s52
	v_or3_b32 v47, v1, v2, v4
	v_and_b32_e32 v1, 1, v0
	v_lshlrev_b32_e32 v2, 1, v1
	v_lshrrev_b32_e32 v4, 2, v0
	v_and_b32_e32 v16, 14, v0
	v_sub_u32_e32 v2, v0, v2
	v_bitop3_b32 v48, v0, 1, v0 bitop3:0xc
	v_bitop3_b32 v49, v0, 3, 1 bitop3:0x6c
	v_and_or_b32 v50, v4, 12, v1
	v_bfe_u32 v51, v0, 2, 4
	v_and_b32_e32 v1, 60, v0
	v_lshlrev_b32_e32 v4, 8, v0
	v_lshlrev_b32_e32 v0, 6, v0
	v_and_b32_e32 v4, 0x200, v4
	v_rcp_iflag_f32_e32 v3, v3
	v_and_b32_e32 v0, 64, v0
	s_abs_i32 s54, s48
	v_or3_b32 v52, v1, v4, v0
	v_cvt_f32_u32_e32 v1, s54
	v_mul_f32_e32 v0, 0x4f7ffffe, v3
	v_cvt_u32_f32_e32 v0, v0
	v_mad_u64_u32 v[18:19], s[6:7], s17, v50, v[16:17]
	v_rcp_iflag_f32_e32 v1, v1
	v_readfirstlane_b32 s7, v0
	s_sub_i32 s6, 0, s52
	s_mul_i32 s6, s6, s7
	v_mul_f32_e32 v0, 0x4f7ffffe, v1
	v_cvt_u32_f32_e32 v0, v0
	s_mul_hi_u32 s6, s7, s6
	v_add_u32_e32 v2, 1, v2
	s_add_i32 s56, s7, s6
	s_sub_i32 s6, 0, s54
	v_readfirstlane_b32 s7, v0
	v_mbcnt_lo_u32_b32 v0, -1, 0
	v_and_b32_e32 v2, 63, v2
	s_mul_i32 s6, s6, s7
	v_mbcnt_hi_u32_b32 v0, -1, v0
	v_lshl_add_u32 v20, s17, 4, v18
	v_mul_lo_u32 v24, s19, v51
	s_mul_hi_u32 s6, s7, s6
	v_and_or_b32 v0, v0, 64, v2
	v_cndmask_b32_e64 v46, 0, 1, s[0:1]
	s_ashr_i32 s35, s17, 31
	s_mov_b32 s34, s17
	v_ashrrev_i32_e32 v19, 31, v18
	v_ashrrev_i32_e32 v21, 31, v20
	;; [unrolled: 1-line block ×3, first 2 shown]
	v_mov_b32_e32 v23, 0
	s_lshl_b32 s53, s19, 4
	s_ashr_i32 s55, s33, 31
	s_ashr_i32 s57, s48, 31
	s_add_i32 s58, s7, s6
	v_lshlrev_b32_e32 v53, 2, v0
	v_mov_b32_e32 v54, v28
	s_branch .LBB182_7
.LBB182_4:                              ;   in Loop: Header=BB182_7 Depth=1
	s_or_b64 exec, exec, s[10:11]
.LBB182_5:                              ;   in Loop: Header=BB182_7 Depth=1
	s_or_b64 exec, exec, s[8:9]
	v_subrev_u32_e32 v54, s36, v54
.LBB182_6:                              ;   in Loop: Header=BB182_7 Depth=1
	s_or_b64 exec, exec, s[6:7]
	s_add_i32 s49, s49, 1
	v_cmp_ge_i32_e32 vcc, s49, v17
	s_cbranch_vccnz .LBB182_50
.LBB182_7:                              ; =>This Loop Header: Depth=1
                                        ;     Child Loop BB182_13 Depth 2
                                        ;       Child Loop BB182_15 Depth 3
                                        ;       Child Loop BB182_18 Depth 3
	;; [unrolled: 1-line block ×4, first 2 shown]
                                        ;     Child Loop BB182_37 Depth 2
                                        ;       Child Loop BB182_39 Depth 3
                                        ;     Child Loop BB182_47 Depth 2
                                        ;       Child Loop BB182_49 Depth 3
	s_abs_i32 s7, s49
	s_mul_hi_u32 s8, s7, s56
	s_mul_i32 s9, s8, s52
	s_ashr_i32 s6, s49, 31
	s_sub_i32 s7, s7, s9
	s_xor_b32 s6, s6, s55
	s_add_i32 s9, s8, 1
	s_sub_i32 s10, s7, s52
	s_cmp_ge_u32 s7, s52
	s_cselect_b32 s8, s9, s8
	s_cselect_b32 s7, s10, s7
	s_add_i32 s9, s8, 1
	s_cmp_ge_u32 s7, s52
	s_cselect_b32 s7, s9, s8
	s_xor_b32 s7, s7, s6
	s_sub_i32 s6, s7, s6
	s_abs_i32 s8, s6
	s_mul_i32 s7, s6, s33
	s_mul_hi_u32 s9, s8, s58
	s_sub_i32 s7, s49, s7
	s_mul_i32 s10, s9, s54
	s_lshl_b32 s59, s7, 5
	s_ashr_i32 s7, s6, 31
	s_sub_i32 s8, s8, s10
	s_xor_b32 s7, s7, s57
	s_add_i32 s10, s9, 1
	s_sub_i32 s11, s8, s54
	s_cmp_ge_u32 s8, s54
	s_cselect_b32 s9, s10, s9
	s_cselect_b32 s8, s11, s8
	s_add_i32 s10, s9, 1
	s_cmp_ge_u32 s8, s54
	s_cselect_b32 s8, s10, s9
	s_xor_b32 s8, s8, s7
	s_sub_i32 s7, s8, s7
	s_mul_i32 s8, s7, s50
	s_lshl_b32 s60, s8, 7
	s_cmp_eq_u32 s7, s20
	s_cselect_b32 s62, s51, s50
	s_sub_i32 s8, s59, s16
	s_add_i32 s8, s8, 32
	s_max_i32 s61, s8, 0
	s_and_saveexec_b64 s[8:9], s[2:3]
	s_xor_b64 s[36:37], exec, s[8:9]
	s_cbranch_execz .LBB182_43
; %bb.8:                                ;   in Loop: Header=BB182_7 Depth=1
	s_mul_i32 s7, s7, s48
	s_sub_i32 s6, s6, s7
	s_lshl_b32 s6, s6, 5
	s_sub_i32 s14, s6, s17
	s_add_i32 s14, s14, 32
	s_max_i32 s7, s14, 0
	s_sub_i32 s38, s6, s7
	s_and_saveexec_b64 s[6:7], s[0:1]
	s_xor_b64 s[40:41], exec, s[6:7]
	s_cbranch_execz .LBB182_33
; %bb.9:                                ;   in Loop: Header=BB182_7 Depth=1
	s_and_saveexec_b64 s[42:43], s[4:5]
	s_cbranch_execz .LBB182_32
; %bb.10:                               ;   in Loop: Header=BB182_7 Depth=1
	s_waitcnt lgkmcnt(0)
	global_load_dword v55, v23, s[30:31]
	v_mov_b32_e32 v15, 0
	v_cmp_gt_i32_e32 vcc, s62, v54
	v_mov_b32_e32 v14, v15
	v_mov_b32_e32 v13, v15
	;; [unrolled: 1-line block ×15, first 2 shown]
	s_and_saveexec_b64 s[6:7], vcc
	s_cbranch_execz .LBB182_26
; %bb.11:                               ;   in Loop: Header=BB182_7 Depth=1
	v_mov_b32_e32 v0, 0
	s_mov_b64 s[8:9], 0
	v_mov_b32_e32 v1, v0
	v_mov_b32_e32 v2, v0
	;; [unrolled: 1-line block ×15, first 2 shown]
	s_branch .LBB182_13
.LBB182_12:                             ;   in Loop: Header=BB182_13 Depth=2
	s_or_b64 exec, exec, s[10:11]
	v_add_u32_e32 v34, 0x800, v58
	ds_read2_b32 v[28:29], v34 offset1:32
	v_add_u32_e32 v58, 0xc00, v58
	v_add_u32_e32 v54, s23, v54
	s_waitcnt lgkmcnt(0)
	v_mfma_f32_16x16x32_fp8_fp8 v[8:11], v[26:27], v[28:29], v[8:11]
	ds_read2_b32 v[26:27], v34 offset0:128 offset1:160
	ds_read2_b32 v[34:35], v58 offset1:32
	v_mfma_f32_16x16x32_fp8_fp8 v[0:3], v[42:43], v[28:29], v[0:3]
	v_add_u32_e32 v28, s23, v56
	v_cmp_lt_i32_e32 vcc, 5, v28
	s_waitcnt lgkmcnt(1)
	v_mfma_f32_16x16x32_fp8_fp8 v[8:11], v[36:37], v[26:27], v[8:11]
	ds_read2_b32 v[36:37], v58 offset0:128 offset1:160
	;;#ASMSTART
	s_waitcnt lgkmcnt(0)
	;;#ASMEND
	ds_write_b32 v57, v59 offset:49204
	v_mfma_f32_16x16x32_fp8_fp8 v[0:3], v[44:45], v[26:27], v[0:3]
	v_add_u32_e32 v26, 2, v46
	v_cndmask_b32_e32 v46, v46, v26, vcc
	v_cmp_le_i32_e32 vcc, s62, v54
	s_waitcnt lgkmcnt(2)
	v_mfma_f32_16x16x32_fp8_fp8 v[8:11], v[38:39], v[34:35], v[8:11]
	s_or_b64 s[8:9], vcc, s[8:9]
	v_mfma_f32_16x16x32_fp8_fp8 v[0:3], v[32:33], v[34:35], v[0:3]
	s_waitcnt lgkmcnt(1)
	v_mfma_f32_16x16x32_fp8_fp8 v[8:11], v[40:41], v[36:37], v[8:11]
	v_mfma_f32_16x16x32_fp8_fp8 v[0:3], v[30:31], v[36:37], v[0:3]
	s_andn2_b64 exec, exec, s[8:9]
	s_cbranch_execz .LBB182_25
.LBB182_13:                             ;   Parent Loop BB182_7 Depth=1
                                        ; =>  This Loop Header: Depth=2
                                        ;       Child Loop BB182_15 Depth 3
                                        ;       Child Loop BB182_18 Depth 3
                                        ;       Child Loop BB182_21 Depth 3
                                        ;       Child Loop BB182_24 Depth 3
	v_cmp_gt_i32_e32 vcc, 6, v28
	s_nop 1
	v_cndmask_b32_e64 v26, -6, 0, vcc
	v_add_u32_e32 v56, v26, v28
	v_lshlrev_b32_e32 v57, 3, v56
	ds_read_b32 v26, v57 offset:49200
	s_waitcnt lgkmcnt(0)
	v_cmp_ne_u32_e32 vcc, v26, v46
	s_and_saveexec_b64 s[10:11], vcc
	s_cbranch_execz .LBB182_16
; %bb.14:                               ;   in Loop: Header=BB182_13 Depth=2
	s_mov_b64 s[12:13], 0
.LBB182_15:                             ;   Parent Loop BB182_7 Depth=1
                                        ;     Parent Loop BB182_13 Depth=2
                                        ; =>    This Inner Loop Header: Depth=3
	;;#ASMSTART
	s_sleep 0
	;;#ASMEND
	ds_read_b32 v26, v57 offset:49200
	s_waitcnt lgkmcnt(0)
	v_cmp_eq_u32_e32 vcc, v26, v46
	s_or_b64 s[12:13], vcc, s[12:13]
	s_andn2_b64 exec, exec, s[12:13]
	s_cbranch_execnz .LBB182_15
.LBB182_16:                             ;   in Loop: Header=BB182_13 Depth=2
	s_or_b64 exec, exec, s[10:11]
	v_lshlrev_b32_e32 v26, 12, v56
	v_or_b32_e32 v27, 0x6000, v47
	v_add_u32_e32 v58, v27, v26
	v_add_u32_e32 v27, 0x400, v58
	ds_read2_b32 v[32:33], v58 offset1:32
	ds_read2_b32 v[30:31], v58 offset0:128 offset1:160
	ds_read2_b32 v[34:35], v27 offset1:32
	ds_read2_b32 v[28:29], v27 offset0:128 offset1:160
	;;#ASMSTART
	s_waitcnt lgkmcnt(0)
	;;#ASMEND
	ds_read_b32 v27, v57 offset:49152
	v_add_u32_e32 v59, 1, v46
	ds_write_b32 v57, v59 offset:49200
	s_waitcnt lgkmcnt(1)
	v_cmp_ne_u32_e32 vcc, v27, v46
	s_and_saveexec_b64 s[10:11], vcc
	s_cbranch_execz .LBB182_19
; %bb.17:                               ;   in Loop: Header=BB182_13 Depth=2
	s_mov_b64 s[12:13], 0
.LBB182_18:                             ;   Parent Loop BB182_7 Depth=1
                                        ;     Parent Loop BB182_13 Depth=2
                                        ; =>    This Inner Loop Header: Depth=3
	;;#ASMSTART
	s_sleep 0
	;;#ASMEND
	ds_read_b32 v27, v57 offset:49152
	s_waitcnt lgkmcnt(0)
	v_cmp_eq_u32_e32 vcc, v27, v46
	s_or_b64 s[12:13], vcc, s[12:13]
	s_andn2_b64 exec, exec, s[12:13]
	s_cbranch_execnz .LBB182_18
.LBB182_19:                             ;   in Loop: Header=BB182_13 Depth=2
	s_or_b64 exec, exec, s[10:11]
	v_add_u32_e32 v60, v47, v26
	ds_read2_b32 v[26:27], v60 offset1:32
	ds_read2_b32 v[36:37], v60 offset0:128 offset1:160
	v_add_u32_e32 v40, 0x400, v60
	ds_read2_b32 v[38:39], v40 offset1:32
	ds_read2_b32 v[40:41], v40 offset0:128 offset1:160
	ds_read_b32 v42, v57 offset:49156
	ds_write_b32 v57, v59 offset:49152
	s_waitcnt lgkmcnt(5)
	v_mfma_f32_16x16x32_fp8_fp8 v[12:15], v[26:27], v[32:33], v[12:15]
	s_waitcnt lgkmcnt(1)
	v_cmp_ne_u32_e32 vcc, v42, v46
	v_mfma_f32_16x16x32_fp8_fp8 v[12:15], v[36:37], v[30:31], v[12:15]
	v_mfma_f32_16x16x32_fp8_fp8 v[12:15], v[38:39], v[34:35], v[12:15]
	;; [unrolled: 1-line block ×3, first 2 shown]
	s_and_saveexec_b64 s[10:11], vcc
	s_cbranch_execz .LBB182_22
; %bb.20:                               ;   in Loop: Header=BB182_13 Depth=2
	s_mov_b64 s[12:13], 0
.LBB182_21:                             ;   Parent Loop BB182_7 Depth=1
                                        ;     Parent Loop BB182_13 Depth=2
                                        ; =>    This Inner Loop Header: Depth=3
	;;#ASMSTART
	s_sleep 0
	;;#ASMEND
	ds_read_b32 v42, v57 offset:49156
	s_waitcnt lgkmcnt(0)
	v_cmp_eq_u32_e32 vcc, v42, v46
	s_or_b64 s[12:13], vcc, s[12:13]
	s_andn2_b64 exec, exec, s[12:13]
	s_cbranch_execnz .LBB182_21
.LBB182_22:                             ;   in Loop: Header=BB182_13 Depth=2
	s_or_b64 exec, exec, s[10:11]
	v_add_u32_e32 v44, 0x800, v60
	ds_read2_b32 v[42:43], v44 offset1:32
	ds_read2_b32 v[44:45], v44 offset0:128 offset1:160
	v_add_u32_e32 v60, 0xc00, v60
	s_waitcnt lgkmcnt(1)
	v_mfma_f32_16x16x32_fp8_fp8 v[4:7], v[42:43], v[32:33], v[4:7]
	ds_read2_b32 v[32:33], v60 offset1:32
	s_waitcnt lgkmcnt(1)
	v_mfma_f32_16x16x32_fp8_fp8 v[4:7], v[44:45], v[30:31], v[4:7]
	s_waitcnt lgkmcnt(0)
	v_mfma_f32_16x16x32_fp8_fp8 v[4:7], v[32:33], v[34:35], v[4:7]
	ds_read2_b32 v[30:31], v60 offset0:128 offset1:160
	ds_read_b32 v34, v57 offset:49204
	ds_write_b32 v57, v59 offset:49156
	s_waitcnt lgkmcnt(1)
	v_cmp_ne_u32_e32 vcc, v34, v46
	v_mfma_f32_16x16x32_fp8_fp8 v[4:7], v[30:31], v[28:29], v[4:7]
	s_and_saveexec_b64 s[10:11], vcc
	s_cbranch_execz .LBB182_12
; %bb.23:                               ;   in Loop: Header=BB182_13 Depth=2
	s_mov_b64 s[12:13], 0
.LBB182_24:                             ;   Parent Loop BB182_7 Depth=1
                                        ;     Parent Loop BB182_13 Depth=2
                                        ; =>    This Inner Loop Header: Depth=3
	;;#ASMSTART
	s_sleep 0
	;;#ASMEND
	ds_read_b32 v28, v57 offset:49204
	s_waitcnt lgkmcnt(0)
	v_cmp_eq_u32_e32 vcc, v28, v46
	s_or_b64 s[12:13], vcc, s[12:13]
	s_andn2_b64 exec, exec, s[12:13]
	s_cbranch_execnz .LBB182_24
	s_branch .LBB182_12
.LBB182_25:                             ;   in Loop: Header=BB182_7 Depth=1
	s_or_b64 exec, exec, s[8:9]
.LBB182_26:                             ;   in Loop: Header=BB182_7 Depth=1
	s_or_b64 exec, exec, s[6:7]
	v_cmp_le_i32_e32 vcc, s14, v16
	v_cmp_eq_u32_e64 s[6:7], 2, v48
	v_cmp_eq_u32_e64 s[8:9], 3, v48
	s_waitcnt vmcnt(0)
	v_cndmask_b32_e32 v26, 0, v55, vcc
	v_pk_mul_f32 v[12:13], v[26:27], v[12:13] op_sel_hi:[0,1]
	v_cmp_eq_u32_e32 vcc, 1, v48
	v_pk_mul_f32 v[30:31], v[26:27], v[14:15] op_sel_hi:[0,1]
	v_cmp_eq_u32_e64 s[10:11], 0, v48
	v_cndmask_b32_e32 v14, v12, v13, vcc
	v_cndmask_b32_e64 v14, v14, v30, s[6:7]
	v_cndmask_b32_e64 v14, v14, v31, s[8:9]
	ds_bpermute_b32 v27, v53, v14
	v_cmp_eq_u32_e64 s[12:13], 1, v49
	s_waitcnt lgkmcnt(0)
	v_cndmask_b32_e64 v14, v31, v27, s[8:9]
	v_cndmask_b32_e64 v15, v30, v27, s[6:7]
	v_cndmask_b32_e32 v13, v13, v27, vcc
	v_cndmask_b32_e64 v27, v12, v27, s[10:11]
	v_or_b32_e32 v12, 16, v16
	v_cmp_le_i32_e64 s[14:15], s14, v12
	v_cndmask_b32_e64 v29, v27, v13, s[12:13]
	s_nop 0
	v_cndmask_b32_e64 v12, 0, v55, s[14:15]
	v_pk_mul_f32 v[32:33], v[12:13], v[8:9] op_sel_hi:[0,1]
	v_pk_mul_f32 v[30:31], v[12:13], v[10:11] op_sel_hi:[0,1]
	v_cndmask_b32_e32 v8, v32, v33, vcc
	v_cndmask_b32_e64 v8, v8, v30, s[6:7]
	v_cndmask_b32_e64 v8, v8, v31, s[8:9]
	ds_bpermute_b32 v9, v53, v8
	v_cmp_eq_u32_e32 vcc, 2, v49
	v_cmp_eq_u32_e64 s[14:15], 3, v49
	s_waitcnt lgkmcnt(0)
	v_cndmask_b32_e64 v11, v30, v9, s[6:7]
	v_cndmask_b32_e32 v8, v29, v15, vcc
	v_cndmask_b32_e64 v8, v8, v14, s[14:15]
	v_cmp_ne_u32_e64 s[6:7], 0, v48
	ds_bpermute_b32 v29, v53, v8
	v_cndmask_b32_e64 v10, v31, v9, s[8:9]
	v_cndmask_b32_e64 v8, v33, v9, s[6:7]
	;; [unrolled: 1-line block ×4, first 2 shown]
	v_cndmask_b32_e32 v30, v30, v11, vcc
	v_cndmask_b32_e64 v30, v30, v10, s[14:15]
	ds_bpermute_b32 v30, v53, v30
	v_add_u32_e32 v31, s61, v50
	v_cmp_gt_u32_e32 vcc, 32, v31
	s_and_saveexec_b64 s[44:45], vcc
	s_cbranch_execz .LBB182_31
; %bb.27:                               ;   in Loop: Header=BB182_7 Depth=1
	v_cmp_eq_u32_e64 s[8:9], 1, v49
	v_cmp_eq_u32_e64 s[10:11], 0, v49
	v_cmp_eq_u32_e32 vcc, 3, v49
	s_waitcnt lgkmcnt(1)
	v_cndmask_b32_e64 v13, v13, v29, s[8:9]
	s_waitcnt lgkmcnt(0)
	v_cndmask_b32_e64 v32, v8, v30, s[8:9]
	s_mul_i32 s8, s59, s17
	s_ashr_i32 s9, s8, 31
	s_lshl_b64 s[8:9], s[8:9], 1
	v_cndmask_b32_e64 v27, v27, v29, s[10:11]
	v_cndmask_b32_e64 v33, v9, v30, s[10:11]
	s_add_u32 s10, s28, s8
	s_addc_u32 s11, s29, s9
	s_ashr_i32 s39, s38, 31
	v_cvt_f16_f32_e32 v27, v27
	v_cvt_f16_f32_sdwa v13, v13 dst_sel:WORD_1 dst_unused:UNUSED_PAD src0_sel:DWORD
	s_lshl_b64 s[8:9], s[38:39], 1
	v_cvt_f16_f32_e32 v34, v33
	v_cvt_f16_f32_sdwa v35, v32 dst_sel:WORD_1 dst_unused:UNUSED_PAD src0_sel:DWORD
	s_add_u32 s46, s10, s8
	s_addc_u32 s47, s11, s9
	v_cmp_eq_u32_e64 s[6:7], 2, v49
	v_lshl_add_u64 v[8:9], v[18:19], 1, s[46:47]
	v_or_b32_e32 v13, v13, v27
	v_cmp_gt_u32_e64 s[8:9], 30, v31
	;;#ASMSTART
	global_atomic_pk_add_f16 v[8:9], v13, off
	
	;;#ASMEND
	v_lshl_add_u64 v[32:33], v[8:9], 0, 32
	v_or_b32_e32 v13, v35, v34
	;;#ASMSTART
	global_atomic_pk_add_f16 v[32:33], v13, off
	
	;;#ASMEND
	s_and_b64 exec, exec, s[8:9]
	s_cbranch_execz .LBB182_31
; %bb.28:                               ;   in Loop: Header=BB182_7 Depth=1
	v_mov_b32_e32 v27, v26
	v_cndmask_b32_e32 v14, v14, v29, vcc
	v_cndmask_b32_e64 v15, v15, v29, s[6:7]
	v_cndmask_b32_e32 v29, v10, v30, vcc
	v_cndmask_b32_e64 v30, v11, v30, s[6:7]
	v_mov_b32_e32 v10, v26
	v_mov_b32_e32 v11, v26
	v_pk_mul_f32 v[6:7], v[10:11], v[6:7]
	v_pk_mul_f32 v[10:11], v[26:27], v[4:5]
	v_cmp_eq_u32_e32 vcc, 1, v48
	v_cmp_eq_u32_e64 s[6:7], 2, v48
	v_cmp_eq_u32_e64 s[8:9], 3, v48
	v_cndmask_b32_e32 v4, v10, v11, vcc
	v_cndmask_b32_e64 v4, v4, v6, s[6:7]
	v_cndmask_b32_e64 v4, v4, v7, s[8:9]
	v_cvt_f16_f32_e32 v15, v15
	v_cvt_f16_f32_sdwa v14, v14 dst_sel:WORD_1 dst_unused:UNUSED_PAD src0_sel:DWORD
	ds_bpermute_b32 v26, v53, v4
	v_mov_b32_e32 v13, v12
	v_lshl_add_u64 v[8:9], s[34:35], 2, v[8:9]
	v_or_b32_e32 v14, v14, v15
	v_cmp_eq_u32_e64 s[10:11], 0, v48
	;;#ASMSTART
	global_atomic_pk_add_f16 v[8:9], v14, off
	
	;;#ASMEND
	v_lshl_add_u64 v[14:15], v[8:9], 0, 32
	s_waitcnt lgkmcnt(0)
	v_cndmask_b32_e64 v4, v7, v26, s[8:9]
	v_cndmask_b32_e64 v5, v6, v26, s[6:7]
	v_cndmask_b32_e32 v6, v11, v26, vcc
	v_cndmask_b32_e64 v7, v10, v26, s[10:11]
	v_mov_b32_e32 v8, v12
	v_mov_b32_e32 v9, v12
	v_pk_mul_f32 v[10:11], v[12:13], v[0:1]
	v_pk_mul_f32 v[8:9], v[8:9], v[2:3]
	v_cndmask_b32_e32 v0, v10, v11, vcc
	v_cndmask_b32_e64 v0, v0, v8, s[6:7]
	v_cndmask_b32_e64 v0, v0, v9, s[8:9]
	ds_bpermute_b32 v1, v53, v0
	v_cmp_eq_u32_e64 s[12:13], 1, v49
	v_cmp_eq_u32_e32 vcc, 2, v49
	v_cmp_eq_u32_e64 s[14:15], 3, v49
	v_cndmask_b32_e64 v26, v7, v6, s[12:13]
	v_cndmask_b32_e32 v0, v26, v5, vcc
	v_cndmask_b32_e64 v0, v0, v4, s[14:15]
	s_waitcnt lgkmcnt(0)
	v_cndmask_b32_e64 v8, v8, v1, s[6:7]
	v_cmp_ne_u32_e64 s[6:7], 0, v48
	ds_bpermute_b32 v2, v53, v0
	v_cndmask_b32_e64 v3, v9, v1, s[8:9]
	v_cndmask_b32_e64 v0, v11, v1, s[6:7]
	;; [unrolled: 1-line block ×3, first 2 shown]
	v_cvt_f16_f32_e32 v27, v30
	v_cvt_f16_f32_sdwa v29, v29 dst_sel:WORD_1 dst_unused:UNUSED_PAD src0_sel:DWORD
	v_cndmask_b32_e64 v9, v1, v0, s[12:13]
	v_cndmask_b32_e32 v9, v9, v8, vcc
	v_cndmask_b32_e64 v9, v9, v3, s[14:15]
	ds_bpermute_b32 v9, v53, v9
	v_or_b32_e32 v10, v29, v27
	;;#ASMSTART
	global_atomic_pk_add_f16 v[14:15], v10, off
	
	;;#ASMEND
	v_or_b32_e32 v10, 16, v50
	v_add_u32_e32 v10, s61, v10
	v_cmp_gt_u32_e32 vcc, 32, v10
	s_and_b64 exec, exec, vcc
	s_cbranch_execz .LBB182_31
; %bb.29:                               ;   in Loop: Header=BB182_7 Depth=1
	v_cmp_eq_u32_e64 s[8:9], 1, v49
	v_cmp_eq_u32_e64 s[10:11], 0, v49
	v_cmp_eq_u32_e32 vcc, 3, v49
	s_waitcnt lgkmcnt(1)
	v_cndmask_b32_e64 v6, v6, v2, s[8:9]
	v_cndmask_b32_e64 v7, v7, v2, s[10:11]
	s_waitcnt lgkmcnt(0)
	v_cndmask_b32_e64 v11, v0, v9, s[8:9]
	v_cndmask_b32_e64 v12, v1, v9, s[10:11]
	v_cvt_f16_f32_e32 v7, v7
	v_cvt_f16_f32_sdwa v6, v6 dst_sel:WORD_1 dst_unused:UNUSED_PAD src0_sel:DWORD
	v_cvt_f16_f32_e32 v12, v12
	v_cvt_f16_f32_sdwa v11, v11 dst_sel:WORD_1 dst_unused:UNUSED_PAD src0_sel:DWORD
	v_cmp_eq_u32_e64 s[6:7], 2, v49
	v_lshl_add_u64 v[0:1], v[20:21], 1, s[46:47]
	v_or_b32_e32 v6, v6, v7
	v_cmp_gt_u32_e64 s[8:9], 30, v10
	;;#ASMSTART
	global_atomic_pk_add_f16 v[0:1], v6, off
	
	;;#ASMEND
	v_lshl_add_u64 v[6:7], v[0:1], 0, 32
	v_or_b32_e32 v11, v11, v12
	;;#ASMSTART
	global_atomic_pk_add_f16 v[6:7], v11, off
	
	;;#ASMEND
	s_and_b64 exec, exec, s[8:9]
	s_cbranch_execz .LBB182_31
; %bb.30:                               ;   in Loop: Header=BB182_7 Depth=1
	v_cndmask_b32_e32 v4, v4, v2, vcc
	v_cndmask_b32_e64 v2, v5, v2, s[6:7]
	v_cndmask_b32_e32 v3, v3, v9, vcc
	v_cndmask_b32_e64 v5, v8, v9, s[6:7]
	v_cvt_f16_f32_e32 v2, v2
	v_cvt_f16_f32_sdwa v4, v4 dst_sel:WORD_1 dst_unused:UNUSED_PAD src0_sel:DWORD
	v_cvt_f16_f32_e32 v5, v5
	v_cvt_f16_f32_sdwa v3, v3 dst_sel:WORD_1 dst_unused:UNUSED_PAD src0_sel:DWORD
	v_lshl_add_u64 v[0:1], s[34:35], 2, v[0:1]
	v_or_b32_e32 v2, v4, v2
	;;#ASMSTART
	global_atomic_pk_add_f16 v[0:1], v2, off
	
	;;#ASMEND
	v_lshl_add_u64 v[0:1], v[0:1], 0, 32
	v_or_b32_e32 v2, v3, v5
	;;#ASMSTART
	global_atomic_pk_add_f16 v[0:1], v2, off
	
	;;#ASMEND
.LBB182_31:                             ;   in Loop: Header=BB182_7 Depth=1
	s_or_b64 exec, exec, s[44:45]
	v_subrev_u32_e32 v54, s62, v54
.LBB182_32:                             ;   in Loop: Header=BB182_7 Depth=1
	s_or_b64 exec, exec, s[42:43]
.LBB182_33:                             ;   in Loop: Header=BB182_7 Depth=1
	s_andn2_saveexec_b64 s[6:7], s[40:41]
	s_cbranch_execz .LBB182_42
; %bb.34:                               ;   in Loop: Header=BB182_7 Depth=1
	s_lshl_b32 s39, s62, 1
	v_cmp_gt_i32_e32 vcc, s39, v54
	s_and_saveexec_b64 s[8:9], vcc
	s_cbranch_execz .LBB182_41
; %bb.35:                               ;   in Loop: Header=BB182_7 Depth=1
	s_mul_i32 s10, s38, s19
	s_ashr_i32 s11, s10, 31
	s_waitcnt lgkmcnt(0)
	s_add_u32 s10, s26, s10
	s_addc_u32 s11, s27, s11
	s_ashr_i32 s12, s60, 31
	s_add_u32 s10, s10, s60
	s_addc_u32 s11, s11, s12
	v_lshl_add_u64 v[0:1], s[10:11], 0, v[24:25]
	v_lshl_add_u64 v[8:9], v[0:1], 0, v[22:23]
	s_mov_b64 s[10:11], 0
	s_branch .LBB182_37
.LBB182_36:                             ;   in Loop: Header=BB182_37 Depth=2
	s_or_b64 exec, exec, s[12:13]
	v_or_b32_e32 v12, 0x6000, v52
	v_lshl_add_u32 v12, v10, 11, v12
	;;#ASMSTART
	s_waitcnt vmcnt(1)
	;;#ASMEND
	ds_write2_b32 v12, v4, v5 offset1:32
	ds_write2_b32 v12, v6, v7 offset0:64 offset1:96
	v_add_u32_e32 v4, 0x400, v12
	v_add_u32_e32 v54, s22, v54
	;;#ASMSTART
	s_waitcnt vmcnt(0)
	;;#ASMEND
	ds_write2_b32 v4, v0, v1 offset1:32
	ds_write2_b32 v4, v2, v3 offset0:64 offset1:96
	v_add_u32_e32 v0, 1, v46
	v_add_u32_e32 v28, s22, v10
	v_cmp_le_i32_e32 vcc, s39, v54
	ds_write_b32 v11, v0 offset:48
	v_add_u32_e32 v0, 2, v46
	s_or_b64 s[10:11], vcc, s[10:11]
	v_cmp_lt_i32_e32 vcc, 11, v28
	s_nop 1
	v_cndmask_b32_e32 v46, v46, v0, vcc
	s_andn2_b64 exec, exec, s[10:11]
	s_cbranch_execz .LBB182_40
.LBB182_37:                             ;   Parent Loop BB182_7 Depth=1
                                        ; =>  This Loop Header: Depth=2
                                        ;       Child Loop BB182_39 Depth 3
	v_cmp_gt_i32_e32 vcc, 12, v28
	s_nop 1
	v_cndmask_b32_e64 v0, -12, 0, vcc
	v_add_u32_e32 v10, v0, v28
	v_lshrrev_b32_e32 v0, 31, v54
	v_add_u32_e32 v0, v54, v0
	v_and_b32_e32 v1, -2, v0
	v_lshlrev_b32_e32 v0, 6, v0
	v_sub_u32_e32 v2, v54, v1
	v_and_b32_e32 v0, 0xffffff80, v0
	v_ashrrev_i32_e32 v1, 31, v0
	v_mul_lo_u32 v2, s53, v2
	v_lshl_add_u64 v[0:1], v[8:9], 0, v[0:1]
	v_ashrrev_i32_e32 v3, 31, v2
	v_lshl_add_u64 v[0:1], v[0:1], 0, v[2:3]
	v_lshlrev_b32_e32 v11, 2, v10
	;;#ASMSTART
	global_load_dwordx4 v[4:7], v[0:1], off offset:0   sc0 sc1 nt  
	global_load_dwordx4 v[0:3], v[0:1], off offset:64  sc0 sc1 nt  
	
	;;#ASMEND
	ds_read_b32 v12, v11 offset:49200
	v_add_u32_e32 v11, 0xc000, v11
	s_waitcnt lgkmcnt(0)
	v_cmp_ne_u32_e32 vcc, v12, v46
	s_and_saveexec_b64 s[12:13], vcc
	s_cbranch_execz .LBB182_36
; %bb.38:                               ;   in Loop: Header=BB182_37 Depth=2
	s_mov_b64 s[14:15], 0
.LBB182_39:                             ;   Parent Loop BB182_7 Depth=1
                                        ;     Parent Loop BB182_37 Depth=2
                                        ; =>    This Inner Loop Header: Depth=3
	;;#ASMSTART
	s_sleep 0
	;;#ASMEND
	ds_read_b32 v12, v11 offset:48
	s_waitcnt lgkmcnt(0)
	v_cmp_eq_u32_e32 vcc, v12, v46
	s_or_b64 s[14:15], vcc, s[14:15]
	s_andn2_b64 exec, exec, s[14:15]
	s_cbranch_execnz .LBB182_39
	s_branch .LBB182_36
.LBB182_40:                             ;   in Loop: Header=BB182_7 Depth=1
	s_or_b64 exec, exec, s[10:11]
.LBB182_41:                             ;   in Loop: Header=BB182_7 Depth=1
	s_or_b64 exec, exec, s[8:9]
	v_subrev_u32_e32 v54, s39, v54
.LBB182_42:                             ;   in Loop: Header=BB182_7 Depth=1
	s_or_b64 exec, exec, s[6:7]
.LBB182_43:                             ;   in Loop: Header=BB182_7 Depth=1
	s_andn2_saveexec_b64 s[6:7], s[36:37]
	s_cbranch_execz .LBB182_6
; %bb.44:                               ;   in Loop: Header=BB182_7 Depth=1
	s_lshl_b32 s36, s62, 1
	v_cmp_gt_i32_e32 vcc, s36, v54
	s_and_saveexec_b64 s[8:9], vcc
	s_cbranch_execz .LBB182_5
; %bb.45:                               ;   in Loop: Header=BB182_7 Depth=1
	s_mul_i32 s59, s59, s18
	s_ashr_i32 s10, s59, 31
	s_waitcnt lgkmcnt(0)
	s_add_u32 s11, s24, s59
	v_add_u32_e32 v2, s61, v51
	s_addc_u32 s12, s25, s10
	s_ashr_i32 s13, s60, 31
	v_mul_lo_u32 v0, s18, v51
	v_cmp_gt_u32_e32 vcc, 32, v2
	s_add_u32 s10, s11, s60
	s_addc_u32 s11, s12, s13
	v_cndmask_b32_e32 v0, 0, v0, vcc
	v_ashrrev_i32_e32 v1, 31, v0
	v_lshl_add_u64 v[0:1], s[10:11], 0, v[0:1]
	v_lshl_add_u64 v[8:9], v[0:1], 0, v[22:23]
	v_sub_u32_e32 v10, 31, v2
	s_mov_b64 s[10:11], 0
	s_branch .LBB182_47
.LBB182_46:                             ;   in Loop: Header=BB182_47 Depth=2
	s_or_b64 exec, exec, s[12:13]
	v_lshl_or_b32 v13, v11, 11, v52
	;;#ASMSTART
	s_waitcnt vmcnt(1)
	;;#ASMEND
	ds_write2_b32 v13, v4, v5 offset1:32
	ds_write2_b32 v13, v6, v7 offset0:64 offset1:96
	v_add_u32_e32 v4, 0x400, v13
	v_add_u32_e32 v54, s21, v54
	;;#ASMSTART
	s_waitcnt vmcnt(0)
	;;#ASMEND
	ds_write2_b32 v4, v0, v1 offset1:32
	ds_write2_b32 v4, v2, v3 offset0:64 offset1:96
	v_add_u32_e32 v0, 1, v46
	v_add_u32_e32 v28, s21, v11
	v_cmp_le_i32_e32 vcc, s36, v54
	ds_write_b32 v12, v0
	v_add_u32_e32 v0, 2, v46
	s_or_b64 s[10:11], vcc, s[10:11]
	v_cmp_lt_i32_e32 vcc, 11, v28
	s_nop 1
	v_cndmask_b32_e32 v46, v46, v0, vcc
	s_andn2_b64 exec, exec, s[10:11]
	s_cbranch_execz .LBB182_4
.LBB182_47:                             ;   Parent Loop BB182_7 Depth=1
                                        ; =>  This Loop Header: Depth=2
                                        ;       Child Loop BB182_49 Depth 3
	v_cmp_gt_i32_e32 vcc, 12, v28
	s_nop 1
	v_cndmask_b32_e64 v0, -12, 0, vcc
	v_add_u32_e32 v11, v0, v28
	v_lshrrev_b32_e32 v0, 31, v54
	v_add_u32_e32 v0, v54, v0
	v_and_b32_e32 v1, 0xffffffe, v0
	v_sub_u32_e32 v1, v54, v1
	v_lshlrev_b32_e32 v1, 4, v1
	v_cmp_le_i32_e32 vcc, v1, v10
	v_lshlrev_b32_e32 v0, 6, v0
	v_and_b32_e32 v0, 0xffffff80, v0
	v_cndmask_b32_e32 v2, 0, v1, vcc
	v_ashrrev_i32_e32 v1, 31, v0
	v_mul_lo_u32 v2, v2, s18
	v_lshl_add_u64 v[0:1], v[8:9], 0, v[0:1]
	v_ashrrev_i32_e32 v3, 31, v2
	v_lshl_add_u64 v[0:1], v[0:1], 0, v[2:3]
	v_lshlrev_b32_e32 v12, 2, v11
	;;#ASMSTART
	global_load_dwordx4 v[4:7], v[0:1], off offset:0   
	global_load_dwordx4 v[0:3], v[0:1], off offset:64  
	
	;;#ASMEND
	ds_read_b32 v13, v12 offset:49152
	v_add_u32_e32 v12, 0xc000, v12
	s_waitcnt lgkmcnt(0)
	v_cmp_ne_u32_e32 vcc, v13, v46
	s_and_saveexec_b64 s[12:13], vcc
	s_cbranch_execz .LBB182_46
; %bb.48:                               ;   in Loop: Header=BB182_47 Depth=2
	s_mov_b64 s[14:15], 0
.LBB182_49:                             ;   Parent Loop BB182_7 Depth=1
                                        ;     Parent Loop BB182_47 Depth=2
                                        ; =>    This Inner Loop Header: Depth=3
	;;#ASMSTART
	s_sleep 0
	;;#ASMEND
	ds_read_b32 v13, v12
	s_waitcnt lgkmcnt(0)
	v_cmp_eq_u32_e32 vcc, v13, v46
	s_or_b64 s[14:15], vcc, s[14:15]
	s_andn2_b64 exec, exec, s[14:15]
	s_cbranch_execnz .LBB182_49
	s_branch .LBB182_46
.LBB182_50:
	s_endpgm
	.section	.rodata,"a",@progbits
	.p2align	6, 0x0
	.amdhsa_kernel _Z19_skinny_gemm_kernelILi2ELi2ELi6ELi16ELi4EEvPKhS1_P6__halfPKfiiiiiiii
		.amdhsa_group_segment_fixed_size 49248
		.amdhsa_private_segment_fixed_size 0
		.amdhsa_kernarg_size 64
		.amdhsa_user_sgpr_count 2
		.amdhsa_user_sgpr_dispatch_ptr 0
		.amdhsa_user_sgpr_queue_ptr 0
		.amdhsa_user_sgpr_kernarg_segment_ptr 1
		.amdhsa_user_sgpr_dispatch_id 0
		.amdhsa_user_sgpr_kernarg_preload_length 0
		.amdhsa_user_sgpr_kernarg_preload_offset 0
		.amdhsa_user_sgpr_private_segment_size 0
		.amdhsa_uses_dynamic_stack 0
		.amdhsa_enable_private_segment 0
		.amdhsa_system_sgpr_workgroup_id_x 1
		.amdhsa_system_sgpr_workgroup_id_y 0
		.amdhsa_system_sgpr_workgroup_id_z 0
		.amdhsa_system_sgpr_workgroup_info 0
		.amdhsa_system_vgpr_workitem_id 0
		.amdhsa_next_free_vgpr 61
		.amdhsa_next_free_sgpr 63
		.amdhsa_accum_offset 64
		.amdhsa_reserve_vcc 1
		.amdhsa_float_round_mode_32 0
		.amdhsa_float_round_mode_16_64 0
		.amdhsa_float_denorm_mode_32 3
		.amdhsa_float_denorm_mode_16_64 3
		.amdhsa_dx10_clamp 1
		.amdhsa_ieee_mode 1
		.amdhsa_fp16_overflow 0
		.amdhsa_tg_split 0
		.amdhsa_exception_fp_ieee_invalid_op 0
		.amdhsa_exception_fp_denorm_src 0
		.amdhsa_exception_fp_ieee_div_zero 0
		.amdhsa_exception_fp_ieee_overflow 0
		.amdhsa_exception_fp_ieee_underflow 0
		.amdhsa_exception_fp_ieee_inexact 0
		.amdhsa_exception_int_div_zero 0
	.end_amdhsa_kernel
	.section	.text._Z19_skinny_gemm_kernelILi2ELi2ELi6ELi16ELi4EEvPKhS1_P6__halfPKfiiiiiiii,"axG",@progbits,_Z19_skinny_gemm_kernelILi2ELi2ELi6ELi16ELi4EEvPKhS1_P6__halfPKfiiiiiiii,comdat
.Lfunc_end182:
	.size	_Z19_skinny_gemm_kernelILi2ELi2ELi6ELi16ELi4EEvPKhS1_P6__halfPKfiiiiiiii, .Lfunc_end182-_Z19_skinny_gemm_kernelILi2ELi2ELi6ELi16ELi4EEvPKhS1_P6__halfPKfiiiiiiii
                                        ; -- End function
	.set _Z19_skinny_gemm_kernelILi2ELi2ELi6ELi16ELi4EEvPKhS1_P6__halfPKfiiiiiiii.num_vgpr, 61
	.set _Z19_skinny_gemm_kernelILi2ELi2ELi6ELi16ELi4EEvPKhS1_P6__halfPKfiiiiiiii.num_agpr, 0
	.set _Z19_skinny_gemm_kernelILi2ELi2ELi6ELi16ELi4EEvPKhS1_P6__halfPKfiiiiiiii.numbered_sgpr, 63
	.set _Z19_skinny_gemm_kernelILi2ELi2ELi6ELi16ELi4EEvPKhS1_P6__halfPKfiiiiiiii.num_named_barrier, 0
	.set _Z19_skinny_gemm_kernelILi2ELi2ELi6ELi16ELi4EEvPKhS1_P6__halfPKfiiiiiiii.private_seg_size, 0
	.set _Z19_skinny_gemm_kernelILi2ELi2ELi6ELi16ELi4EEvPKhS1_P6__halfPKfiiiiiiii.uses_vcc, 1
	.set _Z19_skinny_gemm_kernelILi2ELi2ELi6ELi16ELi4EEvPKhS1_P6__halfPKfiiiiiiii.uses_flat_scratch, 0
	.set _Z19_skinny_gemm_kernelILi2ELi2ELi6ELi16ELi4EEvPKhS1_P6__halfPKfiiiiiiii.has_dyn_sized_stack, 0
	.set _Z19_skinny_gemm_kernelILi2ELi2ELi6ELi16ELi4EEvPKhS1_P6__halfPKfiiiiiiii.has_recursion, 0
	.set _Z19_skinny_gemm_kernelILi2ELi2ELi6ELi16ELi4EEvPKhS1_P6__halfPKfiiiiiiii.has_indirect_call, 0
	.section	.AMDGPU.csdata,"",@progbits
; Kernel info:
; codeLenInByte = 4028
; TotalNumSgprs: 69
; NumVgprs: 61
; NumAgprs: 0
; TotalNumVgprs: 61
; ScratchSize: 0
; MemoryBound: 0
; FloatMode: 240
; IeeeMode: 1
; LDSByteSize: 49248 bytes/workgroup (compile time only)
; SGPRBlocks: 8
; VGPRBlocks: 7
; NumSGPRsForWavesPerEU: 69
; NumVGPRsForWavesPerEU: 61
; AccumOffset: 64
; Occupancy: 8
; WaveLimiterHint : 0
; COMPUTE_PGM_RSRC2:SCRATCH_EN: 0
; COMPUTE_PGM_RSRC2:USER_SGPR: 2
; COMPUTE_PGM_RSRC2:TRAP_HANDLER: 0
; COMPUTE_PGM_RSRC2:TGID_X_EN: 1
; COMPUTE_PGM_RSRC2:TGID_Y_EN: 0
; COMPUTE_PGM_RSRC2:TGID_Z_EN: 0
; COMPUTE_PGM_RSRC2:TIDIG_COMP_CNT: 0
; COMPUTE_PGM_RSRC3_GFX90A:ACCUM_OFFSET: 15
; COMPUTE_PGM_RSRC3_GFX90A:TG_SPLIT: 0
	.section	.text._Z19_skinny_gemm_kernelILi2ELi2ELi6ELi32ELi4EEvPKhS1_P6__halfPKfiiiiiiii,"axG",@progbits,_Z19_skinny_gemm_kernelILi2ELi2ELi6ELi32ELi4EEvPKhS1_P6__halfPKfiiiiiiii,comdat
	.protected	_Z19_skinny_gemm_kernelILi2ELi2ELi6ELi32ELi4EEvPKhS1_P6__halfPKfiiiiiiii ; -- Begin function _Z19_skinny_gemm_kernelILi2ELi2ELi6ELi32ELi4EEvPKhS1_P6__halfPKfiiiiiiii
	.globl	_Z19_skinny_gemm_kernelILi2ELi2ELi6ELi32ELi4EEvPKhS1_P6__halfPKfiiiiiiii
	.p2align	8
	.type	_Z19_skinny_gemm_kernelILi2ELi2ELi6ELi32ELi4EEvPKhS1_P6__halfPKfiiiiiiii,@function
_Z19_skinny_gemm_kernelILi2ELi2ELi6ELi32ELi4EEvPKhS1_P6__halfPKfiiiiiiii: ; @_Z19_skinny_gemm_kernelILi2ELi2ELi6ELi32ELi4EEvPKhS1_P6__halfPKfiiiiiiii
; %bb.0:
	v_cmp_gt_u32_e32 vcc, 24, v0
	s_and_saveexec_b64 s[4:5], vcc
; %bb.1:
	v_lshlrev_b32_e32 v1, 2, v0
	v_mov_b32_e32 v2, 0
	ds_write_b32 v1, v2 offset:49152
; %bb.2:
	s_or_b64 exec, exec, s[4:5]
	s_load_dwordx8 s[16:23], s[0:1], 0x20
	s_waitcnt lgkmcnt(0)
	s_barrier
	s_add_i32 s3, s16, 63
	s_ashr_i32 s5, s3, 31
	s_add_i32 s4, s17, 63
	s_lshr_b32 s5, s5, 26
	s_ashr_i32 s6, s4, 31
	s_add_i32 s3, s3, s5
	s_ashr_i32 s11, s3, 6
	s_lshr_b32 s3, s6, 26
	s_add_i32 s4, s4, s3
	s_ashr_i32 s12, s4, 6
	s_mul_i32 s3, s12, s11
	s_mul_i32 s3, s3, s20
	s_add_i32 s4, s3, 0x12f
	s_mul_hi_i32 s4, s4, 0x6bca1af3
	s_lshr_b32 s5, s4, 31
	s_ashr_i32 s4, s4, 7
	s_add_i32 s4, s4, s5
	s_add_i32 s5, s2, 1
	s_mul_i32 s5, s4, s5
	v_cvt_f64_i32_e32 v[2:3], s3
	v_cvt_f64_u32_e32 v[4:5], s5
	v_min_f64 v[2:3], v[2:3], v[4:5]
	v_cvt_i32_f64_e32 v62, v[2:3]
	s_mul_i32 s33, s4, s2
	v_cmp_ge_i32_e32 vcc, s33, v62
	s_cbranch_vccnz .LBB183_51
; %bb.3:
	s_load_dwordx8 s[44:51], s[0:1], 0x0
	v_lshrrev_b32_e32 v1, 6, v0
	s_add_i32 s0, s22, s21
	v_cmp_le_i32_e64 s[14:15], s0, v1
	v_mov_b32_e32 v2, s21
	v_cmp_le_i32_e64 s[24:25], s21, v1
	v_mov_b32_e32 v3, s22
	v_cndmask_b32_e64 v3, 0, v3, s[14:15]
	v_cndmask_b32_e64 v2, 0, v2, s[24:25]
	s_abs_i32 s1, s20
	v_add_u32_e32 v2, v2, v3
	v_cvt_f32_u32_e32 v3, s1
	v_sub_u32_e32 v56, v1, v2
	s_ashr_i32 s2, s18, 31
	s_lshr_b32 s2, s2, 26
	v_rcp_iflag_f32_e32 v2, v3
	s_sub_i32 s5, 0, s1
	s_add_i32 s2, s18, s2
	s_ashr_i32 s2, s2, 6
	v_mul_f32_e32 v2, 0x4f7ffffe, v2
	v_cvt_u32_f32_e32 v2, v2
	s_abs_i32 s4, s2
	s_xor_b32 s3, s2, s20
	s_ashr_i32 s3, s3, 31
	v_readfirstlane_b32 s6, v2
	s_mul_i32 s5, s5, s6
	s_mul_hi_u32 s5, s6, s5
	s_add_i32 s6, s6, s5
	s_mul_hi_u32 s5, s4, s6
	s_mul_i32 s6, s5, s1
	s_sub_i32 s4, s4, s6
	s_add_i32 s6, s5, 1
	s_sub_i32 s7, s4, s1
	s_cmp_ge_u32 s4, s1
	s_cselect_b32 s5, s6, s5
	s_cselect_b32 s4, s7, s4
	s_add_i32 s6, s5, 1
	s_cmp_ge_u32 s4, s1
	s_cselect_b32 s1, s6, s5
	s_add_i32 s0, s0, s23
	v_and_b32_e32 v64, 31, v0
	v_lshrrev_b32_e32 v2, 3, v0
	v_cmp_gt_i32_e64 s[28:29], s0, v1
	v_lshlrev_b32_e32 v1, 2, v64
	v_and_b32_e32 v3, 4, v2
	v_and_b32_e32 v5, 1, v0
	v_lshlrev_b32_e32 v2, 6, v3
	v_or_b32_e32 v4, 0x6000, v1
	v_or_b32_e32 v3, v3, v5
	;; [unrolled: 1-line block ×4, first 2 shown]
	v_lshlrev_b32_e32 v2, 1, v5
	v_or_b32_e32 v5, 2, v3
	v_sub_u32_e32 v77, 32, v5
	v_or_b32_e32 v5, 8, v3
	v_sub_u32_e32 v78, 32, v5
	;; [unrolled: 2-line block ×5, first 2 shown]
	v_mul_lo_u32 v34, s17, v3
	v_sub_u32_e32 v81, 32, v5
	v_or_b32_e32 v5, 24, v3
	v_or_b32_e32 v3, 26, v3
                                        ; implicit-def: $vgpr99 : SGPR spill to VGPR lane
	s_add_i32 s26, s20, -1
	v_sub_u32_e32 v83, 32, v3
	v_lshrrev_b32_e32 v3, 1, v0
	s_abs_i32 s20, s11
	v_writelane_b32 v99, s11, 0
	v_and_b32_e32 v50, 16, v3
	v_cvt_f32_u32_e32 v3, s20
	v_writelane_b32 v99, s12, 1
	v_sub_u32_e32 v2, v0, v2
	s_waitcnt lgkmcnt(0)
	v_writelane_b32 v99, s44, 2
	v_add_u32_e32 v2, 1, v2
	v_and_b32_e32 v6, 63, v2
	v_writelane_b32 v99, s45, 3
	v_bitop3_b32 v67, v0, 1, v0 bitop3:0xc
	v_bitop3_b32 v68, v0, 3, 1 bitop3:0x6c
	;; [unrolled: 1-line block ×8, first 2 shown]
	v_and_b32_e32 v2, 30, v0
	v_lshlrev_b32_e32 v0, 4, v0
	v_writelane_b32 v99, s46, 4
	v_and_b32_e32 v0, 0x200, v0
	v_rcp_iflag_f32_e32 v3, v3
	s_abs_i32 s98, s12
	v_writelane_b32 v99, s47, 5
	s_xor_b32 s1, s1, s3
	v_or_b32_e32 v86, v1, v0
	v_cvt_f32_u32_e32 v1, s98
	v_writelane_b32 v99, s48, 6
	s_sub_i32 s13, s1, s3
	v_writelane_b32 v99, s49, 7
	s_mul_i32 s1, s13, s26
	s_lshl_b32 s0, s17, 1
	v_writelane_b32 v99, s50, 8
	s_sub_i32 s27, s2, s1
	v_add_u32_e32 v36, s0, v34
	s_mul_i32 s1, s17, 6
	v_or_b32_e32 v84, v4, v0
	v_mul_f32_e32 v0, 0x4f7ffffe, v3
	v_writelane_b32 v99, s51, 9
	v_cndmask_b32_e64 v63, 0, 1, s[14:15]
	v_add_u32_e32 v38, s1, v36
	v_cvt_u32_f32_e32 v0, v0
	v_rcp_iflag_f32_e32 v1, v1
	v_writelane_b32 v99, s14, 10
	v_add_u32_e32 v40, s0, v38
	v_add_u32_e32 v42, s1, v40
	v_writelane_b32 v99, s15, 11
	v_writelane_b32 v99, s24, 12
	v_add_u32_e32 v44, s0, v42
	v_add_u32_e32 v46, s1, v44
	v_writelane_b32 v99, s25, 13
	v_readfirstlane_b32 s1, v0
	v_mul_f32_e32 v0, 0x4f7ffffe, v1
	v_writelane_b32 v99, s13, 14
	v_cvt_u32_f32_e32 v0, v0
	v_writelane_b32 v99, s26, 15
	v_add_u32_e32 v48, s0, v46
	s_sub_i32 s0, 0, s20
	v_writelane_b32 v99, s27, 16
	s_mul_i32 s0, s0, s1
	v_writelane_b32 v99, s28, 17
	s_lshl_b32 s30, s19, 5
	s_mul_hi_u32 s0, s1, s0
	v_writelane_b32 v99, s29, 18
	s_ashr_i32 s31, s11, 31
	s_add_i32 s34, s1, s0
	s_sub_i32 s0, 0, s98
	v_readfirstlane_b32 s1, v0
	v_mbcnt_lo_u32_b32 v0, -1, 0
	v_writelane_b32 v99, s30, 19
	s_mul_i32 s0, s0, s1
	v_mbcnt_hi_u32_b32 v0, -1, v0
	v_writelane_b32 v99, s31, 20
	v_mov_b32_e32 v33, 0
	v_mul_lo_u32 v52, s19, v64
	s_ashr_i32 s35, s12, 31
	s_mul_hi_u32 s0, s1, s0
	v_and_or_b32 v0, v0, 64, v6
	v_writelane_b32 v99, s34, 21
	v_or_b32_e32 v75, 32, v64
	v_ashrrev_i32_e32 v35, 31, v34
	v_ashrrev_i32_e32 v37, 31, v36
	;; [unrolled: 1-line block ×6, first 2 shown]
	v_sub_u32_e32 v82, 32, v5
	v_ashrrev_i32_e32 v47, 31, v46
	v_ashrrev_i32_e32 v49, 31, v48
	;; [unrolled: 1-line block ×3, first 2 shown]
	v_mov_b32_e32 v51, v33
	v_mul_lo_u32 v85, s18, v64
	s_add_i32 s36, s1, s0
	v_lshlrev_b32_e32 v32, 1, v2
	v_lshlrev_b32_e32 v87, 2, v0
	v_mov_b32_e32 v88, v56
	v_writelane_b32 v99, s35, 22
	v_writelane_b32 v99, s36, 23
	s_branch .LBB183_7
.LBB183_4:                              ;   in Loop: Header=BB183_7 Depth=1
	s_or_b64 exec, exec, s[4:5]
.LBB183_5:                              ;   in Loop: Header=BB183_7 Depth=1
	s_or_b64 exec, exec, s[2:3]
	v_subrev_u32_e32 v88, s10, v88
.LBB183_6:                              ;   in Loop: Header=BB183_7 Depth=1
	s_or_b64 exec, exec, s[0:1]
	s_add_i32 s33, s33, 1
	v_cmp_ge_i32_e32 vcc, s33, v62
	s_cbranch_vccnz .LBB183_51
.LBB183_7:                              ; =>This Loop Header: Depth=1
                                        ;     Child Loop BB183_13 Depth 2
                                        ;       Child Loop BB183_15 Depth 3
                                        ;       Child Loop BB183_18 Depth 3
	;; [unrolled: 1-line block ×3, first 2 shown]
                                        ;     Child Loop BB183_38 Depth 2
                                        ;       Child Loop BB183_40 Depth 3
                                        ;     Child Loop BB183_48 Depth 2
                                        ;       Child Loop BB183_50 Depth 3
	s_abs_i32 s1, s33
	s_mul_hi_u32 s2, s1, s34
	s_mul_i32 s3, s2, s20
	s_ashr_i32 s0, s33, 31
	s_sub_i32 s1, s1, s3
	s_xor_b32 s0, s0, s31
	s_add_i32 s3, s2, 1
	s_sub_i32 s4, s1, s20
	s_cmp_ge_u32 s1, s20
	s_cselect_b32 s2, s3, s2
	s_cselect_b32 s1, s4, s1
	s_add_i32 s3, s2, 1
	s_cmp_ge_u32 s1, s20
	s_cselect_b32 s1, s3, s2
	s_xor_b32 s1, s1, s0
	s_sub_i32 s0, s1, s0
	s_abs_i32 s2, s0
	s_mul_i32 s1, s0, s11
	s_mul_hi_u32 s3, s2, s36
	s_sub_i32 s1, s33, s1
	s_mul_i32 s4, s3, s98
	s_lshl_b32 s52, s1, 6
	s_ashr_i32 s1, s0, 31
	s_sub_i32 s2, s2, s4
	s_xor_b32 s1, s1, s35
	s_add_i32 s4, s3, 1
	s_sub_i32 s5, s2, s98
	s_cmp_ge_u32 s2, s98
	s_cselect_b32 s3, s4, s3
	s_cselect_b32 s2, s5, s2
	s_add_i32 s4, s3, 1
	s_cmp_ge_u32 s2, s98
	s_cselect_b32 s2, s4, s3
	s_xor_b32 s2, s2, s1
	s_sub_i32 s1, s2, s1
	s_mul_i32 s2, s1, s13
	s_lshl_b32 s37, s2, 6
	s_cmp_eq_u32 s1, s26
	s_cselect_b32 s99, s27, s13
	s_sub_i32 s2, s52, s16
	s_add_i32 s53, s2, 64
	s_and_saveexec_b64 s[2:3], s[24:25]
	s_xor_b64 s[38:39], exec, s[2:3]
	s_cbranch_execz .LBB183_44
; %bb.8:                                ;   in Loop: Header=BB183_7 Depth=1
	s_mul_i32 s1, s1, s12
	s_sub_i32 s0, s0, s1
	s_lshl_b32 s0, s0, 6
	s_sub_i32 s90, s0, s17
	s_add_i32 s90, s90, 64
	s_max_i32 s1, s90, 0
	s_sub_i32 s54, s0, s1
	s_and_saveexec_b64 s[0:1], s[14:15]
	s_xor_b64 s[4:5], exec, s[0:1]
	s_cbranch_execz .LBB183_34
; %bb.9:                                ;   in Loop: Header=BB183_7 Depth=1
	s_and_saveexec_b64 s[2:3], s[28:29]
	s_cbranch_execz .LBB183_33
; %bb.10:                               ;   in Loop: Header=BB183_7 Depth=1
	global_load_dword v89, v33, s[50:51]
	v_writelane_b32 v99, s2, 24
	v_mov_b32_e32 v31, 0
	v_cmp_gt_i32_e32 vcc, s99, v88
	v_writelane_b32 v99, s3, 25
	v_writelane_b32 v99, s4, 26
	v_mov_b32_e32 v30, v31
	v_mov_b32_e32 v29, v31
	;; [unrolled: 1-line block ×12, first 2 shown]
	s_waitcnt lgkmcnt(1)
	v_mov_b32_e32 v18, v31
	v_mov_b32_e32 v17, v31
	;; [unrolled: 1-line block ×19, first 2 shown]
	v_writelane_b32 v99, s5, 27
	s_and_saveexec_b64 s[0:1], vcc
	s_cbranch_execz .LBB183_23
; %bb.11:                               ;   in Loop: Header=BB183_7 Depth=1
	v_mov_b32_e32 v0, 0
	s_mov_b64 s[2:3], 0
	v_mov_b32_e32 v1, v0
	v_mov_b32_e32 v2, v0
	;; [unrolled: 1-line block ×31, first 2 shown]
	s_branch .LBB183_13
.LBB183_12:                             ;   in Loop: Header=BB183_13 Depth=2
	s_or_b64 exec, exec, s[4:5]
	v_add_u32_e32 v96, 0x800, v93
	ds_read2_b32 v[94:95], v96 offset1:32
	v_add_u32_e32 v88, s23, v88
	s_waitcnt lgkmcnt(0)
	v_mfma_f32_32x32x16_fp8_fp8 v[0:15], v[60:61], v[94:95], v[0:15]
	ds_read2_b32 v[60:61], v96 offset0:128 offset1:160
	s_waitcnt lgkmcnt(0)
	v_mfma_f32_32x32x16_fp8_fp8 v[0:15], v[58:59], v[60:61], v[0:15]
	v_add_u32_e32 v60, 0xc00, v93
	ds_read2_b32 v[58:59], v60 offset1:32
	ds_read2_b32 v[60:61], v60 offset0:128 offset1:160
	ds_write_b32 v91, v92 offset:49164
	s_waitcnt lgkmcnt(2)
	v_mfma_f32_32x32x16_fp8_fp8 v[0:15], v[56:57], v[58:59], v[0:15]
	v_add_u32_e32 v56, s23, v90
	v_add_u32_e32 v57, 2, v63
	v_cmp_lt_i32_e32 vcc, 5, v56
	s_nop 1
	v_cndmask_b32_e32 v63, v63, v57, vcc
	v_cmp_le_i32_e32 vcc, s99, v88
	s_waitcnt lgkmcnt(1)
	v_mfma_f32_32x32x16_fp8_fp8 v[0:15], v[54:55], v[60:61], v[0:15]
	s_or_b64 s[2:3], vcc, s[2:3]
	s_andn2_b64 exec, exec, s[2:3]
	s_cbranch_execz .LBB183_22
.LBB183_13:                             ;   Parent Loop BB183_7 Depth=1
                                        ; =>  This Loop Header: Depth=2
                                        ;       Child Loop BB183_15 Depth 3
                                        ;       Child Loop BB183_18 Depth 3
	;; [unrolled: 1-line block ×3, first 2 shown]
	v_cmp_gt_i32_e32 vcc, 6, v56
	s_nop 1
	v_cndmask_b32_e64 v54, -6, 0, vcc
	v_add_u32_e32 v90, v54, v56
	v_lshlrev_b32_e32 v91, 4, v90
	ds_read_b32 v54, v91 offset:49152
	s_waitcnt lgkmcnt(0)
	v_cmp_ne_u32_e32 vcc, v54, v63
	s_and_saveexec_b64 s[4:5], vcc
	s_cbranch_execz .LBB183_16
; %bb.14:                               ;   in Loop: Header=BB183_13 Depth=2
	s_mov_b64 s[6:7], 0
.LBB183_15:                             ;   Parent Loop BB183_7 Depth=1
                                        ;     Parent Loop BB183_13 Depth=2
                                        ; =>    This Inner Loop Header: Depth=3
	;;#ASMSTART
	s_sleep 0
	;;#ASMEND
	ds_read_b32 v54, v91 offset:49152
	s_waitcnt lgkmcnt(0)
	v_cmp_eq_u32_e32 vcc, v54, v63
	s_or_b64 s[6:7], vcc, s[6:7]
	s_andn2_b64 exec, exec, s[6:7]
	s_cbranch_execnz .LBB183_15
.LBB183_16:                             ;   in Loop: Header=BB183_13 Depth=2
	s_or_b64 exec, exec, s[4:5]
	v_lshl_or_b32 v54, v90, 11, v65
	ds_read2_b32 v[60:61], v54 offset1:32
	ds_read2_b32 v[58:59], v54 offset0:128 offset1:160
	v_add_u32_e32 v54, 0x400, v54
	ds_read2_b32 v[56:57], v54 offset1:32
	ds_read_b32 v93, v91 offset:49156
	ds_read2_b32 v[54:55], v54 offset0:128 offset1:160
	v_add_u32_e32 v92, 1, v63
	ds_write_b32 v91, v92 offset:49152
	s_waitcnt lgkmcnt(2)
	v_cmp_ne_u32_e32 vcc, v93, v63
	s_and_saveexec_b64 s[4:5], vcc
	s_cbranch_execz .LBB183_19
; %bb.17:                               ;   in Loop: Header=BB183_13 Depth=2
	s_mov_b64 s[6:7], 0
.LBB183_18:                             ;   Parent Loop BB183_7 Depth=1
                                        ;     Parent Loop BB183_13 Depth=2
                                        ; =>    This Inner Loop Header: Depth=3
	;;#ASMSTART
	s_sleep 0
	;;#ASMEND
	ds_read_b32 v93, v91 offset:49156
	s_waitcnt lgkmcnt(0)
	v_cmp_eq_u32_e32 vcc, v93, v63
	s_or_b64 s[6:7], vcc, s[6:7]
	s_andn2_b64 exec, exec, s[6:7]
	s_cbranch_execnz .LBB183_18
.LBB183_19:                             ;   in Loop: Header=BB183_13 Depth=2
	s_or_b64 exec, exec, s[4:5]
	v_lshlrev_b32_e32 v93, 12, v90
	v_add_u32_e32 v93, v66, v93
	ds_read2_b32 v[94:95], v93 offset1:32
	v_add_u32_e32 v96, 0x400, v93
	ds_write_b32 v91, v92 offset:49156
	s_waitcnt lgkmcnt(1)
	v_mfma_f32_32x32x16_fp8_fp8 v[16:31], v[60:61], v[94:95], v[16:31]
	ds_read2_b32 v[94:95], v93 offset0:128 offset1:160
	s_waitcnt lgkmcnt(0)
	v_mfma_f32_32x32x16_fp8_fp8 v[16:31], v[58:59], v[94:95], v[16:31]
	ds_read2_b32 v[94:95], v96 offset1:32
	s_waitcnt lgkmcnt(0)
	v_mfma_f32_32x32x16_fp8_fp8 v[16:31], v[56:57], v[94:95], v[16:31]
	ds_read2_b32 v[94:95], v96 offset0:128 offset1:160
	ds_read_b32 v96, v91 offset:49164
	s_waitcnt lgkmcnt(0)
	v_cmp_ne_u32_e32 vcc, v96, v63
	v_mfma_f32_32x32x16_fp8_fp8 v[16:31], v[54:55], v[94:95], v[16:31]
	s_and_saveexec_b64 s[4:5], vcc
	s_cbranch_execz .LBB183_12
; %bb.20:                               ;   in Loop: Header=BB183_13 Depth=2
	s_mov_b64 s[6:7], 0
.LBB183_21:                             ;   Parent Loop BB183_7 Depth=1
                                        ;     Parent Loop BB183_13 Depth=2
                                        ; =>    This Inner Loop Header: Depth=3
	;;#ASMSTART
	s_sleep 0
	;;#ASMEND
	ds_read_b32 v94, v91 offset:49164
	s_waitcnt lgkmcnt(0)
	v_cmp_eq_u32_e32 vcc, v94, v63
	s_or_b64 s[6:7], vcc, s[6:7]
	s_andn2_b64 exec, exec, s[6:7]
	s_cbranch_execnz .LBB183_21
	s_branch .LBB183_12
.LBB183_22:                             ;   in Loop: Header=BB183_7 Depth=1
	s_or_b64 exec, exec, s[2:3]
.LBB183_23:                             ;   in Loop: Header=BB183_7 Depth=1
	v_writelane_b32 v99, s54, 28
	s_nop 1
	v_writelane_b32 v99, s55, 29
	v_writelane_b32 v99, s38, 30
	s_nop 1
	v_writelane_b32 v99, s39, 31
	v_writelane_b32 v99, s53, 32
	;; [unrolled: 1-line block ×4, first 2 shown]
	s_or_b64 exec, exec, s[0:1]
	v_cmp_le_i32_e32 vcc, s90, v64
	v_cmp_eq_u32_e64 s[86:87], 1, v67
	v_cmp_eq_u32_e64 s[50:51], 2, v67
	s_waitcnt vmcnt(0)
	v_cndmask_b32_e32 v54, 0, v89, vcc
	v_pk_mul_f32 v[16:17], v[54:55], v[16:17] op_sel_hi:[0,1]
	v_pk_mul_f32 v[30:31], v[54:55], v[30:31] op_sel_hi:[0,1]
	;; [unrolled: 1-line block ×8, first 2 shown]
	v_cndmask_b32_e64 v54, v16, v17, s[86:87]
	v_cndmask_b32_e64 v54, v54, v18, s[50:51]
	v_cmp_eq_u32_e64 s[52:53], 3, v67
	v_cmp_eq_u32_e64 s[56:57], 4, v67
	v_cmp_eq_u32_e64 s[60:61], 5, v67
	v_cndmask_b32_e64 v54, v54, v19, s[52:53]
	v_cndmask_b32_e64 v54, v54, v20, s[56:57]
	v_cndmask_b32_e64 v54, v54, v21, s[60:61]
	v_cmp_eq_u32_e64 s[64:65], 6, v67
	v_cmp_eq_u32_e64 s[68:69], 7, v67
	v_cmp_eq_u32_e64 s[72:73], 8, v67
	v_cndmask_b32_e64 v54, v54, v22, s[64:65]
	;; [unrolled: 6-line block ×5, first 2 shown]
	ds_bpermute_b32 v54, v87, v54
	v_cmp_eq_u32_e64 s[26:27], 2, v68
	v_cmp_eq_u32_e64 s[28:29], 3, v68
	;; [unrolled: 1-line block ×4, first 2 shown]
	s_waitcnt lgkmcnt(0)
	v_cndmask_b32_e64 v17, v17, v54, s[86:87]
	v_cndmask_b32_e64 v16, v16, v54, s[70:71]
	;; [unrolled: 1-line block ×12, first 2 shown]
	v_cmp_eq_u32_e64 s[36:37], 6, v68
	v_cndmask_b32_e64 v57, v23, v54, s[68:69]
	v_cmp_eq_u32_e64 s[38:39], 7, v68
	v_cndmask_b32_e64 v18, v18, v58, s[36:37]
	v_cndmask_b32_e64 v55, v24, v54, s[72:73]
	v_cndmask_b32_e64 v18, v18, v57, s[38:39]
	v_cmp_eq_u32_e64 s[42:43], 8, v68
	v_cndmask_b32_e64 v25, v25, v54, s[74:75]
	v_cmp_eq_u32_e64 s[44:45], 9, v68
	v_cndmask_b32_e64 v18, v18, v55, s[42:43]
	v_cndmask_b32_e64 v26, v26, v54, s[76:77]
	v_cndmask_b32_e64 v18, v18, v25, s[44:45]
	;; [unrolled: 6-line block ×4, first 2 shown]
	v_cmp_eq_u32_e64 s[62:63], 14, v68
	v_cndmask_b32_e64 v31, v31, v54, s[88:89]
	v_cmp_eq_u32_e64 s[66:67], 15, v68
	v_cndmask_b32_e64 v18, v18, v30, s[62:63]
	v_cmp_le_i32_e64 s[90:91], s90, v75
	v_cndmask_b32_e64 v18, v18, v31, s[66:67]
	ds_bpermute_b32 v54, v87, v18
	v_cmp_eq_u32_e64 s[40:41], 0, v68
	v_cmp_eq_u32_e64 s[2:3], 1, v69
	;; [unrolled: 1-line block ×4, first 2 shown]
	s_waitcnt lgkmcnt(0)
	v_cndmask_b32_e64 v22, v27, v54, s[48:49]
	v_cndmask_b32_e64 v27, v58, v54, s[36:37]
	;; [unrolled: 1-line block ×3, first 2 shown]
	v_pk_mul_f32 v[0:1], v[58:59], v[0:1] op_sel_hi:[0,1]
	v_cndmask_b32_e64 v24, v25, v54, s[44:45]
	v_cndmask_b32_e64 v25, v55, v54, s[42:43]
	v_pk_mul_f32 v[2:3], v[58:59], v[2:3] op_sel_hi:[0,1]
	v_cndmask_b32_e64 v55, v0, v1, s[86:87]
	v_cndmask_b32_e64 v55, v55, v2, s[50:51]
	v_pk_mul_f32 v[4:5], v[58:59], v[4:5] op_sel_hi:[0,1]
	v_cndmask_b32_e64 v55, v55, v3, s[52:53]
	v_cndmask_b32_e64 v55, v55, v4, s[56:57]
	v_pk_mul_f32 v[6:7], v[58:59], v[6:7] op_sel_hi:[0,1]
	v_cndmask_b32_e64 v55, v55, v5, s[60:61]
	v_cndmask_b32_e64 v55, v55, v6, s[64:65]
	v_pk_mul_f32 v[8:9], v[58:59], v[8:9] op_sel_hi:[0,1]
	v_cndmask_b32_e64 v55, v55, v7, s[68:69]
	v_cndmask_b32_e64 v55, v55, v8, s[72:73]
	v_pk_mul_f32 v[10:11], v[58:59], v[10:11] op_sel_hi:[0,1]
	v_cndmask_b32_e64 v55, v55, v9, s[74:75]
	v_cndmask_b32_e64 v55, v55, v10, s[76:77]
	v_cndmask_b32_e64 v17, v17, v54, s[24:25]
	v_cndmask_b32_e64 v16, v16, v54, s[40:41]
	v_pk_mul_f32 v[12:13], v[58:59], v[12:13] op_sel_hi:[0,1]
	v_cndmask_b32_e64 v55, v55, v11, s[78:79]
	v_cndmask_b32_e64 v18, v31, v54, s[66:67]
	;; [unrolled: 1-line block ×14, first 2 shown]
	v_pk_mul_f32 v[14:15], v[58:59], v[14:15] op_sel_hi:[0,1]
	v_cndmask_b32_e64 v55, v55, v13, s[82:83]
	v_cndmask_b32_e64 v54, v54, v30, s[8:9]
	v_cmp_eq_u32_e64 s[10:11], 4, v69
	v_cndmask_b32_e64 v55, v55, v14, s[84:85]
	v_cmp_eq_u32_e64 s[12:13], 5, v69
	v_cndmask_b32_e64 v54, v54, v29, s[10:11]
	v_cndmask_b32_e64 v55, v55, v15, s[88:89]
	;; [unrolled: 1-line block ×3, first 2 shown]
	v_cmp_eq_u32_e64 s[14:15], 6, v69
	ds_bpermute_b32 v55, v87, v55
	v_cmp_eq_u32_e64 s[96:97], 7, v69
	v_cndmask_b32_e64 v54, v54, v27, s[14:15]
	v_cmp_eq_u32_e64 s[4:5], 8, v69
	v_cndmask_b32_e64 v54, v54, v26, s[96:97]
	v_cmp_eq_u32_e32 vcc, 9, v69
	v_cndmask_b32_e64 v54, v54, v25, s[4:5]
	v_cmp_eq_u32_e64 s[0:1], 10, v69
	v_cndmask_b32_e32 v54, v54, v24, vcc
	v_cmp_eq_u32_e64 s[86:87], 11, v69
	v_cndmask_b32_e64 v54, v54, v23, s[0:1]
	s_waitcnt lgkmcnt(0)
	v_cndmask_b32_e64 v2, v2, v55, s[50:51]
	v_cmp_ne_u32_e64 s[50:51], 0, v67
	v_cndmask_b32_e64 v54, v54, v22, s[86:87]
	v_cmp_eq_u32_e64 s[90:91], 12, v69
	v_cndmask_b32_e64 v1, v1, v55, s[50:51]
	v_cndmask_b32_e64 v0, v0, v55, s[70:71]
	;; [unrolled: 1-line block ×4, first 2 shown]
	v_cmp_eq_u32_e64 s[88:89], 13, v69
	v_cndmask_b32_e64 v14, v14, v55, s[84:85]
	v_cndmask_b32_e64 v13, v13, v55, s[82:83]
	;; [unrolled: 1-line block ×14, first 2 shown]
	v_cmp_eq_u32_e64 s[84:85], 14, v69
	v_cndmask_b32_e64 v55, v55, v2, s[26:27]
	v_cmp_eq_u32_e64 s[82:83], 15, v69
	v_cndmask_b32_e64 v54, v54, v19, s[84:85]
	v_cndmask_b32_e64 v55, v55, v3, s[28:29]
	;; [unrolled: 1-line block ×4, first 2 shown]
	ds_bpermute_b32 v54, v87, v54
	v_cndmask_b32_e64 v55, v55, v5, s[34:35]
	v_cndmask_b32_e64 v55, v55, v6, s[36:37]
	;; [unrolled: 1-line block ×4, first 2 shown]
	v_cmp_eq_u32_e64 s[80:81], 0, v69
	v_cndmask_b32_e64 v55, v55, v9, s[44:45]
	s_waitcnt lgkmcnt(0)
	v_cndmask_b32_e64 v17, v17, v54, s[2:3]
	v_cndmask_b32_e64 v16, v16, v54, s[80:81]
	v_cmp_eq_u32_e64 s[78:79], 1, v70
	v_cndmask_b32_e64 v55, v55, v10, s[46:47]
	v_cndmask_b32_e64 v18, v18, v54, s[82:83]
	;; [unrolled: 1-line block ×7, first 2 shown]
	v_cndmask_b32_e32 v24, v24, v54, vcc
	v_cndmask_b32_e64 v25, v25, v54, s[4:5]
	v_cndmask_b32_e64 v26, v26, v54, s[96:97]
	;; [unrolled: 1-line block ×8, first 2 shown]
	v_cmp_eq_u32_e64 s[76:77], 2, v70
	v_cndmask_b32_e64 v55, v55, v11, s[48:49]
	v_cmp_eq_u32_e64 s[74:75], 3, v70
	v_cndmask_b32_e64 v54, v54, v31, s[76:77]
	v_cndmask_b32_e64 v55, v55, v12, s[54:55]
	;; [unrolled: 1-line block ×3, first 2 shown]
	v_cmp_eq_u32_e64 s[72:73], 4, v70
	v_cndmask_b32_e64 v55, v55, v13, s[58:59]
	v_cmp_eq_u32_e64 s[68:69], 5, v70
	v_cndmask_b32_e64 v54, v54, v29, s[72:73]
	v_cndmask_b32_e64 v55, v55, v14, s[62:63]
	;; [unrolled: 1-line block ×3, first 2 shown]
	v_cmp_eq_u32_e64 s[64:65], 6, v70
	v_cndmask_b32_e64 v55, v55, v15, s[66:67]
	v_cmp_eq_u32_e64 s[60:61], 7, v70
	v_cndmask_b32_e64 v54, v54, v27, s[64:65]
	ds_bpermute_b32 v55, v87, v55
	v_cndmask_b32_e64 v54, v54, v26, s[60:61]
	v_cmp_eq_u32_e64 s[56:57], 8, v70
	v_cmp_eq_u32_e64 s[52:53], 9, v70
	;; [unrolled: 1-line block ×3, first 2 shown]
	v_cndmask_b32_e64 v54, v54, v25, s[56:57]
	v_cndmask_b32_e64 v54, v54, v24, s[52:53]
	;; [unrolled: 1-line block ×3, first 2 shown]
	v_cmp_eq_u32_e64 s[70:71], 11, v70
	s_waitcnt lgkmcnt(0)
	v_cndmask_b32_e64 v15, v15, v55, s[66:67]
	v_cmp_eq_u32_e64 s[66:67], 12, v70
	v_cndmask_b32_e64 v54, v54, v22, s[70:71]
	v_cndmask_b32_e64 v14, v14, v55, s[62:63]
	;; [unrolled: 1-line block ×3, first 2 shown]
	v_cmp_eq_u32_e64 s[62:63], 13, v70
	v_cndmask_b32_e64 v1, v1, v55, s[24:25]
	v_cndmask_b32_e64 v0, v0, v55, s[40:41]
	;; [unrolled: 1-line block ×4, first 2 shown]
	v_cmp_eq_u32_e64 s[92:93], 14, v70
	v_cndmask_b32_e64 v12, v12, v55, s[54:55]
	v_cndmask_b32_e64 v11, v11, v55, s[48:49]
	;; [unrolled: 1-line block ×13, first 2 shown]
	v_cmp_eq_u32_e64 s[94:95], 15, v70
	v_cndmask_b32_e64 v55, v55, v2, s[6:7]
	v_cndmask_b32_e64 v55, v55, v3, s[8:9]
	;; [unrolled: 1-line block ×3, first 2 shown]
	ds_bpermute_b32 v54, v87, v54
	v_cndmask_b32_e64 v55, v55, v4, s[10:11]
	v_cndmask_b32_e64 v55, v55, v5, s[12:13]
	;; [unrolled: 1-line block ×4, first 2 shown]
	v_cmp_eq_u32_e64 s[48:49], 0, v70
	v_cndmask_b32_e64 v55, v55, v8, s[4:5]
	s_waitcnt lgkmcnt(0)
	v_cndmask_b32_e64 v17, v17, v54, s[78:79]
	v_cndmask_b32_e64 v16, v16, v54, s[48:49]
	v_cmp_eq_u32_e64 s[46:47], 1, v71
	v_cndmask_b32_e32 v55, v55, v9, vcc
	v_cndmask_b32_e64 v18, v18, v54, s[94:95]
	v_cndmask_b32_e64 v19, v19, v54, s[92:93]
	v_cndmask_b32_e64 v20, v20, v54, s[62:63]
	v_cndmask_b32_e64 v21, v21, v54, s[66:67]
	v_cndmask_b32_e64 v22, v22, v54, s[70:71]
	v_cndmask_b32_e64 v23, v23, v54, s[50:51]
	v_cndmask_b32_e64 v24, v24, v54, s[52:53]
	v_cndmask_b32_e64 v25, v25, v54, s[56:57]
	v_cndmask_b32_e64 v26, v26, v54, s[60:61]
	v_cndmask_b32_e64 v27, v27, v54, s[64:65]
	v_cndmask_b32_e64 v28, v28, v54, s[68:69]
	v_cndmask_b32_e64 v29, v29, v54, s[72:73]
	v_cndmask_b32_e64 v30, v30, v54, s[74:75]
	v_cndmask_b32_e64 v31, v31, v54, s[76:77]
	v_cndmask_b32_e64 v54, v16, v17, s[46:47]
	v_cmp_eq_u32_e64 s[44:45], 2, v71
	v_cndmask_b32_e64 v55, v55, v10, s[0:1]
	v_cmp_eq_u32_e64 s[42:43], 3, v71
	v_cndmask_b32_e64 v54, v54, v31, s[44:45]
	v_cndmask_b32_e64 v55, v55, v11, s[86:87]
	v_cndmask_b32_e64 v54, v54, v30, s[42:43]
	v_cmp_eq_u32_e64 s[38:39], 4, v71
	v_cndmask_b32_e64 v55, v55, v12, s[90:91]
	v_cmp_eq_u32_e64 s[36:37], 5, v71
	v_cndmask_b32_e64 v54, v54, v29, s[38:39]
	v_cndmask_b32_e64 v55, v55, v13, s[88:89]
	v_cndmask_b32_e64 v54, v54, v28, s[36:37]
	;; [unrolled: 6-line block ×3, first 2 shown]
	v_cmp_eq_u32_e64 s[28:29], 8, v71
	ds_bpermute_b32 v55, v87, v55
	v_cmp_eq_u32_e64 s[26:27], 9, v71
	v_cndmask_b32_e64 v54, v54, v25, s[28:29]
	v_cmp_eq_u32_e64 s[24:25], 10, v71
	v_cndmask_b32_e64 v54, v54, v24, s[26:27]
	;; [unrolled: 2-line block ×4, first 2 shown]
	s_waitcnt lgkmcnt(0)
	v_cndmask_b32_e64 v15, v15, v55, s[82:83]
	v_cndmask_b32_e64 v54, v54, v21, s[58:59]
	v_cmp_eq_u32_e64 s[82:83], 13, v71
	v_cndmask_b32_e64 v14, v14, v55, s[84:85]
	v_cmp_eq_u32_e64 s[84:85], 14, v71
	v_cndmask_b32_e64 v54, v54, v20, s[82:83]
	v_cndmask_b32_e64 v1, v1, v55, s[2:3]
	;; [unrolled: 1-line block ×6, first 2 shown]
	v_cmp_eq_u32_e64 s[90:91], 15, v71
	v_cndmask_b32_e64 v11, v11, v55, s[86:87]
	v_cndmask_b32_e64 v10, v10, v55, s[0:1]
	v_cndmask_b32_e32 v9, v9, v55, vcc
	v_cndmask_b32_e64 v8, v8, v55, s[4:5]
	v_cndmask_b32_e64 v7, v7, v55, s[96:97]
	v_cndmask_b32_e64 v6, v6, v55, s[14:15]
	v_cndmask_b32_e64 v5, v5, v55, s[12:13]
	v_cndmask_b32_e64 v4, v4, v55, s[10:11]
	v_cndmask_b32_e64 v3, v3, v55, s[8:9]
	v_cndmask_b32_e64 v2, v2, v55, s[6:7]
	v_cndmask_b32_e64 v55, v0, v1, s[78:79]
	v_cndmask_b32_e64 v54, v54, v18, s[90:91]
	v_cndmask_b32_e64 v55, v55, v2, s[76:77]
	ds_bpermute_b32 v54, v87, v54
	v_cndmask_b32_e64 v55, v55, v3, s[74:75]
	v_cndmask_b32_e64 v55, v55, v4, s[72:73]
	;; [unrolled: 1-line block ×3, first 2 shown]
	v_cmp_eq_u32_e64 s[54:55], 0, v71
	v_cndmask_b32_e64 v55, v55, v6, s[64:65]
	v_cndmask_b32_e64 v55, v55, v7, s[60:61]
	v_writelane_b32 v99, s54, 35
	s_waitcnt lgkmcnt(0)
	v_cndmask_b32_e64 v17, v17, v54, s[46:47]
	v_cndmask_b32_e64 v55, v55, v8, s[56:57]
	v_writelane_b32 v99, s55, 36
	v_cndmask_b32_e64 v16, v16, v54, s[54:55]
	v_cmp_eq_u32_e64 s[54:55], 1, v72
	v_cndmask_b32_e64 v18, v18, v54, s[90:91]
	v_cndmask_b32_e64 v19, v19, v54, s[84:85]
	;; [unrolled: 1-line block ×15, first 2 shown]
	v_cmp_eq_u32_e64 s[0:1], 2, v72
	v_cndmask_b32_e64 v55, v55, v9, s[52:53]
	v_cmp_eq_u32_e64 s[4:5], 3, v72
	v_cndmask_b32_e64 v54, v54, v31, s[0:1]
	v_cndmask_b32_e64 v55, v55, v10, s[50:51]
	v_cndmask_b32_e64 v54, v54, v30, s[4:5]
	v_cmp_eq_u32_e64 s[96:97], 4, v72
	v_cndmask_b32_e64 v55, v55, v11, s[70:71]
	v_cmp_eq_u32_e64 s[14:15], 5, v72
	v_cndmask_b32_e64 v54, v54, v29, s[96:97]
	v_cndmask_b32_e64 v55, v55, v12, s[66:67]
	v_cndmask_b32_e64 v54, v54, v28, s[14:15]
	v_cmp_eq_u32_e64 s[12:13], 6, v72
	v_cndmask_b32_e64 v55, v55, v13, s[62:63]
	v_cmp_eq_u32_e64 s[10:11], 7, v72
	v_cndmask_b32_e64 v54, v54, v27, s[12:13]
	v_cndmask_b32_e64 v55, v55, v14, s[92:93]
	v_cndmask_b32_e64 v54, v54, v26, s[10:11]
	v_cmp_eq_u32_e64 s[8:9], 8, v72
	v_cndmask_b32_e64 v55, v55, v15, s[94:95]
	v_cmp_eq_u32_e64 s[6:7], 9, v72
	v_cndmask_b32_e64 v54, v54, v25, s[8:9]
	ds_bpermute_b32 v55, v87, v55
	v_cndmask_b32_e64 v54, v54, v24, s[6:7]
	v_cmp_eq_u32_e32 vcc, 10, v72
	v_cmp_eq_u32_e64 s[80:81], 11, v72
	v_cmp_eq_u32_e64 s[86:87], 12, v72
	v_cndmask_b32_e32 v54, v54, v23, vcc
	v_cndmask_b32_e64 v54, v54, v22, s[80:81]
	v_cndmask_b32_e64 v54, v54, v21, s[86:87]
	v_cmp_eq_u32_e64 s[88:89], 13, v72
	s_waitcnt lgkmcnt(0)
	v_cndmask_b32_e64 v13, v13, v55, s[62:63]
	v_cmp_eq_u32_e64 s[62:63], 14, v72
	v_cndmask_b32_e64 v54, v54, v20, s[88:89]
	v_cndmask_b32_e64 v12, v12, v55, s[66:67]
	;; [unrolled: 1-line block ×3, first 2 shown]
	v_cmp_eq_u32_e64 s[66:67], 15, v72
	v_cndmask_b32_e64 v57, v11, v55, s[70:71]
	v_cmp_eq_u32_e64 s[70:71], 0, v72
	v_cndmask_b32_e64 v54, v54, v18, s[66:67]
	ds_bpermute_b32 v54, v87, v54
	v_cndmask_b32_e64 v15, v15, v55, s[94:95]
	v_cndmask_b32_e64 v14, v14, v55, s[92:93]
	;; [unrolled: 1-line block ×4, first 2 shown]
	s_waitcnt lgkmcnt(0)
	v_cndmask_b32_e64 v18, v18, v54, s[66:67]
	v_cndmask_b32_e64 v19, v19, v54, s[62:63]
	;; [unrolled: 1-line block ×5, first 2 shown]
	v_cndmask_b32_e32 v23, v23, v54, vcc
	v_cndmask_b32_e64 v24, v24, v54, s[6:7]
	v_cndmask_b32_e64 v25, v25, v54, s[8:9]
	;; [unrolled: 1-line block ×28, first 2 shown]
	v_cmp_eq_u32_e64 s[50:51], 1, v73
	v_cndmask_b32_e64 v0, v0, v54, s[24:25]
	v_cmp_eq_u32_e64 s[52:53], 2, v73
	v_cndmask_b32_e64 v10, v16, v17, s[50:51]
	v_cndmask_b32_e64 v0, v0, v57, s[40:41]
	v_cndmask_b32_e64 v9, v10, v31, s[52:53]
	v_cmp_eq_u32_e64 s[56:57], 3, v73
	v_cndmask_b32_e64 v0, v0, v12, s[58:59]
	v_cmp_eq_u32_e64 s[60:61], 4, v73
	v_cndmask_b32_e64 v8, v9, v30, s[56:57]
	v_cndmask_b32_e64 v0, v0, v13, s[82:83]
	v_cndmask_b32_e64 v7, v8, v29, s[60:61]
	;; [unrolled: 6-line block ×3, first 2 shown]
	v_cmp_eq_u32_e64 s[72:73], 7, v73
	ds_bpermute_b32 v94, v87, v0
	v_cmp_eq_u32_e64 s[74:75], 8, v73
	v_cndmask_b32_e64 v4, v5, v26, s[72:73]
	v_cmp_eq_u32_e64 s[76:77], 9, v73
	v_cndmask_b32_e64 v3, v4, v25, s[74:75]
	;; [unrolled: 2-line block ×4, first 2 shown]
	s_waitcnt lgkmcnt(0)
	v_cndmask_b32_e64 v95, v15, v94, s[90:91]
	v_cndmask_b32_e64 v0, v0, v22, s[78:79]
	v_cmp_eq_u32_e64 s[90:91], 12, v73
	v_cndmask_b32_e64 v96, v14, v94, s[84:85]
	v_cmp_eq_u32_e64 s[84:85], 13, v73
	v_cndmask_b32_e64 v0, v0, v21, s[90:91]
	v_cndmask_b32_e64 v97, v13, v94, s[82:83]
	v_cndmask_b32_e64 v0, v0, v20, s[84:85]
	v_cmp_eq_u32_e64 s[82:83], 14, v73
	v_cndmask_b32_e64 v98, v12, v94, s[58:59]
	v_cmp_eq_u32_e64 s[58:59], 15, v73
	v_cndmask_b32_e64 v0, v0, v19, s[82:83]
	v_readlane_b32 s2, v99, 35
	v_cndmask_b32_e64 v0, v0, v18, s[58:59]
	ds_bpermute_b32 v1, v87, v0
	v_readlane_b32 s3, v99, 36
	s_waitcnt lgkmcnt(0)
	v_cndmask_b32_e64 v11, v27, v1, s[68:69]
	v_cndmask_b32_e64 v12, v28, v1, s[64:65]
	;; [unrolled: 1-line block ×4, first 2 shown]
	s_mov_b64 s[2:3], s[54:55]
	v_cndmask_b32_e64 v10, v26, v1, s[72:73]
	v_cndmask_b32_e64 v13, v29, v1, s[60:61]
	;; [unrolled: 1-line block ×25, first 2 shown]
	v_cmp_eq_u32_e64 s[40:41], 0, v73
	v_cndmask_b32_e64 v19, v58, v94, s[26:27]
	v_cndmask_b32_e64 v29, v29, v20, s[8:9]
	;; [unrolled: 1-line block ×8, first 2 shown]
	v_cndmask_b32_e32 v29, v29, v16, vcc
	v_cndmask_b32_e64 v29, v29, v17, s[80:81]
	v_cndmask_b32_e64 v29, v29, v98, s[86:87]
	;; [unrolled: 1-line block ×5, first 2 shown]
	ds_bpermute_b32 v29, v87, v29
	v_cmp_eq_u32_e64 s[24:25], 1, v74
	v_cmp_eq_u32_e64 s[26:27], 2, v74
	;; [unrolled: 1-line block ×3, first 2 shown]
	v_cndmask_b32_e64 v18, v1, v0, s[24:25]
	s_waitcnt lgkmcnt(0)
	v_cndmask_b32_e64 v92, v27, v29, s[2:3]
	v_cndmask_b32_e64 v93, v28, v29, s[70:71]
	;; [unrolled: 1-line block ×18, first 2 shown]
	v_cndmask_b32_e32 v16, v16, v29, vcc
	v_cndmask_b32_e64 v19, v19, v57, s[76:77]
	v_cndmask_b32_e64 v17, v17, v29, s[80:81]
	;; [unrolled: 1-line block ×12, first 2 shown]
	ds_bpermute_b32 v94, v87, v19
	v_cndmask_b32_e64 v18, v18, v15, s[26:27]
	v_cndmask_b32_e64 v18, v18, v14, s[28:29]
	v_cmp_eq_u32_e64 s[30:31], 4, v74
	v_cmp_eq_u32_e64 s[34:35], 5, v74
	s_waitcnt lgkmcnt(0)
	v_cndmask_b32_e64 v23, v17, v94, s[78:79]
	v_cndmask_b32_e64 v24, v16, v94, s[48:49]
	;; [unrolled: 1-line block ×18, first 2 shown]
	v_cmp_eq_u32_e64 s[36:37], 6, v74
	v_cndmask_b32_e64 v28, v60, v94, s[68:69]
	v_cndmask_b32_e64 v55, v55, v29, s[34:35]
	v_cndmask_b32_e64 v18, v18, v11, s[36:37]
	v_cmp_eq_u32_e64 s[38:39], 7, v74
	v_cndmask_b32_e64 v27, v59, v94, s[72:73]
	v_cndmask_b32_e64 v55, v55, v28, s[36:37]
	v_cndmask_b32_e64 v18, v18, v10, s[38:39]
	;; [unrolled: 4-line block ×4, first 2 shown]
	v_cmp_eq_u32_e64 s[46:47], 10, v74
	v_cndmask_b32_e64 v55, v55, v25, s[44:45]
	v_cmp_eq_u32_e64 s[54:55], 11, v74
	v_cndmask_b32_e64 v18, v18, v7, s[46:47]
	v_cndmask_b32_e64 v55, v55, v24, s[46:47]
	;; [unrolled: 1-line block ×3, first 2 shown]
	v_cmp_eq_u32_e64 s[66:67], 12, v74
	v_cndmask_b32_e64 v55, v55, v23, s[54:55]
	v_cmp_eq_u32_e64 s[62:63], 13, v74
	v_cndmask_b32_e64 v18, v18, v5, s[66:67]
	v_cndmask_b32_e64 v55, v55, v22, s[66:67]
	;; [unrolled: 1-line block ×3, first 2 shown]
	v_cmp_eq_u32_e32 vcc, 14, v74
	v_cndmask_b32_e64 v55, v55, v21, s[62:63]
	v_cmp_eq_u32_e64 s[6:7], 15, v74
	v_cndmask_b32_e32 v18, v18, v3, vcc
	v_cndmask_b32_e32 v55, v55, v20, vcc
	v_cndmask_b32_e64 v18, v18, v2, s[6:7]
	v_cndmask_b32_e64 v55, v55, v19, s[6:7]
	ds_bpermute_b32 v18, v87, v18
	ds_bpermute_b32 v58, v87, v55
	v_readlane_b32 s53, v99, 32
	s_nop 1
	v_cmp_lt_i32_e32 vcc, s53, v76
	s_and_saveexec_b64 s[40:41], vcc
	v_readlane_b32 s44, v99, 2
	v_readlane_b32 s45, v99, 3
	;; [unrolled: 1-line block ×11, first 2 shown]
	s_cbranch_execz .LBB183_32
; %bb.24:                               ;   in Loop: Header=BB183_7 Depth=1
	s_mul_i32 s0, s52, s17
	s_ashr_i32 s1, s0, 31
	s_lshl_b64 s[0:1], s[0:1], 1
	s_add_u32 s2, s48, s0
	v_cmp_eq_u32_e64 s[34:35], 1, v74
	v_cmp_eq_u32_e64 s[36:37], 0, v74
	s_addc_u32 s3, s49, s1
	s_ashr_i32 s55, s54, 31
	s_waitcnt lgkmcnt(1)
	v_cndmask_b32_e64 v55, v0, v18, s[34:35]
	v_cndmask_b32_e64 v57, v1, v18, s[36:37]
	s_lshl_b64 s[0:1], s[54:55], 1
	s_waitcnt lgkmcnt(0)
	v_cndmask_b32_e64 v59, v16, v58, s[34:35]
	v_cndmask_b32_e64 v60, v17, v58, s[36:37]
	v_cvt_f16_f32_e32 v57, v57
	v_cvt_f16_f32_sdwa v55, v55 dst_sel:WORD_1 dst_unused:UNUSED_PAD src0_sel:DWORD
	s_add_u32 s42, s2, s0
	v_cvt_f16_f32_e32 v60, v60
	v_cvt_f16_f32_sdwa v59, v59 dst_sel:WORD_1 dst_unused:UNUSED_PAD src0_sel:DWORD
	s_addc_u32 s43, s3, s1
	v_lshl_add_u64 v[0:1], s[42:43], 0, v[32:33]
	v_cmp_eq_u32_e32 vcc, 15, v74
	v_cmp_eq_u32_e64 s[6:7], 14, v74
	v_cmp_eq_u32_e64 s[8:9], 13, v74
	;; [unrolled: 1-line block ×13, first 2 shown]
	v_lshl_add_u64 v[16:17], v[34:35], 1, v[0:1]
	v_or_b32_e32 v55, v55, v57
	v_cmp_lt_i32_e64 s[34:35], s53, v77
	;;#ASMSTART
	global_atomic_pk_add_f16 v[16:17], v55, off
	
	;;#ASMEND
	v_lshl_add_u64 v[16:17], v[16:17], 0, 64
	v_or_b32_e32 v55, v59, v60
	;;#ASMSTART
	global_atomic_pk_add_f16 v[16:17], v55, off
	
	;;#ASMEND
	s_and_b64 exec, exec, s[34:35]
	s_cbranch_execz .LBB183_32
; %bb.25:                               ;   in Loop: Header=BB183_7 Depth=1
	v_cndmask_b32_e32 v2, v2, v18, vcc
	v_cndmask_b32_e64 v3, v3, v18, s[6:7]
	v_cndmask_b32_e64 v16, v4, v18, s[8:9]
	;; [unrolled: 1-line block ×19, first 2 shown]
	v_cvt_f16_f32_e32 v22, v18
	v_cvt_f16_f32_sdwa v23, v92 dst_sel:WORD_1 dst_unused:UNUSED_PAD src0_sel:DWORD
	v_cvt_f16_f32_e32 v21, v21
	v_cvt_f16_f32_sdwa v20, v20 dst_sel:WORD_1 dst_unused:UNUSED_PAD src0_sel:DWORD
	v_cndmask_b32_e32 v4, v19, v58, vcc
	v_cndmask_b32_e64 v9, v24, v58, s[14:15]
	v_cndmask_b32_e64 v10, v25, v58, s[0:1]
	;; [unrolled: 1-line block ×7, first 2 shown]
	v_lshl_add_u64 v[18:19], v[36:37], 1, v[0:1]
	v_cmp_lt_i32_e32 vcc, s53, v78
	v_or_b32_e32 v22, v23, v22
	;;#ASMSTART
	global_atomic_pk_add_f16 v[18:19], v22, off
	
	;;#ASMEND
	v_lshl_add_u64 v[18:19], v[18:19], 0, 64
	v_or_b32_e32 v20, v20, v21
	;;#ASMSTART
	global_atomic_pk_add_f16 v[18:19], v20, off
	
	;;#ASMEND
	s_and_b64 exec, exec, vcc
	s_cbranch_execz .LBB183_32
; %bb.26:                               ;   in Loop: Header=BB183_7 Depth=1
	v_cvt_f16_f32_e32 v20, v91
	v_cvt_f16_f32_sdwa v21, v90 dst_sel:WORD_1 dst_unused:UNUSED_PAD src0_sel:DWORD
	v_cvt_f16_f32_e32 v22, v15
	v_cvt_f16_f32_sdwa v23, v14 dst_sel:WORD_1 dst_unused:UNUSED_PAD src0_sel:DWORD
	v_lshl_add_u64 v[18:19], v[38:39], 1, v[0:1]
	v_or_b32_e32 v14, v21, v20
	v_cmp_lt_i32_e32 vcc, s53, v79
	;;#ASMSTART
	global_atomic_pk_add_f16 v[18:19], v14, off
	
	;;#ASMEND
	v_lshl_add_u64 v[14:15], v[18:19], 0, 64
	v_or_b32_e32 v18, v23, v22
	;;#ASMSTART
	global_atomic_pk_add_f16 v[14:15], v18, off
	
	;;#ASMEND
	s_and_b64 exec, exec, vcc
	s_cbranch_execz .LBB183_32
; %bb.27:                               ;   in Loop: Header=BB183_7 Depth=1
	v_cvt_f16_f32_e32 v18, v89
	v_cvt_f16_f32_sdwa v19, v61 dst_sel:WORD_1 dst_unused:UNUSED_PAD src0_sel:DWORD
	v_cvt_f16_f32_e32 v20, v13
	v_cvt_f16_f32_sdwa v21, v12 dst_sel:WORD_1 dst_unused:UNUSED_PAD src0_sel:DWORD
	v_lshl_add_u64 v[14:15], v[40:41], 1, v[0:1]
	v_or_b32_e32 v12, v19, v18
	v_cmp_lt_i32_e32 vcc, s53, v80
	;; [unrolled: 20-line block ×5, first 2 shown]
	;;#ASMSTART
	global_atomic_pk_add_f16 v[8:9], v6, off
	
	;;#ASMEND
	v_lshl_add_u64 v[6:7], v[8:9], 0, 64
	v_or_b32_e32 v8, v13, v12
	;;#ASMSTART
	global_atomic_pk_add_f16 v[6:7], v8, off
	
	;;#ASMEND
	s_and_b64 exec, exec, vcc
	s_cbranch_execz .LBB183_32
; %bb.31:                               ;   in Loop: Header=BB183_7 Depth=1
	v_cvt_f16_f32_e32 v3, v3
	v_cvt_f16_f32_sdwa v2, v2 dst_sel:WORD_1 dst_unused:UNUSED_PAD src0_sel:DWORD
	v_cvt_f16_f32_e32 v5, v5
	v_cvt_f16_f32_sdwa v4, v4 dst_sel:WORD_1 dst_unused:UNUSED_PAD src0_sel:DWORD
	v_lshl_add_u64 v[0:1], v[48:49], 1, v[0:1]
	v_or_b32_e32 v2, v2, v3
	;;#ASMSTART
	global_atomic_pk_add_f16 v[0:1], v2, off
	
	;;#ASMEND
	v_lshl_add_u64 v[0:1], v[0:1], 0, 64
	v_or_b32_e32 v2, v4, v5
	;;#ASMSTART
	global_atomic_pk_add_f16 v[0:1], v2, off
	
	;;#ASMEND
.LBB183_32:                             ;   in Loop: Header=BB183_7 Depth=1
	s_or_b64 exec, exec, s[40:41]
	v_readlane_b32 s14, v99, 10
	v_readlane_b32 s24, v99, 12
	;; [unrolled: 1-line block ×6, first 2 shown]
	v_subrev_u32_e32 v88, s99, v88
	v_readlane_b32 s11, v99, 0
	v_readlane_b32 s12, v99, 1
	;; [unrolled: 1-line block ×17, first 2 shown]
.LBB183_33:                             ;   in Loop: Header=BB183_7 Depth=1
	s_or_b64 exec, exec, s[2:3]
.LBB183_34:                             ;   in Loop: Header=BB183_7 Depth=1
	s_andn2_saveexec_b64 s[0:1], s[4:5]
	s_cbranch_execz .LBB183_43
; %bb.35:                               ;   in Loop: Header=BB183_7 Depth=1
	s_lshl_b32 s10, s99, 1
	v_cmp_gt_i32_e32 vcc, s10, v88
	s_and_saveexec_b64 s[2:3], vcc
	s_cbranch_execz .LBB183_42
; %bb.36:                               ;   in Loop: Header=BB183_7 Depth=1
	s_mul_i32 s4, s54, s19
	s_ashr_i32 s5, s4, 31
	s_add_u32 s4, s46, s4
	s_addc_u32 s5, s47, s5
	s_ashr_i32 s6, s37, 31
	s_add_u32 s4, s4, s37
	s_addc_u32 s5, s5, s6
	v_lshl_add_u64 v[0:1], s[4:5], 0, v[52:53]
	v_lshl_add_u64 v[8:9], v[0:1], 0, v[50:51]
	s_mov_b64 s[4:5], 0
	s_branch .LBB183_38
.LBB183_37:                             ;   in Loop: Header=BB183_38 Depth=2
	s_or_b64 exec, exec, s[6:7]
	v_lshl_add_u32 v12, v10, 11, v84
	;;#ASMSTART
	s_waitcnt vmcnt(1)
	;;#ASMEND
	ds_write2_b32 v12, v4, v5 offset1:32
	ds_write2_b32 v12, v6, v7 offset0:64 offset1:96
	v_add_u32_e32 v4, 0x400, v12
	v_add_u32_e32 v88, s22, v88
	;;#ASMSTART
	s_waitcnt vmcnt(0)
	;;#ASMEND
	ds_write2_b32 v4, v0, v1 offset1:32
	ds_write2_b32 v4, v2, v3 offset0:64 offset1:96
	v_add_u32_e32 v0, 1, v63
	v_add_u32_e32 v56, s22, v10
	v_cmp_le_i32_e32 vcc, s10, v88
	ds_write_b32 v11, v0 offset:48
	v_add_u32_e32 v0, 2, v63
	s_or_b64 s[4:5], vcc, s[4:5]
	v_cmp_lt_i32_e32 vcc, 11, v56
	s_nop 1
	v_cndmask_b32_e32 v63, v63, v0, vcc
	s_andn2_b64 exec, exec, s[4:5]
	s_cbranch_execz .LBB183_41
.LBB183_38:                             ;   Parent Loop BB183_7 Depth=1
                                        ; =>  This Loop Header: Depth=2
                                        ;       Child Loop BB183_40 Depth 3
	v_cmp_gt_i32_e32 vcc, 12, v56
	s_nop 1
	v_cndmask_b32_e64 v0, -12, 0, vcc
	v_add_u32_e32 v10, v0, v56
	v_lshrrev_b32_e32 v0, 31, v88
	v_add_u32_e32 v0, v88, v0
	v_and_b32_e32 v1, -2, v0
	v_lshlrev_b32_e32 v0, 5, v0
	v_sub_u32_e32 v2, v88, v1
	v_and_b32_e32 v0, 0xffffffc0, v0
	v_ashrrev_i32_e32 v1, 31, v0
	v_mul_lo_u32 v2, s30, v2
	v_lshl_add_u64 v[0:1], v[8:9], 0, v[0:1]
	v_ashrrev_i32_e32 v3, 31, v2
	v_lshl_add_u64 v[0:1], v[0:1], 0, v[2:3]
	v_lshlrev_b32_e32 v11, 2, v10
	;;#ASMSTART
	global_load_dwordx4 v[4:7], v[0:1], off offset:0   sc0 sc1 nt  
	global_load_dwordx4 v[0:3], v[0:1], off offset:32  sc0 sc1 nt  
	
	;;#ASMEND
	ds_read_b32 v12, v11 offset:49200
	v_add_u32_e32 v11, 0xc000, v11
	s_waitcnt lgkmcnt(0)
	v_cmp_ne_u32_e32 vcc, v12, v63
	s_and_saveexec_b64 s[6:7], vcc
	s_cbranch_execz .LBB183_37
; %bb.39:                               ;   in Loop: Header=BB183_38 Depth=2
	s_mov_b64 s[8:9], 0
.LBB183_40:                             ;   Parent Loop BB183_7 Depth=1
                                        ;     Parent Loop BB183_38 Depth=2
                                        ; =>    This Inner Loop Header: Depth=3
	;;#ASMSTART
	s_sleep 0
	;;#ASMEND
	ds_read_b32 v12, v11 offset:48
	s_waitcnt lgkmcnt(0)
	v_cmp_eq_u32_e32 vcc, v12, v63
	s_or_b64 s[8:9], vcc, s[8:9]
	s_andn2_b64 exec, exec, s[8:9]
	s_cbranch_execnz .LBB183_40
	s_branch .LBB183_37
.LBB183_41:                             ;   in Loop: Header=BB183_7 Depth=1
	s_or_b64 exec, exec, s[4:5]
.LBB183_42:                             ;   in Loop: Header=BB183_7 Depth=1
	s_or_b64 exec, exec, s[2:3]
	v_subrev_u32_e32 v88, s10, v88
.LBB183_43:                             ;   in Loop: Header=BB183_7 Depth=1
	s_or_b64 exec, exec, s[0:1]
.LBB183_44:                             ;   in Loop: Header=BB183_7 Depth=1
	s_andn2_saveexec_b64 s[0:1], s[38:39]
	s_cbranch_execz .LBB183_6
; %bb.45:                               ;   in Loop: Header=BB183_7 Depth=1
	s_lshl_b32 s10, s99, 1
	v_cmp_gt_i32_e32 vcc, s10, v88
	s_and_saveexec_b64 s[2:3], vcc
	s_cbranch_execz .LBB183_5
; %bb.46:                               ;   in Loop: Header=BB183_7 Depth=1
	s_mul_i32 s4, s52, s18
	s_max_i32 s6, s53, 0
	s_ashr_i32 s5, s4, 31
	s_add_u32 s4, s44, s4
	v_add_u32_e32 v2, s6, v64
	s_addc_u32 s5, s45, s5
	s_ashr_i32 s7, s37, 31
	v_cmp_gt_u32_e32 vcc, 64, v2
	s_add_u32 s4, s4, s37
	s_addc_u32 s5, s5, s7
	v_cndmask_b32_e32 v0, 0, v85, vcc
	v_ashrrev_i32_e32 v1, 31, v0
	v_lshl_add_u64 v[0:1], s[4:5], 0, v[0:1]
	v_lshl_add_u64 v[8:9], v[0:1], 0, v[50:51]
	v_sub_u32_e32 v10, 63, v2
	s_mov_b64 s[4:5], 0
	s_branch .LBB183_48
.LBB183_47:                             ;   in Loop: Header=BB183_48 Depth=2
	s_or_b64 exec, exec, s[6:7]
	v_lshl_or_b32 v13, v11, 11, v86
	;;#ASMSTART
	s_waitcnt vmcnt(1)
	;;#ASMEND
	ds_write2_b32 v13, v4, v5 offset1:32
	ds_write2_b32 v13, v6, v7 offset0:64 offset1:96
	v_add_u32_e32 v4, 0x400, v13
	v_add_u32_e32 v88, s21, v88
	;;#ASMSTART
	s_waitcnt vmcnt(0)
	;;#ASMEND
	ds_write2_b32 v4, v0, v1 offset1:32
	ds_write2_b32 v4, v2, v3 offset0:64 offset1:96
	v_add_u32_e32 v0, 1, v63
	v_add_u32_e32 v56, s21, v11
	v_cmp_le_i32_e32 vcc, s10, v88
	ds_write_b32 v12, v0
	v_add_u32_e32 v0, 2, v63
	s_or_b64 s[4:5], vcc, s[4:5]
	v_cmp_lt_i32_e32 vcc, 11, v56
	s_nop 1
	v_cndmask_b32_e32 v63, v63, v0, vcc
	s_andn2_b64 exec, exec, s[4:5]
	s_cbranch_execz .LBB183_4
.LBB183_48:                             ;   Parent Loop BB183_7 Depth=1
                                        ; =>  This Loop Header: Depth=2
                                        ;       Child Loop BB183_50 Depth 3
	v_cmp_gt_i32_e32 vcc, 12, v56
	s_nop 1
	v_cndmask_b32_e64 v0, -12, 0, vcc
	v_add_u32_e32 v11, v0, v56
	v_lshrrev_b32_e32 v0, 31, v88
	v_add_u32_e32 v0, v88, v0
	v_and_b32_e32 v1, 0x7fffffe, v0
	v_sub_u32_e32 v1, v88, v1
	v_lshlrev_b32_e32 v1, 5, v1
	v_cmp_le_i32_e32 vcc, v1, v10
	v_lshlrev_b32_e32 v0, 5, v0
	v_and_b32_e32 v0, 0xffffffc0, v0
	v_cndmask_b32_e32 v2, 0, v1, vcc
	v_ashrrev_i32_e32 v1, 31, v0
	v_mul_lo_u32 v2, v2, s18
	v_lshl_add_u64 v[0:1], v[8:9], 0, v[0:1]
	v_ashrrev_i32_e32 v3, 31, v2
	v_lshl_add_u64 v[0:1], v[0:1], 0, v[2:3]
	v_lshlrev_b32_e32 v12, 2, v11
	;;#ASMSTART
	global_load_dwordx4 v[4:7], v[0:1], off offset:0   
	global_load_dwordx4 v[0:3], v[0:1], off offset:32  
	
	;;#ASMEND
	ds_read_b32 v13, v12 offset:49152
	v_add_u32_e32 v12, 0xc000, v12
	s_waitcnt lgkmcnt(0)
	v_cmp_ne_u32_e32 vcc, v13, v63
	s_and_saveexec_b64 s[6:7], vcc
	s_cbranch_execz .LBB183_47
; %bb.49:                               ;   in Loop: Header=BB183_48 Depth=2
	s_mov_b64 s[8:9], 0
.LBB183_50:                             ;   Parent Loop BB183_7 Depth=1
                                        ;     Parent Loop BB183_48 Depth=2
                                        ; =>    This Inner Loop Header: Depth=3
	;;#ASMSTART
	s_sleep 0
	;;#ASMEND
	ds_read_b32 v13, v12
	s_waitcnt lgkmcnt(0)
	v_cmp_eq_u32_e32 vcc, v13, v63
	s_or_b64 s[8:9], vcc, s[8:9]
	s_andn2_b64 exec, exec, s[8:9]
	s_cbranch_execnz .LBB183_50
	s_branch .LBB183_47
.LBB183_51:
	s_endpgm
	.section	.rodata,"a",@progbits
	.p2align	6, 0x0
	.amdhsa_kernel _Z19_skinny_gemm_kernelILi2ELi2ELi6ELi32ELi4EEvPKhS1_P6__halfPKfiiiiiiii
		.amdhsa_group_segment_fixed_size 49248
		.amdhsa_private_segment_fixed_size 0
		.amdhsa_kernarg_size 64
		.amdhsa_user_sgpr_count 2
		.amdhsa_user_sgpr_dispatch_ptr 0
		.amdhsa_user_sgpr_queue_ptr 0
		.amdhsa_user_sgpr_kernarg_segment_ptr 1
		.amdhsa_user_sgpr_dispatch_id 0
		.amdhsa_user_sgpr_kernarg_preload_length 0
		.amdhsa_user_sgpr_kernarg_preload_offset 0
		.amdhsa_user_sgpr_private_segment_size 0
		.amdhsa_uses_dynamic_stack 0
		.amdhsa_enable_private_segment 0
		.amdhsa_system_sgpr_workgroup_id_x 1
		.amdhsa_system_sgpr_workgroup_id_y 0
		.amdhsa_system_sgpr_workgroup_id_z 0
		.amdhsa_system_sgpr_workgroup_info 0
		.amdhsa_system_vgpr_workitem_id 0
		.amdhsa_next_free_vgpr 100
		.amdhsa_next_free_sgpr 100
		.amdhsa_accum_offset 100
		.amdhsa_reserve_vcc 1
		.amdhsa_float_round_mode_32 0
		.amdhsa_float_round_mode_16_64 0
		.amdhsa_float_denorm_mode_32 3
		.amdhsa_float_denorm_mode_16_64 3
		.amdhsa_dx10_clamp 1
		.amdhsa_ieee_mode 1
		.amdhsa_fp16_overflow 0
		.amdhsa_tg_split 0
		.amdhsa_exception_fp_ieee_invalid_op 0
		.amdhsa_exception_fp_denorm_src 0
		.amdhsa_exception_fp_ieee_div_zero 0
		.amdhsa_exception_fp_ieee_overflow 0
		.amdhsa_exception_fp_ieee_underflow 0
		.amdhsa_exception_fp_ieee_inexact 0
		.amdhsa_exception_int_div_zero 0
	.end_amdhsa_kernel
	.section	.text._Z19_skinny_gemm_kernelILi2ELi2ELi6ELi32ELi4EEvPKhS1_P6__halfPKfiiiiiiii,"axG",@progbits,_Z19_skinny_gemm_kernelILi2ELi2ELi6ELi32ELi4EEvPKhS1_P6__halfPKfiiiiiiii,comdat
.Lfunc_end183:
	.size	_Z19_skinny_gemm_kernelILi2ELi2ELi6ELi32ELi4EEvPKhS1_P6__halfPKfiiiiiiii, .Lfunc_end183-_Z19_skinny_gemm_kernelILi2ELi2ELi6ELi32ELi4EEvPKhS1_P6__halfPKfiiiiiiii
                                        ; -- End function
	.set _Z19_skinny_gemm_kernelILi2ELi2ELi6ELi32ELi4EEvPKhS1_P6__halfPKfiiiiiiii.num_vgpr, 100
	.set _Z19_skinny_gemm_kernelILi2ELi2ELi6ELi32ELi4EEvPKhS1_P6__halfPKfiiiiiiii.num_agpr, 0
	.set _Z19_skinny_gemm_kernelILi2ELi2ELi6ELi32ELi4EEvPKhS1_P6__halfPKfiiiiiiii.numbered_sgpr, 100
	.set _Z19_skinny_gemm_kernelILi2ELi2ELi6ELi32ELi4EEvPKhS1_P6__halfPKfiiiiiiii.num_named_barrier, 0
	.set _Z19_skinny_gemm_kernelILi2ELi2ELi6ELi32ELi4EEvPKhS1_P6__halfPKfiiiiiiii.private_seg_size, 0
	.set _Z19_skinny_gemm_kernelILi2ELi2ELi6ELi32ELi4EEvPKhS1_P6__halfPKfiiiiiiii.uses_vcc, 1
	.set _Z19_skinny_gemm_kernelILi2ELi2ELi6ELi32ELi4EEvPKhS1_P6__halfPKfiiiiiiii.uses_flat_scratch, 0
	.set _Z19_skinny_gemm_kernelILi2ELi2ELi6ELi32ELi4EEvPKhS1_P6__halfPKfiiiiiiii.has_dyn_sized_stack, 0
	.set _Z19_skinny_gemm_kernelILi2ELi2ELi6ELi32ELi4EEvPKhS1_P6__halfPKfiiiiiiii.has_recursion, 0
	.set _Z19_skinny_gemm_kernelILi2ELi2ELi6ELi32ELi4EEvPKhS1_P6__halfPKfiiiiiiii.has_indirect_call, 0
	.section	.AMDGPU.csdata,"",@progbits
; Kernel info:
; codeLenInByte = 9648
; TotalNumSgprs: 106
; NumVgprs: 100
; NumAgprs: 0
; TotalNumVgprs: 100
; ScratchSize: 0
; MemoryBound: 0
; FloatMode: 240
; IeeeMode: 1
; LDSByteSize: 49248 bytes/workgroup (compile time only)
; SGPRBlocks: 13
; VGPRBlocks: 12
; NumSGPRsForWavesPerEU: 106
; NumVGPRsForWavesPerEU: 100
; AccumOffset: 100
; Occupancy: 4
; WaveLimiterHint : 0
; COMPUTE_PGM_RSRC2:SCRATCH_EN: 0
; COMPUTE_PGM_RSRC2:USER_SGPR: 2
; COMPUTE_PGM_RSRC2:TRAP_HANDLER: 0
; COMPUTE_PGM_RSRC2:TGID_X_EN: 1
; COMPUTE_PGM_RSRC2:TGID_Y_EN: 0
; COMPUTE_PGM_RSRC2:TGID_Z_EN: 0
; COMPUTE_PGM_RSRC2:TIDIG_COMP_CNT: 0
; COMPUTE_PGM_RSRC3_GFX90A:ACCUM_OFFSET: 24
; COMPUTE_PGM_RSRC3_GFX90A:TG_SPLIT: 0
	.section	.text._Z19_skinny_gemm_kernelILi2ELi3ELi1ELi16ELi4EEvPKhS1_P6__halfPKfiiiiiiii,"axG",@progbits,_Z19_skinny_gemm_kernelILi2ELi3ELi1ELi16ELi4EEvPKhS1_P6__halfPKfiiiiiiii,comdat
	.protected	_Z19_skinny_gemm_kernelILi2ELi3ELi1ELi16ELi4EEvPKhS1_P6__halfPKfiiiiiiii ; -- Begin function _Z19_skinny_gemm_kernelILi2ELi3ELi1ELi16ELi4EEvPKhS1_P6__halfPKfiiiiiiii
	.globl	_Z19_skinny_gemm_kernelILi2ELi3ELi1ELi16ELi4EEvPKhS1_P6__halfPKfiiiiiiii
	.p2align	8
	.type	_Z19_skinny_gemm_kernelILi2ELi3ELi1ELi16ELi4EEvPKhS1_P6__halfPKfiiiiiiii,@function
_Z19_skinny_gemm_kernelILi2ELi3ELi1ELi16ELi4EEvPKhS1_P6__halfPKfiiiiiiii: ; @_Z19_skinny_gemm_kernelILi2ELi3ELi1ELi16ELi4EEvPKhS1_P6__halfPKfiiiiiiii
; %bb.0:
	v_cmp_gt_u32_e32 vcc, 5, v0
	v_lshlrev_b32_e32 v1, 2, v0
	s_and_saveexec_b64 s[4:5], vcc
; %bb.1:
	v_mov_b32_e32 v2, 0
	ds_write_b32 v1, v2 offset:10240
; %bb.2:
	s_or_b64 exec, exec, s[4:5]
	s_load_dwordx8 s[20:27], s[0:1], 0x20
	s_waitcnt lgkmcnt(0)
	s_barrier
	s_add_i32 s3, s20, 31
	s_ashr_i32 s5, s3, 31
	s_add_i32 s4, s21, 47
	s_lshr_b32 s5, s5, 27
	s_mul_hi_i32 s4, s4, 0x2aaaaaab
	s_add_i32 s3, s3, s5
	s_ashr_i32 s33, s3, 5
	s_lshr_b32 s3, s4, 31
	s_ashr_i32 s50, s4, 3
	s_add_i32 s50, s50, s3
	s_mul_i32 s3, s50, s33
	s_mul_i32 s3, s3, s24
	s_add_i32 s4, s3, 0x12f
	s_mul_hi_i32 s4, s4, 0x6bca1af3
	s_lshr_b32 s5, s4, 31
	s_ashr_i32 s4, s4, 7
	s_add_i32 s4, s4, s5
	s_add_i32 s5, s2, 1
	s_mul_i32 s5, s4, s5
	v_cvt_f64_i32_e32 v[2:3], s3
	v_cvt_f64_u32_e32 v[4:5], s5
	v_min_f64 v[2:3], v[2:3], v[4:5]
	v_cvt_i32_f64_e32 v25, v[2:3]
	s_mul_i32 s51, s4, s2
	v_cmp_ge_i32_e32 vcc, s51, v25
	s_cbranch_vccnz .LBB184_53
; %bb.3:
	v_lshrrev_b32_e32 v2, 6, v0
	s_add_i32 s4, s26, s25
	s_load_dwordx8 s[36:43], s[0:1], 0x0
	v_cmp_le_i32_e64 s[0:1], s4, v2
	v_mov_b32_e32 v3, s25
	v_cmp_le_i32_e64 s[2:3], s25, v2
	v_mov_b32_e32 v4, s26
	v_cndmask_b32_e64 v4, 0, v4, s[0:1]
	v_cndmask_b32_e64 v3, 0, v3, s[2:3]
	s_abs_i32 s5, s24
	v_add_u32_e32 v3, v3, v4
	v_cvt_f32_u32_e32 v4, s5
	v_sub_u32_e32 v36, v2, v3
	s_ashr_i32 s6, s22, 31
	s_lshr_b32 s6, s6, 25
	v_rcp_iflag_f32_e32 v3, v4
	s_sub_i32 s9, 0, s5
	s_add_i32 s6, s22, s6
	s_ashr_i32 s6, s6, 7
	v_mul_f32_e32 v3, 0x4f7ffffe, v3
	v_cvt_u32_f32_e32 v3, v3
	s_abs_i32 s8, s6
	s_xor_b32 s7, s6, s24
	s_ashr_i32 s7, s7, 31
	v_readfirstlane_b32 s10, v3
	s_mul_i32 s9, s9, s10
	s_mul_hi_u32 s9, s10, s9
	s_add_i32 s10, s10, s9
	s_mul_hi_u32 s9, s8, s10
	s_mul_i32 s10, s9, s5
	s_sub_i32 s8, s8, s10
	s_add_i32 s10, s9, 1
	s_sub_i32 s11, s8, s5
	s_cmp_ge_u32 s8, s5
	s_cselect_b32 s9, s10, s9
	s_cselect_b32 s8, s11, s8
	s_add_i32 s10, s9, 1
	s_cmp_ge_u32 s8, s5
	s_cselect_b32 s5, s10, s9
	s_xor_b32 s5, s5, s7
	s_sub_i32 s52, s5, s7
	s_add_i32 s24, s24, -1
	s_mul_i32 s5, s52, s24
	s_add_i32 s4, s4, s27
	s_sub_i32 s53, s6, s5
	v_cmp_gt_i32_e64 s[4:5], s4, v2
	v_lshlrev_b32_e32 v2, 1, v0
	v_lshlrev_b32_e32 v3, 4, v0
	v_and_b32_e32 v1, 60, v1
	v_and_b32_e32 v2, 64, v2
	;; [unrolled: 1-line block ×3, first 2 shown]
	v_or3_b32 v57, v1, v2, v4
	v_and_b32_e32 v1, 1, v0
	v_lshrrev_b32_e32 v4, 2, v0
	s_abs_i32 s55, s33
	v_and_or_b32 v63, v4, 12, v1
	v_cvt_f32_u32_e32 v4, s55
	v_lshlrev_b32_e32 v2, 1, v1
	v_and_b32_e32 v24, 14, v0
	v_sub_u32_e32 v2, v0, v2
	v_bitop3_b32 v59, v0, 1, v0 bitop3:0xc
	v_bitop3_b32 v60, v0, 3, 1 bitop3:0x6c
	v_and_b32_e32 v30, 48, v3
	v_bfe_u32 v65, v0, 2, 4
	v_and_b32_e32 v1, 60, v0
	v_lshlrev_b32_e32 v3, 8, v0
	v_lshlrev_b32_e32 v0, 6, v0
	v_and_b32_e32 v3, 0x200, v3
	v_and_b32_e32 v0, 64, v0
	v_or3_b32 v66, v1, v3, v0
	v_rcp_iflag_f32_e32 v0, v4
	s_abs_i32 s57, s50
	v_cvt_f32_u32_e32 v1, s57
	v_mad_u64_u32 v[26:27], s[6:7], s21, v63, v[24:25]
	v_mul_f32_e32 v0, 0x4f7ffffe, v0
	v_cvt_u32_f32_e32 v0, v0
	v_rcp_iflag_f32_e32 v1, v1
	s_sub_i32 s6, 0, s55
	v_add_u32_e32 v2, 1, v2
	v_readfirstlane_b32 s7, v0
	v_mul_f32_e32 v0, 0x4f7ffffe, v1
	v_cvt_u32_f32_e32 v0, v0
	s_mul_i32 s6, s6, s7
	s_mul_hi_u32 s6, s7, s6
	s_add_i32 s59, s7, s6
	s_sub_i32 s6, 0, s57
	v_readfirstlane_b32 s7, v0
	v_mbcnt_lo_u32_b32 v0, -1, 0
	v_and_b32_e32 v2, 63, v2
	s_mul_i32 s6, s6, s7
	v_mbcnt_hi_u32_b32 v0, -1, v0
	v_lshl_add_u32 v28, s21, 4, v26
	v_mul_lo_u32 v32, s23, v65
	s_mul_hi_u32 s6, s7, s6
	v_and_or_b32 v0, v0, 64, v2
	v_cndmask_b32_e64 v56, 0, 1, s[0:1]
	s_movk_i32 s54, 0x1800
	v_or_b32_e32 v58, 0x1800, v57
	s_ashr_i32 s29, s21, 31
	s_mov_b32 s28, s21
	v_or_b32_e32 v61, 16, v24
	v_or_b32_e32 v62, 32, v24
	v_ashrrev_i32_e32 v27, 31, v26
	v_or_b32_e32 v64, 16, v63
	v_ashrrev_i32_e32 v29, 31, v28
	v_ashrrev_i32_e32 v33, 31, v32
	v_mov_b32_e32 v31, 0
	s_lshl_b32 s56, s23, 4
	v_mul_lo_u32 v67, s22, v65
	v_or_b32_e32 v68, 0x1800, v66
	s_ashr_i32 s58, s33, 31
	s_ashr_i32 s60, s50, 31
	s_add_i32 s61, s7, s6
	s_mov_b32 s62, 0x55555556
	v_lshlrev_b32_e32 v69, 2, v0
	v_mov_b32_e32 v70, v36
	s_branch .LBB184_7
.LBB184_4:                              ;   in Loop: Header=BB184_7 Depth=1
	s_or_b64 exec, exec, s[10:11]
.LBB184_5:                              ;   in Loop: Header=BB184_7 Depth=1
	s_or_b64 exec, exec, s[8:9]
	v_subrev_u32_e32 v70, s16, v70
.LBB184_6:                              ;   in Loop: Header=BB184_7 Depth=1
	s_or_b64 exec, exec, s[6:7]
	s_add_i32 s51, s51, 1
	v_cmp_ge_i32_e32 vcc, s51, v25
	s_cbranch_vccnz .LBB184_53
.LBB184_7:                              ; =>This Loop Header: Depth=1
                                        ;     Child Loop BB184_13 Depth 2
                                        ;       Child Loop BB184_15 Depth 3
                                        ;       Child Loop BB184_18 Depth 3
	;; [unrolled: 1-line block ×5, first 2 shown]
                                        ;     Child Loop BB184_40 Depth 2
                                        ;       Child Loop BB184_42 Depth 3
                                        ;     Child Loop BB184_50 Depth 2
                                        ;       Child Loop BB184_52 Depth 3
	s_abs_i32 s7, s51
	s_mul_hi_u32 s8, s7, s59
	s_mul_i32 s9, s8, s55
	s_ashr_i32 s6, s51, 31
	s_sub_i32 s7, s7, s9
	s_xor_b32 s6, s6, s58
	s_add_i32 s9, s8, 1
	s_sub_i32 s10, s7, s55
	s_cmp_ge_u32 s7, s55
	s_cselect_b32 s8, s9, s8
	s_cselect_b32 s7, s10, s7
	s_add_i32 s9, s8, 1
	s_cmp_ge_u32 s7, s55
	s_cselect_b32 s7, s9, s8
	s_xor_b32 s7, s7, s6
	s_sub_i32 s6, s7, s6
	s_abs_i32 s8, s6
	s_mul_i32 s7, s6, s33
	s_mul_hi_u32 s9, s8, s61
	s_sub_i32 s7, s51, s7
	s_mul_i32 s10, s9, s57
	s_lshl_b32 s63, s7, 5
	s_ashr_i32 s7, s6, 31
	s_sub_i32 s8, s8, s10
	s_xor_b32 s7, s7, s60
	s_add_i32 s10, s9, 1
	s_sub_i32 s11, s8, s57
	s_cmp_ge_u32 s8, s57
	s_cselect_b32 s9, s10, s9
	s_cselect_b32 s8, s11, s8
	s_add_i32 s10, s9, 1
	s_cmp_ge_u32 s8, s57
	s_cselect_b32 s8, s10, s9
	s_xor_b32 s8, s8, s7
	s_sub_i32 s7, s8, s7
	s_mul_i32 s8, s7, s52
	s_lshl_b32 s64, s8, 7
	s_cmp_eq_u32 s7, s24
	s_cselect_b32 s66, s53, s52
	s_sub_i32 s8, s63, s20
	s_add_i32 s8, s8, 32
	s_max_i32 s65, s8, 0
	s_and_saveexec_b64 s[8:9], s[2:3]
	s_xor_b64 s[30:31], exec, s[8:9]
	s_cbranch_execz .LBB184_46
; %bb.8:                                ;   in Loop: Header=BB184_7 Depth=1
	s_mul_i32 s7, s7, s50
	s_sub_i32 s6, s6, s7
	s_mul_i32 s6, s6, 48
	s_sub_i32 s18, s6, s21
	s_add_i32 s18, s18, 48
	s_max_i32 s7, s18, 0
	s_sub_i32 s34, s6, s7
	s_and_saveexec_b64 s[6:7], s[0:1]
	s_xor_b64 s[44:45], exec, s[6:7]
	s_cbranch_execz .LBB184_36
; %bb.9:                                ;   in Loop: Header=BB184_7 Depth=1
	s_and_saveexec_b64 s[46:47], s[4:5]
	s_cbranch_execz .LBB184_35
; %bb.10:                               ;   in Loop: Header=BB184_7 Depth=1
	s_waitcnt lgkmcnt(0)
	global_load_dword v71, v31, s[42:43]
	v_mov_b32_e32 v23, 0
	v_cmp_gt_i32_e32 vcc, s66, v70
	v_mov_b32_e32 v22, v23
	v_mov_b32_e32 v21, v23
	;; [unrolled: 1-line block ×23, first 2 shown]
	s_and_saveexec_b64 s[6:7], vcc
	s_cbranch_execz .LBB184_29
; %bb.11:                               ;   in Loop: Header=BB184_7 Depth=1
	v_mov_b32_e32 v0, 0
	s_mov_b64 s[8:9], 0
	v_mov_b32_e32 v1, v0
	v_mov_b32_e32 v2, v0
	;; [unrolled: 1-line block ×23, first 2 shown]
	s_branch .LBB184_13
.LBB184_12:                             ;   in Loop: Header=BB184_13 Depth=2
	s_or_b64 exec, exec, s[10:11]
	v_add_u32_e32 v51, 0x1000, v50
	ds_read2_b32 v[52:53], v51 offset1:32
	v_add_u32_e32 v54, 0x1400, v50
	v_add_u32_e32 v70, s27, v70
	s_waitcnt lgkmcnt(0)
	v_mfma_f32_16x16x32_fp8_fp8 v[12:15], v[34:35], v[52:53], v[12:15]
	ds_read2_b32 v[34:35], v51 offset0:128 offset1:160
	ds_read2_b32 v[50:51], v54 offset1:32
	v_mfma_f32_16x16x32_fp8_fp8 v[0:3], v[44:45], v[52:53], v[0:3]
	s_waitcnt lgkmcnt(1)
	v_mfma_f32_16x16x32_fp8_fp8 v[12:15], v[36:37], v[34:35], v[12:15]
	v_add_u32_e32 v36, s27, v72
	v_cmp_lt_i32_e32 vcc, 0, v36
	v_mfma_f32_16x16x32_fp8_fp8 v[0:3], v[46:47], v[34:35], v[0:3]
	v_add_u32_e32 v34, 2, v56
	v_cndmask_b32_e32 v56, v56, v34, vcc
	v_cmp_le_i32_e32 vcc, s66, v70
	s_waitcnt lgkmcnt(0)
	v_mfma_f32_16x16x32_fp8_fp8 v[12:15], v[38:39], v[50:51], v[12:15]
	ds_read2_b32 v[38:39], v54 offset0:128 offset1:160
	s_or_b64 s[8:9], vcc, s[8:9]
	;;#ASMSTART
	s_waitcnt lgkmcnt(0)
	;;#ASMEND
	v_mfma_f32_16x16x32_fp8_fp8 v[0:3], v[48:49], v[50:51], v[0:3]
	ds_write_b32 v73, v74 offset:10256
	s_waitcnt lgkmcnt(1)
	v_mfma_f32_16x16x32_fp8_fp8 v[12:15], v[40:41], v[38:39], v[12:15]
	v_mfma_f32_16x16x32_fp8_fp8 v[0:3], v[42:43], v[38:39], v[0:3]
	s_andn2_b64 exec, exec, s[8:9]
	s_cbranch_execz .LBB184_28
.LBB184_13:                             ;   Parent Loop BB184_7 Depth=1
                                        ; =>  This Loop Header: Depth=2
                                        ;       Child Loop BB184_15 Depth 3
                                        ;       Child Loop BB184_18 Depth 3
	;; [unrolled: 1-line block ×5, first 2 shown]
	v_cmp_lt_i32_e32 vcc, 0, v36
	s_nop 1
	v_subbrev_co_u32_e32 v72, vcc, 0, v36, vcc
	v_mul_lo_u32 v73, v72, 12
	ds_read_b32 v34, v73 offset:10248
	s_waitcnt lgkmcnt(0)
	v_cmp_ne_u32_e32 vcc, v34, v56
	s_and_saveexec_b64 s[10:11], vcc
	s_cbranch_execz .LBB184_16
; %bb.14:                               ;   in Loop: Header=BB184_13 Depth=2
	s_mov_b64 s[12:13], 0
.LBB184_15:                             ;   Parent Loop BB184_7 Depth=1
                                        ;     Parent Loop BB184_13 Depth=2
                                        ; =>    This Inner Loop Header: Depth=3
	;;#ASMSTART
	s_sleep 0
	;;#ASMEND
	ds_read_b32 v34, v73 offset:10248
	s_waitcnt lgkmcnt(0)
	v_cmp_eq_u32_e32 vcc, v34, v56
	s_or_b64 s[12:13], vcc, s[12:13]
	s_andn2_b64 exec, exec, s[12:13]
	s_cbranch_execnz .LBB184_15
.LBB184_16:                             ;   in Loop: Header=BB184_13 Depth=2
	s_or_b64 exec, exec, s[10:11]
	v_mul_lo_u32 v75, v72, s54
	v_or_b32_e32 v34, v57, v75
	ds_read2_b32 v[42:43], v34 offset1:32
	ds_read2_b32 v[50:51], v34 offset0:128 offset1:160
	v_add_u32_e32 v34, 0x400, v34
	v_add_u32_e32 v74, 1, v56
	ds_read2_b32 v[54:55], v34 offset1:32
	ds_read2_b32 v[52:53], v34 offset0:128 offset1:160
	;;#ASMSTART
	s_waitcnt lgkmcnt(0)
	;;#ASMEND
	ds_write_b32 v73, v74 offset:10248
	v_lshlrev_b32_e32 v76, 3, v72
	ds_read_b32 v34, v76 offset:10240
	s_waitcnt lgkmcnt(0)
	v_cmp_ne_u32_e32 vcc, v34, v56
	s_and_saveexec_b64 s[10:11], vcc
	s_cbranch_execz .LBB184_19
; %bb.17:                               ;   in Loop: Header=BB184_13 Depth=2
	s_mov_b64 s[12:13], 0
.LBB184_18:                             ;   Parent Loop BB184_7 Depth=1
                                        ;     Parent Loop BB184_13 Depth=2
                                        ; =>    This Inner Loop Header: Depth=3
	;;#ASMSTART
	s_sleep 0
	;;#ASMEND
	ds_read_b32 v34, v76 offset:10240
	s_waitcnt lgkmcnt(0)
	v_cmp_eq_u32_e32 vcc, v34, v56
	s_or_b64 s[12:13], vcc, s[12:13]
	s_andn2_b64 exec, exec, s[12:13]
	s_cbranch_execnz .LBB184_18
.LBB184_19:                             ;   in Loop: Header=BB184_13 Depth=2
	s_or_b64 exec, exec, s[10:11]
	v_lshlrev_b32_e32 v34, 12, v72
	v_add_u32_e32 v48, v58, v34
	ds_read2_b32 v[34:35], v48 offset1:32
	ds_read2_b32 v[36:37], v48 offset0:128 offset1:160
	v_add_u32_e32 v40, 0x400, v48
	ds_read2_b32 v[38:39], v40 offset1:32
	ds_read2_b32 v[40:41], v40 offset0:128 offset1:160
	ds_read_b32 v44, v76 offset:10244
	ds_write_b32 v76, v74 offset:10240
	s_waitcnt lgkmcnt(5)
	v_mfma_f32_16x16x32_fp8_fp8 v[20:23], v[34:35], v[42:43], v[20:23]
	s_waitcnt lgkmcnt(1)
	v_cmp_ne_u32_e32 vcc, v44, v56
	v_mfma_f32_16x16x32_fp8_fp8 v[20:23], v[36:37], v[50:51], v[20:23]
	v_mfma_f32_16x16x32_fp8_fp8 v[20:23], v[38:39], v[54:55], v[20:23]
	v_mfma_f32_16x16x32_fp8_fp8 v[20:23], v[40:41], v[52:53], v[20:23]
	s_and_saveexec_b64 s[10:11], vcc
	s_cbranch_execz .LBB184_22
; %bb.20:                               ;   in Loop: Header=BB184_13 Depth=2
	s_mov_b64 s[12:13], 0
.LBB184_21:                             ;   Parent Loop BB184_7 Depth=1
                                        ;     Parent Loop BB184_13 Depth=2
                                        ; =>    This Inner Loop Header: Depth=3
	;;#ASMSTART
	s_sleep 0
	;;#ASMEND
	ds_read_b32 v44, v76 offset:10244
	s_waitcnt lgkmcnt(0)
	v_cmp_eq_u32_e32 vcc, v44, v56
	s_or_b64 s[12:13], vcc, s[12:13]
	s_andn2_b64 exec, exec, s[12:13]
	s_cbranch_execnz .LBB184_21
.LBB184_22:                             ;   in Loop: Header=BB184_13 Depth=2
	s_or_b64 exec, exec, s[10:11]
	v_add_u32_e32 v46, 0x800, v48
	ds_read2_b32 v[44:45], v46 offset1:32
	ds_read2_b32 v[46:47], v46 offset0:128 offset1:160
	v_add_u32_e32 v77, 0xc00, v48
	ds_read2_b32 v[48:49], v77 offset1:32
	ds_write_b32 v76, v74 offset:10244
	s_waitcnt lgkmcnt(3)
	v_mfma_f32_16x16x32_fp8_fp8 v[8:11], v[44:45], v[42:43], v[8:11]
	ds_read2_b32 v[42:43], v77 offset0:128 offset1:160
	s_waitcnt lgkmcnt(3)
	v_mfma_f32_16x16x32_fp8_fp8 v[8:11], v[46:47], v[50:51], v[8:11]
	ds_read_b32 v50, v73 offset:10252
	s_waitcnt lgkmcnt(0)
	v_cmp_ne_u32_e32 vcc, v50, v56
	v_mfma_f32_16x16x32_fp8_fp8 v[8:11], v[48:49], v[54:55], v[8:11]
	v_mfma_f32_16x16x32_fp8_fp8 v[8:11], v[42:43], v[52:53], v[8:11]
	s_and_saveexec_b64 s[10:11], vcc
	s_cbranch_execz .LBB184_25
; %bb.23:                               ;   in Loop: Header=BB184_13 Depth=2
	s_mov_b64 s[12:13], 0
.LBB184_24:                             ;   Parent Loop BB184_7 Depth=1
                                        ;     Parent Loop BB184_13 Depth=2
                                        ; =>    This Inner Loop Header: Depth=3
	;;#ASMSTART
	s_sleep 0
	;;#ASMEND
	ds_read_b32 v50, v73 offset:10252
	s_waitcnt lgkmcnt(0)
	v_cmp_eq_u32_e32 vcc, v50, v56
	s_or_b64 s[12:13], vcc, s[12:13]
	s_andn2_b64 exec, exec, s[12:13]
	s_cbranch_execnz .LBB184_24
.LBB184_25:                             ;   in Loop: Header=BB184_13 Depth=2
	s_or_b64 exec, exec, s[10:11]
	v_add_u32_e32 v50, v57, v75
	v_add_u32_e32 v51, 0x800, v50
	ds_read2_b32 v[52:53], v51 offset1:32
	s_waitcnt lgkmcnt(0)
	v_mfma_f32_16x16x32_fp8_fp8 v[16:19], v[34:35], v[52:53], v[16:19]
	v_mfma_f32_16x16x32_fp8_fp8 v[4:7], v[44:45], v[52:53], v[4:7]
	ds_read2_b32 v[52:53], v51 offset0:128 offset1:160
	v_add_u32_e32 v51, 0xc00, v50
	ds_read2_b32 v[54:55], v51 offset1:32
	s_waitcnt lgkmcnt(1)
	v_mfma_f32_16x16x32_fp8_fp8 v[16:19], v[36:37], v[52:53], v[16:19]
	ds_read2_b32 v[76:77], v51 offset0:128 offset1:160
	;;#ASMSTART
	s_waitcnt lgkmcnt(0)
	;;#ASMEND
	ds_read_b32 v51, v73 offset:10256
	v_mfma_f32_16x16x32_fp8_fp8 v[4:7], v[46:47], v[52:53], v[4:7]
	ds_write_b32 v73, v74 offset:10252
	s_waitcnt lgkmcnt(1)
	v_cmp_ne_u32_e32 vcc, v51, v56
	v_mfma_f32_16x16x32_fp8_fp8 v[16:19], v[38:39], v[54:55], v[16:19]
	v_mfma_f32_16x16x32_fp8_fp8 v[4:7], v[48:49], v[54:55], v[4:7]
	;; [unrolled: 1-line block ×4, first 2 shown]
	s_and_saveexec_b64 s[10:11], vcc
	s_cbranch_execz .LBB184_12
; %bb.26:                               ;   in Loop: Header=BB184_13 Depth=2
	s_mov_b64 s[12:13], 0
.LBB184_27:                             ;   Parent Loop BB184_7 Depth=1
                                        ;     Parent Loop BB184_13 Depth=2
                                        ; =>    This Inner Loop Header: Depth=3
	;;#ASMSTART
	s_sleep 0
	;;#ASMEND
	ds_read_b32 v51, v73 offset:10256
	s_waitcnt lgkmcnt(0)
	v_cmp_eq_u32_e32 vcc, v51, v56
	s_or_b64 s[12:13], vcc, s[12:13]
	s_andn2_b64 exec, exec, s[12:13]
	s_cbranch_execnz .LBB184_27
	s_branch .LBB184_12
.LBB184_28:                             ;   in Loop: Header=BB184_7 Depth=1
	s_or_b64 exec, exec, s[8:9]
.LBB184_29:                             ;   in Loop: Header=BB184_7 Depth=1
	s_or_b64 exec, exec, s[6:7]
	v_cmp_le_i32_e32 vcc, s18, v24
	v_cmp_eq_u32_e64 s[6:7], 2, v59
	v_cmp_eq_u32_e64 s[8:9], 3, v59
	s_waitcnt vmcnt(0)
	v_cndmask_b32_e32 v34, 0, v71, vcc
	v_pk_mul_f32 v[20:21], v[34:35], v[20:21] op_sel_hi:[0,1]
	v_cmp_eq_u32_e32 vcc, 1, v59
	v_pk_mul_f32 v[38:39], v[34:35], v[22:23] op_sel_hi:[0,1]
	v_cmp_eq_u32_e64 s[10:11], 0, v59
	v_cndmask_b32_e32 v22, v20, v21, vcc
	v_cndmask_b32_e64 v22, v22, v38, s[6:7]
	v_cndmask_b32_e64 v22, v22, v39, s[8:9]
	ds_bpermute_b32 v35, v69, v22
	v_cmp_le_i32_e64 s[14:15], s18, v61
	v_cmp_eq_u32_e64 s[12:13], 1, v60
	v_cmp_le_i32_e64 s[18:19], s18, v62
	v_cmp_eq_u32_e64 s[16:17], 3, v60
	s_waitcnt lgkmcnt(0)
	v_cndmask_b32_e64 v22, v39, v35, s[8:9]
	v_cndmask_b32_e64 v23, v38, v35, s[6:7]
	v_cndmask_b32_e32 v21, v21, v35, vcc
	v_cndmask_b32_e64 v35, v20, v35, s[10:11]
	v_cndmask_b32_e64 v20, 0, v71, s[14:15]
	v_pk_mul_f32 v[16:17], v[20:21], v[16:17] op_sel_hi:[0,1]
	v_pk_mul_f32 v[38:39], v[20:21], v[18:19] op_sel_hi:[0,1]
	v_cndmask_b32_e32 v18, v16, v17, vcc
	v_cndmask_b32_e64 v18, v18, v38, s[6:7]
	v_cndmask_b32_e64 v18, v18, v39, s[8:9]
	ds_bpermute_b32 v41, v69, v18
	v_cndmask_b32_e64 v37, v35, v21, s[12:13]
	v_cmp_eq_u32_e64 s[14:15], 2, v60
	s_waitcnt lgkmcnt(0)
	v_cndmask_b32_e64 v19, v39, v41, s[8:9]
	v_cndmask_b32_e64 v18, v37, v23, s[14:15]
	;; [unrolled: 1-line block ×3, first 2 shown]
	v_cndmask_b32_e32 v40, v17, v41, vcc
	v_cndmask_b32_e64 v41, v16, v41, s[10:11]
	v_cndmask_b32_e64 v16, 0, v71, s[18:19]
	v_pk_mul_f32 v[42:43], v[16:17], v[12:13] op_sel_hi:[0,1]
	v_pk_mul_f32 v[38:39], v[16:17], v[14:15] op_sel_hi:[0,1]
	v_cndmask_b32_e32 v12, v42, v43, vcc
	v_cndmask_b32_e64 v12, v12, v38, s[6:7]
	v_cndmask_b32_e64 v12, v12, v39, s[8:9]
	ds_bpermute_b32 v13, v69, v12
	v_cndmask_b32_e64 v12, v41, v40, s[12:13]
	v_cndmask_b32_e64 v12, v12, v37, s[14:15]
	;; [unrolled: 1-line block ×3, first 2 shown]
	v_cmp_ne_u32_e32 vcc, 0, v59
	ds_bpermute_b32 v14, v69, v12
	s_waitcnt lgkmcnt(1)
	v_cndmask_b32_e64 v15, v39, v13, s[8:9]
	v_cndmask_b32_e64 v38, v38, v13, s[6:7]
	v_cndmask_b32_e32 v12, v43, v13, vcc
	v_cndmask_b32_e64 v13, v42, v13, s[10:11]
	v_cndmask_b32_e64 v17, v13, v12, s[12:13]
	v_cndmask_b32_e64 v17, v17, v38, s[14:15]
	v_cndmask_b32_e64 v18, v18, v22, s[16:17]
	v_cndmask_b32_e64 v17, v17, v15, s[16:17]
	ds_bpermute_b32 v18, v69, v18
	ds_bpermute_b32 v39, v69, v17
	v_add_u32_e32 v17, s65, v63
	v_cmp_gt_u32_e32 vcc, 32, v17
	s_and_saveexec_b64 s[18:19], vcc
	s_cbranch_execz .LBB184_34
; %bb.30:                               ;   in Loop: Header=BB184_7 Depth=1
	v_cmp_eq_u32_e64 s[8:9], 1, v60
	v_cmp_eq_u32_e64 s[10:11], 0, v60
	v_cmp_eq_u32_e32 vcc, 3, v60
	s_waitcnt lgkmcnt(1)
	v_cndmask_b32_e64 v21, v21, v18, s[8:9]
	v_cndmask_b32_e64 v40, v40, v14, s[8:9]
	s_waitcnt lgkmcnt(0)
	v_cndmask_b32_e64 v42, v12, v39, s[8:9]
	s_mul_i32 s8, s63, s21
	s_ashr_i32 s9, s8, 31
	v_cndmask_b32_e64 v35, v35, v18, s[10:11]
	s_lshl_b64 s[8:9], s[8:9], 1
	v_cndmask_b32_e64 v41, v41, v14, s[10:11]
	v_cndmask_b32_e64 v43, v13, v39, s[10:11]
	s_add_u32 s10, s40, s8
	v_cvt_f16_f32_e32 v35, v35
	v_cvt_f16_f32_sdwa v21, v21 dst_sel:WORD_1 dst_unused:UNUSED_PAD src0_sel:DWORD
	s_addc_u32 s11, s41, s9
	s_ashr_i32 s35, s34, 31
	s_lshl_b64 s[8:9], s[34:35], 1
	s_add_u32 s48, s10, s8
	s_addc_u32 s49, s11, s9
	v_or_b32_e32 v21, v21, v35
	v_lshl_add_u64 v[12:13], v[26:27], 1, s[48:49]
	;;#ASMSTART
	global_atomic_pk_add_f16 v[12:13], v21, off
	
	;;#ASMEND
	v_cvt_f16_f32_e32 v21, v41
	v_cvt_f16_f32_sdwa v35, v40 dst_sel:WORD_1 dst_unused:UNUSED_PAD src0_sel:DWORD
	v_cvt_f16_f32_e32 v43, v43
	v_cvt_f16_f32_sdwa v42, v42 dst_sel:WORD_1 dst_unused:UNUSED_PAD src0_sel:DWORD
	v_cmp_eq_u32_e64 s[6:7], 2, v60
	v_lshl_add_u64 v[40:41], v[12:13], 0, 32
	v_or_b32_e32 v21, v35, v21
	v_cmp_gt_u32_e64 s[8:9], 30, v17
	;;#ASMSTART
	global_atomic_pk_add_f16 v[40:41], v21, off
	
	;;#ASMEND
	v_lshl_add_u64 v[40:41], v[12:13], 0, 64
	v_or_b32_e32 v21, v42, v43
	;;#ASMSTART
	global_atomic_pk_add_f16 v[40:41], v21, off
	
	;;#ASMEND
	s_and_b64 exec, exec, s[8:9]
	s_cbranch_execz .LBB184_34
; %bb.31:                               ;   in Loop: Header=BB184_7 Depth=1
	v_cndmask_b32_e32 v22, v22, v18, vcc
	v_cndmask_b32_e64 v18, v23, v18, s[6:7]
	v_cndmask_b32_e32 v19, v19, v14, vcc
	v_cndmask_b32_e64 v14, v37, v14, s[6:7]
	v_cndmask_b32_e32 v23, v15, v39, vcc
	v_cvt_f16_f32_e32 v15, v18
	v_cvt_f16_f32_sdwa v18, v22 dst_sel:WORD_1 dst_unused:UNUSED_PAD src0_sel:DWORD
	v_cvt_f16_f32_e32 v22, v14
	v_cvt_f16_f32_sdwa v19, v19 dst_sel:WORD_1 dst_unused:UNUSED_PAD src0_sel:DWORD
	v_mov_b32_e32 v35, v34
	v_or_b32_e32 v14, v18, v15
	v_mov_b32_e32 v18, v34
	v_or_b32_e32 v22, v19, v22
	v_mov_b32_e32 v19, v34
	v_pk_mul_f32 v[10:11], v[18:19], v[10:11]
	v_pk_mul_f32 v[18:19], v[34:35], v[8:9]
	v_cmp_eq_u32_e32 vcc, 1, v59
	v_cndmask_b32_e64 v37, v38, v39, s[6:7]
	v_cmp_eq_u32_e64 s[6:7], 2, v59
	v_cndmask_b32_e32 v8, v18, v19, vcc
	v_cmp_eq_u32_e64 s[8:9], 3, v59
	v_cndmask_b32_e64 v8, v8, v10, s[6:7]
	v_lshl_add_u64 v[12:13], s[28:29], 2, v[12:13]
	v_cndmask_b32_e64 v8, v8, v11, s[8:9]
	v_mov_b32_e32 v21, v20
	;;#ASMSTART
	global_atomic_pk_add_f16 v[12:13], v14, off
	
	;;#ASMEND
	v_lshl_add_u64 v[14:15], v[12:13], 0, 32
	ds_bpermute_b32 v34, v69, v8
	;;#ASMSTART
	global_atomic_pk_add_f16 v[14:15], v22, off
	
	;;#ASMEND
	v_cvt_f16_f32_sdwa v35, v23 dst_sel:WORD_1 dst_unused:UNUSED_PAD src0_sel:DWORD
	v_lshl_add_u64 v[22:23], v[12:13], 0, 64
	v_mov_b32_e32 v12, v20
	v_mov_b32_e32 v13, v20
	v_pk_mul_f32 v[6:7], v[12:13], v[6:7]
	v_pk_mul_f32 v[12:13], v[20:21], v[4:5]
	v_cmp_eq_u32_e64 s[10:11], 0, v59
	v_cndmask_b32_e32 v4, v12, v13, vcc
	v_cndmask_b32_e64 v4, v4, v6, s[6:7]
	v_cndmask_b32_e64 v4, v4, v7, s[8:9]
	s_waitcnt lgkmcnt(0)
	v_cndmask_b32_e64 v8, v11, v34, s[8:9]
	v_cndmask_b32_e64 v11, v18, v34, s[10:11]
	ds_bpermute_b32 v18, v69, v4
	v_cndmask_b32_e64 v9, v10, v34, s[6:7]
	v_cndmask_b32_e32 v10, v19, v34, vcc
	v_cmp_eq_u32_e64 s[12:13], 1, v60
	v_mov_b32_e32 v17, v16
	v_cmp_eq_u32_e64 s[14:15], 2, v60
	v_cndmask_b32_e64 v14, v11, v10, s[12:13]
	s_waitcnt lgkmcnt(0)
	v_cndmask_b32_e64 v5, v7, v18, s[8:9]
	v_cndmask_b32_e64 v4, v14, v9, s[14:15]
	;; [unrolled: 1-line block ×3, first 2 shown]
	v_cndmask_b32_e32 v13, v13, v18, vcc
	v_cndmask_b32_e64 v14, v12, v18, s[10:11]
	v_mov_b32_e32 v18, v16
	v_mov_b32_e32 v19, v16
	v_pk_mul_f32 v[16:17], v[16:17], v[0:1]
	v_pk_mul_f32 v[18:19], v[18:19], v[2:3]
	v_cndmask_b32_e32 v0, v16, v17, vcc
	v_cndmask_b32_e64 v0, v0, v18, s[6:7]
	v_cndmask_b32_e64 v0, v0, v19, s[8:9]
	ds_bpermute_b32 v1, v69, v0
	v_cndmask_b32_e64 v0, v14, v13, s[12:13]
	v_cmp_eq_u32_e64 s[16:17], 3, v60
	v_cndmask_b32_e64 v0, v0, v6, s[14:15]
	v_cmp_ne_u32_e32 vcc, 0, v59
	v_cndmask_b32_e64 v0, v0, v5, s[16:17]
	ds_bpermute_b32 v7, v69, v0
	s_waitcnt lgkmcnt(1)
	v_cndmask_b32_e64 v2, v19, v1, s[8:9]
	v_cndmask_b32_e64 v3, v18, v1, s[6:7]
	v_cndmask_b32_e32 v0, v17, v1, vcc
	v_cndmask_b32_e64 v1, v16, v1, s[10:11]
	v_cndmask_b32_e64 v12, v1, v0, s[12:13]
	v_cvt_f16_f32_e32 v15, v37
	v_cndmask_b32_e64 v12, v12, v3, s[14:15]
	v_cndmask_b32_e64 v4, v4, v8, s[16:17]
	;; [unrolled: 1-line block ×3, first 2 shown]
	ds_bpermute_b32 v4, v69, v4
	ds_bpermute_b32 v12, v69, v12
	v_or_b32_e32 v15, v35, v15
	;;#ASMSTART
	global_atomic_pk_add_f16 v[22:23], v15, off
	
	;;#ASMEND
	v_add_u32_e32 v15, s65, v64
	v_cmp_gt_u32_e32 vcc, 32, v15
	s_and_b64 exec, exec, vcc
	s_cbranch_execz .LBB184_34
; %bb.32:                               ;   in Loop: Header=BB184_7 Depth=1
	v_cmp_eq_u32_e64 s[8:9], 1, v60
	v_cmp_eq_u32_e64 s[10:11], 0, v60
	v_cmp_eq_u32_e32 vcc, 3, v60
	s_waitcnt lgkmcnt(1)
	v_cndmask_b32_e64 v10, v10, v4, s[8:9]
	v_cndmask_b32_e64 v11, v11, v4, s[10:11]
	;; [unrolled: 1-line block ×4, first 2 shown]
	v_cvt_f16_f32_e32 v11, v11
	v_cvt_f16_f32_sdwa v10, v10 dst_sel:WORD_1 dst_unused:UNUSED_PAD src0_sel:DWORD
	s_waitcnt lgkmcnt(0)
	v_cndmask_b32_e64 v16, v0, v12, s[8:9]
	v_cndmask_b32_e64 v17, v1, v12, s[10:11]
	v_cvt_f16_f32_e32 v14, v14
	v_cvt_f16_f32_sdwa v13, v13 dst_sel:WORD_1 dst_unused:UNUSED_PAD src0_sel:DWORD
	v_cvt_f16_f32_e32 v17, v17
	v_cvt_f16_f32_sdwa v16, v16 dst_sel:WORD_1 dst_unused:UNUSED_PAD src0_sel:DWORD
	v_lshl_add_u64 v[0:1], v[28:29], 1, s[48:49]
	v_or_b32_e32 v10, v10, v11
	v_cmp_eq_u32_e64 s[6:7], 2, v60
	;;#ASMSTART
	global_atomic_pk_add_f16 v[0:1], v10, off
	
	;;#ASMEND
	v_lshl_add_u64 v[10:11], v[0:1], 0, 32
	v_or_b32_e32 v13, v13, v14
	v_cmp_gt_u32_e64 s[8:9], 30, v15
	;;#ASMSTART
	global_atomic_pk_add_f16 v[10:11], v13, off
	
	;;#ASMEND
	v_lshl_add_u64 v[10:11], v[0:1], 0, 64
	v_or_b32_e32 v13, v16, v17
	;;#ASMSTART
	global_atomic_pk_add_f16 v[10:11], v13, off
	
	;;#ASMEND
	s_and_b64 exec, exec, s[8:9]
	s_cbranch_execz .LBB184_34
; %bb.33:                               ;   in Loop: Header=BB184_7 Depth=1
	v_cndmask_b32_e32 v8, v8, v4, vcc
	v_cndmask_b32_e64 v4, v9, v4, s[6:7]
	v_cndmask_b32_e32 v5, v5, v7, vcc
	v_cndmask_b32_e64 v6, v6, v7, s[6:7]
	v_cvt_f16_f32_e32 v4, v4
	v_cvt_f16_f32_sdwa v7, v8 dst_sel:WORD_1 dst_unused:UNUSED_PAD src0_sel:DWORD
	v_cndmask_b32_e32 v8, v2, v12, vcc
	v_cndmask_b32_e64 v9, v3, v12, s[6:7]
	v_cvt_f16_f32_sdwa v5, v5 dst_sel:WORD_1 dst_unused:UNUSED_PAD src0_sel:DWORD
	v_or_b32_e32 v2, v7, v4
	v_cvt_f16_f32_e32 v4, v6
	v_cvt_f16_f32_e32 v6, v9
	v_cvt_f16_f32_sdwa v7, v8 dst_sel:WORD_1 dst_unused:UNUSED_PAD src0_sel:DWORD
	v_lshl_add_u64 v[0:1], s[28:29], 2, v[0:1]
	;;#ASMSTART
	global_atomic_pk_add_f16 v[0:1], v2, off
	
	;;#ASMEND
	v_lshl_add_u64 v[2:3], v[0:1], 0, 32
	v_or_b32_e32 v4, v5, v4
	;;#ASMSTART
	global_atomic_pk_add_f16 v[2:3], v4, off
	
	;;#ASMEND
	v_lshl_add_u64 v[0:1], v[0:1], 0, 64
	v_or_b32_e32 v2, v7, v6
	;;#ASMSTART
	global_atomic_pk_add_f16 v[0:1], v2, off
	
	;;#ASMEND
.LBB184_34:                             ;   in Loop: Header=BB184_7 Depth=1
	s_or_b64 exec, exec, s[18:19]
	v_subrev_u32_e32 v70, s66, v70
.LBB184_35:                             ;   in Loop: Header=BB184_7 Depth=1
	s_or_b64 exec, exec, s[46:47]
.LBB184_36:                             ;   in Loop: Header=BB184_7 Depth=1
	s_andn2_saveexec_b64 s[6:7], s[44:45]
	s_cbranch_execz .LBB184_45
; %bb.37:                               ;   in Loop: Header=BB184_7 Depth=1
	s_mul_i32 s16, s66, 3
	v_cmp_gt_i32_e32 vcc, s16, v70
	s_and_saveexec_b64 s[8:9], vcc
	s_cbranch_execz .LBB184_44
; %bb.38:                               ;   in Loop: Header=BB184_7 Depth=1
	s_mul_i32 s10, s34, s23
	s_ashr_i32 s11, s10, 31
	s_waitcnt lgkmcnt(0)
	s_add_u32 s10, s38, s10
	s_addc_u32 s11, s39, s11
	s_ashr_i32 s12, s64, 31
	s_add_u32 s10, s10, s64
	s_addc_u32 s11, s11, s12
	v_lshl_add_u64 v[0:1], s[10:11], 0, v[32:33]
	v_lshl_add_u64 v[8:9], v[0:1], 0, v[30:31]
	s_mov_b64 s[10:11], 0
	s_branch .LBB184_40
.LBB184_39:                             ;   in Loop: Header=BB184_40 Depth=2
	s_or_b64 exec, exec, s[12:13]
	v_lshl_or_b32 v12, v10, 11, v66
	;;#ASMSTART
	s_waitcnt vmcnt(1)
	;;#ASMEND
	ds_write2_b32 v12, v4, v5 offset1:32
	ds_write2_b32 v12, v6, v7 offset0:64 offset1:96
	v_add_u32_e32 v4, 0x400, v12
	v_add_u32_e32 v70, s26, v70
	;;#ASMSTART
	s_waitcnt vmcnt(0)
	;;#ASMEND
	ds_write2_b32 v4, v0, v1 offset1:32
	ds_write2_b32 v4, v2, v3 offset0:64 offset1:96
	v_add_u32_e32 v0, 1, v56
	v_add_u32_e32 v36, s26, v10
	v_cmp_le_i32_e32 vcc, s16, v70
	ds_write_b32 v11, v0 offset:8
	v_add_u32_e32 v0, 2, v56
	s_or_b64 s[10:11], vcc, s[10:11]
	v_cmp_lt_i32_e32 vcc, 2, v36
	s_nop 1
	v_cndmask_b32_e32 v56, v56, v0, vcc
	s_andn2_b64 exec, exec, s[10:11]
	s_cbranch_execz .LBB184_43
.LBB184_40:                             ;   Parent Loop BB184_7 Depth=1
                                        ; =>  This Loop Header: Depth=2
                                        ;       Child Loop BB184_42 Depth 3
	v_cmp_gt_i32_e32 vcc, 3, v36
	s_nop 1
	v_cndmask_b32_e64 v0, -3, 0, vcc
	v_add_u32_e32 v10, v0, v36
	v_mul_hi_i32 v0, v70, s62
	v_lshrrev_b32_e32 v1, 31, v0
	v_add_u32_e32 v0, v0, v1
	v_lshl_add_u32 v1, v0, 1, v0
	v_sub_u32_e32 v2, v70, v1
	v_lshlrev_b32_e32 v0, 7, v0
	v_ashrrev_i32_e32 v1, 31, v0
	v_mul_lo_u32 v2, s56, v2
	v_lshl_add_u64 v[0:1], v[8:9], 0, v[0:1]
	v_ashrrev_i32_e32 v3, 31, v2
	v_lshl_add_u64 v[0:1], v[0:1], 0, v[2:3]
	v_lshlrev_b32_e32 v11, 2, v10
	;;#ASMSTART
	global_load_dwordx4 v[4:7], v[0:1], off offset:0   sc0 sc1 nt  
	global_load_dwordx4 v[0:3], v[0:1], off offset:64  sc0 sc1 nt  
	
	;;#ASMEND
	ds_read_b32 v12, v11 offset:10248
	v_add_u32_e32 v11, 0x2800, v11
	s_waitcnt lgkmcnt(0)
	v_cmp_ne_u32_e32 vcc, v12, v56
	s_and_saveexec_b64 s[12:13], vcc
	s_cbranch_execz .LBB184_39
; %bb.41:                               ;   in Loop: Header=BB184_40 Depth=2
	s_mov_b64 s[14:15], 0
.LBB184_42:                             ;   Parent Loop BB184_7 Depth=1
                                        ;     Parent Loop BB184_40 Depth=2
                                        ; =>    This Inner Loop Header: Depth=3
	;;#ASMSTART
	s_sleep 0
	;;#ASMEND
	ds_read_b32 v12, v11 offset:8
	s_waitcnt lgkmcnt(0)
	v_cmp_eq_u32_e32 vcc, v12, v56
	s_or_b64 s[14:15], vcc, s[14:15]
	s_andn2_b64 exec, exec, s[14:15]
	s_cbranch_execnz .LBB184_42
	s_branch .LBB184_39
.LBB184_43:                             ;   in Loop: Header=BB184_7 Depth=1
	s_or_b64 exec, exec, s[10:11]
.LBB184_44:                             ;   in Loop: Header=BB184_7 Depth=1
	s_or_b64 exec, exec, s[8:9]
	v_subrev_u32_e32 v70, s16, v70
.LBB184_45:                             ;   in Loop: Header=BB184_7 Depth=1
	s_or_b64 exec, exec, s[6:7]
.LBB184_46:                             ;   in Loop: Header=BB184_7 Depth=1
	s_andn2_saveexec_b64 s[6:7], s[30:31]
	s_cbranch_execz .LBB184_6
; %bb.47:                               ;   in Loop: Header=BB184_7 Depth=1
	s_lshl_b32 s16, s66, 1
	v_cmp_gt_i32_e32 vcc, s16, v70
	s_and_saveexec_b64 s[8:9], vcc
	s_cbranch_execz .LBB184_5
; %bb.48:                               ;   in Loop: Header=BB184_7 Depth=1
	s_mul_i32 s63, s63, s22
	s_ashr_i32 s10, s63, 31
	s_waitcnt lgkmcnt(0)
	s_add_u32 s11, s36, s63
	v_add_u32_e32 v2, s65, v65
	s_addc_u32 s12, s37, s10
	s_ashr_i32 s13, s64, 31
	v_cmp_gt_u32_e32 vcc, 32, v2
	s_add_u32 s10, s11, s64
	s_addc_u32 s11, s12, s13
	v_cndmask_b32_e32 v0, 0, v67, vcc
	v_ashrrev_i32_e32 v1, 31, v0
	v_lshl_add_u64 v[0:1], s[10:11], 0, v[0:1]
	v_lshl_add_u64 v[8:9], v[0:1], 0, v[30:31]
	v_sub_u32_e32 v10, 31, v2
	s_mov_b64 s[10:11], 0
	s_branch .LBB184_50
.LBB184_49:                             ;   in Loop: Header=BB184_50 Depth=2
	s_or_b64 exec, exec, s[12:13]
	v_lshl_add_u32 v13, v11, 11, v68
	;;#ASMSTART
	s_waitcnt vmcnt(1)
	;;#ASMEND
	ds_write2_b32 v13, v4, v5 offset1:32
	ds_write2_b32 v13, v6, v7 offset0:64 offset1:96
	v_add_u32_e32 v4, 0x400, v13
	v_add_u32_e32 v70, s25, v70
	;;#ASMSTART
	s_waitcnt vmcnt(0)
	;;#ASMEND
	ds_write2_b32 v4, v0, v1 offset1:32
	ds_write2_b32 v4, v2, v3 offset0:64 offset1:96
	v_add_u32_e32 v0, 1, v56
	v_add_u32_e32 v36, s25, v11
	v_cmp_le_i32_e32 vcc, s16, v70
	ds_write_b32 v12, v0
	v_add_u32_e32 v0, 2, v56
	s_or_b64 s[10:11], vcc, s[10:11]
	v_cmp_lt_i32_e32 vcc, 1, v36
	s_nop 1
	v_cndmask_b32_e32 v56, v56, v0, vcc
	s_andn2_b64 exec, exec, s[10:11]
	s_cbranch_execz .LBB184_4
.LBB184_50:                             ;   Parent Loop BB184_7 Depth=1
                                        ; =>  This Loop Header: Depth=2
                                        ;       Child Loop BB184_52 Depth 3
	v_cmp_gt_i32_e32 vcc, 2, v36
	s_nop 1
	v_cndmask_b32_e64 v0, -2, 0, vcc
	v_add_u32_e32 v11, v0, v36
	v_lshrrev_b32_e32 v0, 31, v70
	v_add_u32_e32 v0, v70, v0
	v_and_b32_e32 v1, 0xffffffe, v0
	v_sub_u32_e32 v1, v70, v1
	v_lshlrev_b32_e32 v1, 4, v1
	v_cmp_le_i32_e32 vcc, v1, v10
	v_lshlrev_b32_e32 v0, 6, v0
	v_and_b32_e32 v0, 0xffffff80, v0
	v_cndmask_b32_e32 v2, 0, v1, vcc
	v_ashrrev_i32_e32 v1, 31, v0
	v_mul_lo_u32 v2, v2, s22
	v_lshl_add_u64 v[0:1], v[8:9], 0, v[0:1]
	v_ashrrev_i32_e32 v3, 31, v2
	v_lshl_add_u64 v[0:1], v[0:1], 0, v[2:3]
	v_lshlrev_b32_e32 v12, 2, v11
	;;#ASMSTART
	global_load_dwordx4 v[4:7], v[0:1], off offset:0   
	global_load_dwordx4 v[0:3], v[0:1], off offset:64  
	
	;;#ASMEND
	ds_read_b32 v13, v12 offset:10240
	v_add_u32_e32 v12, 0x2800, v12
	s_waitcnt lgkmcnt(0)
	v_cmp_ne_u32_e32 vcc, v13, v56
	s_and_saveexec_b64 s[12:13], vcc
	s_cbranch_execz .LBB184_49
; %bb.51:                               ;   in Loop: Header=BB184_50 Depth=2
	s_mov_b64 s[14:15], 0
.LBB184_52:                             ;   Parent Loop BB184_7 Depth=1
                                        ;     Parent Loop BB184_50 Depth=2
                                        ; =>    This Inner Loop Header: Depth=3
	;;#ASMSTART
	s_sleep 0
	;;#ASMEND
	ds_read_b32 v13, v12
	s_waitcnt lgkmcnt(0)
	v_cmp_eq_u32_e32 vcc, v13, v56
	s_or_b64 s[14:15], vcc, s[14:15]
	s_andn2_b64 exec, exec, s[14:15]
	s_cbranch_execnz .LBB184_52
	s_branch .LBB184_49
.LBB184_53:
	s_endpgm
	.section	.rodata,"a",@progbits
	.p2align	6, 0x0
	.amdhsa_kernel _Z19_skinny_gemm_kernelILi2ELi3ELi1ELi16ELi4EEvPKhS1_P6__halfPKfiiiiiiii
		.amdhsa_group_segment_fixed_size 10260
		.amdhsa_private_segment_fixed_size 0
		.amdhsa_kernarg_size 64
		.amdhsa_user_sgpr_count 2
		.amdhsa_user_sgpr_dispatch_ptr 0
		.amdhsa_user_sgpr_queue_ptr 0
		.amdhsa_user_sgpr_kernarg_segment_ptr 1
		.amdhsa_user_sgpr_dispatch_id 0
		.amdhsa_user_sgpr_kernarg_preload_length 0
		.amdhsa_user_sgpr_kernarg_preload_offset 0
		.amdhsa_user_sgpr_private_segment_size 0
		.amdhsa_uses_dynamic_stack 0
		.amdhsa_enable_private_segment 0
		.amdhsa_system_sgpr_workgroup_id_x 1
		.amdhsa_system_sgpr_workgroup_id_y 0
		.amdhsa_system_sgpr_workgroup_id_z 0
		.amdhsa_system_sgpr_workgroup_info 0
		.amdhsa_system_vgpr_workitem_id 0
		.amdhsa_next_free_vgpr 78
		.amdhsa_next_free_sgpr 67
		.amdhsa_accum_offset 80
		.amdhsa_reserve_vcc 1
		.amdhsa_float_round_mode_32 0
		.amdhsa_float_round_mode_16_64 0
		.amdhsa_float_denorm_mode_32 3
		.amdhsa_float_denorm_mode_16_64 3
		.amdhsa_dx10_clamp 1
		.amdhsa_ieee_mode 1
		.amdhsa_fp16_overflow 0
		.amdhsa_tg_split 0
		.amdhsa_exception_fp_ieee_invalid_op 0
		.amdhsa_exception_fp_denorm_src 0
		.amdhsa_exception_fp_ieee_div_zero 0
		.amdhsa_exception_fp_ieee_overflow 0
		.amdhsa_exception_fp_ieee_underflow 0
		.amdhsa_exception_fp_ieee_inexact 0
		.amdhsa_exception_int_div_zero 0
	.end_amdhsa_kernel
	.section	.text._Z19_skinny_gemm_kernelILi2ELi3ELi1ELi16ELi4EEvPKhS1_P6__halfPKfiiiiiiii,"axG",@progbits,_Z19_skinny_gemm_kernelILi2ELi3ELi1ELi16ELi4EEvPKhS1_P6__halfPKfiiiiiiii,comdat
.Lfunc_end184:
	.size	_Z19_skinny_gemm_kernelILi2ELi3ELi1ELi16ELi4EEvPKhS1_P6__halfPKfiiiiiiii, .Lfunc_end184-_Z19_skinny_gemm_kernelILi2ELi3ELi1ELi16ELi4EEvPKhS1_P6__halfPKfiiiiiiii
                                        ; -- End function
	.set _Z19_skinny_gemm_kernelILi2ELi3ELi1ELi16ELi4EEvPKhS1_P6__halfPKfiiiiiiii.num_vgpr, 78
	.set _Z19_skinny_gemm_kernelILi2ELi3ELi1ELi16ELi4EEvPKhS1_P6__halfPKfiiiiiiii.num_agpr, 0
	.set _Z19_skinny_gemm_kernelILi2ELi3ELi1ELi16ELi4EEvPKhS1_P6__halfPKfiiiiiiii.numbered_sgpr, 67
	.set _Z19_skinny_gemm_kernelILi2ELi3ELi1ELi16ELi4EEvPKhS1_P6__halfPKfiiiiiiii.num_named_barrier, 0
	.set _Z19_skinny_gemm_kernelILi2ELi3ELi1ELi16ELi4EEvPKhS1_P6__halfPKfiiiiiiii.private_seg_size, 0
	.set _Z19_skinny_gemm_kernelILi2ELi3ELi1ELi16ELi4EEvPKhS1_P6__halfPKfiiiiiiii.uses_vcc, 1
	.set _Z19_skinny_gemm_kernelILi2ELi3ELi1ELi16ELi4EEvPKhS1_P6__halfPKfiiiiiiii.uses_flat_scratch, 0
	.set _Z19_skinny_gemm_kernelILi2ELi3ELi1ELi16ELi4EEvPKhS1_P6__halfPKfiiiiiiii.has_dyn_sized_stack, 0
	.set _Z19_skinny_gemm_kernelILi2ELi3ELi1ELi16ELi4EEvPKhS1_P6__halfPKfiiiiiiii.has_recursion, 0
	.set _Z19_skinny_gemm_kernelILi2ELi3ELi1ELi16ELi4EEvPKhS1_P6__halfPKfiiiiiiii.has_indirect_call, 0
	.section	.AMDGPU.csdata,"",@progbits
; Kernel info:
; codeLenInByte = 4808
; TotalNumSgprs: 73
; NumVgprs: 78
; NumAgprs: 0
; TotalNumVgprs: 78
; ScratchSize: 0
; MemoryBound: 0
; FloatMode: 240
; IeeeMode: 1
; LDSByteSize: 10260 bytes/workgroup (compile time only)
; SGPRBlocks: 9
; VGPRBlocks: 9
; NumSGPRsForWavesPerEU: 73
; NumVGPRsForWavesPerEU: 78
; AccumOffset: 80
; Occupancy: 6
; WaveLimiterHint : 0
; COMPUTE_PGM_RSRC2:SCRATCH_EN: 0
; COMPUTE_PGM_RSRC2:USER_SGPR: 2
; COMPUTE_PGM_RSRC2:TRAP_HANDLER: 0
; COMPUTE_PGM_RSRC2:TGID_X_EN: 1
; COMPUTE_PGM_RSRC2:TGID_Y_EN: 0
; COMPUTE_PGM_RSRC2:TGID_Z_EN: 0
; COMPUTE_PGM_RSRC2:TIDIG_COMP_CNT: 0
; COMPUTE_PGM_RSRC3_GFX90A:ACCUM_OFFSET: 19
; COMPUTE_PGM_RSRC3_GFX90A:TG_SPLIT: 0
	.section	.text._Z19_skinny_gemm_kernelILi2ELi3ELi1ELi16ELi8EEvPKhS1_P6__halfPKfiiiiiiii,"axG",@progbits,_Z19_skinny_gemm_kernelILi2ELi3ELi1ELi16ELi8EEvPKhS1_P6__halfPKfiiiiiiii,comdat
	.protected	_Z19_skinny_gemm_kernelILi2ELi3ELi1ELi16ELi8EEvPKhS1_P6__halfPKfiiiiiiii ; -- Begin function _Z19_skinny_gemm_kernelILi2ELi3ELi1ELi16ELi8EEvPKhS1_P6__halfPKfiiiiiiii
	.globl	_Z19_skinny_gemm_kernelILi2ELi3ELi1ELi16ELi8EEvPKhS1_P6__halfPKfiiiiiiii
	.p2align	8
	.type	_Z19_skinny_gemm_kernelILi2ELi3ELi1ELi16ELi8EEvPKhS1_P6__halfPKfiiiiiiii,@function
_Z19_skinny_gemm_kernelILi2ELi3ELi1ELi16ELi8EEvPKhS1_P6__halfPKfiiiiiiii: ; @_Z19_skinny_gemm_kernelILi2ELi3ELi1ELi16ELi8EEvPKhS1_P6__halfPKfiiiiiiii
; %bb.0:
	v_cmp_gt_u32_e32 vcc, 5, v0
	v_lshlrev_b32_e32 v1, 2, v0
	s_and_saveexec_b64 s[4:5], vcc
; %bb.1:
	v_mov_b32_e32 v2, 0
	ds_write_b32 v1, v2 offset:20480
; %bb.2:
	s_or_b64 exec, exec, s[4:5]
	s_load_dwordx8 s[20:27], s[0:1], 0x20
	s_waitcnt lgkmcnt(0)
	s_barrier
	s_add_i32 s3, s20, 31
	s_ashr_i32 s5, s3, 31
	s_add_i32 s4, s21, 47
	s_lshr_b32 s5, s5, 27
	s_mul_hi_i32 s4, s4, 0x2aaaaaab
	s_add_i32 s3, s3, s5
	s_ashr_i32 s33, s3, 5
	s_lshr_b32 s3, s4, 31
	s_ashr_i32 s50, s4, 3
	s_add_i32 s50, s50, s3
	s_mul_i32 s3, s50, s33
	s_mul_i32 s3, s3, s24
	s_add_i32 s4, s3, 0x12f
	s_mul_hi_i32 s4, s4, 0x6bca1af3
	s_lshr_b32 s5, s4, 31
	s_ashr_i32 s4, s4, 7
	s_add_i32 s4, s4, s5
	s_add_i32 s5, s2, 1
	s_mul_i32 s5, s4, s5
	v_cvt_f64_i32_e32 v[2:3], s3
	v_cvt_f64_u32_e32 v[4:5], s5
	v_min_f64 v[2:3], v[2:3], v[4:5]
	v_cvt_i32_f64_e32 v25, v[2:3]
	s_mul_i32 s51, s4, s2
	v_cmp_ge_i32_e32 vcc, s51, v25
	s_cbranch_vccnz .LBB185_53
; %bb.3:
	v_lshrrev_b32_e32 v2, 6, v0
	s_add_i32 s4, s26, s25
	s_load_dwordx8 s[36:43], s[0:1], 0x0
	v_cmp_le_i32_e64 s[0:1], s4, v2
	v_mov_b32_e32 v3, s25
	v_cmp_le_i32_e64 s[2:3], s25, v2
	v_mov_b32_e32 v4, s26
	v_cndmask_b32_e64 v4, 0, v4, s[0:1]
	v_cndmask_b32_e64 v3, 0, v3, s[2:3]
	s_abs_i32 s5, s24
	v_add_u32_e32 v3, v3, v4
	v_cvt_f32_u32_e32 v4, s5
	v_sub_u32_e32 v36, v2, v3
	s_ashr_i32 s6, s22, 31
	s_lshr_b32 s6, s6, 24
	v_rcp_iflag_f32_e32 v3, v4
	s_sub_i32 s9, 0, s5
	s_add_i32 s6, s22, s6
	s_ashr_i32 s6, s6, 8
	v_mul_f32_e32 v3, 0x4f7ffffe, v3
	v_cvt_u32_f32_e32 v3, v3
	s_abs_i32 s8, s6
	s_xor_b32 s7, s6, s24
	s_ashr_i32 s7, s7, 31
	v_readfirstlane_b32 s10, v3
	s_mul_i32 s9, s9, s10
	s_mul_hi_u32 s9, s10, s9
	s_add_i32 s10, s10, s9
	s_mul_hi_u32 s9, s8, s10
	s_mul_i32 s10, s9, s5
	s_sub_i32 s8, s8, s10
	s_add_i32 s10, s9, 1
	s_sub_i32 s11, s8, s5
	s_cmp_ge_u32 s8, s5
	s_cselect_b32 s9, s10, s9
	s_cselect_b32 s8, s11, s8
	s_add_i32 s10, s9, 1
	s_cmp_ge_u32 s8, s5
	s_cselect_b32 s5, s10, s9
	s_xor_b32 s5, s5, s7
	s_sub_i32 s52, s5, s7
	s_add_i32 s24, s24, -1
	s_mul_i32 s5, s52, s24
	s_add_i32 s4, s4, s27
	s_sub_i32 s53, s6, s5
	v_cmp_gt_i32_e64 s[4:5], s4, v2
	v_lshlrev_b32_e32 v2, 1, v0
	v_lshlrev_b32_e32 v3, 4, v0
	v_and_b32_e32 v1, 60, v1
	v_and_b32_e32 v2, 64, v2
	;; [unrolled: 1-line block ×3, first 2 shown]
	v_or3_b32 v75, v1, v2, v4
	v_and_b32_e32 v1, 1, v0
	v_lshrrev_b32_e32 v4, 2, v0
	s_abs_i32 s55, s33
	v_and_or_b32 v81, v4, 12, v1
	v_cvt_f32_u32_e32 v4, s55
	v_lshlrev_b32_e32 v2, 1, v1
	v_and_b32_e32 v24, 14, v0
	v_sub_u32_e32 v2, v0, v2
	v_bitop3_b32 v77, v0, 1, v0 bitop3:0xc
	v_bitop3_b32 v78, v0, 3, 1 bitop3:0x6c
	v_and_b32_e32 v30, 48, v3
	v_bfe_u32 v83, v0, 2, 4
	v_and_b32_e32 v1, 60, v0
	v_lshlrev_b32_e32 v3, 8, v0
	v_lshlrev_b32_e32 v0, 6, v0
	v_and_b32_e32 v3, 0x200, v3
	v_and_b32_e32 v0, 64, v0
	v_or3_b32 v84, v1, v3, v0
	v_rcp_iflag_f32_e32 v0, v4
	s_abs_i32 s57, s50
	v_cvt_f32_u32_e32 v1, s57
	v_mad_u64_u32 v[26:27], s[6:7], s21, v81, v[24:25]
	v_mul_f32_e32 v0, 0x4f7ffffe, v0
	v_cvt_u32_f32_e32 v0, v0
	v_rcp_iflag_f32_e32 v1, v1
	s_sub_i32 s6, 0, s55
	v_add_u32_e32 v2, 1, v2
	v_readfirstlane_b32 s7, v0
	v_mul_f32_e32 v0, 0x4f7ffffe, v1
	v_cvt_u32_f32_e32 v0, v0
	s_mul_i32 s6, s6, s7
	s_mul_hi_u32 s6, s7, s6
	s_add_i32 s59, s7, s6
	s_sub_i32 s6, 0, s57
	v_readfirstlane_b32 s7, v0
	v_mbcnt_lo_u32_b32 v0, -1, 0
	v_and_b32_e32 v2, 63, v2
	s_mul_i32 s6, s6, s7
	v_mbcnt_hi_u32_b32 v0, -1, v0
	v_lshl_add_u32 v28, s21, 4, v26
	v_mul_lo_u32 v32, s23, v83
	s_mul_hi_u32 s6, s7, s6
	v_and_or_b32 v0, v0, 64, v2
	v_cndmask_b32_e64 v74, 0, 1, s[0:1]
	s_movk_i32 s54, 0x3000
	v_or_b32_e32 v76, 0x3000, v75
	s_ashr_i32 s29, s21, 31
	s_mov_b32 s28, s21
	v_or_b32_e32 v79, 16, v24
	v_or_b32_e32 v80, 32, v24
	v_ashrrev_i32_e32 v27, 31, v26
	v_or_b32_e32 v82, 16, v81
	v_ashrrev_i32_e32 v29, 31, v28
	v_ashrrev_i32_e32 v33, 31, v32
	v_mov_b32_e32 v31, 0
	s_lshl_b32 s56, s23, 4
	v_mul_lo_u32 v85, s22, v83
	v_or_b32_e32 v86, 0x3000, v84
	s_ashr_i32 s58, s33, 31
	s_ashr_i32 s60, s50, 31
	s_add_i32 s61, s7, s6
	s_mov_b32 s62, 0x55555556
	v_lshlrev_b32_e32 v87, 2, v0
	v_mov_b32_e32 v88, v36
	s_branch .LBB185_7
.LBB185_4:                              ;   in Loop: Header=BB185_7 Depth=1
	s_or_b64 exec, exec, s[10:11]
.LBB185_5:                              ;   in Loop: Header=BB185_7 Depth=1
	s_or_b64 exec, exec, s[8:9]
	v_subrev_u32_e32 v88, s16, v88
.LBB185_6:                              ;   in Loop: Header=BB185_7 Depth=1
	s_or_b64 exec, exec, s[6:7]
	s_add_i32 s51, s51, 1
	v_cmp_ge_i32_e32 vcc, s51, v25
	s_cbranch_vccnz .LBB185_53
.LBB185_7:                              ; =>This Loop Header: Depth=1
                                        ;     Child Loop BB185_13 Depth 2
                                        ;       Child Loop BB185_15 Depth 3
                                        ;       Child Loop BB185_18 Depth 3
	;; [unrolled: 1-line block ×5, first 2 shown]
                                        ;     Child Loop BB185_40 Depth 2
                                        ;       Child Loop BB185_42 Depth 3
                                        ;     Child Loop BB185_50 Depth 2
                                        ;       Child Loop BB185_52 Depth 3
	s_abs_i32 s7, s51
	s_mul_hi_u32 s8, s7, s59
	s_mul_i32 s9, s8, s55
	s_ashr_i32 s6, s51, 31
	s_sub_i32 s7, s7, s9
	s_xor_b32 s6, s6, s58
	s_add_i32 s9, s8, 1
	s_sub_i32 s10, s7, s55
	s_cmp_ge_u32 s7, s55
	s_cselect_b32 s8, s9, s8
	s_cselect_b32 s7, s10, s7
	s_add_i32 s9, s8, 1
	s_cmp_ge_u32 s7, s55
	s_cselect_b32 s7, s9, s8
	s_xor_b32 s7, s7, s6
	s_sub_i32 s6, s7, s6
	s_abs_i32 s8, s6
	s_mul_i32 s7, s6, s33
	s_mul_hi_u32 s9, s8, s61
	s_sub_i32 s7, s51, s7
	s_mul_i32 s10, s9, s57
	s_lshl_b32 s63, s7, 5
	s_ashr_i32 s7, s6, 31
	s_sub_i32 s8, s8, s10
	s_xor_b32 s7, s7, s60
	s_add_i32 s10, s9, 1
	s_sub_i32 s11, s8, s57
	s_cmp_ge_u32 s8, s57
	s_cselect_b32 s9, s10, s9
	s_cselect_b32 s8, s11, s8
	s_add_i32 s10, s9, 1
	s_cmp_ge_u32 s8, s57
	s_cselect_b32 s8, s10, s9
	s_xor_b32 s8, s8, s7
	s_sub_i32 s7, s8, s7
	s_mul_i32 s8, s7, s52
	s_lshl_b32 s64, s8, 8
	s_cmp_eq_u32 s7, s24
	s_cselect_b32 s66, s53, s52
	s_sub_i32 s8, s63, s20
	s_add_i32 s8, s8, 32
	s_max_i32 s65, s8, 0
	s_and_saveexec_b64 s[8:9], s[2:3]
	s_xor_b64 s[30:31], exec, s[8:9]
	s_cbranch_execz .LBB185_46
; %bb.8:                                ;   in Loop: Header=BB185_7 Depth=1
	s_mul_i32 s7, s7, s50
	s_sub_i32 s6, s6, s7
	s_mul_i32 s6, s6, 48
	s_sub_i32 s18, s6, s21
	s_add_i32 s18, s18, 48
	s_max_i32 s7, s18, 0
	s_sub_i32 s34, s6, s7
	s_and_saveexec_b64 s[6:7], s[0:1]
	s_xor_b64 s[44:45], exec, s[6:7]
	s_cbranch_execz .LBB185_36
; %bb.9:                                ;   in Loop: Header=BB185_7 Depth=1
	s_and_saveexec_b64 s[46:47], s[4:5]
	s_cbranch_execz .LBB185_35
; %bb.10:                               ;   in Loop: Header=BB185_7 Depth=1
	s_waitcnt lgkmcnt(0)
	global_load_dword v89, v31, s[42:43]
	v_mov_b32_e32 v23, 0
	v_cmp_gt_i32_e32 vcc, s66, v88
	v_mov_b32_e32 v22, v23
	v_mov_b32_e32 v21, v23
	;; [unrolled: 1-line block ×23, first 2 shown]
	s_and_saveexec_b64 s[6:7], vcc
	s_cbranch_execz .LBB185_29
; %bb.11:                               ;   in Loop: Header=BB185_7 Depth=1
	v_mov_b32_e32 v0, 0
	s_mov_b64 s[8:9], 0
	v_mov_b32_e32 v1, v0
	v_mov_b32_e32 v2, v0
	;; [unrolled: 1-line block ×23, first 2 shown]
	s_branch .LBB185_13
.LBB185_12:                             ;   in Loop: Header=BB185_13 Depth=2
	s_or_b64 exec, exec, s[10:11]
	v_add_u32_e32 v67, 0x2000, v66
	ds_read2_b32 v[68:69], v67 offset1:32
	v_add_u32_e32 v88, s27, v88
	s_waitcnt lgkmcnt(0)
	v_mfma_f32_16x16x32_fp8_fp8 v[12:15], v[34:35], v[68:69], v[12:15]
	ds_read2_b32 v[34:35], v67 offset0:128 offset1:160
	v_add_u32_e32 v67, 0x2400, v66
	v_mfma_f32_16x16x32_fp8_fp8 v[0:3], v[50:51], v[68:69], v[0:3]
	s_waitcnt lgkmcnt(0)
	v_mfma_f32_16x16x32_fp8_fp8 v[12:15], v[36:37], v[34:35], v[12:15]
	ds_read2_b32 v[36:37], v67 offset1:32
	s_waitcnt lgkmcnt(0)
	v_mfma_f32_16x16x32_fp8_fp8 v[12:15], v[42:43], v[36:37], v[12:15]
	ds_read2_b32 v[42:43], v67 offset0:128 offset1:160
	v_add_u32_e32 v67, 0x2800, v66
	v_add_u32_e32 v66, 0x2c00, v66
	v_mfma_f32_16x16x32_fp8_fp8 v[0:3], v[52:53], v[34:35], v[0:3]
	v_add_u32_e32 v34, 2, v74
	s_waitcnt lgkmcnt(0)
	v_mfma_f32_16x16x32_fp8_fp8 v[12:15], v[38:39], v[42:43], v[12:15]
	ds_read2_b32 v[38:39], v67 offset1:32
	v_mfma_f32_16x16x32_fp8_fp8 v[0:3], v[58:59], v[36:37], v[0:3]
	v_add_u32_e32 v36, s27, v90
	v_cmp_lt_i32_e32 vcc, 0, v36
	v_mfma_f32_16x16x32_fp8_fp8 v[0:3], v[60:61], v[42:43], v[0:3]
	s_nop 0
	v_cndmask_b32_e32 v74, v74, v34, vcc
	v_cmp_le_i32_e32 vcc, s66, v88
	s_or_b64 s[8:9], vcc, s[8:9]
	s_waitcnt lgkmcnt(0)
	v_mfma_f32_16x16x32_fp8_fp8 v[12:15], v[44:45], v[38:39], v[12:15]
	ds_read2_b32 v[44:45], v67 offset0:128 offset1:160
	v_mfma_f32_16x16x32_fp8_fp8 v[0:3], v[62:63], v[38:39], v[0:3]
	s_waitcnt lgkmcnt(0)
	v_mfma_f32_16x16x32_fp8_fp8 v[12:15], v[40:41], v[44:45], v[12:15]
	ds_read2_b32 v[40:41], v66 offset1:32
	v_mfma_f32_16x16x32_fp8_fp8 v[0:3], v[64:65], v[44:45], v[0:3]
	s_waitcnt lgkmcnt(0)
	v_mfma_f32_16x16x32_fp8_fp8 v[12:15], v[46:47], v[40:41], v[12:15]
	ds_read2_b32 v[46:47], v66 offset0:128 offset1:160
	;;#ASMSTART
	s_waitcnt lgkmcnt(0)
	;;#ASMEND
	ds_write_b32 v91, v92 offset:20496
	v_mfma_f32_16x16x32_fp8_fp8 v[0:3], v[56:57], v[40:41], v[0:3]
	s_waitcnt lgkmcnt(1)
	v_mfma_f32_16x16x32_fp8_fp8 v[12:15], v[48:49], v[46:47], v[12:15]
	v_mfma_f32_16x16x32_fp8_fp8 v[0:3], v[54:55], v[46:47], v[0:3]
	s_andn2_b64 exec, exec, s[8:9]
	s_cbranch_execz .LBB185_28
.LBB185_13:                             ;   Parent Loop BB185_7 Depth=1
                                        ; =>  This Loop Header: Depth=2
                                        ;       Child Loop BB185_15 Depth 3
                                        ;       Child Loop BB185_18 Depth 3
	;; [unrolled: 1-line block ×5, first 2 shown]
	v_cmp_lt_i32_e32 vcc, 0, v36
	s_nop 1
	v_subbrev_co_u32_e32 v90, vcc, 0, v36, vcc
	v_mul_lo_u32 v91, v90, 12
	ds_read_b32 v34, v91 offset:20488
	s_waitcnt lgkmcnt(0)
	v_cmp_ne_u32_e32 vcc, v34, v74
	s_and_saveexec_b64 s[10:11], vcc
	s_cbranch_execz .LBB185_16
; %bb.14:                               ;   in Loop: Header=BB185_13 Depth=2
	s_mov_b64 s[12:13], 0
.LBB185_15:                             ;   Parent Loop BB185_7 Depth=1
                                        ;     Parent Loop BB185_13 Depth=2
                                        ; =>    This Inner Loop Header: Depth=3
	;;#ASMSTART
	s_sleep 0
	;;#ASMEND
	ds_read_b32 v34, v91 offset:20488
	s_waitcnt lgkmcnt(0)
	v_cmp_eq_u32_e32 vcc, v34, v74
	s_or_b64 s[12:13], vcc, s[12:13]
	s_andn2_b64 exec, exec, s[12:13]
	s_cbranch_execnz .LBB185_15
.LBB185_16:                             ;   in Loop: Header=BB185_13 Depth=2
	s_or_b64 exec, exec, s[10:11]
	v_mul_lo_u32 v93, v90, s54
	v_or_b32_e32 v34, v75, v93
	v_add_u32_e32 v35, 0x400, v34
	ds_read2_b32 v[54:55], v34 offset1:32
	ds_read2_b32 v[56:57], v34 offset0:128 offset1:160
	ds_read2_b32 v[62:63], v35 offset1:32
	ds_read2_b32 v[64:65], v35 offset0:128 offset1:160
	v_add_u32_e32 v35, 0x800, v34
	v_add_u32_e32 v34, 0xc00, v34
	;; [unrolled: 1-line block ×3, first 2 shown]
	ds_read2_b32 v[66:67], v35 offset1:32
	ds_read2_b32 v[68:69], v35 offset0:128 offset1:160
	ds_read2_b32 v[72:73], v34 offset1:32
	ds_read2_b32 v[70:71], v34 offset0:128 offset1:160
	;;#ASMSTART
	s_waitcnt lgkmcnt(0)
	;;#ASMEND
	ds_write_b32 v91, v92 offset:20488
	v_lshlrev_b32_e32 v94, 3, v90
	ds_read_b32 v34, v94 offset:20480
	s_waitcnt lgkmcnt(0)
	v_cmp_ne_u32_e32 vcc, v34, v74
	s_and_saveexec_b64 s[10:11], vcc
	s_cbranch_execz .LBB185_19
; %bb.17:                               ;   in Loop: Header=BB185_13 Depth=2
	s_mov_b64 s[12:13], 0
.LBB185_18:                             ;   Parent Loop BB185_7 Depth=1
                                        ;     Parent Loop BB185_13 Depth=2
                                        ; =>    This Inner Loop Header: Depth=3
	;;#ASMSTART
	s_sleep 0
	;;#ASMEND
	ds_read_b32 v34, v94 offset:20480
	s_waitcnt lgkmcnt(0)
	v_cmp_eq_u32_e32 vcc, v34, v74
	s_or_b64 s[12:13], vcc, s[12:13]
	s_andn2_b64 exec, exec, s[12:13]
	s_cbranch_execnz .LBB185_18
.LBB185_19:                             ;   in Loop: Header=BB185_13 Depth=2
	s_or_b64 exec, exec, s[10:11]
	v_lshlrev_b32_e32 v34, 13, v90
	v_add_u32_e32 v95, v76, v34
	ds_read2_b32 v[34:35], v95 offset1:32
	ds_read2_b32 v[36:37], v95 offset0:128 offset1:160
	v_add_u32_e32 v38, 0x400, v95
	ds_read2_b32 v[42:43], v38 offset1:32
	ds_read2_b32 v[38:39], v38 offset0:128 offset1:160
	;; [unrolled: 3-line block ×3, first 2 shown]
	v_add_u32_e32 v48, 0xc00, v95
	s_waitcnt lgkmcnt(5)
	v_mfma_f32_16x16x32_fp8_fp8 v[20:23], v[34:35], v[54:55], v[20:23]
	ds_read2_b32 v[46:47], v48 offset1:32
	ds_read2_b32 v[48:49], v48 offset0:128 offset1:160
	ds_read_b32 v50, v94 offset:20484
	ds_write_b32 v94, v92 offset:20480
	s_waitcnt lgkmcnt(8)
	v_mfma_f32_16x16x32_fp8_fp8 v[20:23], v[36:37], v[56:57], v[20:23]
	s_waitcnt lgkmcnt(1)
	v_cmp_ne_u32_e32 vcc, v50, v74
	v_mfma_f32_16x16x32_fp8_fp8 v[20:23], v[42:43], v[62:63], v[20:23]
	v_mfma_f32_16x16x32_fp8_fp8 v[20:23], v[38:39], v[64:65], v[20:23]
	;; [unrolled: 1-line block ×6, first 2 shown]
	s_and_saveexec_b64 s[10:11], vcc
	s_cbranch_execz .LBB185_22
; %bb.20:                               ;   in Loop: Header=BB185_13 Depth=2
	s_mov_b64 s[12:13], 0
.LBB185_21:                             ;   Parent Loop BB185_7 Depth=1
                                        ;     Parent Loop BB185_13 Depth=2
                                        ; =>    This Inner Loop Header: Depth=3
	;;#ASMSTART
	s_sleep 0
	;;#ASMEND
	ds_read_b32 v50, v94 offset:20484
	s_waitcnt lgkmcnt(0)
	v_cmp_eq_u32_e32 vcc, v50, v74
	s_or_b64 s[12:13], vcc, s[12:13]
	s_andn2_b64 exec, exec, s[12:13]
	s_cbranch_execnz .LBB185_21
.LBB185_22:                             ;   in Loop: Header=BB185_13 Depth=2
	s_or_b64 exec, exec, s[10:11]
	v_add_u32_e32 v52, 0x1000, v95
	ds_read2_b32 v[50:51], v52 offset1:32
	ds_read2_b32 v[52:53], v52 offset0:128 offset1:160
	v_add_u32_e32 v60, 0x1400, v95
	ds_read2_b32 v[58:59], v60 offset1:32
	ds_read2_b32 v[60:61], v60 offset0:128 offset1:160
	s_waitcnt lgkmcnt(3)
	v_mfma_f32_16x16x32_fp8_fp8 v[8:11], v[50:51], v[54:55], v[8:11]
	v_add_u32_e32 v54, 0x1800, v95
	ds_write_b32 v94, v92 offset:20484
	s_waitcnt lgkmcnt(3)
	v_mfma_f32_16x16x32_fp8_fp8 v[8:11], v[52:53], v[56:57], v[8:11]
	s_waitcnt lgkmcnt(2)
	v_mfma_f32_16x16x32_fp8_fp8 v[8:11], v[58:59], v[62:63], v[8:11]
	ds_read2_b32 v[62:63], v54 offset1:32
	s_waitcnt lgkmcnt(2)
	v_mfma_f32_16x16x32_fp8_fp8 v[8:11], v[60:61], v[64:65], v[8:11]
	ds_read2_b32 v[64:65], v54 offset0:128 offset1:160
	v_add_u32_e32 v54, 0x1c00, v95
	ds_read2_b32 v[56:57], v54 offset1:32
	ds_read2_b32 v[54:55], v54 offset0:128 offset1:160
	s_waitcnt lgkmcnt(3)
	v_mfma_f32_16x16x32_fp8_fp8 v[8:11], v[62:63], v[66:67], v[8:11]
	ds_read_b32 v66, v91 offset:20492
	s_waitcnt lgkmcnt(0)
	v_cmp_ne_u32_e32 vcc, v66, v74
	v_mfma_f32_16x16x32_fp8_fp8 v[8:11], v[64:65], v[68:69], v[8:11]
	v_mfma_f32_16x16x32_fp8_fp8 v[8:11], v[56:57], v[72:73], v[8:11]
	v_mfma_f32_16x16x32_fp8_fp8 v[8:11], v[54:55], v[70:71], v[8:11]
	s_and_saveexec_b64 s[10:11], vcc
	s_cbranch_execz .LBB185_25
; %bb.23:                               ;   in Loop: Header=BB185_13 Depth=2
	s_mov_b64 s[12:13], 0
.LBB185_24:                             ;   Parent Loop BB185_7 Depth=1
                                        ;     Parent Loop BB185_13 Depth=2
                                        ; =>    This Inner Loop Header: Depth=3
	;;#ASMSTART
	s_sleep 0
	;;#ASMEND
	ds_read_b32 v66, v91 offset:20492
	s_waitcnt lgkmcnt(0)
	v_cmp_eq_u32_e32 vcc, v66, v74
	s_or_b64 s[12:13], vcc, s[12:13]
	s_andn2_b64 exec, exec, s[12:13]
	s_cbranch_execnz .LBB185_24
.LBB185_25:                             ;   in Loop: Header=BB185_13 Depth=2
	s_or_b64 exec, exec, s[10:11]
	v_add_u32_e32 v66, v75, v93
	v_add_u32_e32 v67, 0x1000, v66
	ds_read2_b32 v[68:69], v67 offset1:32
	s_waitcnt lgkmcnt(0)
	v_mfma_f32_16x16x32_fp8_fp8 v[16:19], v[34:35], v[68:69], v[16:19]
	v_mfma_f32_16x16x32_fp8_fp8 v[4:7], v[50:51], v[68:69], v[4:7]
	ds_read2_b32 v[68:69], v67 offset0:128 offset1:160
	v_add_u32_e32 v67, 0x1400, v66
	ds_read2_b32 v[70:71], v67 offset1:32
	s_waitcnt lgkmcnt(1)
	v_mfma_f32_16x16x32_fp8_fp8 v[16:19], v[36:37], v[68:69], v[16:19]
	ds_read2_b32 v[72:73], v67 offset0:128 offset1:160
	v_add_u32_e32 v67, 0x1800, v66
	ds_read2_b32 v[94:95], v67 offset1:32
	v_mfma_f32_16x16x32_fp8_fp8 v[4:7], v[52:53], v[68:69], v[4:7]
	ds_read2_b32 v[96:97], v67 offset0:128 offset1:160
	v_add_u32_e32 v67, 0x1c00, v66
	ds_read2_b32 v[98:99], v67 offset1:32
	s_waitcnt lgkmcnt(4)
	v_mfma_f32_16x16x32_fp8_fp8 v[16:19], v[42:43], v[70:71], v[16:19]
	ds_read2_b32 v[100:101], v67 offset0:128 offset1:160
	;;#ASMSTART
	s_waitcnt lgkmcnt(0)
	;;#ASMEND
	ds_read_b32 v67, v91 offset:20496
	v_mfma_f32_16x16x32_fp8_fp8 v[4:7], v[58:59], v[70:71], v[4:7]
	ds_write_b32 v91, v92 offset:20492
	s_waitcnt lgkmcnt(1)
	v_cmp_ne_u32_e32 vcc, v67, v74
	v_mfma_f32_16x16x32_fp8_fp8 v[16:19], v[38:39], v[72:73], v[16:19]
	v_mfma_f32_16x16x32_fp8_fp8 v[4:7], v[60:61], v[72:73], v[4:7]
	;; [unrolled: 1-line block ×10, first 2 shown]
	s_and_saveexec_b64 s[10:11], vcc
	s_cbranch_execz .LBB185_12
; %bb.26:                               ;   in Loop: Header=BB185_13 Depth=2
	s_mov_b64 s[12:13], 0
.LBB185_27:                             ;   Parent Loop BB185_7 Depth=1
                                        ;     Parent Loop BB185_13 Depth=2
                                        ; =>    This Inner Loop Header: Depth=3
	;;#ASMSTART
	s_sleep 0
	;;#ASMEND
	ds_read_b32 v67, v91 offset:20496
	s_waitcnt lgkmcnt(0)
	v_cmp_eq_u32_e32 vcc, v67, v74
	s_or_b64 s[12:13], vcc, s[12:13]
	s_andn2_b64 exec, exec, s[12:13]
	s_cbranch_execnz .LBB185_27
	s_branch .LBB185_12
.LBB185_28:                             ;   in Loop: Header=BB185_7 Depth=1
	s_or_b64 exec, exec, s[8:9]
.LBB185_29:                             ;   in Loop: Header=BB185_7 Depth=1
	s_or_b64 exec, exec, s[6:7]
	v_cmp_le_i32_e32 vcc, s18, v24
	v_cmp_eq_u32_e64 s[6:7], 2, v77
	v_cmp_eq_u32_e64 s[8:9], 3, v77
	s_waitcnt vmcnt(0)
	v_cndmask_b32_e32 v34, 0, v89, vcc
	v_pk_mul_f32 v[20:21], v[34:35], v[20:21] op_sel_hi:[0,1]
	v_cmp_eq_u32_e32 vcc, 1, v77
	v_pk_mul_f32 v[38:39], v[34:35], v[22:23] op_sel_hi:[0,1]
	v_cmp_eq_u32_e64 s[10:11], 0, v77
	v_cndmask_b32_e32 v22, v20, v21, vcc
	v_cndmask_b32_e64 v22, v22, v38, s[6:7]
	v_cndmask_b32_e64 v22, v22, v39, s[8:9]
	ds_bpermute_b32 v35, v87, v22
	v_cmp_le_i32_e64 s[14:15], s18, v79
	v_cmp_eq_u32_e64 s[12:13], 1, v78
	v_cmp_le_i32_e64 s[18:19], s18, v80
	v_cmp_eq_u32_e64 s[16:17], 3, v78
	s_waitcnt lgkmcnt(0)
	v_cndmask_b32_e64 v22, v39, v35, s[8:9]
	v_cndmask_b32_e64 v23, v38, v35, s[6:7]
	v_cndmask_b32_e32 v21, v21, v35, vcc
	v_cndmask_b32_e64 v35, v20, v35, s[10:11]
	v_cndmask_b32_e64 v20, 0, v89, s[14:15]
	v_pk_mul_f32 v[16:17], v[20:21], v[16:17] op_sel_hi:[0,1]
	v_pk_mul_f32 v[38:39], v[20:21], v[18:19] op_sel_hi:[0,1]
	v_cndmask_b32_e32 v18, v16, v17, vcc
	v_cndmask_b32_e64 v18, v18, v38, s[6:7]
	v_cndmask_b32_e64 v18, v18, v39, s[8:9]
	ds_bpermute_b32 v41, v87, v18
	v_cndmask_b32_e64 v37, v35, v21, s[12:13]
	v_cmp_eq_u32_e64 s[14:15], 2, v78
	s_waitcnt lgkmcnt(0)
	v_cndmask_b32_e64 v19, v39, v41, s[8:9]
	v_cndmask_b32_e64 v18, v37, v23, s[14:15]
	;; [unrolled: 1-line block ×3, first 2 shown]
	v_cndmask_b32_e32 v40, v17, v41, vcc
	v_cndmask_b32_e64 v41, v16, v41, s[10:11]
	v_cndmask_b32_e64 v16, 0, v89, s[18:19]
	v_pk_mul_f32 v[42:43], v[16:17], v[12:13] op_sel_hi:[0,1]
	v_pk_mul_f32 v[38:39], v[16:17], v[14:15] op_sel_hi:[0,1]
	v_cndmask_b32_e32 v12, v42, v43, vcc
	v_cndmask_b32_e64 v12, v12, v38, s[6:7]
	v_cndmask_b32_e64 v12, v12, v39, s[8:9]
	ds_bpermute_b32 v13, v87, v12
	v_cndmask_b32_e64 v12, v41, v40, s[12:13]
	v_cndmask_b32_e64 v12, v12, v37, s[14:15]
	;; [unrolled: 1-line block ×3, first 2 shown]
	v_cmp_ne_u32_e32 vcc, 0, v77
	ds_bpermute_b32 v14, v87, v12
	s_waitcnt lgkmcnt(1)
	v_cndmask_b32_e64 v15, v39, v13, s[8:9]
	v_cndmask_b32_e64 v38, v38, v13, s[6:7]
	v_cndmask_b32_e32 v12, v43, v13, vcc
	v_cndmask_b32_e64 v13, v42, v13, s[10:11]
	v_cndmask_b32_e64 v17, v13, v12, s[12:13]
	;; [unrolled: 1-line block ×5, first 2 shown]
	ds_bpermute_b32 v18, v87, v18
	ds_bpermute_b32 v39, v87, v17
	v_add_u32_e32 v17, s65, v81
	v_cmp_gt_u32_e32 vcc, 32, v17
	s_and_saveexec_b64 s[18:19], vcc
	s_cbranch_execz .LBB185_34
; %bb.30:                               ;   in Loop: Header=BB185_7 Depth=1
	v_cmp_eq_u32_e64 s[8:9], 1, v78
	v_cmp_eq_u32_e64 s[10:11], 0, v78
	v_cmp_eq_u32_e32 vcc, 3, v78
	s_waitcnt lgkmcnt(1)
	v_cndmask_b32_e64 v21, v21, v18, s[8:9]
	v_cndmask_b32_e64 v40, v40, v14, s[8:9]
	s_waitcnt lgkmcnt(0)
	v_cndmask_b32_e64 v42, v12, v39, s[8:9]
	s_mul_i32 s8, s63, s21
	s_ashr_i32 s9, s8, 31
	v_cndmask_b32_e64 v35, v35, v18, s[10:11]
	s_lshl_b64 s[8:9], s[8:9], 1
	v_cndmask_b32_e64 v41, v41, v14, s[10:11]
	v_cndmask_b32_e64 v43, v13, v39, s[10:11]
	s_add_u32 s10, s40, s8
	v_cvt_f16_f32_e32 v35, v35
	v_cvt_f16_f32_sdwa v21, v21 dst_sel:WORD_1 dst_unused:UNUSED_PAD src0_sel:DWORD
	s_addc_u32 s11, s41, s9
	s_ashr_i32 s35, s34, 31
	s_lshl_b64 s[8:9], s[34:35], 1
	s_add_u32 s48, s10, s8
	s_addc_u32 s49, s11, s9
	v_or_b32_e32 v21, v21, v35
	v_lshl_add_u64 v[12:13], v[26:27], 1, s[48:49]
	;;#ASMSTART
	global_atomic_pk_add_f16 v[12:13], v21, off
	
	;;#ASMEND
	v_cvt_f16_f32_e32 v21, v41
	v_cvt_f16_f32_sdwa v35, v40 dst_sel:WORD_1 dst_unused:UNUSED_PAD src0_sel:DWORD
	v_cvt_f16_f32_e32 v43, v43
	v_cvt_f16_f32_sdwa v42, v42 dst_sel:WORD_1 dst_unused:UNUSED_PAD src0_sel:DWORD
	v_cmp_eq_u32_e64 s[6:7], 2, v78
	v_lshl_add_u64 v[40:41], v[12:13], 0, 32
	v_or_b32_e32 v21, v35, v21
	v_cmp_gt_u32_e64 s[8:9], 30, v17
	;;#ASMSTART
	global_atomic_pk_add_f16 v[40:41], v21, off
	
	;;#ASMEND
	v_lshl_add_u64 v[40:41], v[12:13], 0, 64
	v_or_b32_e32 v21, v42, v43
	;;#ASMSTART
	global_atomic_pk_add_f16 v[40:41], v21, off
	
	;;#ASMEND
	s_and_b64 exec, exec, s[8:9]
	s_cbranch_execz .LBB185_34
; %bb.31:                               ;   in Loop: Header=BB185_7 Depth=1
	v_cndmask_b32_e32 v22, v22, v18, vcc
	v_cndmask_b32_e64 v18, v23, v18, s[6:7]
	v_cndmask_b32_e32 v19, v19, v14, vcc
	v_cndmask_b32_e64 v14, v37, v14, s[6:7]
	v_cndmask_b32_e32 v23, v15, v39, vcc
	v_cvt_f16_f32_e32 v15, v18
	v_cvt_f16_f32_sdwa v18, v22 dst_sel:WORD_1 dst_unused:UNUSED_PAD src0_sel:DWORD
	v_cvt_f16_f32_e32 v22, v14
	v_cvt_f16_f32_sdwa v19, v19 dst_sel:WORD_1 dst_unused:UNUSED_PAD src0_sel:DWORD
	v_mov_b32_e32 v35, v34
	v_or_b32_e32 v14, v18, v15
	v_mov_b32_e32 v18, v34
	v_or_b32_e32 v22, v19, v22
	v_mov_b32_e32 v19, v34
	v_pk_mul_f32 v[10:11], v[18:19], v[10:11]
	v_pk_mul_f32 v[18:19], v[34:35], v[8:9]
	v_cmp_eq_u32_e32 vcc, 1, v77
	v_cndmask_b32_e64 v37, v38, v39, s[6:7]
	v_cmp_eq_u32_e64 s[6:7], 2, v77
	v_cndmask_b32_e32 v8, v18, v19, vcc
	v_cmp_eq_u32_e64 s[8:9], 3, v77
	v_cndmask_b32_e64 v8, v8, v10, s[6:7]
	v_lshl_add_u64 v[12:13], s[28:29], 2, v[12:13]
	v_cndmask_b32_e64 v8, v8, v11, s[8:9]
	v_mov_b32_e32 v21, v20
	;;#ASMSTART
	global_atomic_pk_add_f16 v[12:13], v14, off
	
	;;#ASMEND
	v_lshl_add_u64 v[14:15], v[12:13], 0, 32
	ds_bpermute_b32 v34, v87, v8
	;;#ASMSTART
	global_atomic_pk_add_f16 v[14:15], v22, off
	
	;;#ASMEND
	v_cvt_f16_f32_sdwa v35, v23 dst_sel:WORD_1 dst_unused:UNUSED_PAD src0_sel:DWORD
	v_lshl_add_u64 v[22:23], v[12:13], 0, 64
	v_mov_b32_e32 v12, v20
	v_mov_b32_e32 v13, v20
	v_pk_mul_f32 v[6:7], v[12:13], v[6:7]
	v_pk_mul_f32 v[12:13], v[20:21], v[4:5]
	v_cmp_eq_u32_e64 s[10:11], 0, v77
	v_cndmask_b32_e32 v4, v12, v13, vcc
	v_cndmask_b32_e64 v4, v4, v6, s[6:7]
	v_cndmask_b32_e64 v4, v4, v7, s[8:9]
	s_waitcnt lgkmcnt(0)
	v_cndmask_b32_e64 v8, v11, v34, s[8:9]
	v_cndmask_b32_e64 v11, v18, v34, s[10:11]
	ds_bpermute_b32 v18, v87, v4
	v_cndmask_b32_e64 v9, v10, v34, s[6:7]
	v_cndmask_b32_e32 v10, v19, v34, vcc
	v_cmp_eq_u32_e64 s[12:13], 1, v78
	v_mov_b32_e32 v17, v16
	v_cmp_eq_u32_e64 s[14:15], 2, v78
	v_cndmask_b32_e64 v14, v11, v10, s[12:13]
	s_waitcnt lgkmcnt(0)
	v_cndmask_b32_e64 v5, v7, v18, s[8:9]
	v_cndmask_b32_e64 v4, v14, v9, s[14:15]
	;; [unrolled: 1-line block ×3, first 2 shown]
	v_cndmask_b32_e32 v13, v13, v18, vcc
	v_cndmask_b32_e64 v14, v12, v18, s[10:11]
	v_mov_b32_e32 v18, v16
	v_mov_b32_e32 v19, v16
	v_pk_mul_f32 v[16:17], v[16:17], v[0:1]
	v_pk_mul_f32 v[18:19], v[18:19], v[2:3]
	v_cndmask_b32_e32 v0, v16, v17, vcc
	v_cndmask_b32_e64 v0, v0, v18, s[6:7]
	v_cndmask_b32_e64 v0, v0, v19, s[8:9]
	ds_bpermute_b32 v1, v87, v0
	v_cndmask_b32_e64 v0, v14, v13, s[12:13]
	v_cmp_eq_u32_e64 s[16:17], 3, v78
	v_cndmask_b32_e64 v0, v0, v6, s[14:15]
	v_cmp_ne_u32_e32 vcc, 0, v77
	v_cndmask_b32_e64 v0, v0, v5, s[16:17]
	ds_bpermute_b32 v7, v87, v0
	s_waitcnt lgkmcnt(1)
	v_cndmask_b32_e64 v2, v19, v1, s[8:9]
	v_cndmask_b32_e64 v3, v18, v1, s[6:7]
	v_cndmask_b32_e32 v0, v17, v1, vcc
	v_cndmask_b32_e64 v1, v16, v1, s[10:11]
	v_cndmask_b32_e64 v12, v1, v0, s[12:13]
	v_cvt_f16_f32_e32 v15, v37
	v_cndmask_b32_e64 v12, v12, v3, s[14:15]
	v_cndmask_b32_e64 v4, v4, v8, s[16:17]
	;; [unrolled: 1-line block ×3, first 2 shown]
	ds_bpermute_b32 v4, v87, v4
	ds_bpermute_b32 v12, v87, v12
	v_or_b32_e32 v15, v35, v15
	;;#ASMSTART
	global_atomic_pk_add_f16 v[22:23], v15, off
	
	;;#ASMEND
	v_add_u32_e32 v15, s65, v82
	v_cmp_gt_u32_e32 vcc, 32, v15
	s_and_b64 exec, exec, vcc
	s_cbranch_execz .LBB185_34
; %bb.32:                               ;   in Loop: Header=BB185_7 Depth=1
	v_cmp_eq_u32_e64 s[8:9], 1, v78
	v_cmp_eq_u32_e64 s[10:11], 0, v78
	v_cmp_eq_u32_e32 vcc, 3, v78
	s_waitcnt lgkmcnt(1)
	v_cndmask_b32_e64 v10, v10, v4, s[8:9]
	v_cndmask_b32_e64 v11, v11, v4, s[10:11]
	;; [unrolled: 1-line block ×4, first 2 shown]
	v_cvt_f16_f32_e32 v11, v11
	v_cvt_f16_f32_sdwa v10, v10 dst_sel:WORD_1 dst_unused:UNUSED_PAD src0_sel:DWORD
	s_waitcnt lgkmcnt(0)
	v_cndmask_b32_e64 v16, v0, v12, s[8:9]
	v_cndmask_b32_e64 v17, v1, v12, s[10:11]
	v_cvt_f16_f32_e32 v14, v14
	v_cvt_f16_f32_sdwa v13, v13 dst_sel:WORD_1 dst_unused:UNUSED_PAD src0_sel:DWORD
	v_cvt_f16_f32_e32 v17, v17
	v_cvt_f16_f32_sdwa v16, v16 dst_sel:WORD_1 dst_unused:UNUSED_PAD src0_sel:DWORD
	v_lshl_add_u64 v[0:1], v[28:29], 1, s[48:49]
	v_or_b32_e32 v10, v10, v11
	v_cmp_eq_u32_e64 s[6:7], 2, v78
	;;#ASMSTART
	global_atomic_pk_add_f16 v[0:1], v10, off
	
	;;#ASMEND
	v_lshl_add_u64 v[10:11], v[0:1], 0, 32
	v_or_b32_e32 v13, v13, v14
	v_cmp_gt_u32_e64 s[8:9], 30, v15
	;;#ASMSTART
	global_atomic_pk_add_f16 v[10:11], v13, off
	
	;;#ASMEND
	v_lshl_add_u64 v[10:11], v[0:1], 0, 64
	v_or_b32_e32 v13, v16, v17
	;;#ASMSTART
	global_atomic_pk_add_f16 v[10:11], v13, off
	
	;;#ASMEND
	s_and_b64 exec, exec, s[8:9]
	s_cbranch_execz .LBB185_34
; %bb.33:                               ;   in Loop: Header=BB185_7 Depth=1
	v_cndmask_b32_e32 v8, v8, v4, vcc
	v_cndmask_b32_e64 v4, v9, v4, s[6:7]
	v_cndmask_b32_e32 v5, v5, v7, vcc
	v_cndmask_b32_e64 v6, v6, v7, s[6:7]
	v_cvt_f16_f32_e32 v4, v4
	v_cvt_f16_f32_sdwa v7, v8 dst_sel:WORD_1 dst_unused:UNUSED_PAD src0_sel:DWORD
	v_cndmask_b32_e32 v8, v2, v12, vcc
	v_cndmask_b32_e64 v9, v3, v12, s[6:7]
	v_cvt_f16_f32_sdwa v5, v5 dst_sel:WORD_1 dst_unused:UNUSED_PAD src0_sel:DWORD
	v_or_b32_e32 v2, v7, v4
	v_cvt_f16_f32_e32 v4, v6
	v_cvt_f16_f32_e32 v6, v9
	v_cvt_f16_f32_sdwa v7, v8 dst_sel:WORD_1 dst_unused:UNUSED_PAD src0_sel:DWORD
	v_lshl_add_u64 v[0:1], s[28:29], 2, v[0:1]
	;;#ASMSTART
	global_atomic_pk_add_f16 v[0:1], v2, off
	
	;;#ASMEND
	v_lshl_add_u64 v[2:3], v[0:1], 0, 32
	v_or_b32_e32 v4, v5, v4
	;;#ASMSTART
	global_atomic_pk_add_f16 v[2:3], v4, off
	
	;;#ASMEND
	v_lshl_add_u64 v[0:1], v[0:1], 0, 64
	v_or_b32_e32 v2, v7, v6
	;;#ASMSTART
	global_atomic_pk_add_f16 v[0:1], v2, off
	
	;;#ASMEND
.LBB185_34:                             ;   in Loop: Header=BB185_7 Depth=1
	s_or_b64 exec, exec, s[18:19]
	v_subrev_u32_e32 v88, s66, v88
.LBB185_35:                             ;   in Loop: Header=BB185_7 Depth=1
	s_or_b64 exec, exec, s[46:47]
.LBB185_36:                             ;   in Loop: Header=BB185_7 Depth=1
	s_andn2_saveexec_b64 s[6:7], s[44:45]
	s_cbranch_execz .LBB185_45
; %bb.37:                               ;   in Loop: Header=BB185_7 Depth=1
	s_mul_i32 s16, s66, 3
	v_cmp_gt_i32_e32 vcc, s16, v88
	s_and_saveexec_b64 s[8:9], vcc
	s_cbranch_execz .LBB185_44
; %bb.38:                               ;   in Loop: Header=BB185_7 Depth=1
	s_mul_i32 s10, s34, s23
	s_ashr_i32 s11, s10, 31
	s_waitcnt lgkmcnt(0)
	s_add_u32 s10, s38, s10
	s_addc_u32 s11, s39, s11
	s_ashr_i32 s12, s64, 31
	s_add_u32 s10, s10, s64
	s_addc_u32 s11, s11, s12
	v_lshl_add_u64 v[0:1], s[10:11], 0, v[32:33]
	v_lshl_add_u64 v[16:17], v[0:1], 0, v[30:31]
	s_mov_b64 s[10:11], 0
	s_branch .LBB185_40
.LBB185_39:                             ;   in Loop: Header=BB185_40 Depth=2
	s_or_b64 exec, exec, s[12:13]
	v_lshl_or_b32 v20, v18, 12, v84
	;;#ASMSTART
	s_waitcnt vmcnt(3)
	;;#ASMEND
	ds_write2_b32 v20, v12, v13 offset1:32
	ds_write2_b32 v20, v14, v15 offset0:64 offset1:96
	v_add_u32_e32 v12, 0x400, v20
	;;#ASMSTART
	s_waitcnt vmcnt(2)
	;;#ASMEND
	ds_write2_b32 v12, v8, v9 offset1:32
	ds_write2_b32 v12, v10, v11 offset0:64 offset1:96
	v_add_u32_e32 v8, 0x800, v20
	;; [unrolled: 6-line block ×3, first 2 shown]
	v_add_u32_e32 v88, s26, v88
	;;#ASMSTART
	s_waitcnt vmcnt(0)
	;;#ASMEND
	ds_write2_b32 v4, v0, v1 offset1:32
	ds_write2_b32 v4, v2, v3 offset0:64 offset1:96
	v_add_u32_e32 v0, 1, v74
	v_add_u32_e32 v36, s26, v18
	v_cmp_le_i32_e32 vcc, s16, v88
	ds_write_b32 v19, v0 offset:8
	v_add_u32_e32 v0, 2, v74
	s_or_b64 s[10:11], vcc, s[10:11]
	v_cmp_lt_i32_e32 vcc, 2, v36
	s_nop 1
	v_cndmask_b32_e32 v74, v74, v0, vcc
	s_andn2_b64 exec, exec, s[10:11]
	s_cbranch_execz .LBB185_43
.LBB185_40:                             ;   Parent Loop BB185_7 Depth=1
                                        ; =>  This Loop Header: Depth=2
                                        ;       Child Loop BB185_42 Depth 3
	v_cmp_gt_i32_e32 vcc, 3, v36
	s_nop 1
	v_cndmask_b32_e64 v0, -3, 0, vcc
	v_add_u32_e32 v18, v0, v36
	v_mul_hi_i32 v0, v88, s62
	v_lshrrev_b32_e32 v1, 31, v0
	v_add_u32_e32 v0, v0, v1
	v_lshl_add_u32 v1, v0, 1, v0
	v_sub_u32_e32 v2, v88, v1
	v_lshlrev_b32_e32 v0, 8, v0
	v_ashrrev_i32_e32 v1, 31, v0
	v_mul_lo_u32 v2, s56, v2
	v_lshl_add_u64 v[0:1], v[16:17], 0, v[0:1]
	v_ashrrev_i32_e32 v3, 31, v2
	v_lshl_add_u64 v[0:1], v[0:1], 0, v[2:3]
	v_lshlrev_b32_e32 v19, 2, v18
	;;#ASMSTART
	global_load_dwordx4 v[12:15], v[0:1], off offset:0    sc0 sc1 nt  
	global_load_dwordx4 v[8:11], v[0:1], off offset:64   sc0 sc1 nt  
	global_load_dwordx4 v[4:7], v[0:1], off offset:128  sc0 sc1 nt  
	global_load_dwordx4 v[0:3], v[0:1], off offset:192  sc0 sc1 nt  
	
	;;#ASMEND
	ds_read_b32 v20, v19 offset:20488
	v_add_u32_e32 v19, 0x5000, v19
	s_waitcnt lgkmcnt(0)
	v_cmp_ne_u32_e32 vcc, v20, v74
	s_and_saveexec_b64 s[12:13], vcc
	s_cbranch_execz .LBB185_39
; %bb.41:                               ;   in Loop: Header=BB185_40 Depth=2
	s_mov_b64 s[14:15], 0
.LBB185_42:                             ;   Parent Loop BB185_7 Depth=1
                                        ;     Parent Loop BB185_40 Depth=2
                                        ; =>    This Inner Loop Header: Depth=3
	;;#ASMSTART
	s_sleep 0
	;;#ASMEND
	ds_read_b32 v20, v19 offset:8
	s_waitcnt lgkmcnt(0)
	v_cmp_eq_u32_e32 vcc, v20, v74
	s_or_b64 s[14:15], vcc, s[14:15]
	s_andn2_b64 exec, exec, s[14:15]
	s_cbranch_execnz .LBB185_42
	s_branch .LBB185_39
.LBB185_43:                             ;   in Loop: Header=BB185_7 Depth=1
	s_or_b64 exec, exec, s[10:11]
.LBB185_44:                             ;   in Loop: Header=BB185_7 Depth=1
	s_or_b64 exec, exec, s[8:9]
	v_subrev_u32_e32 v88, s16, v88
.LBB185_45:                             ;   in Loop: Header=BB185_7 Depth=1
	s_or_b64 exec, exec, s[6:7]
.LBB185_46:                             ;   in Loop: Header=BB185_7 Depth=1
	s_andn2_saveexec_b64 s[6:7], s[30:31]
	s_cbranch_execz .LBB185_6
; %bb.47:                               ;   in Loop: Header=BB185_7 Depth=1
	s_lshl_b32 s16, s66, 1
	v_cmp_gt_i32_e32 vcc, s16, v88
	s_and_saveexec_b64 s[8:9], vcc
	s_cbranch_execz .LBB185_5
; %bb.48:                               ;   in Loop: Header=BB185_7 Depth=1
	s_mul_i32 s63, s63, s22
	s_ashr_i32 s10, s63, 31
	s_waitcnt lgkmcnt(0)
	s_add_u32 s11, s36, s63
	v_add_u32_e32 v2, s65, v83
	s_addc_u32 s12, s37, s10
	s_ashr_i32 s13, s64, 31
	v_cmp_gt_u32_e32 vcc, 32, v2
	s_add_u32 s10, s11, s64
	s_addc_u32 s11, s12, s13
	v_cndmask_b32_e32 v0, 0, v85, vcc
	v_ashrrev_i32_e32 v1, 31, v0
	v_lshl_add_u64 v[0:1], s[10:11], 0, v[0:1]
	v_lshl_add_u64 v[16:17], v[0:1], 0, v[30:31]
	v_sub_u32_e32 v18, 31, v2
	s_mov_b64 s[10:11], 0
	s_branch .LBB185_50
.LBB185_49:                             ;   in Loop: Header=BB185_50 Depth=2
	s_or_b64 exec, exec, s[12:13]
	v_lshl_add_u32 v21, v19, 12, v86
	;;#ASMSTART
	s_waitcnt vmcnt(3)
	;;#ASMEND
	ds_write2_b32 v21, v12, v13 offset1:32
	ds_write2_b32 v21, v14, v15 offset0:64 offset1:96
	v_add_u32_e32 v12, 0x400, v21
	;;#ASMSTART
	s_waitcnt vmcnt(2)
	;;#ASMEND
	ds_write2_b32 v12, v8, v9 offset1:32
	ds_write2_b32 v12, v10, v11 offset0:64 offset1:96
	v_add_u32_e32 v8, 0x800, v21
	;; [unrolled: 6-line block ×3, first 2 shown]
	v_add_u32_e32 v88, s25, v88
	;;#ASMSTART
	s_waitcnt vmcnt(0)
	;;#ASMEND
	ds_write2_b32 v4, v0, v1 offset1:32
	ds_write2_b32 v4, v2, v3 offset0:64 offset1:96
	v_add_u32_e32 v0, 1, v74
	v_add_u32_e32 v36, s25, v19
	v_cmp_le_i32_e32 vcc, s16, v88
	ds_write_b32 v20, v0
	v_add_u32_e32 v0, 2, v74
	s_or_b64 s[10:11], vcc, s[10:11]
	v_cmp_lt_i32_e32 vcc, 1, v36
	s_nop 1
	v_cndmask_b32_e32 v74, v74, v0, vcc
	s_andn2_b64 exec, exec, s[10:11]
	s_cbranch_execz .LBB185_4
.LBB185_50:                             ;   Parent Loop BB185_7 Depth=1
                                        ; =>  This Loop Header: Depth=2
                                        ;       Child Loop BB185_52 Depth 3
	v_cmp_gt_i32_e32 vcc, 2, v36
	s_nop 1
	v_cndmask_b32_e64 v0, -2, 0, vcc
	v_add_u32_e32 v19, v0, v36
	v_lshrrev_b32_e32 v0, 31, v88
	v_add_u32_e32 v0, v88, v0
	v_and_b32_e32 v1, 0xffffffe, v0
	v_sub_u32_e32 v1, v88, v1
	v_lshlrev_b32_e32 v1, 4, v1
	v_cmp_le_i32_e32 vcc, v1, v18
	v_lshlrev_b32_e32 v0, 7, v0
	v_and_b32_e32 v0, 0xffffff00, v0
	v_cndmask_b32_e32 v2, 0, v1, vcc
	v_ashrrev_i32_e32 v1, 31, v0
	v_mul_lo_u32 v2, v2, s22
	v_lshl_add_u64 v[0:1], v[16:17], 0, v[0:1]
	v_ashrrev_i32_e32 v3, 31, v2
	v_lshl_add_u64 v[0:1], v[0:1], 0, v[2:3]
	v_lshlrev_b32_e32 v20, 2, v19
	;;#ASMSTART
	global_load_dwordx4 v[12:15], v[0:1], off offset:0    
	global_load_dwordx4 v[8:11], v[0:1], off offset:64   
	;; [unrolled: 1-line block ×4, first 2 shown]
	
	;;#ASMEND
	ds_read_b32 v21, v20 offset:20480
	v_add_u32_e32 v20, 0x5000, v20
	s_waitcnt lgkmcnt(0)
	v_cmp_ne_u32_e32 vcc, v21, v74
	s_and_saveexec_b64 s[12:13], vcc
	s_cbranch_execz .LBB185_49
; %bb.51:                               ;   in Loop: Header=BB185_50 Depth=2
	s_mov_b64 s[14:15], 0
.LBB185_52:                             ;   Parent Loop BB185_7 Depth=1
                                        ;     Parent Loop BB185_50 Depth=2
                                        ; =>    This Inner Loop Header: Depth=3
	;;#ASMSTART
	s_sleep 0
	;;#ASMEND
	ds_read_b32 v21, v20
	s_waitcnt lgkmcnt(0)
	v_cmp_eq_u32_e32 vcc, v21, v74
	s_or_b64 s[14:15], vcc, s[14:15]
	s_andn2_b64 exec, exec, s[14:15]
	s_cbranch_execnz .LBB185_52
	s_branch .LBB185_49
.LBB185_53:
	s_endpgm
	.section	.rodata,"a",@progbits
	.p2align	6, 0x0
	.amdhsa_kernel _Z19_skinny_gemm_kernelILi2ELi3ELi1ELi16ELi8EEvPKhS1_P6__halfPKfiiiiiiii
		.amdhsa_group_segment_fixed_size 20500
		.amdhsa_private_segment_fixed_size 0
		.amdhsa_kernarg_size 64
		.amdhsa_user_sgpr_count 2
		.amdhsa_user_sgpr_dispatch_ptr 0
		.amdhsa_user_sgpr_queue_ptr 0
		.amdhsa_user_sgpr_kernarg_segment_ptr 1
		.amdhsa_user_sgpr_dispatch_id 0
		.amdhsa_user_sgpr_kernarg_preload_length 0
		.amdhsa_user_sgpr_kernarg_preload_offset 0
		.amdhsa_user_sgpr_private_segment_size 0
		.amdhsa_uses_dynamic_stack 0
		.amdhsa_enable_private_segment 0
		.amdhsa_system_sgpr_workgroup_id_x 1
		.amdhsa_system_sgpr_workgroup_id_y 0
		.amdhsa_system_sgpr_workgroup_id_z 0
		.amdhsa_system_sgpr_workgroup_info 0
		.amdhsa_system_vgpr_workitem_id 0
		.amdhsa_next_free_vgpr 102
		.amdhsa_next_free_sgpr 67
		.amdhsa_accum_offset 104
		.amdhsa_reserve_vcc 1
		.amdhsa_float_round_mode_32 0
		.amdhsa_float_round_mode_16_64 0
		.amdhsa_float_denorm_mode_32 3
		.amdhsa_float_denorm_mode_16_64 3
		.amdhsa_dx10_clamp 1
		.amdhsa_ieee_mode 1
		.amdhsa_fp16_overflow 0
		.amdhsa_tg_split 0
		.amdhsa_exception_fp_ieee_invalid_op 0
		.amdhsa_exception_fp_denorm_src 0
		.amdhsa_exception_fp_ieee_div_zero 0
		.amdhsa_exception_fp_ieee_overflow 0
		.amdhsa_exception_fp_ieee_underflow 0
		.amdhsa_exception_fp_ieee_inexact 0
		.amdhsa_exception_int_div_zero 0
	.end_amdhsa_kernel
	.section	.text._Z19_skinny_gemm_kernelILi2ELi3ELi1ELi16ELi8EEvPKhS1_P6__halfPKfiiiiiiii,"axG",@progbits,_Z19_skinny_gemm_kernelILi2ELi3ELi1ELi16ELi8EEvPKhS1_P6__halfPKfiiiiiiii,comdat
.Lfunc_end185:
	.size	_Z19_skinny_gemm_kernelILi2ELi3ELi1ELi16ELi8EEvPKhS1_P6__halfPKfiiiiiiii, .Lfunc_end185-_Z19_skinny_gemm_kernelILi2ELi3ELi1ELi16ELi8EEvPKhS1_P6__halfPKfiiiiiiii
                                        ; -- End function
	.set _Z19_skinny_gemm_kernelILi2ELi3ELi1ELi16ELi8EEvPKhS1_P6__halfPKfiiiiiiii.num_vgpr, 102
	.set _Z19_skinny_gemm_kernelILi2ELi3ELi1ELi16ELi8EEvPKhS1_P6__halfPKfiiiiiiii.num_agpr, 0
	.set _Z19_skinny_gemm_kernelILi2ELi3ELi1ELi16ELi8EEvPKhS1_P6__halfPKfiiiiiiii.numbered_sgpr, 67
	.set _Z19_skinny_gemm_kernelILi2ELi3ELi1ELi16ELi8EEvPKhS1_P6__halfPKfiiiiiiii.num_named_barrier, 0
	.set _Z19_skinny_gemm_kernelILi2ELi3ELi1ELi16ELi8EEvPKhS1_P6__halfPKfiiiiiiii.private_seg_size, 0
	.set _Z19_skinny_gemm_kernelILi2ELi3ELi1ELi16ELi8EEvPKhS1_P6__halfPKfiiiiiiii.uses_vcc, 1
	.set _Z19_skinny_gemm_kernelILi2ELi3ELi1ELi16ELi8EEvPKhS1_P6__halfPKfiiiiiiii.uses_flat_scratch, 0
	.set _Z19_skinny_gemm_kernelILi2ELi3ELi1ELi16ELi8EEvPKhS1_P6__halfPKfiiiiiiii.has_dyn_sized_stack, 0
	.set _Z19_skinny_gemm_kernelILi2ELi3ELi1ELi16ELi8EEvPKhS1_P6__halfPKfiiiiiiii.has_recursion, 0
	.set _Z19_skinny_gemm_kernelILi2ELi3ELi1ELi16ELi8EEvPKhS1_P6__halfPKfiiiiiiii.has_indirect_call, 0
	.section	.AMDGPU.csdata,"",@progbits
; Kernel info:
; codeLenInByte = 5504
; TotalNumSgprs: 73
; NumVgprs: 102
; NumAgprs: 0
; TotalNumVgprs: 102
; ScratchSize: 0
; MemoryBound: 0
; FloatMode: 240
; IeeeMode: 1
; LDSByteSize: 20500 bytes/workgroup (compile time only)
; SGPRBlocks: 9
; VGPRBlocks: 12
; NumSGPRsForWavesPerEU: 73
; NumVGPRsForWavesPerEU: 102
; AccumOffset: 104
; Occupancy: 4
; WaveLimiterHint : 0
; COMPUTE_PGM_RSRC2:SCRATCH_EN: 0
; COMPUTE_PGM_RSRC2:USER_SGPR: 2
; COMPUTE_PGM_RSRC2:TRAP_HANDLER: 0
; COMPUTE_PGM_RSRC2:TGID_X_EN: 1
; COMPUTE_PGM_RSRC2:TGID_Y_EN: 0
; COMPUTE_PGM_RSRC2:TGID_Z_EN: 0
; COMPUTE_PGM_RSRC2:TIDIG_COMP_CNT: 0
; COMPUTE_PGM_RSRC3_GFX90A:ACCUM_OFFSET: 25
; COMPUTE_PGM_RSRC3_GFX90A:TG_SPLIT: 0
	.section	.text._Z19_skinny_gemm_kernelILi2ELi3ELi1ELi32ELi4EEvPKhS1_P6__halfPKfiiiiiiii,"axG",@progbits,_Z19_skinny_gemm_kernelILi2ELi3ELi1ELi32ELi4EEvPKhS1_P6__halfPKfiiiiiiii,comdat
	.protected	_Z19_skinny_gemm_kernelILi2ELi3ELi1ELi32ELi4EEvPKhS1_P6__halfPKfiiiiiiii ; -- Begin function _Z19_skinny_gemm_kernelILi2ELi3ELi1ELi32ELi4EEvPKhS1_P6__halfPKfiiiiiiii
	.globl	_Z19_skinny_gemm_kernelILi2ELi3ELi1ELi32ELi4EEvPKhS1_P6__halfPKfiiiiiiii
	.p2align	8
	.type	_Z19_skinny_gemm_kernelILi2ELi3ELi1ELi32ELi4EEvPKhS1_P6__halfPKfiiiiiiii,@function
_Z19_skinny_gemm_kernelILi2ELi3ELi1ELi32ELi4EEvPKhS1_P6__halfPKfiiiiiiii: ; @_Z19_skinny_gemm_kernelILi2ELi3ELi1ELi32ELi4EEvPKhS1_P6__halfPKfiiiiiiii
; %bb.0:
	v_cmp_gt_u32_e32 vcc, 5, v0
	s_and_saveexec_b64 s[4:5], vcc
; %bb.1:
	v_lshlrev_b32_e32 v1, 2, v0
	v_mov_b32_e32 v2, 0
	ds_write_b32 v1, v2 offset:10240
; %bb.2:
	s_or_b64 exec, exec, s[4:5]
	s_load_dwordx8 s[92:99], s[0:1], 0x20
	s_waitcnt lgkmcnt(0)
	s_barrier
	s_add_i32 s3, s92, 63
	s_ashr_i32 s5, s3, 31
	s_add_i32 s4, s93, 0x5f
	s_lshr_b32 s5, s5, 26
	s_mul_hi_i32 s4, s4, 0x2aaaaaab
	s_add_i32 s3, s3, s5
	s_ashr_i32 s14, s3, 6
	s_lshr_b32 s3, s4, 31
	s_ashr_i32 s4, s4, 4
	s_add_i32 s15, s4, s3
	s_mul_i32 s3, s15, s14
	s_mul_i32 s3, s3, s96
	s_add_i32 s4, s3, 0x12f
	s_mul_hi_i32 s4, s4, 0x6bca1af3
	s_lshr_b32 s5, s4, 31
	s_ashr_i32 s4, s4, 7
	s_add_i32 s4, s4, s5
	s_add_i32 s5, s2, 1
	s_mul_i32 s5, s4, s5
	v_cvt_f64_i32_e32 v[2:3], s3
	v_cvt_f64_u32_e32 v[4:5], s5
	v_min_f64 v[2:3], v[2:3], v[4:5]
	v_cvt_i32_f64_e32 v62, v[2:3]
	s_mul_i32 s33, s4, s2
	v_cmp_ge_i32_e32 vcc, s33, v62
	s_cbranch_vccnz .LBB186_51
; %bb.3:
	s_load_dwordx8 s[16:23], s[0:1], 0x0
	v_lshrrev_b32_e32 v1, 6, v0
	s_add_i32 s0, s98, s97
	v_cmp_le_i32_e64 s[24:25], s0, v1
	v_mov_b32_e32 v2, s97
	v_cmp_le_i32_e64 s[26:27], s97, v1
	v_mov_b32_e32 v3, s98
	v_cndmask_b32_e64 v3, 0, v3, s[24:25]
	v_cndmask_b32_e64 v2, 0, v2, s[26:27]
	s_abs_i32 s1, s96
	v_add_u32_e32 v2, v2, v3
	v_cvt_f32_u32_e32 v3, s1
	v_sub_u32_e32 v56, v1, v2
	s_ashr_i32 s2, s94, 31
	s_lshr_b32 s2, s2, 26
	v_rcp_iflag_f32_e32 v2, v3
	s_sub_i32 s5, 0, s1
	s_add_i32 s2, s94, s2
	s_ashr_i32 s2, s2, 6
	v_mul_f32_e32 v2, 0x4f7ffffe, v2
	v_cvt_u32_f32_e32 v2, v2
	s_abs_i32 s4, s2
	s_xor_b32 s3, s2, s96
	s_ashr_i32 s3, s3, 31
	v_readfirstlane_b32 s6, v2
	s_mul_i32 s5, s5, s6
	s_mul_hi_u32 s5, s6, s5
	s_add_i32 s6, s6, s5
	s_mul_hi_u32 s5, s4, s6
	s_mul_i32 s6, s5, s1
	s_sub_i32 s4, s4, s6
	s_add_i32 s6, s5, 1
	s_sub_i32 s7, s4, s1
	s_cmp_ge_u32 s4, s1
	s_cselect_b32 s5, s6, s5
	s_cselect_b32 s4, s7, s4
	s_add_i32 s6, s5, 1
	s_cmp_ge_u32 s4, s1
	s_cselect_b32 s1, s6, s5
	s_add_i32 s0, s0, s99
	v_and_b32_e32 v64, 31, v0
	v_lshrrev_b32_e32 v2, 3, v0
	v_cmp_gt_i32_e64 s[34:35], s0, v1
	v_lshlrev_b32_e32 v1, 2, v64
	v_and_b32_e32 v3, 4, v2
	v_lshlrev_b32_e32 v2, 6, v3
	v_or_b32_e32 v4, 0x1800, v1
	v_and_b32_e32 v5, 1, v0
	s_add_i32 s29, s96, -1
	v_or_b32_e32 v65, v4, v2
	v_or_b32_e32 v66, v1, v2
	v_lshlrev_b32_e32 v2, 1, v5
	v_lshrrev_b32_e32 v7, 1, v0
	s_abs_i32 s96, s14
	v_sub_u32_e32 v2, v0, v2
	v_and_b32_e32 v50, 16, v7
	v_cvt_f32_u32_e32 v7, s96
	v_add_u32_e32 v2, 1, v2
	v_and_b32_e32 v6, 63, v2
	v_bitop3_b32 v67, v0, 1, v0 bitop3:0xc
	v_bitop3_b32 v68, v0, 3, 1 bitop3:0x6c
	;; [unrolled: 1-line block ×8, first 2 shown]
	v_and_b32_e32 v2, 30, v0
	v_lshlrev_b32_e32 v0, 4, v0
                                        ; implicit-def: $vgpr92 : SGPR spill to VGPR lane
	v_and_b32_e32 v0, 0x200, v0
	v_writelane_b32 v92, s14, 0
	v_or_b32_e32 v77, v1, v0
	v_rcp_iflag_f32_e32 v1, v7
	v_writelane_b32 v92, s15, 1
	s_waitcnt lgkmcnt(0)
	v_writelane_b32 v92, s16, 2
	s_abs_i32 s90, s15
	v_or_b32_e32 v79, v4, v0
	v_writelane_b32 v92, s17, 3
	v_writelane_b32 v92, s18, 4
	v_mul_f32_e32 v0, 0x4f7ffffe, v1
	v_cvt_f32_u32_e32 v1, s90
	v_writelane_b32 v92, s19, 5
	v_writelane_b32 v92, s20, 6
	;; [unrolled: 1-line block ×4, first 2 shown]
	v_cvt_u32_f32_e32 v0, v0
	v_rcp_iflag_f32_e32 v1, v1
	v_writelane_b32 v92, s23, 9
	v_cndmask_b32_e64 v63, 0, 1, s[24:25]
	s_xor_b32 s1, s1, s3
	v_writelane_b32 v92, s24, 10
	s_sub_i32 s28, s1, s3
	s_mul_i32 s1, s28, s29
	v_writelane_b32 v92, s25, 11
	v_writelane_b32 v92, s26, 12
	s_sub_i32 s30, s2, s1
	v_readfirstlane_b32 s1, v0
	v_mul_f32_e32 v0, 0x4f7ffffe, v1
	v_writelane_b32 v92, s27, 13
	v_cvt_u32_f32_e32 v0, v0
	v_writelane_b32 v92, s28, 14
	s_sub_i32 s0, 0, s96
	v_writelane_b32 v92, s29, 15
	s_mul_i32 s0, s0, s1
	v_writelane_b32 v92, s30, 16
	s_mul_hi_u32 s0, s1, s0
	v_writelane_b32 v92, s34, 17
	s_ashr_i32 s31, s14, 31
	s_add_i32 s36, s1, s0
	s_sub_i32 s0, 0, s90
	v_readfirstlane_b32 s1, v0
	v_mbcnt_lo_u32_b32 v0, -1, 0
	v_writelane_b32 v92, s35, 18
	s_mul_i32 s0, s0, s1
	v_mbcnt_hi_u32_b32 v0, -1, v0
	v_writelane_b32 v92, s31, 19
	v_mov_b32_e32 v49, 0
	v_mul_lo_u32 v52, s95, v64
	v_or_b32_e32 v80, v5, v3
	s_ashr_i32 s37, s15, 31
	s_mul_hi_u32 s0, s1, s0
	v_and_or_b32 v0, v0, 64, v6
	v_writelane_b32 v92, s36, 20
	v_or_b32_e32 v75, 32, v64
	v_or_b32_e32 v76, 64, v64
	v_ashrrev_i32_e32 v53, 31, v52
	v_mov_b32_e32 v51, v49
	s_lshl_b32 s91, s95, 5
	v_mul_lo_u32 v78, s94, v64
	v_or_b32_e32 v81, 2, v80
	s_add_i32 s38, s1, s0
	v_lshlrev_b32_e32 v48, 1, v2
	v_lshlrev_b32_e32 v82, 2, v0
	v_mov_b32_e32 v83, v56
	v_writelane_b32 v92, s37, 21
	v_writelane_b32 v92, s38, 22
	s_branch .LBB186_7
.LBB186_4:                              ;   in Loop: Header=BB186_7 Depth=1
	s_or_b64 exec, exec, s[4:5]
.LBB186_5:                              ;   in Loop: Header=BB186_7 Depth=1
	s_or_b64 exec, exec, s[2:3]
	v_subrev_u32_e32 v83, s10, v83
.LBB186_6:                              ;   in Loop: Header=BB186_7 Depth=1
	s_or_b64 exec, exec, s[0:1]
	s_add_i32 s33, s33, 1
	v_cmp_ge_i32_e32 vcc, s33, v62
	s_cbranch_vccnz .LBB186_51
.LBB186_7:                              ; =>This Loop Header: Depth=1
                                        ;     Child Loop BB186_13 Depth 2
                                        ;       Child Loop BB186_15 Depth 3
                                        ;       Child Loop BB186_18 Depth 3
	;; [unrolled: 1-line block ×4, first 2 shown]
                                        ;     Child Loop BB186_29 Depth 2
                                        ;     Child Loop BB186_38 Depth 2
                                        ;       Child Loop BB186_40 Depth 3
                                        ;     Child Loop BB186_48 Depth 2
                                        ;       Child Loop BB186_50 Depth 3
	s_abs_i32 s1, s33
	s_mul_hi_u32 s2, s1, s36
	s_mul_i32 s3, s2, s96
	s_ashr_i32 s0, s33, 31
	s_sub_i32 s1, s1, s3
	s_xor_b32 s0, s0, s31
	s_add_i32 s3, s2, 1
	s_sub_i32 s4, s1, s96
	s_cmp_ge_u32 s1, s96
	s_cselect_b32 s2, s3, s2
	s_cselect_b32 s1, s4, s1
	s_add_i32 s3, s2, 1
	s_cmp_ge_u32 s1, s96
	s_cselect_b32 s1, s3, s2
	s_xor_b32 s1, s1, s0
	s_sub_i32 s0, s1, s0
	s_abs_i32 s2, s0
	s_mul_i32 s1, s0, s14
	s_mul_hi_u32 s3, s2, s38
	s_sub_i32 s1, s33, s1
	s_mul_i32 s4, s3, s90
	s_lshl_b32 s39, s1, 6
	s_ashr_i32 s1, s0, 31
	s_sub_i32 s2, s2, s4
	s_xor_b32 s1, s1, s37
	s_add_i32 s4, s3, 1
	s_sub_i32 s5, s2, s90
	s_cmp_ge_u32 s2, s90
	s_cselect_b32 s3, s4, s3
	s_cselect_b32 s2, s5, s2
	s_add_i32 s4, s3, 1
	s_cmp_ge_u32 s2, s90
	s_cselect_b32 s2, s4, s3
	s_xor_b32 s2, s2, s1
	s_sub_i32 s1, s2, s1
	s_mul_i32 s2, s1, s28
	s_lshl_b32 s13, s2, 6
	s_cmp_eq_u32 s1, s29
	s_cselect_b32 s4, s30, s28
	s_sub_i32 s2, s39, s92
	s_add_i32 s2, s2, 64
	s_max_i32 s5, s2, 0
	s_and_saveexec_b64 s[2:3], s[26:27]
	s_xor_b64 s[2:3], exec, s[2:3]
	v_writelane_b32 v92, s2, 23
	s_nop 1
	v_writelane_b32 v92, s3, 24
	s_cbranch_execz .LBB186_44
; %bb.8:                                ;   in Loop: Header=BB186_7 Depth=1
	s_mul_i32 s1, s1, s15
	s_sub_i32 s0, s0, s1
	s_mulk_i32 s0, 0x60
	s_sub_i32 s70, s0, s93
	s_addk_i32 s70, 0x60
	s_max_i32 s1, s70, 0
	s_sub_i32 s0, s0, s1
	v_writelane_b32 v92, s13, 25
	s_and_saveexec_b64 s[2:3], s[24:25]
	s_xor_b64 s[2:3], exec, s[2:3]
	s_cbranch_execz .LBB186_34
; %bb.9:                                ;   in Loop: Header=BB186_7 Depth=1
	s_mov_b64 s[6:7], exec
	v_writelane_b32 v92, s6, 26
	s_nop 1
	v_writelane_b32 v92, s7, 27
	s_and_b64 s[6:7], s[6:7], s[34:35]
	s_mov_b64 exec, s[6:7]
	s_cbranch_execz .LBB186_33
; %bb.10:                               ;   in Loop: Header=BB186_7 Depth=1
	global_load_dword v84, v49, s[22:23]
	v_mov_b32_e32 v47, 0
	v_cmp_gt_i32_e32 vcc, s4, v83
	v_mov_b32_e32 v46, v47
	v_mov_b32_e32 v45, v47
	;; [unrolled: 1-line block ×47, first 2 shown]
	s_and_saveexec_b64 s[6:7], vcc
	s_cbranch_execz .LBB186_26
; %bb.11:                               ;   in Loop: Header=BB186_7 Depth=1
	v_mov_b32_e32 v0, 0
	s_mov_b64 s[8:9], 0
	v_mov_b32_e32 v1, v0
	v_mov_b32_e32 v2, v0
	;; [unrolled: 1-line block ×47, first 2 shown]
	s_branch .LBB186_13
.LBB186_12:                             ;   in Loop: Header=BB186_13 Depth=2
	s_or_b64 exec, exec, s[10:11]
	v_add_u32_e32 v89, 0x1000, v88
	ds_read2_b32 v[90:91], v89 offset1:32
	v_add_u32_e32 v83, s99, v83
	s_waitcnt lgkmcnt(0)
	v_mfma_f32_32x32x16_fp8_fp8 v[0:15], v[60:61], v[90:91], v[0:15]
	ds_read2_b32 v[60:61], v89 offset0:128 offset1:160
	s_waitcnt lgkmcnt(0)
	v_mfma_f32_32x32x16_fp8_fp8 v[0:15], v[58:59], v[60:61], v[0:15]
	v_add_u32_e32 v60, 0x1400, v88
	ds_read2_b32 v[58:59], v60 offset1:32
	ds_read2_b32 v[60:61], v60 offset0:128 offset1:160
	ds_write_b32 v86, v87 offset:10260
	s_waitcnt lgkmcnt(2)
	v_mfma_f32_32x32x16_fp8_fp8 v[0:15], v[56:57], v[58:59], v[0:15]
	v_add_u32_e32 v56, s99, v85
	v_add_u32_e32 v57, 2, v63
	v_cmp_lt_i32_e32 vcc, 0, v56
	s_nop 1
	v_cndmask_b32_e32 v63, v63, v57, vcc
	v_cmp_le_i32_e32 vcc, s4, v83
	s_waitcnt lgkmcnt(1)
	v_mfma_f32_32x32x16_fp8_fp8 v[0:15], v[54:55], v[60:61], v[0:15]
	s_or_b64 s[8:9], vcc, s[8:9]
	s_andn2_b64 exec, exec, s[8:9]
	s_cbranch_execz .LBB186_25
.LBB186_13:                             ;   Parent Loop BB186_7 Depth=1
                                        ; =>  This Loop Header: Depth=2
                                        ;       Child Loop BB186_15 Depth 3
                                        ;       Child Loop BB186_18 Depth 3
	;; [unrolled: 1-line block ×4, first 2 shown]
	v_cmp_lt_i32_e32 vcc, 0, v56
	s_nop 1
	v_subbrev_co_u32_e32 v85, vcc, 0, v56, vcc
	v_mul_lo_u32 v86, v85, 24
	ds_read_b32 v54, v86 offset:10240
	s_waitcnt lgkmcnt(0)
	v_cmp_ne_u32_e32 vcc, v54, v63
	s_and_saveexec_b64 s[10:11], vcc
	s_cbranch_execz .LBB186_16
; %bb.14:                               ;   in Loop: Header=BB186_13 Depth=2
	s_mov_b64 s[12:13], 0
.LBB186_15:                             ;   Parent Loop BB186_7 Depth=1
                                        ;     Parent Loop BB186_13 Depth=2
                                        ; =>    This Inner Loop Header: Depth=3
	;;#ASMSTART
	s_sleep 0
	;;#ASMEND
	ds_read_b32 v54, v86 offset:10240
	s_waitcnt lgkmcnt(0)
	v_cmp_eq_u32_e32 vcc, v54, v63
	s_or_b64 s[12:13], vcc, s[12:13]
	s_andn2_b64 exec, exec, s[12:13]
	s_cbranch_execnz .LBB186_15
.LBB186_16:                             ;   in Loop: Header=BB186_13 Depth=2
	s_or_b64 exec, exec, s[10:11]
	v_lshl_add_u32 v54, v85, 11, v65
	ds_read2_b32 v[60:61], v54 offset1:32
	ds_read2_b32 v[58:59], v54 offset0:128 offset1:160
	v_add_u32_e32 v54, 0x400, v54
	ds_read2_b32 v[56:57], v54 offset1:32
	ds_read_b32 v88, v86 offset:10244
	ds_read2_b32 v[54:55], v54 offset0:128 offset1:160
	v_add_u32_e32 v87, 1, v63
	ds_write_b32 v86, v87 offset:10240
	s_waitcnt lgkmcnt(2)
	v_cmp_ne_u32_e32 vcc, v88, v63
	s_and_saveexec_b64 s[10:11], vcc
	s_cbranch_execz .LBB186_19
; %bb.17:                               ;   in Loop: Header=BB186_13 Depth=2
	s_mov_b64 s[12:13], 0
.LBB186_18:                             ;   Parent Loop BB186_7 Depth=1
                                        ;     Parent Loop BB186_13 Depth=2
                                        ; =>    This Inner Loop Header: Depth=3
	;;#ASMSTART
	s_sleep 0
	;;#ASMEND
	ds_read_b32 v88, v86 offset:10244
	s_waitcnt lgkmcnt(0)
	v_cmp_eq_u32_e32 vcc, v88, v63
	s_or_b64 s[12:13], vcc, s[12:13]
	s_andn2_b64 exec, exec, s[12:13]
	s_cbranch_execnz .LBB186_18
.LBB186_19:                             ;   in Loop: Header=BB186_13 Depth=2
	s_or_b64 exec, exec, s[10:11]
	s_movk_i32 s1, 0x1800
	v_mul_lo_u32 v88, v85, s1
	v_or_b32_e32 v89, v66, v88
	ds_read2_b32 v[90:91], v89 offset1:32
	ds_write_b32 v86, v87 offset:10244
	s_waitcnt lgkmcnt(1)
	v_mfma_f32_32x32x16_fp8_fp8 v[32:47], v[60:61], v[90:91], v[32:47]
	ds_read2_b32 v[90:91], v89 offset0:128 offset1:160
	v_add_u32_e32 v89, 0x400, v89
	s_waitcnt lgkmcnt(0)
	v_mfma_f32_32x32x16_fp8_fp8 v[32:47], v[58:59], v[90:91], v[32:47]
	ds_read2_b32 v[90:91], v89 offset1:32
	s_waitcnt lgkmcnt(0)
	v_mfma_f32_32x32x16_fp8_fp8 v[32:47], v[56:57], v[90:91], v[32:47]
	ds_read2_b32 v[90:91], v89 offset0:128 offset1:160
	ds_read_b32 v89, v86 offset:10252
	s_waitcnt lgkmcnt(0)
	v_cmp_ne_u32_e32 vcc, v89, v63
	v_mfma_f32_32x32x16_fp8_fp8 v[32:47], v[54:55], v[90:91], v[32:47]
	s_and_saveexec_b64 s[10:11], vcc
	s_cbranch_execz .LBB186_22
; %bb.20:                               ;   in Loop: Header=BB186_13 Depth=2
	s_mov_b64 s[12:13], 0
.LBB186_21:                             ;   Parent Loop BB186_7 Depth=1
                                        ;     Parent Loop BB186_13 Depth=2
                                        ; =>    This Inner Loop Header: Depth=3
	;;#ASMSTART
	s_sleep 0
	;;#ASMEND
	ds_read_b32 v89, v86 offset:10252
	s_waitcnt lgkmcnt(0)
	v_cmp_eq_u32_e32 vcc, v89, v63
	s_or_b64 s[12:13], vcc, s[12:13]
	s_andn2_b64 exec, exec, s[12:13]
	s_cbranch_execnz .LBB186_21
.LBB186_22:                             ;   in Loop: Header=BB186_13 Depth=2
	s_or_b64 exec, exec, s[10:11]
	v_add_u32_e32 v88, v66, v88
	v_add_u32_e32 v89, 0x800, v88
	ds_read2_b32 v[90:91], v89 offset1:32
	ds_write_b32 v86, v87 offset:10252
	s_waitcnt lgkmcnt(1)
	v_mfma_f32_32x32x16_fp8_fp8 v[16:31], v[60:61], v[90:91], v[16:31]
	ds_read2_b32 v[90:91], v89 offset0:128 offset1:160
	v_add_u32_e32 v89, 0xc00, v88
	s_waitcnt lgkmcnt(0)
	v_mfma_f32_32x32x16_fp8_fp8 v[16:31], v[58:59], v[90:91], v[16:31]
	ds_read2_b32 v[90:91], v89 offset1:32
	s_waitcnt lgkmcnt(0)
	v_mfma_f32_32x32x16_fp8_fp8 v[16:31], v[56:57], v[90:91], v[16:31]
	ds_read2_b32 v[90:91], v89 offset0:128 offset1:160
	ds_read_b32 v89, v86 offset:10260
	s_waitcnt lgkmcnt(0)
	v_cmp_ne_u32_e32 vcc, v89, v63
	v_mfma_f32_32x32x16_fp8_fp8 v[16:31], v[54:55], v[90:91], v[16:31]
	s_and_saveexec_b64 s[10:11], vcc
	s_cbranch_execz .LBB186_12
; %bb.23:                               ;   in Loop: Header=BB186_13 Depth=2
	s_mov_b64 s[12:13], 0
.LBB186_24:                             ;   Parent Loop BB186_7 Depth=1
                                        ;     Parent Loop BB186_13 Depth=2
                                        ; =>    This Inner Loop Header: Depth=3
	;;#ASMSTART
	s_sleep 0
	;;#ASMEND
	ds_read_b32 v89, v86 offset:10260
	s_waitcnt lgkmcnt(0)
	v_cmp_eq_u32_e32 vcc, v89, v63
	s_or_b64 s[12:13], vcc, s[12:13]
	s_andn2_b64 exec, exec, s[12:13]
	s_cbranch_execnz .LBB186_24
	s_branch .LBB186_12
.LBB186_25:                             ;   in Loop: Header=BB186_7 Depth=1
	s_or_b64 exec, exec, s[8:9]
.LBB186_26:                             ;   in Loop: Header=BB186_7 Depth=1
	s_or_b64 exec, exec, s[6:7]
	v_cmp_le_i32_e32 vcc, s70, v64
	v_cmp_eq_u32_e64 s[60:61], 1, v67
	v_cmp_eq_u32_e64 s[26:27], 2, v67
	s_waitcnt vmcnt(0)
	v_cndmask_b32_e32 v54, 0, v84, vcc
	v_pk_mul_f32 v[32:33], v[54:55], v[32:33] op_sel_hi:[0,1]
	v_pk_mul_f32 v[46:47], v[54:55], v[46:47] op_sel_hi:[0,1]
	;; [unrolled: 1-line block ×8, first 2 shown]
	v_cndmask_b32_e64 v54, v32, v33, s[60:61]
	v_cndmask_b32_e64 v54, v54, v34, s[26:27]
	v_cmp_eq_u32_e64 s[40:41], 3, v67
	v_cmp_eq_u32_e64 s[42:43], 4, v67
	v_cmp_eq_u32_e64 s[44:45], 5, v67
	v_cndmask_b32_e64 v54, v54, v35, s[40:41]
	v_cndmask_b32_e64 v54, v54, v36, s[42:43]
	v_cndmask_b32_e64 v54, v54, v37, s[44:45]
	v_cmp_eq_u32_e64 s[46:47], 6, v67
	v_cmp_eq_u32_e64 s[48:49], 7, v67
	v_cmp_eq_u32_e64 s[50:51], 8, v67
	v_cndmask_b32_e64 v54, v54, v38, s[46:47]
	;; [unrolled: 6-line block ×4, first 2 shown]
	v_cndmask_b32_e64 v54, v54, v45, s[62:63]
	v_cndmask_b32_e64 v54, v54, v46, s[64:65]
	v_cmp_eq_u32_e64 s[66:67], 15, v67
	s_mul_i32 s6, s39, s93
	s_ashr_i32 s7, s6, 31
	v_cndmask_b32_e64 v54, v54, v47, s[66:67]
	ds_bpermute_b32 v54, v82, v54
	s_lshl_b64 s[6:7], s[6:7], 1
	v_cmp_eq_u32_e64 s[36:37], 0, v67
	s_add_u32 s71, s20, s6
	v_cmp_eq_u32_e32 vcc, 1, v68
	s_waitcnt lgkmcnt(0)
	v_cndmask_b32_e64 v47, v47, v54, s[66:67]
	v_cndmask_b32_e64 v46, v46, v54, s[64:65]
	;; [unrolled: 1-line block ×16, first 2 shown]
	s_addc_u32 s72, s21, s7
	v_cndmask_b32_e32 v32, v54, v86, vcc
	v_cmp_eq_u32_e64 s[6:7], 2, v68
	v_cmp_eq_u32_e64 s[8:9], 3, v68
	v_cmp_eq_u32_e64 s[10:11], 4, v68
	v_cndmask_b32_e64 v32, v32, v85, s[6:7]
	v_cndmask_b32_e64 v32, v32, v61, s[8:9]
	v_cndmask_b32_e64 v32, v32, v60, s[10:11]
	v_cmp_eq_u32_e64 s[12:13], 5, v68
	v_cmp_eq_u32_e64 s[14:15], 6, v68
	v_cmp_eq_u32_e64 s[16:17], 7, v68
	v_cndmask_b32_e64 v32, v32, v59, s[12:13]
	v_cndmask_b32_e64 v32, v32, v58, s[14:15]
	v_cndmask_b32_e64 v32, v32, v57, s[16:17]
	;; [unrolled: 6-line block ×4, first 2 shown]
	v_cmp_eq_u32_e64 s[34:35], 14, v68
	v_writelane_b32 v92, s39, 28
	v_cmp_eq_u32_e64 s[38:39], 15, v68
	v_cndmask_b32_e64 v32, v32, v46, s[34:35]
	s_ashr_i32 s1, s0, 31
	v_cndmask_b32_e64 v32, v32, v47, s[38:39]
	ds_bpermute_b32 v55, v82, v32
	s_lshl_b64 s[68:69], s[0:1], 1
	s_add_u32 s68, s71, s68
	s_addc_u32 s69, s72, s69
	v_writelane_b32 v92, s68, 29
	s_waitcnt lgkmcnt(0)
	v_cndmask_b32_e64 v33, v47, v55, s[38:39]
	v_cndmask_b32_e64 v38, v42, v55, s[22:23]
	v_writelane_b32 v92, s69, 30
	v_cmp_le_i32_e64 s[68:69], s70, v75
	v_cmp_le_i32_e64 s[70:71], s70, v76
	v_cndmask_b32_e64 v42, v58, v55, s[14:15]
	v_cndmask_b32_e64 v32, 0, v84, s[68:69]
	;; [unrolled: 1-line block ×3, first 2 shown]
	v_pk_mul_f32 v[16:17], v[32:33], v[16:17] op_sel_hi:[0,1]
	v_pk_mul_f32 v[0:1], v[58:59], v[0:1] op_sel_hi:[0,1]
	v_cndmask_b32_e64 v35, v45, v55, s[30:31]
	v_cndmask_b32_e64 v36, v44, v55, s[28:29]
	;; [unrolled: 1-line block ×4, first 2 shown]
	v_pk_mul_f32 v[30:31], v[32:33], v[30:31] op_sel_hi:[0,1]
	v_pk_mul_f32 v[28:29], v[32:33], v[28:29] op_sel_hi:[0,1]
	;; [unrolled: 1-line block ×7, first 2 shown]
	v_cndmask_b32_e64 v32, v16, v17, s[60:61]
	v_pk_mul_f32 v[60:61], v[58:59], v[4:5] op_sel_hi:[0,1]
	v_pk_mul_f32 v[2:3], v[58:59], v[2:3] op_sel_hi:[0,1]
	v_cndmask_b32_e64 v4, v0, v1, s[60:61]
	v_cndmask_b32_e64 v32, v32, v18, s[26:27]
	;; [unrolled: 1-line block ×8, first 2 shown]
	v_pk_mul_f32 v[6:7], v[58:59], v[6:7] op_sel_hi:[0,1]
	v_cndmask_b32_e64 v4, v4, v61, s[44:45]
	v_cndmask_b32_e64 v32, v32, v22, s[46:47]
	v_cndmask_b32_e64 v4, v4, v6, s[46:47]
	v_cndmask_b32_e64 v32, v32, v23, s[48:49]
	v_pk_mul_f32 v[8:9], v[58:59], v[8:9] op_sel_hi:[0,1]
	v_cndmask_b32_e64 v4, v4, v7, s[48:49]
	v_cndmask_b32_e64 v32, v32, v24, s[50:51]
	v_cndmask_b32_e64 v4, v4, v8, s[50:51]
	v_cndmask_b32_e64 v32, v32, v25, s[52:53]
	;; [unrolled: 5-line block ×5, first 2 shown]
	v_cndmask_b32_e64 v4, v4, v15, s[66:67]
	ds_bpermute_b32 v32, v82, v32
	ds_bpermute_b32 v5, v82, v4
	v_cmp_eq_u32_e64 s[68:69], 0, v68
	v_cndmask_b32_e32 v47, v86, v55, vcc
	v_cmp_eq_u32_e64 s[70:71], 1, v69
	v_cndmask_b32_e64 v54, v54, v55, s[68:69]
	v_cndmask_b32_e64 v34, v46, v55, s[34:35]
	;; [unrolled: 1-line block ×9, first 2 shown]
	s_waitcnt lgkmcnt(1)
	v_cndmask_b32_e64 v4, v17, v32, s[60:61]
	v_cmp_eq_u32_e64 s[60:61], 2, v69
	v_cndmask_b32_e64 v18, v18, v32, s[26:27]
	s_waitcnt lgkmcnt(0)
	v_cndmask_b32_e64 v2, v2, v5, s[26:27]
	v_cmp_ne_u32_e64 s[26:27], 0, v67
	v_cndmask_b32_e64 v17, v55, v46, s[60:61]
	v_cndmask_b32_e64 v31, v31, v32, s[66:67]
	;; [unrolled: 1-line block ×3, first 2 shown]
	v_cmp_eq_u32_e64 s[66:67], 3, v69
	v_cndmask_b32_e64 v1, v1, v5, s[26:27]
	v_cndmask_b32_e64 v16, v16, v32, s[36:37]
	;; [unrolled: 1-line block ×6, first 2 shown]
	v_cmp_eq_u32_e64 s[64:65], 4, v69
	v_cndmask_b32_e64 v29, v29, v32, s[62:63]
	v_cndmask_b32_e64 v13, v13, v5, s[62:63]
	;; [unrolled: 1-line block ×22, first 2 shown]
	v_cndmask_b32_e32 v32, v16, v4, vcc
	v_cndmask_b32_e32 v5, v0, v1, vcc
	v_cndmask_b32_e64 v17, v17, v44, s[64:65]
	v_cmp_eq_u32_e64 s[62:63], 5, v69
	v_cndmask_b32_e64 v32, v32, v18, s[6:7]
	v_cndmask_b32_e64 v5, v5, v2, s[6:7]
	v_cndmask_b32_e64 v17, v17, v43, s[62:63]
	v_cmp_eq_u32_e64 s[58:59], 6, v69
	v_cndmask_b32_e64 v32, v32, v19, s[8:9]
	v_cndmask_b32_e64 v5, v5, v3, s[8:9]
	v_cndmask_b32_e64 v17, v17, v42, s[58:59]
	v_cmp_eq_u32_e64 s[56:57], 7, v69
	v_cndmask_b32_e64 v32, v32, v20, s[10:11]
	v_cndmask_b32_e64 v5, v5, v57, s[10:11]
	v_cndmask_b32_e64 v17, v17, v41, s[56:57]
	v_cmp_eq_u32_e64 s[54:55], 8, v69
	v_cndmask_b32_e64 v32, v32, v21, s[12:13]
	v_cndmask_b32_e64 v5, v5, v55, s[12:13]
	v_cndmask_b32_e64 v17, v17, v40, s[54:55]
	v_cmp_eq_u32_e64 s[52:53], 9, v69
	v_cndmask_b32_e64 v32, v32, v22, s[14:15]
	v_cndmask_b32_e64 v5, v5, v6, s[14:15]
	v_cndmask_b32_e64 v17, v17, v39, s[52:53]
	v_cmp_eq_u32_e64 s[50:51], 10, v69
	v_cndmask_b32_e64 v32, v32, v23, s[16:17]
	v_cndmask_b32_e64 v5, v5, v7, s[16:17]
	v_cndmask_b32_e64 v17, v17, v38, s[50:51]
	v_cmp_eq_u32_e64 s[48:49], 11, v69
	v_cndmask_b32_e64 v32, v32, v24, s[18:19]
	v_cndmask_b32_e64 v5, v5, v8, s[18:19]
	v_cndmask_b32_e64 v17, v17, v37, s[48:49]
	v_cmp_eq_u32_e64 s[46:47], 12, v69
	v_cndmask_b32_e64 v32, v32, v25, s[20:21]
	v_cndmask_b32_e64 v5, v5, v9, s[20:21]
	v_cndmask_b32_e64 v17, v17, v36, s[46:47]
	v_cmp_eq_u32_e64 s[44:45], 13, v69
	v_cndmask_b32_e64 v32, v32, v26, s[22:23]
	v_cndmask_b32_e64 v5, v5, v10, s[22:23]
	v_cndmask_b32_e64 v17, v17, v35, s[44:45]
	v_cmp_eq_u32_e64 s[76:77], 14, v69
	v_cndmask_b32_e64 v32, v32, v27, s[24:25]
	v_cndmask_b32_e64 v5, v5, v11, s[24:25]
	v_cndmask_b32_e64 v17, v17, v34, s[76:77]
	v_cmp_eq_u32_e64 s[82:83], 15, v69
	v_cndmask_b32_e64 v32, v32, v28, s[28:29]
	v_cndmask_b32_e64 v5, v5, v12, s[28:29]
	v_cndmask_b32_e64 v17, v17, v33, s[82:83]
	v_cndmask_b32_e64 v32, v32, v29, s[30:31]
	v_cndmask_b32_e64 v5, v5, v13, s[30:31]
	ds_bpermute_b32 v17, v82, v17
	v_cndmask_b32_e64 v32, v32, v30, s[34:35]
	v_cndmask_b32_e64 v5, v5, v14, s[34:35]
	;; [unrolled: 1-line block ×4, first 2 shown]
	ds_bpermute_b32 v32, v82, v32
	ds_bpermute_b32 v5, v82, v5
	v_cmp_eq_u32_e64 s[42:43], 0, v69
	s_waitcnt lgkmcnt(2)
	v_cndmask_b32_e64 v33, v33, v17, s[82:83]
	v_cndmask_b32_e64 v34, v34, v17, s[76:77]
	;; [unrolled: 1-line block ×16, first 2 shown]
	v_cmp_eq_u32_e64 s[26:27], 1, v70
	v_cmp_eq_u32_e64 s[36:37], 2, v70
	s_waitcnt lgkmcnt(1)
	v_cndmask_b32_e64 v30, v30, v32, s[34:35]
	v_cndmask_b32_e64 v54, v17, v47, s[26:27]
	;; [unrolled: 1-line block ×3, first 2 shown]
	s_waitcnt lgkmcnt(0)
	v_cndmask_b32_e64 v14, v14, v5, s[34:35]
	v_cmp_eq_u32_e64 s[34:35], 3, v70
	v_cndmask_b32_e32 v4, v4, v32, vcc
	v_cndmask_b32_e32 v1, v1, v5, vcc
	v_cndmask_b32_e64 v16, v16, v32, s[68:69]
	v_cndmask_b32_e64 v0, v0, v5, s[68:69]
	;; [unrolled: 1-line block ×7, first 2 shown]
	v_cmp_eq_u32_e64 s[30:31], 4, v70
	v_cndmask_b32_e64 v28, v28, v32, s[28:29]
	v_cndmask_b32_e64 v12, v12, v5, s[28:29]
	;; [unrolled: 1-line block ×25, first 2 shown]
	v_cmp_eq_u32_e64 s[38:39], 5, v70
	v_cndmask_b32_e64 v32, v32, v18, s[60:61]
	v_cndmask_b32_e64 v5, v5, v2, s[60:61]
	v_cndmask_b32_e64 v54, v54, v43, s[38:39]
	v_cmp_eq_u32_e64 s[24:25], 6, v70
	v_cndmask_b32_e64 v32, v32, v19, s[66:67]
	v_cndmask_b32_e64 v5, v5, v3, s[66:67]
	v_cndmask_b32_e64 v54, v54, v42, s[24:25]
	;; [unrolled: 4-line block ×11, first 2 shown]
	v_cndmask_b32_e64 v32, v32, v29, s[44:45]
	v_cndmask_b32_e64 v5, v5, v13, s[44:45]
	ds_bpermute_b32 v54, v82, v54
	v_cndmask_b32_e64 v32, v32, v30, s[76:77]
	v_cndmask_b32_e64 v5, v5, v14, s[76:77]
	;; [unrolled: 1-line block ×4, first 2 shown]
	ds_bpermute_b32 v32, v82, v32
	ds_bpermute_b32 v5, v82, v5
	v_cmp_eq_u32_e64 s[16:17], 0, v70
	s_waitcnt lgkmcnt(2)
	v_cndmask_b32_e64 v47, v47, v54, s[26:27]
	v_cmp_eq_u32_e64 s[8:9], 1, v71
	v_cndmask_b32_e64 v17, v17, v54, s[16:17]
	v_cndmask_b32_e64 v33, v33, v54, s[86:87]
	;; [unrolled: 1-line block ×16, first 2 shown]
	v_cmp_eq_u32_e64 s[14:15], 2, v71
	v_cmp_eq_u32_e64 s[18:19], 3, v71
	s_waitcnt lgkmcnt(1)
	v_cndmask_b32_e64 v4, v4, v32, s[70:71]
	v_cndmask_b32_e64 v54, v54, v46, s[14:15]
	s_waitcnt lgkmcnt(0)
	v_cndmask_b32_e64 v1, v1, v5, s[70:71]
	v_cndmask_b32_e64 v16, v16, v32, s[42:43]
	;; [unrolled: 1-line block ×10, first 2 shown]
	v_cmp_eq_u32_e64 s[28:29], 4, v71
	v_cndmask_b32_e64 v28, v28, v32, s[46:47]
	v_cndmask_b32_e64 v12, v12, v5, s[46:47]
	;; [unrolled: 1-line block ×25, first 2 shown]
	v_cmp_eq_u32_e64 s[40:41], 5, v71
	v_cndmask_b32_e64 v32, v32, v18, s[36:37]
	v_cndmask_b32_e64 v5, v5, v2, s[36:37]
	v_cndmask_b32_e64 v54, v54, v43, s[40:41]
	v_cmp_eq_u32_e64 s[48:49], 6, v71
	v_cndmask_b32_e64 v32, v32, v19, s[34:35]
	v_cndmask_b32_e64 v5, v5, v3, s[34:35]
	v_cndmask_b32_e64 v54, v54, v42, s[48:49]
	;; [unrolled: 4-line block ×11, first 2 shown]
	v_cndmask_b32_e64 v32, v32, v29, s[12:13]
	v_cndmask_b32_e64 v5, v5, v13, s[12:13]
	ds_bpermute_b32 v54, v82, v54
	v_cndmask_b32_e64 v32, v32, v30, s[10:11]
	v_cndmask_b32_e64 v5, v5, v14, s[10:11]
	v_cndmask_b32_e64 v32, v32, v31, s[86:87]
	v_cndmask_b32_e64 v5, v5, v15, s[86:87]
	ds_bpermute_b32 v32, v82, v32
	ds_bpermute_b32 v5, v82, v5
	v_cmp_eq_u32_e64 s[60:61], 0, v71
	s_waitcnt lgkmcnt(2)
	v_cndmask_b32_e64 v47, v47, v54, s[8:9]
	v_cmp_eq_u32_e32 vcc, 1, v72
	v_cndmask_b32_e64 v17, v17, v54, s[60:61]
	v_cndmask_b32_e64 v33, v33, v54, s[88:89]
	;; [unrolled: 1-line block ×15, first 2 shown]
	v_cndmask_b32_e32 v54, v17, v47, vcc
	v_cmp_eq_u32_e64 s[6:7], 2, v72
	s_waitcnt lgkmcnt(1)
	v_cndmask_b32_e64 v30, v30, v32, s[10:11]
	s_waitcnt lgkmcnt(0)
	v_cndmask_b32_e64 v14, v14, v5, s[10:11]
	v_cndmask_b32_e64 v54, v54, v46, s[6:7]
	v_cmp_eq_u32_e64 s[10:11], 3, v72
	v_cndmask_b32_e64 v29, v29, v32, s[12:13]
	v_cndmask_b32_e64 v13, v13, v5, s[12:13]
	v_cndmask_b32_e64 v54, v54, v45, s[10:11]
	v_cmp_eq_u32_e64 s[12:13], 4, v72
	v_cmp_eq_u32_e64 s[42:43], 5, v72
	;; [unrolled: 1-line block ×3, first 2 shown]
	v_cndmask_b32_e64 v54, v54, v44, s[12:13]
	v_cndmask_b32_e64 v54, v54, v43, s[42:43]
	;; [unrolled: 1-line block ×7, first 2 shown]
	v_cmp_eq_u32_e64 s[52:53], 7, v72
	v_cndmask_b32_e64 v9, v9, v5, s[72:73]
	v_cndmask_b32_e64 v8, v8, v5, s[20:21]
	;; [unrolled: 1-line block ×11, first 2 shown]
	v_cmp_eq_u32_e64 s[54:55], 8, v72
	v_cndmask_b32_e64 v0, v5, v58, s[8:9]
	v_cndmask_b32_e64 v31, v31, v32, s[86:87]
	;; [unrolled: 1-line block ×8, first 2 shown]
	v_cmp_eq_u32_e64 s[56:57], 9, v72
	v_cndmask_b32_e64 v23, v23, v32, s[22:23]
	v_cndmask_b32_e64 v22, v22, v32, s[24:25]
	;; [unrolled: 1-line block ×10, first 2 shown]
	v_cmp_eq_u32_e64 s[62:63], 10, v72
	v_cndmask_b32_e64 v1, v32, v4, s[8:9]
	v_cndmask_b32_e64 v0, v0, v3, s[18:19]
	v_cndmask_b32_e64 v54, v54, v38, s[62:63]
	v_cmp_eq_u32_e64 s[66:67], 11, v72
	v_cndmask_b32_e64 v1, v1, v18, s[14:15]
	v_cndmask_b32_e64 v0, v0, v57, s[28:29]
	v_cndmask_b32_e64 v54, v54, v37, s[66:67]
	;; [unrolled: 4-line block ×6, first 2 shown]
	v_cndmask_b32_e64 v1, v1, v23, s[46:47]
	v_cndmask_b32_e64 v0, v0, v9, s[68:69]
	ds_bpermute_b32 v54, v82, v54
	v_cndmask_b32_e64 v1, v1, v24, s[44:45]
	v_cndmask_b32_e64 v0, v0, v10, s[76:77]
	;; [unrolled: 1-line block ×10, first 2 shown]
	v_cmp_eq_u32_e64 s[34:35], 0, v72
	s_waitcnt lgkmcnt(0)
	v_cndmask_b32_e32 v47, v47, v54, vcc
	v_cndmask_b32_e64 v1, v1, v29, s[64:65]
	v_cndmask_b32_e64 v0, v0, v15, s[88:89]
	;; [unrolled: 1-line block ×3, first 2 shown]
	v_cmp_eq_u32_e64 s[16:17], 1, v73
	v_cndmask_b32_e64 v46, v46, v54, s[6:7]
	v_cndmask_b32_e64 v1, v1, v30, s[84:85]
	ds_bpermute_b32 v60, v82, v0
	v_cndmask_b32_e64 v0, v17, v47, s[16:17]
	v_cmp_eq_u32_e64 s[20:21], 2, v73
	v_cndmask_b32_e64 v45, v45, v54, s[10:11]
	v_cndmask_b32_e64 v1, v1, v31, s[88:89]
	;; [unrolled: 1-line block ×3, first 2 shown]
	v_cmp_eq_u32_e64 s[22:23], 3, v73
	v_cndmask_b32_e64 v44, v44, v54, s[12:13]
	ds_bpermute_b32 v59, v82, v1
	v_cndmask_b32_e64 v0, v0, v45, s[22:23]
	v_cmp_eq_u32_e64 s[24:25], 4, v73
	v_cndmask_b32_e64 v43, v43, v54, s[42:43]
	v_cmp_eq_u32_e64 s[26:27], 5, v73
	v_cndmask_b32_e64 v0, v0, v44, s[24:25]
	v_cndmask_b32_e64 v42, v42, v54, s[50:51]
	;; [unrolled: 1-line block ×3, first 2 shown]
	v_cmp_eq_u32_e64 s[30:31], 6, v73
	v_cndmask_b32_e64 v41, v41, v54, s[52:53]
	v_cmp_eq_u32_e64 s[36:37], 7, v73
	v_cndmask_b32_e64 v0, v0, v42, s[30:31]
	v_cndmask_b32_e64 v40, v40, v54, s[54:55]
	;; [unrolled: 1-line block ×3, first 2 shown]
	v_cmp_eq_u32_e64 s[38:39], 8, v73
	v_cndmask_b32_e64 v39, v39, v54, s[56:57]
	s_waitcnt lgkmcnt(0)
	v_cndmask_b32_e64 v24, v24, v59, s[44:45]
	v_cndmask_b32_e64 v0, v0, v40, s[38:39]
	v_cndmask_b32_e64 v8, v8, v60, s[44:45]
	v_cmp_eq_u32_e64 s[44:45], 9, v73
	v_cndmask_b32_e64 v38, v38, v54, s[62:63]
	v_cndmask_b32_e64 v23, v23, v59, s[46:47]
	v_cndmask_b32_e64 v0, v0, v39, s[44:45]
	v_cndmask_b32_e64 v7, v7, v60, s[46:47]
	v_cmp_eq_u32_e64 s[46:47], 10, v73
	v_cndmask_b32_e64 v37, v37, v54, s[66:67]
	;; [unrolled: 5-line block ×3, first 2 shown]
	v_cndmask_b32_e64 v34, v34, v54, s[74:75]
	v_cndmask_b32_e64 v35, v35, v54, s[72:73]
	;; [unrolled: 1-line block ×6, first 2 shown]
	v_cmp_eq_u32_e64 s[40:41], 12, v73
	v_cndmask_b32_e64 v20, v20, v59, s[28:29]
	v_cndmask_b32_e64 v55, v57, v60, s[28:29]
	v_cndmask_b32_e64 v0, v0, v36, s[40:41]
	v_cmp_eq_u32_e64 s[28:29], 13, v73
	v_cndmask_b32_e64 v27, v27, v59, s[58:59]
	v_cndmask_b32_e64 v11, v11, v60, s[58:59]
	v_cndmask_b32_e64 v0, v0, v35, s[28:29]
	;; [unrolled: 4-line block ×4, first 2 shown]
	ds_bpermute_b32 v57, v82, v0
	v_cndmask_b32_e64 v32, v32, v59, s[60:61]
	v_cndmask_b32_e64 v18, v18, v59, s[14:15]
	;; [unrolled: 1-line block ×4, first 2 shown]
	s_waitcnt lgkmcnt(0)
	v_cndmask_b32_e64 v1, v43, v57, s[26:27]
	v_cndmask_b32_e64 v3, v45, v57, s[22:23]
	;; [unrolled: 1-line block ×5, first 2 shown]
	v_cndmask_b32_e32 v44, v32, v4, vcc
	v_cndmask_b32_e32 v5, v45, v43, vcc
	v_cndmask_b32_e64 v44, v44, v18, s[6:7]
	v_cndmask_b32_e64 v5, v5, v84, s[6:7]
	;; [unrolled: 1-line block ×38, first 2 shown]
	v_cmp_eq_u32_e64 s[76:77], 0, v73
	v_cndmask_b32_e64 v16, v46, v57, s[20:21]
	v_cndmask_b32_e64 v0, v47, v57, s[16:17]
	ds_bpermute_b32 v44, v82, v44
	ds_bpermute_b32 v46, v82, v5
	v_cndmask_b32_e64 v47, v17, v57, s[76:77]
	v_cmp_eq_u32_e64 s[8:9], 1, v74
	v_cmp_eq_u32_e64 s[14:15], 2, v74
	;; [unrolled: 1-line block ×3, first 2 shown]
	v_cndmask_b32_e64 v5, v47, v0, s[8:9]
	v_cndmask_b32_e64 v5, v5, v16, s[14:15]
	;; [unrolled: 1-line block ×3, first 2 shown]
	v_cmp_eq_u32_e64 s[60:61], 4, v74
	v_cmp_eq_u32_e64 s[68:69], 5, v74
	v_cndmask_b32_e64 v42, v42, v57, s[30:31]
	v_cndmask_b32_e64 v5, v5, v2, s[60:61]
	;; [unrolled: 1-line block ×3, first 2 shown]
	s_waitcnt lgkmcnt(1)
	v_cndmask_b32_e64 v27, v27, v44, s[66:67]
	s_waitcnt lgkmcnt(0)
	v_cndmask_b32_e64 v60, v11, v46, s[66:67]
	v_cmp_eq_u32_e64 s[66:67], 6, v74
	v_cndmask_b32_e32 v91, v4, v44, vcc
	v_cndmask_b32_e64 v32, v32, v44, s[34:35]
	v_cndmask_b32_e64 v41, v41, v57, s[36:37]
	v_cndmask_b32_e64 v5, v5, v42, s[66:67]
	v_cndmask_b32_e64 v26, v26, v44, s[62:63]
	v_cndmask_b32_e64 v85, v10, v46, s[62:63]
	v_cmp_eq_u32_e64 s[62:63], 7, v74
	v_cndmask_b32_e64 v18, v18, v44, s[6:7]
	v_cndmask_b32_e64 v4, v32, v91, s[16:17]
	v_cndmask_b32_e64 v40, v40, v57, s[38:39]
	v_cndmask_b32_e64 v5, v5, v41, s[62:63]
	v_cndmask_b32_e64 v25, v25, v44, s[56:57]
	v_cndmask_b32_e64 v86, v9, v46, s[56:57]
	v_cmp_eq_u32_e64 s[56:57], 8, v74
	v_cndmask_b32_e64 v19, v19, v44, s[10:11]
	;; [unrolled: 7-line block ×5, first 2 shown]
	v_cndmask_b32_e64 v36, v36, v57, s[40:41]
	v_cndmask_b32_e64 v5, v5, v37, s[50:51]
	v_cndmask_b32_e64 v54, v54, v46, s[42:43]
	v_cmp_eq_u32_e64 s[42:43], 12, v74
	v_cndmask_b32_e64 v4, v4, v22, s[30:31]
	v_cndmask_b32_e64 v35, v35, v57, s[28:29]
	v_cndmask_b32_e64 v5, v5, v36, s[42:43]
	v_cndmask_b32_e64 v55, v55, v46, s[12:13]
	v_cmp_eq_u32_e64 s[12:13], 13, v74
	v_cndmask_b32_e64 v4, v4, v23, s[36:37]
	;; [unrolled: 5-line block ×4, first 2 shown]
	v_cndmask_b32_e64 v4, v4, v26, s[46:47]
	v_cndmask_b32_e64 v5, v5, v33, s[6:7]
	;; [unrolled: 1-line block ×3, first 2 shown]
	ds_bpermute_b32 v90, v82, v5
	v_cndmask_b32_e64 v4, v4, v27, s[48:49]
	v_cndmask_b32_e64 v29, v29, v44, s[72:73]
	;; [unrolled: 1-line block ×9, first 2 shown]
	s_waitcnt lgkmcnt(0)
	v_cndmask_b32_e64 v15, v33, v90, s[6:7]
	ds_bpermute_b32 v33, v82, v4
	v_cndmask_b32_e64 v57, v14, v46, s[74:75]
	v_cndmask_b32_e64 v14, v34, v90, s[10:11]
	;; [unrolled: 1-line block ×4, first 2 shown]
	s_waitcnt lgkmcnt(0)
	v_cndmask_b32_e64 v34, v91, v33, s[16:17]
	v_cndmask_b32_e64 v32, v32, v33, s[76:77]
	;; [unrolled: 1-line block ×32, first 2 shown]
	ds_bpermute_b32 v33, v82, v1
	v_cndmask_b32_e64 v58, v13, v46, s[72:73]
	v_cndmask_b32_e32 v43, v43, v46, vcc
	v_cndmask_b32_e64 v13, v35, v90, s[12:13]
	v_cndmask_b32_e64 v35, v45, v46, s[34:35]
	s_waitcnt lgkmcnt(0)
	v_cndmask_b32_e64 v31, v16, v33, s[6:7]
	v_cndmask_b32_e64 v16, v35, v43, s[16:17]
	;; [unrolled: 1-line block ×17, first 2 shown]
	ds_bpermute_b32 v16, v82, v16
	v_cndmask_b32_e64 v11, v37, v90, s[50:51]
	v_cndmask_b32_e64 v7, v41, v90, s[62:63]
	;; [unrolled: 1-line block ×4, first 2 shown]
	s_waitcnt lgkmcnt(0)
	v_cndmask_b32_e64 v37, v57, v16, s[58:59]
	v_cndmask_b32_e64 v41, v85, v16, s[46:47]
	;; [unrolled: 1-line block ×33, first 2 shown]
	ds_bpermute_b32 v87, v82, v16
	v_cmp_eq_u32_e32 vcc, 0, v74
	v_cndmask_b32_e64 v1, v0, v90, s[8:9]
	v_readlane_b32 s24, v92, 10
	v_cndmask_b32_e32 v0, v47, v90, vcc
	s_waitcnt lgkmcnt(0)
	v_cndmask_b32_e64 v47, v36, v87, s[6:7]
	v_readlane_b32 s6, v92, 29
	v_readlane_b32 s7, v92, 30
	;; [unrolled: 1-line block ×4, first 2 shown]
	v_subrev_u32_e32 v83, s4, v83
	s_mov_b32 s1, 0
	v_cndmask_b32_e64 v6, v42, v90, s[66:67]
	v_cndmask_b32_e64 v3, v3, v90, s[18:19]
	;; [unrolled: 1-line block ×16, first 2 shown]
	v_cndmask_b32_e32 v16, v32, v33, vcc
	v_cndmask_b32_e64 v46, v37, v87, s[10:11]
	v_cndmask_b32_e64 v45, v38, v87, s[12:13]
	;; [unrolled: 1-line block ×14, first 2 shown]
	v_cndmask_b32_e32 v32, v86, v87, vcc
	v_lshl_add_u64 v[54:55], s[6:7], 0, v[48:49]
	s_mov_b64 s[6:7], 0
	s_mov_b32 s16, 0
	v_readlane_b32 s25, v92, 11
	v_readlane_b32 s27, v92, 13
	;; [unrolled: 1-line block ×10, first 2 shown]
	s_mov_b64 s[20:21], 0x80
                                        ; implicit-def: $sgpr8_sgpr9
	s_branch .LBB186_29
.LBB186_27:                             ;   in Loop: Header=BB186_29 Depth=2
	s_or_b64 exec, exec, s[12:13]
	s_andn2_b64 s[8:9], s[8:9], exec
	s_and_b64 s[12:13], s[14:15], exec
	s_or_b64 s[8:9], s[8:9], s[12:13]
.LBB186_28:                             ;   in Loop: Header=BB186_29 Depth=2
	s_or_b64 exec, exec, s[10:11]
	s_and_b64 s[10:11], exec, s[8:9]
	s_or_b64 s[6:7], s[10:11], s[6:7]
	s_andn2_b64 exec, exec, s[6:7]
	s_cbranch_execz .LBB186_32
.LBB186_29:                             ;   Parent Loop BB186_7 Depth=1
                                        ; =>  This Inner Loop Header: Depth=2
	s_and_b32 s12, s1, 24
	v_or_b32_e32 v57, s12, v80
	v_add_u32_e32 v58, s5, v57
	v_cmp_gt_u32_e32 vcc, 32, v58
	s_or_b64 s[8:9], s[8:9], exec
	s_and_saveexec_b64 s[10:11], vcc
	s_cbranch_execz .LBB186_28
; %bb.30:                               ;   in Loop: Header=BB186_29 Depth=2
	s_add_i32 s13, s16, 1
	s_set_gpr_idx_on s16, gpr_idx(SRC0)
	v_mov_b32_e32 v58, v0
	s_set_gpr_idx_off
	v_cvt_f16_f32_e32 v60, v58
	s_set_gpr_idx_on s13, gpr_idx(SRC0)
	v_mov_b32_e32 v58, v0
	s_set_gpr_idx_off
	v_cvt_f16_f32_sdwa v61, v58 dst_sel:WORD_1 dst_unused:UNUSED_PAD src0_sel:DWORD
	v_mul_lo_u32 v58, v57, s93
	v_ashrrev_i32_e32 v59, 31, v58
	v_lshl_add_u64 v[58:59], v[58:59], 1, v[54:55]
	v_or_b32_e32 v57, v61, v60
	;;#ASMSTART
	global_atomic_pk_add_f16 v[58:59], v57, off
	
	;;#ASMEND
	s_set_gpr_idx_on s16, gpr_idx(SRC0)
	v_mov_b32_e32 v57, v16
	s_set_gpr_idx_off
	v_cvt_f16_f32_e32 v57, v57
	s_set_gpr_idx_on s13, gpr_idx(SRC0)
	v_mov_b32_e32 v60, v16
	s_set_gpr_idx_off
	v_cvt_f16_f32_sdwa v84, v60 dst_sel:WORD_1 dst_unused:UNUSED_PAD src0_sel:DWORD
	v_lshl_add_u64 v[60:61], v[58:59], 0, 64
	v_lshl_add_u64 v[58:59], v[58:59], 0, s[20:21]
	s_mov_b64 s[14:15], -1
	v_or_b32_e32 v57, v84, v57
	;;#ASMSTART
	global_atomic_pk_add_f16 v[60:61], v57, off
	
	;;#ASMEND
	s_set_gpr_idx_on s16, gpr_idx(SRC0)
	v_mov_b32_e32 v57, v32
	s_set_gpr_idx_off
	v_cvt_f16_f32_e32 v57, v57
	s_set_gpr_idx_on s13, gpr_idx(SRC0)
	v_mov_b32_e32 v60, v32
	s_set_gpr_idx_off
	v_cvt_f16_f32_sdwa v60, v60 dst_sel:WORD_1 dst_unused:UNUSED_PAD src0_sel:DWORD
	s_nop 0
	v_or_b32_e32 v57, v60, v57
	;;#ASMSTART
	global_atomic_pk_add_f16 v[58:59], v57, off
	
	;;#ASMEND
	v_or_b32_e32 v57, s12, v81
	v_add_u32_e32 v58, s5, v57
	v_cmp_gt_u32_e32 vcc, 32, v58
	s_and_saveexec_b64 s[12:13], vcc
	s_cbranch_execz .LBB186_27
; %bb.31:                               ;   in Loop: Header=BB186_29 Depth=2
	s_add_i32 s14, s16, 2
	s_add_i32 s15, s16, 3
	s_set_gpr_idx_on s14, gpr_idx(SRC0)
	v_mov_b32_e32 v58, v0
	s_set_gpr_idx_off
	v_cvt_f16_f32_e32 v60, v58
	s_set_gpr_idx_on s15, gpr_idx(SRC0)
	v_mov_b32_e32 v58, v0
	s_set_gpr_idx_off
	v_cvt_f16_f32_sdwa v61, v58 dst_sel:WORD_1 dst_unused:UNUSED_PAD src0_sel:DWORD
	v_mul_lo_u32 v58, v57, s93
	v_ashrrev_i32_e32 v59, 31, v58
	v_lshl_add_u64 v[58:59], v[58:59], 1, v[54:55]
	v_or_b32_e32 v57, v61, v60
	;;#ASMSTART
	global_atomic_pk_add_f16 v[58:59], v57, off
	
	;;#ASMEND
	s_set_gpr_idx_on s14, gpr_idx(SRC0)
	v_mov_b32_e32 v57, v16
	s_set_gpr_idx_off
	v_cvt_f16_f32_e32 v57, v57
	s_set_gpr_idx_on s15, gpr_idx(SRC0)
	v_mov_b32_e32 v60, v16
	s_set_gpr_idx_off
	v_cvt_f16_f32_sdwa v84, v60 dst_sel:WORD_1 dst_unused:UNUSED_PAD src0_sel:DWORD
	v_lshl_add_u64 v[60:61], v[58:59], 0, 64
	s_add_i32 s16, s16, 4
	s_add_i32 s1, s1, 8
	v_or_b32_e32 v57, v84, v57
	;;#ASMSTART
	global_atomic_pk_add_f16 v[60:61], v57, off
	
	;;#ASMEND
	s_set_gpr_idx_on s14, gpr_idx(SRC0)
	v_mov_b32_e32 v57, v32
	s_set_gpr_idx_off
	v_cvt_f16_f32_e32 v57, v57
	s_set_gpr_idx_on s15, gpr_idx(SRC0)
	v_mov_b32_e32 v60, v32
	s_set_gpr_idx_off
	v_cvt_f16_f32_sdwa v60, v60 dst_sel:WORD_1 dst_unused:UNUSED_PAD src0_sel:DWORD
	s_cmp_eq_u32 s16, 16
	s_cselect_b64 s[14:15], -1, 0
	s_orn2_b64 s[14:15], s[14:15], exec
	v_lshl_add_u64 v[58:59], v[58:59], 0, s[20:21]
	v_or_b32_e32 v57, v60, v57
	;;#ASMSTART
	global_atomic_pk_add_f16 v[58:59], v57, off
	
	;;#ASMEND
	s_branch .LBB186_27
.LBB186_32:                             ;   in Loop: Header=BB186_7 Depth=1
	s_or_b64 exec, exec, s[6:7]
	v_readlane_b32 s16, v92, 2
	v_readlane_b32 s14, v92, 0
	;; [unrolled: 1-line block ×11, first 2 shown]
.LBB186_33:                             ;   in Loop: Header=BB186_7 Depth=1
	v_readlane_b32 s6, v92, 26
	v_readlane_b32 s7, v92, 27
	s_or_b64 exec, exec, s[6:7]
.LBB186_34:                             ;   in Loop: Header=BB186_7 Depth=1
	s_or_saveexec_b64 s[2:3], s[2:3]
	v_readlane_b32 s13, v92, 25
	s_xor_b64 exec, exec, s[2:3]
	s_cbranch_execz .LBB186_43
; %bb.35:                               ;   in Loop: Header=BB186_7 Depth=1
	s_mul_i32 s12, s4, 3
	v_cmp_gt_i32_e32 vcc, s12, v83
	s_and_saveexec_b64 s[6:7], vcc
	s_cbranch_execz .LBB186_42
; %bb.36:                               ;   in Loop: Header=BB186_7 Depth=1
	s_mul_i32 s0, s0, s95
	s_ashr_i32 s1, s0, 31
	s_add_u32 s0, s18, s0
	s_addc_u32 s1, s19, s1
	s_ashr_i32 s8, s13, 31
	s_add_u32 s0, s0, s13
	s_addc_u32 s1, s1, s8
	v_lshl_add_u64 v[0:1], s[0:1], 0, v[52:53]
	v_lshl_add_u64 v[8:9], v[0:1], 0, v[50:51]
	s_mov_b64 s[0:1], 0
	s_branch .LBB186_38
.LBB186_37:                             ;   in Loop: Header=BB186_38 Depth=2
	s_or_b64 exec, exec, s[8:9]
	v_lshl_or_b32 v12, v10, 11, v77
	;;#ASMSTART
	s_waitcnt vmcnt(1)
	;;#ASMEND
	ds_write2_b32 v12, v4, v5 offset1:32
	ds_write2_b32 v12, v6, v7 offset0:64 offset1:96
	v_add_u32_e32 v4, 0x400, v12
	v_add_u32_e32 v83, s98, v83
	;;#ASMSTART
	s_waitcnt vmcnt(0)
	;;#ASMEND
	ds_write2_b32 v4, v0, v1 offset1:32
	ds_write2_b32 v4, v2, v3 offset0:64 offset1:96
	v_add_u32_e32 v0, 1, v63
	v_add_u32_e32 v56, s98, v10
	v_cmp_le_i32_e32 vcc, s12, v83
	ds_write_b32 v11, v0 offset:8
	v_add_u32_e32 v0, 2, v63
	s_or_b64 s[0:1], vcc, s[0:1]
	v_cmp_lt_i32_e32 vcc, 2, v56
	s_nop 1
	v_cndmask_b32_e32 v63, v63, v0, vcc
	s_andn2_b64 exec, exec, s[0:1]
	s_cbranch_execz .LBB186_41
.LBB186_38:                             ;   Parent Loop BB186_7 Depth=1
                                        ; =>  This Loop Header: Depth=2
                                        ;       Child Loop BB186_40 Depth 3
	v_cmp_gt_i32_e32 vcc, 3, v56
	s_mov_b32 s8, 0x55555556
	s_nop 0
	v_cndmask_b32_e64 v0, -3, 0, vcc
	v_add_u32_e32 v10, v0, v56
	v_mul_hi_i32 v0, v83, s8
	v_lshrrev_b32_e32 v1, 31, v0
	v_add_u32_e32 v0, v0, v1
	v_lshl_add_u32 v1, v0, 1, v0
	v_sub_u32_e32 v2, v83, v1
	v_lshlrev_b32_e32 v0, 6, v0
	v_ashrrev_i32_e32 v1, 31, v0
	v_mul_lo_u32 v2, s91, v2
	v_lshl_add_u64 v[0:1], v[8:9], 0, v[0:1]
	v_ashrrev_i32_e32 v3, 31, v2
	v_lshl_add_u64 v[0:1], v[0:1], 0, v[2:3]
	v_lshlrev_b32_e32 v11, 2, v10
	;;#ASMSTART
	global_load_dwordx4 v[4:7], v[0:1], off offset:0   sc0 sc1 nt  
	global_load_dwordx4 v[0:3], v[0:1], off offset:32  sc0 sc1 nt  
	
	;;#ASMEND
	ds_read_b32 v12, v11 offset:10248
	v_add_u32_e32 v11, 0x2800, v11
	s_waitcnt lgkmcnt(0)
	v_cmp_ne_u32_e32 vcc, v12, v63
	s_and_saveexec_b64 s[8:9], vcc
	s_cbranch_execz .LBB186_37
; %bb.39:                               ;   in Loop: Header=BB186_38 Depth=2
	s_mov_b64 s[10:11], 0
.LBB186_40:                             ;   Parent Loop BB186_7 Depth=1
                                        ;     Parent Loop BB186_38 Depth=2
                                        ; =>    This Inner Loop Header: Depth=3
	;;#ASMSTART
	s_sleep 0
	;;#ASMEND
	ds_read_b32 v12, v11 offset:8
	s_waitcnt lgkmcnt(0)
	v_cmp_eq_u32_e32 vcc, v12, v63
	s_or_b64 s[10:11], vcc, s[10:11]
	s_andn2_b64 exec, exec, s[10:11]
	s_cbranch_execnz .LBB186_40
	s_branch .LBB186_37
.LBB186_41:                             ;   in Loop: Header=BB186_7 Depth=1
	s_or_b64 exec, exec, s[0:1]
.LBB186_42:                             ;   in Loop: Header=BB186_7 Depth=1
	s_or_b64 exec, exec, s[6:7]
	v_subrev_u32_e32 v83, s12, v83
.LBB186_43:                             ;   in Loop: Header=BB186_7 Depth=1
	s_or_b64 exec, exec, s[2:3]
.LBB186_44:                             ;   in Loop: Header=BB186_7 Depth=1
	v_readlane_b32 s0, v92, 23
	v_readlane_b32 s1, v92, 24
	s_andn2_saveexec_b64 s[0:1], s[0:1]
	s_cbranch_execz .LBB186_6
; %bb.45:                               ;   in Loop: Header=BB186_7 Depth=1
	s_lshl_b32 s10, s4, 1
	v_cmp_gt_i32_e32 vcc, s10, v83
	s_and_saveexec_b64 s[2:3], vcc
	s_cbranch_execz .LBB186_5
; %bb.46:                               ;   in Loop: Header=BB186_7 Depth=1
	s_mul_i32 s4, s39, s94
	s_ashr_i32 s6, s4, 31
	s_add_u32 s4, s16, s4
	v_add_u32_e32 v2, s5, v64
	s_addc_u32 s7, s17, s6
	s_ashr_i32 s8, s13, 31
	v_cmp_gt_u32_e32 vcc, 64, v2
	s_add_u32 s6, s4, s13
	s_addc_u32 s7, s7, s8
	v_cndmask_b32_e32 v0, 0, v78, vcc
	v_ashrrev_i32_e32 v1, 31, v0
	v_lshl_add_u64 v[0:1], s[6:7], 0, v[0:1]
	v_lshl_add_u64 v[8:9], v[0:1], 0, v[50:51]
	v_sub_u32_e32 v10, 63, v2
	s_mov_b64 s[4:5], 0
	s_branch .LBB186_48
.LBB186_47:                             ;   in Loop: Header=BB186_48 Depth=2
	s_or_b64 exec, exec, s[6:7]
	v_lshl_add_u32 v13, v11, 11, v79
	;;#ASMSTART
	s_waitcnt vmcnt(1)
	;;#ASMEND
	ds_write2_b32 v13, v4, v5 offset1:32
	ds_write2_b32 v13, v6, v7 offset0:64 offset1:96
	v_add_u32_e32 v4, 0x400, v13
	v_add_u32_e32 v83, s97, v83
	;;#ASMSTART
	s_waitcnt vmcnt(0)
	;;#ASMEND
	ds_write2_b32 v4, v0, v1 offset1:32
	ds_write2_b32 v4, v2, v3 offset0:64 offset1:96
	v_add_u32_e32 v0, 1, v63
	v_add_u32_e32 v56, s97, v11
	v_cmp_le_i32_e32 vcc, s10, v83
	ds_write_b32 v12, v0
	v_add_u32_e32 v0, 2, v63
	s_or_b64 s[4:5], vcc, s[4:5]
	v_cmp_lt_i32_e32 vcc, 1, v56
	s_nop 1
	v_cndmask_b32_e32 v63, v63, v0, vcc
	s_andn2_b64 exec, exec, s[4:5]
	s_cbranch_execz .LBB186_4
.LBB186_48:                             ;   Parent Loop BB186_7 Depth=1
                                        ; =>  This Loop Header: Depth=2
                                        ;       Child Loop BB186_50 Depth 3
	v_cmp_gt_i32_e32 vcc, 2, v56
	s_nop 1
	v_cndmask_b32_e64 v0, -2, 0, vcc
	v_add_u32_e32 v11, v0, v56
	v_lshrrev_b32_e32 v0, 31, v83
	v_add_u32_e32 v0, v83, v0
	v_and_b32_e32 v1, 0x7fffffe, v0
	v_sub_u32_e32 v1, v83, v1
	v_lshlrev_b32_e32 v1, 5, v1
	v_cmp_le_i32_e32 vcc, v1, v10
	v_lshlrev_b32_e32 v0, 5, v0
	v_and_b32_e32 v0, 0xffffffc0, v0
	v_cndmask_b32_e32 v2, 0, v1, vcc
	v_ashrrev_i32_e32 v1, 31, v0
	v_mul_lo_u32 v2, v2, s94
	v_lshl_add_u64 v[0:1], v[8:9], 0, v[0:1]
	v_ashrrev_i32_e32 v3, 31, v2
	v_lshl_add_u64 v[0:1], v[0:1], 0, v[2:3]
	v_lshlrev_b32_e32 v12, 2, v11
	;;#ASMSTART
	global_load_dwordx4 v[4:7], v[0:1], off offset:0   
	global_load_dwordx4 v[0:3], v[0:1], off offset:32  
	
	;;#ASMEND
	ds_read_b32 v13, v12 offset:10240
	v_add_u32_e32 v12, 0x2800, v12
	s_waitcnt lgkmcnt(0)
	v_cmp_ne_u32_e32 vcc, v13, v63
	s_and_saveexec_b64 s[6:7], vcc
	s_cbranch_execz .LBB186_47
; %bb.49:                               ;   in Loop: Header=BB186_48 Depth=2
	s_mov_b64 s[8:9], 0
.LBB186_50:                             ;   Parent Loop BB186_7 Depth=1
                                        ;     Parent Loop BB186_48 Depth=2
                                        ; =>    This Inner Loop Header: Depth=3
	;;#ASMSTART
	s_sleep 0
	;;#ASMEND
	ds_read_b32 v13, v12
	s_waitcnt lgkmcnt(0)
	v_cmp_eq_u32_e32 vcc, v13, v63
	s_or_b64 s[8:9], vcc, s[8:9]
	s_andn2_b64 exec, exec, s[8:9]
	s_cbranch_execnz .LBB186_50
	s_branch .LBB186_47
.LBB186_51:
	s_endpgm
	.section	.rodata,"a",@progbits
	.p2align	6, 0x0
	.amdhsa_kernel _Z19_skinny_gemm_kernelILi2ELi3ELi1ELi32ELi4EEvPKhS1_P6__halfPKfiiiiiiii
		.amdhsa_group_segment_fixed_size 10260
		.amdhsa_private_segment_fixed_size 0
		.amdhsa_kernarg_size 64
		.amdhsa_user_sgpr_count 2
		.amdhsa_user_sgpr_dispatch_ptr 0
		.amdhsa_user_sgpr_queue_ptr 0
		.amdhsa_user_sgpr_kernarg_segment_ptr 1
		.amdhsa_user_sgpr_dispatch_id 0
		.amdhsa_user_sgpr_kernarg_preload_length 0
		.amdhsa_user_sgpr_kernarg_preload_offset 0
		.amdhsa_user_sgpr_private_segment_size 0
		.amdhsa_uses_dynamic_stack 0
		.amdhsa_enable_private_segment 0
		.amdhsa_system_sgpr_workgroup_id_x 1
		.amdhsa_system_sgpr_workgroup_id_y 0
		.amdhsa_system_sgpr_workgroup_id_z 0
		.amdhsa_system_sgpr_workgroup_info 0
		.amdhsa_system_vgpr_workitem_id 0
		.amdhsa_next_free_vgpr 93
		.amdhsa_next_free_sgpr 100
		.amdhsa_accum_offset 96
		.amdhsa_reserve_vcc 1
		.amdhsa_float_round_mode_32 0
		.amdhsa_float_round_mode_16_64 0
		.amdhsa_float_denorm_mode_32 3
		.amdhsa_float_denorm_mode_16_64 3
		.amdhsa_dx10_clamp 1
		.amdhsa_ieee_mode 1
		.amdhsa_fp16_overflow 0
		.amdhsa_tg_split 0
		.amdhsa_exception_fp_ieee_invalid_op 0
		.amdhsa_exception_fp_denorm_src 0
		.amdhsa_exception_fp_ieee_div_zero 0
		.amdhsa_exception_fp_ieee_overflow 0
		.amdhsa_exception_fp_ieee_underflow 0
		.amdhsa_exception_fp_ieee_inexact 0
		.amdhsa_exception_int_div_zero 0
	.end_amdhsa_kernel
	.section	.text._Z19_skinny_gemm_kernelILi2ELi3ELi1ELi32ELi4EEvPKhS1_P6__halfPKfiiiiiiii,"axG",@progbits,_Z19_skinny_gemm_kernelILi2ELi3ELi1ELi32ELi4EEvPKhS1_P6__halfPKfiiiiiiii,comdat
.Lfunc_end186:
	.size	_Z19_skinny_gemm_kernelILi2ELi3ELi1ELi32ELi4EEvPKhS1_P6__halfPKfiiiiiiii, .Lfunc_end186-_Z19_skinny_gemm_kernelILi2ELi3ELi1ELi32ELi4EEvPKhS1_P6__halfPKfiiiiiiii
                                        ; -- End function
	.set _Z19_skinny_gemm_kernelILi2ELi3ELi1ELi32ELi4EEvPKhS1_P6__halfPKfiiiiiiii.num_vgpr, 93
	.set _Z19_skinny_gemm_kernelILi2ELi3ELi1ELi32ELi4EEvPKhS1_P6__halfPKfiiiiiiii.num_agpr, 0
	.set _Z19_skinny_gemm_kernelILi2ELi3ELi1ELi32ELi4EEvPKhS1_P6__halfPKfiiiiiiii.numbered_sgpr, 100
	.set _Z19_skinny_gemm_kernelILi2ELi3ELi1ELi32ELi4EEvPKhS1_P6__halfPKfiiiiiiii.num_named_barrier, 0
	.set _Z19_skinny_gemm_kernelILi2ELi3ELi1ELi32ELi4EEvPKhS1_P6__halfPKfiiiiiiii.private_seg_size, 0
	.set _Z19_skinny_gemm_kernelILi2ELi3ELi1ELi32ELi4EEvPKhS1_P6__halfPKfiiiiiiii.uses_vcc, 1
	.set _Z19_skinny_gemm_kernelILi2ELi3ELi1ELi32ELi4EEvPKhS1_P6__halfPKfiiiiiiii.uses_flat_scratch, 0
	.set _Z19_skinny_gemm_kernelILi2ELi3ELi1ELi32ELi4EEvPKhS1_P6__halfPKfiiiiiiii.has_dyn_sized_stack, 0
	.set _Z19_skinny_gemm_kernelILi2ELi3ELi1ELi32ELi4EEvPKhS1_P6__halfPKfiiiiiiii.has_recursion, 0
	.set _Z19_skinny_gemm_kernelILi2ELi3ELi1ELi32ELi4EEvPKhS1_P6__halfPKfiiiiiiii.has_indirect_call, 0
	.section	.AMDGPU.csdata,"",@progbits
; Kernel info:
; codeLenInByte = 11604
; TotalNumSgprs: 106
; NumVgprs: 93
; NumAgprs: 0
; TotalNumVgprs: 93
; ScratchSize: 0
; MemoryBound: 0
; FloatMode: 240
; IeeeMode: 1
; LDSByteSize: 10260 bytes/workgroup (compile time only)
; SGPRBlocks: 13
; VGPRBlocks: 11
; NumSGPRsForWavesPerEU: 106
; NumVGPRsForWavesPerEU: 93
; AccumOffset: 96
; Occupancy: 5
; WaveLimiterHint : 0
; COMPUTE_PGM_RSRC2:SCRATCH_EN: 0
; COMPUTE_PGM_RSRC2:USER_SGPR: 2
; COMPUTE_PGM_RSRC2:TRAP_HANDLER: 0
; COMPUTE_PGM_RSRC2:TGID_X_EN: 1
; COMPUTE_PGM_RSRC2:TGID_Y_EN: 0
; COMPUTE_PGM_RSRC2:TGID_Z_EN: 0
; COMPUTE_PGM_RSRC2:TIDIG_COMP_CNT: 0
; COMPUTE_PGM_RSRC3_GFX90A:ACCUM_OFFSET: 23
; COMPUTE_PGM_RSRC3_GFX90A:TG_SPLIT: 0
	.section	.text._Z19_skinny_gemm_kernelILi2ELi3ELi1ELi32ELi8EEvPKhS1_P6__halfPKfiiiiiiii,"axG",@progbits,_Z19_skinny_gemm_kernelILi2ELi3ELi1ELi32ELi8EEvPKhS1_P6__halfPKfiiiiiiii,comdat
	.protected	_Z19_skinny_gemm_kernelILi2ELi3ELi1ELi32ELi8EEvPKhS1_P6__halfPKfiiiiiiii ; -- Begin function _Z19_skinny_gemm_kernelILi2ELi3ELi1ELi32ELi8EEvPKhS1_P6__halfPKfiiiiiiii
	.globl	_Z19_skinny_gemm_kernelILi2ELi3ELi1ELi32ELi8EEvPKhS1_P6__halfPKfiiiiiiii
	.p2align	8
	.type	_Z19_skinny_gemm_kernelILi2ELi3ELi1ELi32ELi8EEvPKhS1_P6__halfPKfiiiiiiii,@function
_Z19_skinny_gemm_kernelILi2ELi3ELi1ELi32ELi8EEvPKhS1_P6__halfPKfiiiiiiii: ; @_Z19_skinny_gemm_kernelILi2ELi3ELi1ELi32ELi8EEvPKhS1_P6__halfPKfiiiiiiii
; %bb.0:
	v_cmp_gt_u32_e32 vcc, 5, v0
	s_and_saveexec_b64 s[4:5], vcc
; %bb.1:
	v_lshlrev_b32_e32 v1, 2, v0
	v_mov_b32_e32 v2, 0
	ds_write_b32 v1, v2 offset:20480
; %bb.2:
	s_or_b64 exec, exec, s[4:5]
	s_load_dwordx8 s[92:99], s[0:1], 0x20
	s_waitcnt lgkmcnt(0)
	s_barrier
	s_add_i32 s3, s92, 63
	s_ashr_i32 s5, s3, 31
	s_add_i32 s4, s93, 0x5f
	s_lshr_b32 s5, s5, 26
	s_mul_hi_i32 s4, s4, 0x2aaaaaab
	s_add_i32 s3, s3, s5
	s_ashr_i32 s14, s3, 6
	s_lshr_b32 s3, s4, 31
	s_ashr_i32 s4, s4, 4
	s_add_i32 s15, s4, s3
	s_mul_i32 s3, s15, s14
	s_mul_i32 s3, s3, s96
	s_add_i32 s4, s3, 0x12f
	s_mul_hi_i32 s4, s4, 0x6bca1af3
	s_lshr_b32 s5, s4, 31
	s_ashr_i32 s4, s4, 7
	s_add_i32 s4, s4, s5
	s_add_i32 s5, s2, 1
	s_mul_i32 s5, s4, s5
	v_cvt_f64_i32_e32 v[2:3], s3
	v_cvt_f64_u32_e32 v[4:5], s5
	v_min_f64 v[2:3], v[2:3], v[4:5]
	v_cvt_i32_f64_e32 v70, v[2:3]
	s_mul_i32 s33, s4, s2
	v_cmp_ge_i32_e32 vcc, s33, v70
	s_cbranch_vccnz .LBB187_51
; %bb.3:
	s_load_dwordx8 s[16:23], s[0:1], 0x0
	v_lshrrev_b32_e32 v1, 6, v0
	s_add_i32 s0, s98, s97
	v_cmp_le_i32_e64 s[24:25], s0, v1
	v_mov_b32_e32 v2, s97
	v_cmp_le_i32_e64 s[26:27], s97, v1
	v_mov_b32_e32 v3, s98
	v_cndmask_b32_e64 v3, 0, v3, s[24:25]
	v_cndmask_b32_e64 v2, 0, v2, s[26:27]
	s_abs_i32 s1, s96
	v_add_u32_e32 v2, v2, v3
	v_cvt_f32_u32_e32 v3, s1
	v_sub_u32_e32 v56, v1, v2
	s_ashr_i32 s2, s94, 31
	s_lshr_b32 s2, s2, 25
	v_rcp_iflag_f32_e32 v2, v3
	s_sub_i32 s5, 0, s1
	s_add_i32 s2, s94, s2
	s_ashr_i32 s2, s2, 7
	v_mul_f32_e32 v2, 0x4f7ffffe, v2
	v_cvt_u32_f32_e32 v2, v2
	s_abs_i32 s4, s2
	s_xor_b32 s3, s2, s96
	s_ashr_i32 s3, s3, 31
	v_readfirstlane_b32 s6, v2
	s_mul_i32 s5, s5, s6
	s_mul_hi_u32 s5, s6, s5
	s_add_i32 s6, s6, s5
	s_mul_hi_u32 s5, s4, s6
	s_mul_i32 s6, s5, s1
	s_sub_i32 s4, s4, s6
	s_add_i32 s6, s5, 1
	s_sub_i32 s7, s4, s1
	s_cmp_ge_u32 s4, s1
	s_cselect_b32 s5, s6, s5
	s_cselect_b32 s4, s7, s4
	s_add_i32 s6, s5, 1
	s_cmp_ge_u32 s4, s1
	s_cselect_b32 s1, s6, s5
	s_add_i32 s0, s0, s99
	v_and_b32_e32 v72, 31, v0
	v_lshrrev_b32_e32 v2, 3, v0
	v_cmp_gt_i32_e64 s[34:35], s0, v1
	v_lshlrev_b32_e32 v1, 2, v72
	v_and_b32_e32 v3, 4, v2
	v_lshlrev_b32_e32 v2, 6, v3
	v_or_b32_e32 v4, 0x3000, v1
	v_and_b32_e32 v5, 1, v0
	s_add_i32 s29, s96, -1
	v_or_b32_e32 v73, v4, v2
	v_or_b32_e32 v74, v1, v2
	v_lshlrev_b32_e32 v2, 1, v5
	v_lshrrev_b32_e32 v7, 1, v0
	s_abs_i32 s96, s14
	v_sub_u32_e32 v2, v0, v2
	v_and_b32_e32 v50, 16, v7
	v_cvt_f32_u32_e32 v7, s96
	v_add_u32_e32 v2, 1, v2
	v_and_b32_e32 v6, 63, v2
	v_bitop3_b32 v75, v0, 1, v0 bitop3:0xc
	v_bitop3_b32 v76, v0, 3, 1 bitop3:0x6c
	;; [unrolled: 1-line block ×8, first 2 shown]
	v_and_b32_e32 v2, 30, v0
	v_lshlrev_b32_e32 v0, 4, v0
                                        ; implicit-def: $vgpr101 : SGPR spill to VGPR lane
	v_and_b32_e32 v0, 0x200, v0
	v_writelane_b32 v101, s14, 0
	v_or_b32_e32 v85, v1, v0
	v_rcp_iflag_f32_e32 v1, v7
	v_writelane_b32 v101, s15, 1
	s_waitcnt lgkmcnt(0)
	v_writelane_b32 v101, s16, 2
	s_abs_i32 s90, s15
	v_or_b32_e32 v87, v4, v0
	v_writelane_b32 v101, s17, 3
	v_writelane_b32 v101, s18, 4
	v_mul_f32_e32 v0, 0x4f7ffffe, v1
	v_cvt_f32_u32_e32 v1, s90
	v_writelane_b32 v101, s19, 5
	v_writelane_b32 v101, s20, 6
	;; [unrolled: 1-line block ×4, first 2 shown]
	v_cvt_u32_f32_e32 v0, v0
	v_rcp_iflag_f32_e32 v1, v1
	v_writelane_b32 v101, s23, 9
	v_cndmask_b32_e64 v71, 0, 1, s[24:25]
	s_xor_b32 s1, s1, s3
	v_writelane_b32 v101, s24, 10
	s_sub_i32 s28, s1, s3
	s_mul_i32 s1, s28, s29
	v_writelane_b32 v101, s25, 11
	v_writelane_b32 v101, s26, 12
	s_sub_i32 s30, s2, s1
	v_readfirstlane_b32 s1, v0
	v_mul_f32_e32 v0, 0x4f7ffffe, v1
	v_writelane_b32 v101, s27, 13
	v_cvt_u32_f32_e32 v0, v0
	v_writelane_b32 v101, s28, 14
	s_sub_i32 s0, 0, s96
	v_writelane_b32 v101, s29, 15
	s_mul_i32 s0, s0, s1
	v_writelane_b32 v101, s30, 16
	s_mul_hi_u32 s0, s1, s0
	v_writelane_b32 v101, s34, 17
	s_ashr_i32 s31, s14, 31
	s_add_i32 s36, s1, s0
	s_sub_i32 s0, 0, s90
	v_readfirstlane_b32 s1, v0
	v_mbcnt_lo_u32_b32 v0, -1, 0
	v_writelane_b32 v101, s35, 18
	s_mul_i32 s0, s0, s1
	v_mbcnt_hi_u32_b32 v0, -1, v0
	v_writelane_b32 v101, s31, 19
	v_mov_b32_e32 v49, 0
	v_mul_lo_u32 v52, s95, v72
	v_or_b32_e32 v88, v5, v3
	s_ashr_i32 s37, s15, 31
	s_mul_hi_u32 s0, s1, s0
	v_and_or_b32 v0, v0, 64, v6
	v_writelane_b32 v101, s36, 20
	v_or_b32_e32 v83, 32, v72
	v_or_b32_e32 v84, 64, v72
	v_ashrrev_i32_e32 v53, 31, v52
	v_mov_b32_e32 v51, v49
	s_lshl_b32 s91, s95, 5
	v_mul_lo_u32 v86, s94, v72
	v_or_b32_e32 v89, 2, v88
	s_add_i32 s38, s1, s0
	v_lshlrev_b32_e32 v48, 1, v2
	v_lshlrev_b32_e32 v90, 2, v0
	v_mov_b32_e32 v91, v56
	v_writelane_b32 v101, s37, 21
	v_writelane_b32 v101, s38, 22
	s_branch .LBB187_7
.LBB187_4:                              ;   in Loop: Header=BB187_7 Depth=1
	s_or_b64 exec, exec, s[4:5]
.LBB187_5:                              ;   in Loop: Header=BB187_7 Depth=1
	s_or_b64 exec, exec, s[2:3]
	v_subrev_u32_e32 v91, s10, v91
.LBB187_6:                              ;   in Loop: Header=BB187_7 Depth=1
	s_or_b64 exec, exec, s[0:1]
	s_add_i32 s33, s33, 1
	v_cmp_ge_i32_e32 vcc, s33, v70
	s_cbranch_vccnz .LBB187_51
.LBB187_7:                              ; =>This Loop Header: Depth=1
                                        ;     Child Loop BB187_13 Depth 2
                                        ;       Child Loop BB187_15 Depth 3
                                        ;       Child Loop BB187_18 Depth 3
	;; [unrolled: 1-line block ×4, first 2 shown]
                                        ;     Child Loop BB187_29 Depth 2
                                        ;     Child Loop BB187_38 Depth 2
                                        ;       Child Loop BB187_40 Depth 3
                                        ;     Child Loop BB187_48 Depth 2
                                        ;       Child Loop BB187_50 Depth 3
	s_abs_i32 s1, s33
	s_mul_hi_u32 s2, s1, s36
	s_mul_i32 s3, s2, s96
	s_ashr_i32 s0, s33, 31
	s_sub_i32 s1, s1, s3
	s_xor_b32 s0, s0, s31
	s_add_i32 s3, s2, 1
	s_sub_i32 s4, s1, s96
	s_cmp_ge_u32 s1, s96
	s_cselect_b32 s2, s3, s2
	s_cselect_b32 s1, s4, s1
	s_add_i32 s3, s2, 1
	s_cmp_ge_u32 s1, s96
	s_cselect_b32 s1, s3, s2
	s_xor_b32 s1, s1, s0
	s_sub_i32 s0, s1, s0
	s_abs_i32 s2, s0
	s_mul_i32 s1, s0, s14
	s_mul_hi_u32 s3, s2, s38
	s_sub_i32 s1, s33, s1
	s_mul_i32 s4, s3, s90
	s_lshl_b32 s39, s1, 6
	s_ashr_i32 s1, s0, 31
	s_sub_i32 s2, s2, s4
	s_xor_b32 s1, s1, s37
	s_add_i32 s4, s3, 1
	s_sub_i32 s5, s2, s90
	s_cmp_ge_u32 s2, s90
	s_cselect_b32 s3, s4, s3
	s_cselect_b32 s2, s5, s2
	s_add_i32 s4, s3, 1
	s_cmp_ge_u32 s2, s90
	s_cselect_b32 s2, s4, s3
	s_xor_b32 s2, s2, s1
	s_sub_i32 s1, s2, s1
	s_mul_i32 s2, s1, s28
	s_lshl_b32 s13, s2, 7
	s_cmp_eq_u32 s1, s29
	s_cselect_b32 s4, s30, s28
	s_sub_i32 s2, s39, s92
	s_add_i32 s2, s2, 64
	s_max_i32 s5, s2, 0
	s_and_saveexec_b64 s[2:3], s[26:27]
	s_xor_b64 s[2:3], exec, s[2:3]
	v_writelane_b32 v101, s2, 23
	s_nop 1
	v_writelane_b32 v101, s3, 24
	s_cbranch_execz .LBB187_44
; %bb.8:                                ;   in Loop: Header=BB187_7 Depth=1
	s_mul_i32 s1, s1, s15
	s_sub_i32 s0, s0, s1
	s_mulk_i32 s0, 0x60
	s_sub_i32 s70, s0, s93
	s_addk_i32 s70, 0x60
	s_max_i32 s1, s70, 0
	s_sub_i32 s0, s0, s1
	v_writelane_b32 v101, s13, 25
	s_and_saveexec_b64 s[2:3], s[24:25]
	s_xor_b64 s[2:3], exec, s[2:3]
	s_cbranch_execz .LBB187_34
; %bb.9:                                ;   in Loop: Header=BB187_7 Depth=1
	s_mov_b64 s[6:7], exec
	v_writelane_b32 v101, s6, 26
	s_nop 1
	v_writelane_b32 v101, s7, 27
	s_and_b64 s[6:7], s[6:7], s[34:35]
	s_mov_b64 exec, s[6:7]
	s_cbranch_execz .LBB187_33
; %bb.10:                               ;   in Loop: Header=BB187_7 Depth=1
	global_load_dword v92, v49, s[22:23]
	v_mov_b32_e32 v47, 0
	v_cmp_gt_i32_e32 vcc, s4, v91
	v_mov_b32_e32 v46, v47
	v_mov_b32_e32 v45, v47
	;; [unrolled: 1-line block ×47, first 2 shown]
	s_and_saveexec_b64 s[6:7], vcc
	s_cbranch_execz .LBB187_26
; %bb.11:                               ;   in Loop: Header=BB187_7 Depth=1
	v_mov_b32_e32 v0, 0
	s_mov_b64 s[8:9], 0
	v_mov_b32_e32 v1, v0
	v_mov_b32_e32 v2, v0
	;; [unrolled: 1-line block ×47, first 2 shown]
	s_branch .LBB187_13
.LBB187_12:                             ;   in Loop: Header=BB187_13 Depth=2
	s_or_b64 exec, exec, s[10:11]
	v_add_u32_e32 v97, 0x2000, v96
	ds_read2_b32 v[98:99], v97 offset1:32
	v_add_u32_e32 v91, s99, v91
	s_waitcnt lgkmcnt(0)
	v_mfma_f32_32x32x16_fp8_fp8 v[0:15], v[68:69], v[98:99], v[0:15]
	ds_read2_b32 v[68:69], v97 offset0:128 offset1:160
	s_waitcnt lgkmcnt(0)
	v_mfma_f32_32x32x16_fp8_fp8 v[0:15], v[66:67], v[68:69], v[0:15]
	v_add_u32_e32 v68, 0x2400, v96
	ds_read2_b32 v[66:67], v68 offset1:32
	s_waitcnt lgkmcnt(0)
	v_mfma_f32_32x32x16_fp8_fp8 v[0:15], v[64:65], v[66:67], v[0:15]
	ds_read2_b32 v[64:65], v68 offset0:128 offset1:160
	s_waitcnt lgkmcnt(0)
	v_mfma_f32_32x32x16_fp8_fp8 v[0:15], v[62:63], v[64:65], v[0:15]
	v_add_u32_e32 v64, 0x2800, v96
	ds_read2_b32 v[62:63], v64 offset1:32
	;; [unrolled: 7-line block ×3, first 2 shown]
	ds_read2_b32 v[60:61], v60 offset0:128 offset1:160
	ds_write_b32 v94, v95 offset:20500
	s_waitcnt lgkmcnt(2)
	v_mfma_f32_32x32x16_fp8_fp8 v[0:15], v[56:57], v[58:59], v[0:15]
	v_add_u32_e32 v56, s99, v93
	v_add_u32_e32 v57, 2, v71
	v_cmp_lt_i32_e32 vcc, 0, v56
	s_nop 1
	v_cndmask_b32_e32 v71, v71, v57, vcc
	v_cmp_le_i32_e32 vcc, s4, v91
	s_waitcnt lgkmcnt(1)
	v_mfma_f32_32x32x16_fp8_fp8 v[0:15], v[54:55], v[60:61], v[0:15]
	s_or_b64 s[8:9], vcc, s[8:9]
	s_andn2_b64 exec, exec, s[8:9]
	s_cbranch_execz .LBB187_25
.LBB187_13:                             ;   Parent Loop BB187_7 Depth=1
                                        ; =>  This Loop Header: Depth=2
                                        ;       Child Loop BB187_15 Depth 3
                                        ;       Child Loop BB187_18 Depth 3
	;; [unrolled: 1-line block ×4, first 2 shown]
	v_cmp_lt_i32_e32 vcc, 0, v56
	s_nop 1
	v_subbrev_co_u32_e32 v93, vcc, 0, v56, vcc
	v_mul_lo_u32 v94, v93, 24
	ds_read_b32 v54, v94 offset:20480
	s_waitcnt lgkmcnt(0)
	v_cmp_ne_u32_e32 vcc, v54, v71
	s_and_saveexec_b64 s[10:11], vcc
	s_cbranch_execz .LBB187_16
; %bb.14:                               ;   in Loop: Header=BB187_13 Depth=2
	s_mov_b64 s[12:13], 0
.LBB187_15:                             ;   Parent Loop BB187_7 Depth=1
                                        ;     Parent Loop BB187_13 Depth=2
                                        ; =>    This Inner Loop Header: Depth=3
	;;#ASMSTART
	s_sleep 0
	;;#ASMEND
	ds_read_b32 v54, v94 offset:20480
	s_waitcnt lgkmcnt(0)
	v_cmp_eq_u32_e32 vcc, v54, v71
	s_or_b64 s[12:13], vcc, s[12:13]
	s_andn2_b64 exec, exec, s[12:13]
	s_cbranch_execnz .LBB187_15
.LBB187_16:                             ;   in Loop: Header=BB187_13 Depth=2
	s_or_b64 exec, exec, s[10:11]
	v_lshl_add_u32 v54, v93, 12, v73
	v_add_u32_e32 v55, 0x400, v54
	ds_read2_b32 v[68:69], v54 offset1:32
	ds_read2_b32 v[66:67], v54 offset0:128 offset1:160
	ds_read2_b32 v[64:65], v55 offset1:32
	ds_read2_b32 v[62:63], v55 offset0:128 offset1:160
	v_add_u32_e32 v55, 0x800, v54
	v_add_u32_e32 v54, 0xc00, v54
	ds_read2_b32 v[60:61], v55 offset1:32
	ds_read2_b32 v[58:59], v55 offset0:128 offset1:160
	ds_read2_b32 v[56:57], v54 offset1:32
	ds_read_b32 v96, v94 offset:20484
	ds_read2_b32 v[54:55], v54 offset0:128 offset1:160
	v_add_u32_e32 v95, 1, v71
	ds_write_b32 v94, v95 offset:20480
	s_waitcnt lgkmcnt(2)
	v_cmp_ne_u32_e32 vcc, v96, v71
	s_and_saveexec_b64 s[10:11], vcc
	s_cbranch_execz .LBB187_19
; %bb.17:                               ;   in Loop: Header=BB187_13 Depth=2
	s_mov_b64 s[12:13], 0
.LBB187_18:                             ;   Parent Loop BB187_7 Depth=1
                                        ;     Parent Loop BB187_13 Depth=2
                                        ; =>    This Inner Loop Header: Depth=3
	;;#ASMSTART
	s_sleep 0
	;;#ASMEND
	ds_read_b32 v96, v94 offset:20484
	s_waitcnt lgkmcnt(0)
	v_cmp_eq_u32_e32 vcc, v96, v71
	s_or_b64 s[12:13], vcc, s[12:13]
	s_andn2_b64 exec, exec, s[12:13]
	s_cbranch_execnz .LBB187_18
.LBB187_19:                             ;   in Loop: Header=BB187_13 Depth=2
	s_or_b64 exec, exec, s[10:11]
	s_movk_i32 s1, 0x3000
	v_mul_lo_u32 v96, v93, s1
	v_or_b32_e32 v97, v74, v96
	ds_read2_b32 v[98:99], v97 offset1:32
	v_add_u32_e32 v100, 0x400, v97
	ds_write_b32 v94, v95 offset:20484
	s_waitcnt lgkmcnt(1)
	v_mfma_f32_32x32x16_fp8_fp8 v[32:47], v[68:69], v[98:99], v[32:47]
	ds_read2_b32 v[98:99], v97 offset0:128 offset1:160
	s_waitcnt lgkmcnt(0)
	v_mfma_f32_32x32x16_fp8_fp8 v[32:47], v[66:67], v[98:99], v[32:47]
	ds_read2_b32 v[98:99], v100 offset1:32
	s_waitcnt lgkmcnt(0)
	v_mfma_f32_32x32x16_fp8_fp8 v[32:47], v[64:65], v[98:99], v[32:47]
	ds_read2_b32 v[98:99], v100 offset0:128 offset1:160
	v_add_u32_e32 v100, 0x800, v97
	v_add_u32_e32 v97, 0xc00, v97
	s_waitcnt lgkmcnt(0)
	v_mfma_f32_32x32x16_fp8_fp8 v[32:47], v[62:63], v[98:99], v[32:47]
	ds_read2_b32 v[98:99], v100 offset1:32
	s_waitcnt lgkmcnt(0)
	v_mfma_f32_32x32x16_fp8_fp8 v[32:47], v[60:61], v[98:99], v[32:47]
	ds_read2_b32 v[98:99], v100 offset0:128 offset1:160
	s_waitcnt lgkmcnt(0)
	v_mfma_f32_32x32x16_fp8_fp8 v[32:47], v[58:59], v[98:99], v[32:47]
	ds_read2_b32 v[98:99], v97 offset1:32
	s_waitcnt lgkmcnt(0)
	v_mfma_f32_32x32x16_fp8_fp8 v[32:47], v[56:57], v[98:99], v[32:47]
	ds_read2_b32 v[98:99], v97 offset0:128 offset1:160
	ds_read_b32 v97, v94 offset:20492
	s_waitcnt lgkmcnt(0)
	v_cmp_ne_u32_e32 vcc, v97, v71
	v_mfma_f32_32x32x16_fp8_fp8 v[32:47], v[54:55], v[98:99], v[32:47]
	s_and_saveexec_b64 s[10:11], vcc
	s_cbranch_execz .LBB187_22
; %bb.20:                               ;   in Loop: Header=BB187_13 Depth=2
	s_mov_b64 s[12:13], 0
.LBB187_21:                             ;   Parent Loop BB187_7 Depth=1
                                        ;     Parent Loop BB187_13 Depth=2
                                        ; =>    This Inner Loop Header: Depth=3
	;;#ASMSTART
	s_sleep 0
	;;#ASMEND
	ds_read_b32 v97, v94 offset:20492
	s_waitcnt lgkmcnt(0)
	v_cmp_eq_u32_e32 vcc, v97, v71
	s_or_b64 s[12:13], vcc, s[12:13]
	s_andn2_b64 exec, exec, s[12:13]
	s_cbranch_execnz .LBB187_21
.LBB187_22:                             ;   in Loop: Header=BB187_13 Depth=2
	s_or_b64 exec, exec, s[10:11]
	v_add_u32_e32 v96, v74, v96
	v_add_u32_e32 v97, 0x1000, v96
	ds_read2_b32 v[98:99], v97 offset1:32
	ds_write_b32 v94, v95 offset:20492
	s_waitcnt lgkmcnt(1)
	v_mfma_f32_32x32x16_fp8_fp8 v[16:31], v[68:69], v[98:99], v[16:31]
	ds_read2_b32 v[98:99], v97 offset0:128 offset1:160
	v_add_u32_e32 v97, 0x1400, v96
	s_waitcnt lgkmcnt(0)
	v_mfma_f32_32x32x16_fp8_fp8 v[16:31], v[66:67], v[98:99], v[16:31]
	ds_read2_b32 v[98:99], v97 offset1:32
	s_waitcnt lgkmcnt(0)
	v_mfma_f32_32x32x16_fp8_fp8 v[16:31], v[64:65], v[98:99], v[16:31]
	ds_read2_b32 v[98:99], v97 offset0:128 offset1:160
	v_add_u32_e32 v97, 0x1800, v96
	s_waitcnt lgkmcnt(0)
	v_mfma_f32_32x32x16_fp8_fp8 v[16:31], v[62:63], v[98:99], v[16:31]
	ds_read2_b32 v[98:99], v97 offset1:32
	;; [unrolled: 7-line block ×3, first 2 shown]
	s_waitcnt lgkmcnt(0)
	v_mfma_f32_32x32x16_fp8_fp8 v[16:31], v[56:57], v[98:99], v[16:31]
	ds_read2_b32 v[98:99], v97 offset0:128 offset1:160
	ds_read_b32 v97, v94 offset:20500
	s_waitcnt lgkmcnt(0)
	v_cmp_ne_u32_e32 vcc, v97, v71
	v_mfma_f32_32x32x16_fp8_fp8 v[16:31], v[54:55], v[98:99], v[16:31]
	s_and_saveexec_b64 s[10:11], vcc
	s_cbranch_execz .LBB187_12
; %bb.23:                               ;   in Loop: Header=BB187_13 Depth=2
	s_mov_b64 s[12:13], 0
.LBB187_24:                             ;   Parent Loop BB187_7 Depth=1
                                        ;     Parent Loop BB187_13 Depth=2
                                        ; =>    This Inner Loop Header: Depth=3
	;;#ASMSTART
	s_sleep 0
	;;#ASMEND
	ds_read_b32 v97, v94 offset:20500
	s_waitcnt lgkmcnt(0)
	v_cmp_eq_u32_e32 vcc, v97, v71
	s_or_b64 s[12:13], vcc, s[12:13]
	s_andn2_b64 exec, exec, s[12:13]
	s_cbranch_execnz .LBB187_24
	s_branch .LBB187_12
.LBB187_25:                             ;   in Loop: Header=BB187_7 Depth=1
	s_or_b64 exec, exec, s[8:9]
.LBB187_26:                             ;   in Loop: Header=BB187_7 Depth=1
	s_or_b64 exec, exec, s[6:7]
	v_cmp_le_i32_e32 vcc, s70, v72
	v_cmp_eq_u32_e64 s[60:61], 1, v75
	v_cmp_eq_u32_e64 s[26:27], 2, v75
	s_waitcnt vmcnt(0)
	v_cndmask_b32_e32 v54, 0, v92, vcc
	v_pk_mul_f32 v[32:33], v[54:55], v[32:33] op_sel_hi:[0,1]
	v_pk_mul_f32 v[46:47], v[54:55], v[46:47] op_sel_hi:[0,1]
	;; [unrolled: 1-line block ×8, first 2 shown]
	v_cndmask_b32_e64 v54, v32, v33, s[60:61]
	v_cndmask_b32_e64 v54, v54, v34, s[26:27]
	v_cmp_eq_u32_e64 s[40:41], 3, v75
	v_cmp_eq_u32_e64 s[42:43], 4, v75
	v_cmp_eq_u32_e64 s[44:45], 5, v75
	v_cndmask_b32_e64 v54, v54, v35, s[40:41]
	v_cndmask_b32_e64 v54, v54, v36, s[42:43]
	v_cndmask_b32_e64 v54, v54, v37, s[44:45]
	v_cmp_eq_u32_e64 s[46:47], 6, v75
	v_cmp_eq_u32_e64 s[48:49], 7, v75
	v_cmp_eq_u32_e64 s[50:51], 8, v75
	v_cndmask_b32_e64 v54, v54, v38, s[46:47]
	;; [unrolled: 6-line block ×4, first 2 shown]
	v_cndmask_b32_e64 v54, v54, v45, s[62:63]
	v_cndmask_b32_e64 v54, v54, v46, s[64:65]
	v_cmp_eq_u32_e64 s[66:67], 15, v75
	s_mul_i32 s6, s39, s93
	s_ashr_i32 s7, s6, 31
	v_cndmask_b32_e64 v54, v54, v47, s[66:67]
	ds_bpermute_b32 v54, v90, v54
	s_lshl_b64 s[6:7], s[6:7], 1
	v_cmp_eq_u32_e64 s[36:37], 0, v75
	s_add_u32 s71, s20, s6
	v_cmp_eq_u32_e32 vcc, 1, v76
	s_waitcnt lgkmcnt(0)
	v_cndmask_b32_e64 v47, v47, v54, s[66:67]
	v_cndmask_b32_e64 v46, v46, v54, s[64:65]
	;; [unrolled: 1-line block ×16, first 2 shown]
	s_addc_u32 s72, s21, s7
	v_cndmask_b32_e32 v32, v54, v63, vcc
	v_cmp_eq_u32_e64 s[6:7], 2, v76
	v_cmp_eq_u32_e64 s[8:9], 3, v76
	v_cmp_eq_u32_e64 s[10:11], 4, v76
	v_cndmask_b32_e64 v32, v32, v62, s[6:7]
	v_cndmask_b32_e64 v32, v32, v61, s[8:9]
	v_cndmask_b32_e64 v32, v32, v60, s[10:11]
	v_cmp_eq_u32_e64 s[12:13], 5, v76
	v_cmp_eq_u32_e64 s[14:15], 6, v76
	v_cmp_eq_u32_e64 s[16:17], 7, v76
	v_cndmask_b32_e64 v32, v32, v59, s[12:13]
	v_cndmask_b32_e64 v32, v32, v58, s[14:15]
	v_cndmask_b32_e64 v32, v32, v57, s[16:17]
	;; [unrolled: 6-line block ×4, first 2 shown]
	v_cmp_eq_u32_e64 s[34:35], 14, v76
	v_writelane_b32 v101, s39, 28
	v_cmp_eq_u32_e64 s[38:39], 15, v76
	v_cndmask_b32_e64 v32, v32, v46, s[34:35]
	s_ashr_i32 s1, s0, 31
	v_cndmask_b32_e64 v32, v32, v47, s[38:39]
	ds_bpermute_b32 v55, v90, v32
	s_lshl_b64 s[68:69], s[0:1], 1
	s_add_u32 s68, s71, s68
	s_addc_u32 s69, s72, s69
	v_writelane_b32 v101, s68, 29
	s_waitcnt lgkmcnt(0)
	v_cndmask_b32_e64 v33, v47, v55, s[38:39]
	v_cndmask_b32_e64 v38, v42, v55, s[22:23]
	v_writelane_b32 v101, s69, 30
	v_cmp_le_i32_e64 s[68:69], s70, v83
	v_cmp_le_i32_e64 s[70:71], s70, v84
	v_cndmask_b32_e64 v42, v58, v55, s[14:15]
	v_cndmask_b32_e64 v32, 0, v92, s[68:69]
	;; [unrolled: 1-line block ×3, first 2 shown]
	v_pk_mul_f32 v[16:17], v[32:33], v[16:17] op_sel_hi:[0,1]
	v_pk_mul_f32 v[0:1], v[58:59], v[0:1] op_sel_hi:[0,1]
	v_cndmask_b32_e64 v35, v45, v55, s[30:31]
	v_cndmask_b32_e64 v36, v44, v55, s[28:29]
	;; [unrolled: 1-line block ×4, first 2 shown]
	v_pk_mul_f32 v[30:31], v[32:33], v[30:31] op_sel_hi:[0,1]
	v_pk_mul_f32 v[28:29], v[32:33], v[28:29] op_sel_hi:[0,1]
	;; [unrolled: 1-line block ×7, first 2 shown]
	v_cndmask_b32_e64 v32, v16, v17, s[60:61]
	v_pk_mul_f32 v[60:61], v[58:59], v[4:5] op_sel_hi:[0,1]
	v_pk_mul_f32 v[2:3], v[58:59], v[2:3] op_sel_hi:[0,1]
	v_cndmask_b32_e64 v4, v0, v1, s[60:61]
	v_cndmask_b32_e64 v32, v32, v18, s[26:27]
	;; [unrolled: 1-line block ×8, first 2 shown]
	v_pk_mul_f32 v[6:7], v[58:59], v[6:7] op_sel_hi:[0,1]
	v_cndmask_b32_e64 v4, v4, v61, s[44:45]
	v_cndmask_b32_e64 v32, v32, v22, s[46:47]
	v_cndmask_b32_e64 v4, v4, v6, s[46:47]
	v_cndmask_b32_e64 v32, v32, v23, s[48:49]
	v_pk_mul_f32 v[8:9], v[58:59], v[8:9] op_sel_hi:[0,1]
	v_cndmask_b32_e64 v4, v4, v7, s[48:49]
	v_cndmask_b32_e64 v32, v32, v24, s[50:51]
	v_cndmask_b32_e64 v4, v4, v8, s[50:51]
	v_cndmask_b32_e64 v32, v32, v25, s[52:53]
	;; [unrolled: 5-line block ×5, first 2 shown]
	v_cndmask_b32_e64 v4, v4, v15, s[66:67]
	ds_bpermute_b32 v32, v90, v32
	ds_bpermute_b32 v5, v90, v4
	v_cmp_eq_u32_e64 s[68:69], 0, v76
	v_cndmask_b32_e32 v47, v63, v55, vcc
	v_cmp_eq_u32_e64 s[70:71], 1, v77
	v_cndmask_b32_e64 v54, v54, v55, s[68:69]
	s_waitcnt lgkmcnt(1)
	v_cndmask_b32_e64 v18, v18, v32, s[26:27]
	s_waitcnt lgkmcnt(0)
	v_cndmask_b32_e64 v2, v2, v5, s[26:27]
	v_cmp_ne_u32_e64 s[26:27], 0, v75
	v_cndmask_b32_e64 v34, v46, v55, s[34:35]
	v_cndmask_b32_e64 v37, v43, v55, s[24:25]
	;; [unrolled: 1-line block ×9, first 2 shown]
	v_cmp_eq_u32_e64 s[60:61], 2, v77
	v_cndmask_b32_e64 v1, v1, v5, s[26:27]
	v_cndmask_b32_e64 v16, v16, v32, s[36:37]
	;; [unrolled: 1-line block ×6, first 2 shown]
	v_cmp_eq_u32_e64 s[66:67], 3, v77
	v_cndmask_b32_e64 v30, v30, v32, s[64:65]
	v_cndmask_b32_e64 v14, v14, v5, s[64:65]
	;; [unrolled: 1-line block ×24, first 2 shown]
	v_cndmask_b32_e32 v32, v16, v4, vcc
	v_cndmask_b32_e32 v5, v0, v1, vcc
	v_cndmask_b32_e64 v17, v17, v45, s[66:67]
	v_cmp_eq_u32_e64 s[64:65], 4, v77
	v_cndmask_b32_e64 v32, v32, v18, s[6:7]
	v_cndmask_b32_e64 v5, v5, v2, s[6:7]
	v_cndmask_b32_e64 v17, v17, v44, s[64:65]
	v_cmp_eq_u32_e64 s[62:63], 5, v77
	v_cndmask_b32_e64 v32, v32, v19, s[8:9]
	v_cndmask_b32_e64 v5, v5, v3, s[8:9]
	v_cndmask_b32_e64 v17, v17, v43, s[62:63]
	v_cmp_eq_u32_e64 s[58:59], 6, v77
	v_cndmask_b32_e64 v32, v32, v20, s[10:11]
	v_cndmask_b32_e64 v5, v5, v57, s[10:11]
	v_cndmask_b32_e64 v17, v17, v42, s[58:59]
	v_cmp_eq_u32_e64 s[56:57], 7, v77
	v_cndmask_b32_e64 v32, v32, v21, s[12:13]
	v_cndmask_b32_e64 v5, v5, v55, s[12:13]
	v_cndmask_b32_e64 v17, v17, v41, s[56:57]
	v_cmp_eq_u32_e64 s[54:55], 8, v77
	v_cndmask_b32_e64 v32, v32, v22, s[14:15]
	v_cndmask_b32_e64 v5, v5, v6, s[14:15]
	v_cndmask_b32_e64 v17, v17, v40, s[54:55]
	v_cmp_eq_u32_e64 s[72:73], 9, v77
	v_cndmask_b32_e64 v32, v32, v23, s[16:17]
	v_cndmask_b32_e64 v5, v5, v7, s[16:17]
	v_cndmask_b32_e64 v17, v17, v39, s[72:73]
	v_cmp_eq_u32_e64 s[50:51], 10, v77
	v_cndmask_b32_e64 v32, v32, v24, s[18:19]
	v_cndmask_b32_e64 v5, v5, v8, s[18:19]
	v_cndmask_b32_e64 v17, v17, v38, s[50:51]
	v_cmp_eq_u32_e64 s[48:49], 11, v77
	v_cndmask_b32_e64 v32, v32, v25, s[20:21]
	v_cndmask_b32_e64 v5, v5, v9, s[20:21]
	v_cndmask_b32_e64 v17, v17, v37, s[48:49]
	v_cmp_eq_u32_e64 s[52:53], 12, v77
	v_cndmask_b32_e64 v32, v32, v26, s[22:23]
	v_cndmask_b32_e64 v5, v5, v10, s[22:23]
	v_cndmask_b32_e64 v17, v17, v36, s[52:53]
	v_cmp_eq_u32_e64 s[44:45], 13, v77
	v_cndmask_b32_e64 v32, v32, v27, s[24:25]
	v_cndmask_b32_e64 v5, v5, v11, s[24:25]
	v_cndmask_b32_e64 v17, v17, v35, s[44:45]
	v_cmp_eq_u32_e64 s[78:79], 14, v77
	v_cndmask_b32_e64 v32, v32, v28, s[28:29]
	v_cndmask_b32_e64 v5, v5, v12, s[28:29]
	v_cndmask_b32_e64 v17, v17, v34, s[78:79]
	v_cmp_eq_u32_e64 s[82:83], 15, v77
	v_cndmask_b32_e64 v32, v32, v29, s[30:31]
	v_cndmask_b32_e64 v5, v5, v13, s[30:31]
	v_cndmask_b32_e64 v17, v17, v33, s[82:83]
	v_cndmask_b32_e64 v32, v32, v30, s[34:35]
	;; [unrolled: 1-line block ×3, first 2 shown]
	ds_bpermute_b32 v17, v90, v17
	v_cndmask_b32_e64 v32, v32, v31, s[38:39]
	v_cndmask_b32_e64 v5, v5, v15, s[38:39]
	ds_bpermute_b32 v32, v90, v32
	ds_bpermute_b32 v5, v90, v5
	v_cmp_eq_u32_e64 s[40:41], 0, v77
	s_waitcnt lgkmcnt(2)
	v_cndmask_b32_e64 v33, v33, v17, s[82:83]
	v_cndmask_b32_e64 v34, v34, v17, s[78:79]
	;; [unrolled: 1-line block ×16, first 2 shown]
	v_cmp_eq_u32_e64 s[26:27], 1, v78
	v_cmp_eq_u32_e64 s[36:37], 2, v78
	s_waitcnt lgkmcnt(1)
	v_cndmask_b32_e32 v4, v4, v32, vcc
	v_cndmask_b32_e64 v54, v17, v47, s[26:27]
	s_waitcnt lgkmcnt(0)
	v_cndmask_b32_e32 v1, v1, v5, vcc
	v_cndmask_b32_e64 v16, v16, v32, s[68:69]
	v_cndmask_b32_e64 v0, v0, v5, s[68:69]
	;; [unrolled: 1-line block ×7, first 2 shown]
	v_cmp_eq_u32_e64 s[34:35], 3, v78
	v_cndmask_b32_e64 v29, v29, v32, s[30:31]
	v_cndmask_b32_e64 v13, v13, v5, s[30:31]
	;; [unrolled: 1-line block ×27, first 2 shown]
	v_cmp_eq_u32_e64 s[30:31], 4, v78
	v_cndmask_b32_e64 v32, v32, v18, s[60:61]
	v_cndmask_b32_e64 v5, v5, v2, s[60:61]
	v_cndmask_b32_e64 v54, v54, v44, s[30:31]
	v_cmp_eq_u32_e64 s[28:29], 5, v78
	v_cndmask_b32_e64 v32, v32, v19, s[66:67]
	v_cndmask_b32_e64 v5, v5, v3, s[66:67]
	v_cndmask_b32_e64 v54, v54, v43, s[28:29]
	;; [unrolled: 4-line block ×12, first 2 shown]
	v_cndmask_b32_e64 v32, v32, v30, s[78:79]
	v_cndmask_b32_e64 v5, v5, v14, s[78:79]
	ds_bpermute_b32 v54, v90, v54
	v_cndmask_b32_e64 v32, v32, v31, s[82:83]
	v_cndmask_b32_e64 v5, v5, v15, s[82:83]
	ds_bpermute_b32 v32, v90, v32
	ds_bpermute_b32 v5, v90, v5
	v_cmp_eq_u32_e64 s[16:17], 0, v78
	s_waitcnt lgkmcnt(2)
	v_cndmask_b32_e64 v47, v47, v54, s[26:27]
	v_cmp_eq_u32_e64 s[6:7], 1, v79
	v_cndmask_b32_e64 v17, v17, v54, s[16:17]
	v_cndmask_b32_e64 v33, v33, v54, s[8:9]
	v_cndmask_b32_e64 v34, v34, v54, s[10:11]
	v_cndmask_b32_e64 v35, v35, v54, s[12:13]
	v_cndmask_b32_e64 v36, v36, v54, s[80:81]
	v_cndmask_b32_e64 v37, v37, v54, s[46:47]
	v_cndmask_b32_e64 v38, v38, v54, s[76:77]
	v_cndmask_b32_e64 v39, v39, v54, s[74:75]
	v_cndmask_b32_e64 v40, v40, v54, s[20:21]
	v_cndmask_b32_e64 v41, v41, v54, s[22:23]
	v_cndmask_b32_e64 v42, v42, v54, s[42:43]
	v_cndmask_b32_e64 v43, v43, v54, s[28:29]
	v_cndmask_b32_e64 v44, v44, v54, s[30:31]
	v_cndmask_b32_e64 v45, v45, v54, s[34:35]
	v_cndmask_b32_e64 v46, v46, v54, s[36:37]
	v_cndmask_b32_e64 v54, v17, v47, s[6:7]
	v_cmp_eq_u32_e64 s[14:15], 2, v79
	s_waitcnt lgkmcnt(1)
	v_cndmask_b32_e64 v4, v4, v32, s[70:71]
	s_waitcnt lgkmcnt(0)
	v_cndmask_b32_e64 v1, v1, v5, s[70:71]
	v_cndmask_b32_e64 v16, v16, v32, s[40:41]
	;; [unrolled: 1-line block ×8, first 2 shown]
	v_cmp_eq_u32_e64 s[18:19], 3, v79
	v_cndmask_b32_e64 v29, v29, v32, s[44:45]
	v_cndmask_b32_e64 v13, v13, v5, s[44:45]
	;; [unrolled: 1-line block ×27, first 2 shown]
	v_cmp_eq_u32_e64 s[24:25], 4, v79
	v_cndmask_b32_e64 v32, v32, v18, s[36:37]
	v_cndmask_b32_e64 v5, v5, v2, s[36:37]
	v_cndmask_b32_e64 v54, v54, v44, s[24:25]
	v_cmp_eq_u32_e64 s[38:39], 5, v79
	v_cndmask_b32_e64 v32, v32, v19, s[34:35]
	v_cndmask_b32_e64 v5, v5, v3, s[34:35]
	v_cndmask_b32_e64 v54, v54, v43, s[38:39]
	;; [unrolled: 4-line block ×12, first 2 shown]
	v_cndmask_b32_e64 v32, v32, v30, s[10:11]
	v_cndmask_b32_e64 v5, v5, v14, s[10:11]
	ds_bpermute_b32 v54, v90, v54
	v_cndmask_b32_e64 v32, v32, v31, s[8:9]
	v_cndmask_b32_e64 v5, v5, v15, s[8:9]
	ds_bpermute_b32 v32, v90, v32
	ds_bpermute_b32 v5, v90, v5
	v_cmp_eq_u32_e64 s[50:51], 0, v79
	s_waitcnt lgkmcnt(2)
	v_cndmask_b32_e64 v47, v47, v54, s[6:7]
	v_cmp_eq_u32_e32 vcc, 1, v80
	v_cndmask_b32_e64 v17, v17, v54, s[50:51]
	v_cndmask_b32_e64 v33, v33, v54, s[88:89]
	v_cndmask_b32_e64 v34, v34, v54, s[86:87]
	v_cndmask_b32_e64 v35, v35, v54, s[84:85]
	v_cndmask_b32_e64 v36, v36, v54, s[82:83]
	v_cndmask_b32_e64 v37, v37, v54, s[78:79]
	v_cndmask_b32_e64 v38, v38, v54, s[72:73]
	v_cndmask_b32_e64 v39, v39, v54, s[68:69]
	v_cndmask_b32_e64 v40, v40, v54, s[48:49]
	v_cndmask_b32_e64 v41, v41, v54, s[52:53]
	v_cndmask_b32_e64 v42, v42, v54, s[44:45]
	v_cndmask_b32_e64 v43, v43, v54, s[38:39]
	v_cndmask_b32_e64 v44, v44, v54, s[24:25]
	v_cndmask_b32_e64 v45, v45, v54, s[18:19]
	v_cndmask_b32_e64 v46, v46, v54, s[14:15]
	v_cndmask_b32_e32 v54, v17, v47, vcc
	s_waitcnt lgkmcnt(1)
	v_cndmask_b32_e64 v31, v31, v32, s[8:9]
	s_waitcnt lgkmcnt(0)
	v_cndmask_b32_e64 v15, v15, v5, s[8:9]
	v_cmp_eq_u32_e64 s[8:9], 2, v80
	v_cndmask_b32_e64 v30, v30, v32, s[10:11]
	v_cndmask_b32_e64 v14, v14, v5, s[10:11]
	v_cndmask_b32_e64 v54, v54, v46, s[8:9]
	v_cmp_eq_u32_e64 s[10:11], 3, v80
	v_cndmask_b32_e64 v29, v29, v32, s[12:13]
	v_cndmask_b32_e64 v13, v13, v5, s[12:13]
	;; [unrolled: 1-line block ×3, first 2 shown]
	v_cmp_eq_u32_e64 s[12:13], 4, v80
	v_cmp_eq_u32_e64 s[40:41], 5, v80
	v_cndmask_b32_e64 v27, v27, v32, s[46:47]
	v_cndmask_b32_e64 v54, v54, v44, s[12:13]
	;; [unrolled: 1-line block ×4, first 2 shown]
	v_cmp_eq_u32_e64 s[46:47], 6, v80
	v_cmp_eq_u32_e64 s[54:55], 7, v80
	v_cndmask_b32_e64 v59, v1, v5, s[26:27]
	v_cndmask_b32_e64 v54, v54, v42, s[46:47]
	;; [unrolled: 1-line block ×4, first 2 shown]
	v_cmp_eq_u32_e64 s[56:57], 8, v80
	v_cndmask_b32_e64 v2, v2, v5, s[36:37]
	v_cndmask_b32_e64 v0, v61, v59, s[6:7]
	;; [unrolled: 1-line block ×7, first 2 shown]
	v_cmp_eq_u32_e64 s[58:59], 9, v80
	v_cndmask_b32_e64 v23, v23, v32, s[22:23]
	v_cndmask_b32_e64 v22, v22, v32, s[42:43]
	;; [unrolled: 1-line block ×11, first 2 shown]
	v_cmp_eq_u32_e64 s[60:61], 10, v80
	v_cndmask_b32_e64 v57, v57, v5, s[30:31]
	v_cndmask_b32_e64 v1, v32, v58, s[6:7]
	;; [unrolled: 1-line block ×4, first 2 shown]
	v_cmp_eq_u32_e64 s[62:63], 11, v80
	v_cndmask_b32_e64 v55, v55, v5, s[28:29]
	v_cndmask_b32_e64 v1, v1, v18, s[14:15]
	;; [unrolled: 1-line block ×5, first 2 shown]
	v_cmp_eq_u32_e64 s[64:65], 12, v80
	v_cndmask_b32_e64 v1, v1, v19, s[18:19]
	v_cndmask_b32_e64 v0, v0, v55, s[38:39]
	v_cndmask_b32_e64 v7, v7, v5, s[22:23]
	v_cndmask_b32_e64 v54, v54, v36, s[64:65]
	v_cmp_eq_u32_e64 s[66:67], 13, v80
	v_cndmask_b32_e64 v1, v1, v20, s[24:25]
	v_cndmask_b32_e64 v0, v0, v6, s[44:45]
	v_cndmask_b32_e64 v8, v8, v5, s[20:21]
	v_cndmask_b32_e64 v54, v54, v35, s[66:67]
	;; [unrolled: 5-line block ×4, first 2 shown]
	v_cndmask_b32_e64 v1, v1, v23, s[52:53]
	v_cndmask_b32_e64 v0, v0, v9, s[68:69]
	ds_bpermute_b32 v54, v90, v54
	v_cndmask_b32_e64 v1, v1, v24, s[48:49]
	v_cndmask_b32_e64 v0, v0, v10, s[72:73]
	v_cndmask_b32_e64 v12, v12, v5, s[80:81]
	v_cndmask_b32_e64 v1, v1, v25, s[68:69]
	v_cndmask_b32_e64 v0, v0, v11, s[78:79]
	v_cndmask_b32_e64 v1, v1, v26, s[72:73]
	v_cndmask_b32_e64 v0, v0, v12, s[82:83]
	v_cndmask_b32_e64 v1, v1, v27, s[78:79]
	v_cndmask_b32_e64 v0, v0, v13, s[84:85]
	v_cmp_eq_u32_e64 s[20:21], 0, v80
	v_cndmask_b32_e64 v1, v1, v28, s[82:83]
	v_cndmask_b32_e64 v0, v0, v14, s[86:87]
	s_waitcnt lgkmcnt(0)
	v_cndmask_b32_e32 v47, v47, v54, vcc
	v_cndmask_b32_e64 v1, v1, v29, s[84:85]
	v_cndmask_b32_e64 v0, v0, v15, s[88:89]
	;; [unrolled: 1-line block ×3, first 2 shown]
	v_cmp_eq_u32_e64 s[16:17], 1, v81
	v_cndmask_b32_e64 v46, v46, v54, s[8:9]
	v_cndmask_b32_e64 v1, v1, v30, s[86:87]
	ds_bpermute_b32 v62, v90, v0
	v_cndmask_b32_e64 v0, v17, v47, s[16:17]
	v_cmp_eq_u32_e64 s[22:23], 2, v81
	v_cndmask_b32_e64 v45, v45, v54, s[10:11]
	v_cndmask_b32_e64 v1, v1, v31, s[88:89]
	;; [unrolled: 1-line block ×3, first 2 shown]
	v_cmp_eq_u32_e64 s[26:27], 3, v81
	v_cndmask_b32_e64 v44, v44, v54, s[12:13]
	ds_bpermute_b32 v60, v90, v1
	v_cndmask_b32_e64 v0, v0, v45, s[26:27]
	v_cmp_eq_u32_e64 s[28:29], 4, v81
	v_cndmask_b32_e64 v43, v43, v54, s[40:41]
	v_cmp_eq_u32_e64 s[30:31], 5, v81
	v_cndmask_b32_e64 v0, v0, v44, s[28:29]
	v_cndmask_b32_e64 v42, v42, v54, s[46:47]
	v_cndmask_b32_e64 v0, v0, v43, s[30:31]
	v_cmp_eq_u32_e64 s[34:35], 6, v81
	v_cndmask_b32_e64 v41, v41, v54, s[54:55]
	v_cmp_eq_u32_e64 s[36:37], 7, v81
	v_cndmask_b32_e64 v0, v0, v42, s[34:35]
	v_cndmask_b32_e64 v40, v40, v54, s[56:57]
	v_cndmask_b32_e64 v0, v0, v41, s[36:37]
	v_cmp_eq_u32_e64 s[42:43], 8, v81
	v_cndmask_b32_e64 v39, v39, v54, s[58:59]
	s_waitcnt lgkmcnt(0)
	v_cndmask_b32_e64 v24, v24, v60, s[48:49]
	v_cndmask_b32_e64 v0, v0, v40, s[42:43]
	;; [unrolled: 1-line block ×3, first 2 shown]
	v_cmp_eq_u32_e64 s[48:49], 9, v81
	v_cndmask_b32_e64 v38, v38, v54, s[60:61]
	v_cndmask_b32_e64 v23, v23, v60, s[52:53]
	;; [unrolled: 1-line block ×4, first 2 shown]
	v_cmp_eq_u32_e64 s[52:53], 10, v81
	v_cndmask_b32_e64 v33, v33, v54, s[74:75]
	v_cndmask_b32_e64 v34, v34, v54, s[70:71]
	;; [unrolled: 1-line block ×8, first 2 shown]
	v_cmp_eq_u32_e64 s[44:45], 11, v81
	v_cndmask_b32_e64 v21, v21, v60, s[38:39]
	v_cndmask_b32_e64 v55, v55, v62, s[38:39]
	v_cndmask_b32_e64 v0, v0, v37, s[44:45]
	v_cmp_eq_u32_e64 s[38:39], 12, v81
	v_cndmask_b32_e64 v20, v20, v60, s[24:25]
	v_cndmask_b32_e64 v57, v57, v62, s[24:25]
	v_cndmask_b32_e64 v0, v0, v36, s[38:39]
	;; [unrolled: 4-line block ×5, first 2 shown]
	ds_bpermute_b32 v18, v90, v0
	v_cndmask_b32_e64 v9, v9, v62, s[68:69]
	v_cndmask_b32_e64 v26, v26, v60, s[72:73]
	;; [unrolled: 1-line block ×4, first 2 shown]
	s_waitcnt lgkmcnt(0)
	v_cndmask_b32_e64 v1, v43, v18, s[30:31]
	v_cndmask_b32_e64 v2, v44, v18, s[28:29]
	;; [unrolled: 1-line block ×8, first 2 shown]
	v_cndmask_b32_e32 v45, v32, v43, vcc
	v_cndmask_b32_e32 v47, v46, v44, vcc
	v_cndmask_b32_e64 v45, v45, v5, s[8:9]
	v_cndmask_b32_e64 v47, v47, v6, s[8:9]
	;; [unrolled: 1-line block ×37, first 2 shown]
	ds_bpermute_b32 v45, v90, v45
	ds_bpermute_b32 v47, v90, v47
	v_cmp_eq_u32_e64 s[6:7], 0, v81
	v_cndmask_b32_e64 v33, v33, v18, s[14:15]
	v_cndmask_b32_e64 v34, v34, v18, s[18:19]
	;; [unrolled: 1-line block ×11, first 2 shown]
	v_cmp_eq_u32_e64 s[50:51], 1, v82
	v_cmp_eq_u32_e64 s[68:69], 2, v82
	s_waitcnt lgkmcnt(0)
	v_cndmask_b32_e64 v17, v15, v47, s[74:75]
	v_cndmask_b32_e64 v58, v18, v0, s[50:51]
	;; [unrolled: 1-line block ×5, first 2 shown]
	v_cmp_eq_u32_e64 s[70:71], 3, v82
	v_cndmask_b32_e64 v29, v29, v45, s[66:67]
	v_cndmask_b32_e64 v59, v13, v47, s[66:67]
	v_cndmask_b32_e64 v14, v15, v3, s[70:71]
	v_cmp_eq_u32_e64 s[66:67], 4, v82
	v_cndmask_b32_e64 v28, v28, v45, s[64:65]
	v_cndmask_b32_e64 v60, v12, v47, s[64:65]
	v_cndmask_b32_e64 v13, v14, v2, s[66:67]
	;; [unrolled: 4-line block ×12, first 2 shown]
	v_cmp_eq_u32_e64 s[8:9], 15, v82
	v_cndmask_b32_e32 v43, v43, v45, vcc
	v_cndmask_b32_e64 v32, v32, v45, s[20:21]
	v_cndmask_b32_e64 v4, v4, v33, s[8:9]
	ds_bpermute_b32 v69, v90, v4
	v_cndmask_b32_e64 v4, v32, v43, s[16:17]
	v_cndmask_b32_e64 v4, v4, v67, s[22:23]
	;; [unrolled: 1-line block ×16, first 2 shown]
	s_waitcnt lgkmcnt(0)
	v_cndmask_b32_e64 v15, v33, v69, s[8:9]
	ds_bpermute_b32 v33, v90, v4
	v_cndmask_b32_e64 v13, v35, v69, s[12:13]
	v_cndmask_b32_e64 v14, v34, v69, s[10:11]
	;; [unrolled: 1-line block ×4, first 2 shown]
	s_waitcnt lgkmcnt(0)
	v_cndmask_b32_e64 v35, v43, v33, s[16:17]
	v_cndmask_b32_e64 v32, v32, v33, s[6:7]
	v_cndmask_b32_e64 v34, v67, v33, s[22:23]
	v_cndmask_b32_e64 v1, v32, v35, s[50:51]
	v_cndmask_b32_e64 v19, v19, v33, s[26:27]
	v_cndmask_b32_e64 v1, v1, v34, s[68:69]
	v_cndmask_b32_e64 v20, v20, v33, s[28:29]
	v_cndmask_b32_e64 v1, v1, v19, s[70:71]
	v_cndmask_b32_e64 v21, v21, v33, s[30:31]
	v_cndmask_b32_e64 v1, v1, v20, s[66:67]
	v_cndmask_b32_e64 v22, v22, v33, s[34:35]
	v_cndmask_b32_e64 v1, v1, v21, s[64:65]
	v_cndmask_b32_e64 v23, v23, v33, s[36:37]
	v_cndmask_b32_e64 v1, v1, v22, s[62:63]
	v_cndmask_b32_e64 v24, v24, v33, s[42:43]
	v_cndmask_b32_e64 v1, v1, v23, s[60:61]
	v_cndmask_b32_e64 v25, v25, v33, s[48:49]
	v_cndmask_b32_e64 v1, v1, v24, s[58:59]
	v_cndmask_b32_e64 v26, v26, v33, s[52:53]
	v_cndmask_b32_e64 v1, v1, v25, s[56:57]
	v_cndmask_b32_e64 v27, v27, v33, s[44:45]
	v_cndmask_b32_e64 v1, v1, v26, s[54:55]
	v_cndmask_b32_e64 v28, v28, v33, s[38:39]
	v_cndmask_b32_e64 v1, v1, v27, s[46:47]
	v_cndmask_b32_e64 v29, v29, v33, s[24:25]
	v_cndmask_b32_e64 v1, v1, v28, s[40:41]
	v_cndmask_b32_e64 v30, v30, v33, s[18:19]
	v_cndmask_b32_e64 v1, v1, v29, s[12:13]
	v_cndmask_b32_e64 v2, v16, v69, s[68:69]
	v_cndmask_b32_e64 v16, v31, v33, s[14:15]
	v_cndmask_b32_e64 v1, v1, v30, s[10:11]
	v_cndmask_b32_e64 v1, v1, v16, s[8:9]
	ds_bpermute_b32 v33, v90, v1
	v_cndmask_b32_e32 v44, v44, v47, vcc
	v_cndmask_b32_e64 v12, v36, v69, s[40:41]
	v_cndmask_b32_e64 v36, v46, v47, s[20:21]
	v_cndmask_b32_e64 v10, v38, v69, s[54:55]
	s_waitcnt lgkmcnt(0)
	v_cndmask_b32_e64 v31, v16, v33, s[8:9]
	v_cndmask_b32_e64 v16, v36, v44, s[16:17]
	;; [unrolled: 1-line block ×16, first 2 shown]
	ds_bpermute_b32 v16, v90, v16
	v_cndmask_b32_e64 v9, v39, v69, s[56:57]
	v_cndmask_b32_e64 v11, v37, v69, s[46:47]
	;; [unrolled: 1-line block ×4, first 2 shown]
	s_waitcnt lgkmcnt(0)
	v_cndmask_b32_e64 v38, v58, v16, s[18:19]
	v_cndmask_b32_e64 v39, v59, v16, s[24:25]
	;; [unrolled: 1-line block ×32, first 2 shown]
	ds_bpermute_b32 v65, v90, v16
	v_readlane_b32 s6, v101, 29
	v_cmp_eq_u32_e32 vcc, 0, v82
	v_readlane_b32 s7, v101, 30
	v_readlane_b32 s24, v101, 10
	;; [unrolled: 1-line block ×4, first 2 shown]
	v_subrev_u32_e32 v91, s4, v91
	s_mov_b32 s1, 0
	v_cndmask_b32_e64 v3, v3, v69, s[70:71]
	v_cndmask_b32_e64 v1, v0, v69, s[50:51]
	v_cndmask_b32_e32 v0, v18, v69, vcc
	v_cndmask_b32_e64 v30, v30, v33, s[10:11]
	v_cndmask_b32_e64 v29, v29, v33, s[12:13]
	;; [unrolled: 1-line block ×14, first 2 shown]
	v_cndmask_b32_e32 v16, v32, v33, vcc
	s_waitcnt lgkmcnt(0)
	v_cndmask_b32_e64 v47, v37, v65, s[8:9]
	v_cndmask_b32_e64 v46, v38, v65, s[10:11]
	;; [unrolled: 1-line block ×15, first 2 shown]
	v_cndmask_b32_e32 v32, v64, v65, vcc
	v_lshl_add_u64 v[54:55], s[6:7], 0, v[48:49]
	s_mov_b64 s[6:7], 0
	s_mov_b32 s16, 0
	v_readlane_b32 s25, v101, 11
	v_readlane_b32 s27, v101, 13
	;; [unrolled: 1-line block ×10, first 2 shown]
	s_mov_b64 s[20:21], 0x80
                                        ; implicit-def: $sgpr8_sgpr9
	s_branch .LBB187_29
.LBB187_27:                             ;   in Loop: Header=BB187_29 Depth=2
	s_or_b64 exec, exec, s[12:13]
	s_andn2_b64 s[8:9], s[8:9], exec
	s_and_b64 s[12:13], s[14:15], exec
	s_or_b64 s[8:9], s[8:9], s[12:13]
.LBB187_28:                             ;   in Loop: Header=BB187_29 Depth=2
	s_or_b64 exec, exec, s[10:11]
	s_and_b64 s[10:11], exec, s[8:9]
	s_or_b64 s[6:7], s[10:11], s[6:7]
	s_andn2_b64 exec, exec, s[6:7]
	s_cbranch_execz .LBB187_32
.LBB187_29:                             ;   Parent Loop BB187_7 Depth=1
                                        ; =>  This Inner Loop Header: Depth=2
	s_and_b32 s12, s1, 24
	v_or_b32_e32 v57, s12, v88
	v_add_u32_e32 v58, s5, v57
	v_cmp_gt_u32_e32 vcc, 32, v58
	s_or_b64 s[8:9], s[8:9], exec
	s_and_saveexec_b64 s[10:11], vcc
	s_cbranch_execz .LBB187_28
; %bb.30:                               ;   in Loop: Header=BB187_29 Depth=2
	s_add_i32 s13, s16, 1
	s_set_gpr_idx_on s16, gpr_idx(SRC0)
	v_mov_b32_e32 v58, v0
	s_set_gpr_idx_off
	v_cvt_f16_f32_e32 v60, v58
	s_set_gpr_idx_on s13, gpr_idx(SRC0)
	v_mov_b32_e32 v58, v0
	s_set_gpr_idx_off
	v_cvt_f16_f32_sdwa v61, v58 dst_sel:WORD_1 dst_unused:UNUSED_PAD src0_sel:DWORD
	v_mul_lo_u32 v58, v57, s93
	v_ashrrev_i32_e32 v59, 31, v58
	v_lshl_add_u64 v[58:59], v[58:59], 1, v[54:55]
	v_or_b32_e32 v57, v61, v60
	;;#ASMSTART
	global_atomic_pk_add_f16 v[58:59], v57, off
	
	;;#ASMEND
	s_set_gpr_idx_on s16, gpr_idx(SRC0)
	v_mov_b32_e32 v57, v16
	s_set_gpr_idx_off
	v_cvt_f16_f32_e32 v57, v57
	s_set_gpr_idx_on s13, gpr_idx(SRC0)
	v_mov_b32_e32 v60, v16
	s_set_gpr_idx_off
	v_cvt_f16_f32_sdwa v62, v60 dst_sel:WORD_1 dst_unused:UNUSED_PAD src0_sel:DWORD
	v_lshl_add_u64 v[60:61], v[58:59], 0, 64
	v_lshl_add_u64 v[58:59], v[58:59], 0, s[20:21]
	s_mov_b64 s[14:15], -1
	v_or_b32_e32 v57, v62, v57
	;;#ASMSTART
	global_atomic_pk_add_f16 v[60:61], v57, off
	
	;;#ASMEND
	s_set_gpr_idx_on s16, gpr_idx(SRC0)
	v_mov_b32_e32 v57, v32
	s_set_gpr_idx_off
	v_cvt_f16_f32_e32 v57, v57
	s_set_gpr_idx_on s13, gpr_idx(SRC0)
	v_mov_b32_e32 v60, v32
	s_set_gpr_idx_off
	v_cvt_f16_f32_sdwa v60, v60 dst_sel:WORD_1 dst_unused:UNUSED_PAD src0_sel:DWORD
	s_nop 0
	v_or_b32_e32 v57, v60, v57
	;;#ASMSTART
	global_atomic_pk_add_f16 v[58:59], v57, off
	
	;;#ASMEND
	v_or_b32_e32 v57, s12, v89
	v_add_u32_e32 v58, s5, v57
	v_cmp_gt_u32_e32 vcc, 32, v58
	s_and_saveexec_b64 s[12:13], vcc
	s_cbranch_execz .LBB187_27
; %bb.31:                               ;   in Loop: Header=BB187_29 Depth=2
	s_add_i32 s14, s16, 2
	s_add_i32 s15, s16, 3
	s_set_gpr_idx_on s14, gpr_idx(SRC0)
	v_mov_b32_e32 v58, v0
	s_set_gpr_idx_off
	v_cvt_f16_f32_e32 v60, v58
	s_set_gpr_idx_on s15, gpr_idx(SRC0)
	v_mov_b32_e32 v58, v0
	s_set_gpr_idx_off
	v_cvt_f16_f32_sdwa v61, v58 dst_sel:WORD_1 dst_unused:UNUSED_PAD src0_sel:DWORD
	v_mul_lo_u32 v58, v57, s93
	v_ashrrev_i32_e32 v59, 31, v58
	v_lshl_add_u64 v[58:59], v[58:59], 1, v[54:55]
	v_or_b32_e32 v57, v61, v60
	;;#ASMSTART
	global_atomic_pk_add_f16 v[58:59], v57, off
	
	;;#ASMEND
	s_set_gpr_idx_on s14, gpr_idx(SRC0)
	v_mov_b32_e32 v57, v16
	s_set_gpr_idx_off
	v_cvt_f16_f32_e32 v57, v57
	s_set_gpr_idx_on s15, gpr_idx(SRC0)
	v_mov_b32_e32 v60, v16
	s_set_gpr_idx_off
	v_cvt_f16_f32_sdwa v62, v60 dst_sel:WORD_1 dst_unused:UNUSED_PAD src0_sel:DWORD
	v_lshl_add_u64 v[60:61], v[58:59], 0, 64
	s_add_i32 s16, s16, 4
	s_add_i32 s1, s1, 8
	v_or_b32_e32 v57, v62, v57
	;;#ASMSTART
	global_atomic_pk_add_f16 v[60:61], v57, off
	
	;;#ASMEND
	s_set_gpr_idx_on s14, gpr_idx(SRC0)
	v_mov_b32_e32 v57, v32
	s_set_gpr_idx_off
	v_cvt_f16_f32_e32 v57, v57
	s_set_gpr_idx_on s15, gpr_idx(SRC0)
	v_mov_b32_e32 v60, v32
	s_set_gpr_idx_off
	v_cvt_f16_f32_sdwa v60, v60 dst_sel:WORD_1 dst_unused:UNUSED_PAD src0_sel:DWORD
	s_cmp_eq_u32 s16, 16
	s_cselect_b64 s[14:15], -1, 0
	s_orn2_b64 s[14:15], s[14:15], exec
	v_lshl_add_u64 v[58:59], v[58:59], 0, s[20:21]
	v_or_b32_e32 v57, v60, v57
	;;#ASMSTART
	global_atomic_pk_add_f16 v[58:59], v57, off
	
	;;#ASMEND
	s_branch .LBB187_27
.LBB187_32:                             ;   in Loop: Header=BB187_7 Depth=1
	s_or_b64 exec, exec, s[6:7]
	v_readlane_b32 s16, v101, 2
	v_readlane_b32 s14, v101, 0
	;; [unrolled: 1-line block ×11, first 2 shown]
.LBB187_33:                             ;   in Loop: Header=BB187_7 Depth=1
	v_readlane_b32 s6, v101, 26
	v_readlane_b32 s7, v101, 27
	s_or_b64 exec, exec, s[6:7]
.LBB187_34:                             ;   in Loop: Header=BB187_7 Depth=1
	s_or_saveexec_b64 s[2:3], s[2:3]
	v_readlane_b32 s13, v101, 25
	s_xor_b64 exec, exec, s[2:3]
	s_cbranch_execz .LBB187_43
; %bb.35:                               ;   in Loop: Header=BB187_7 Depth=1
	s_mul_i32 s12, s4, 3
	v_cmp_gt_i32_e32 vcc, s12, v91
	s_and_saveexec_b64 s[6:7], vcc
	s_cbranch_execz .LBB187_42
; %bb.36:                               ;   in Loop: Header=BB187_7 Depth=1
	s_mul_i32 s0, s0, s95
	s_ashr_i32 s1, s0, 31
	s_add_u32 s0, s18, s0
	s_addc_u32 s1, s19, s1
	s_ashr_i32 s8, s13, 31
	s_add_u32 s0, s0, s13
	s_addc_u32 s1, s1, s8
	v_lshl_add_u64 v[0:1], s[0:1], 0, v[52:53]
	v_lshl_add_u64 v[16:17], v[0:1], 0, v[50:51]
	s_mov_b64 s[0:1], 0
	s_branch .LBB187_38
.LBB187_37:                             ;   in Loop: Header=BB187_38 Depth=2
	s_or_b64 exec, exec, s[8:9]
	v_lshl_or_b32 v20, v18, 12, v85
	;;#ASMSTART
	s_waitcnt vmcnt(3)
	;;#ASMEND
	ds_write2_b32 v20, v12, v13 offset1:32
	ds_write2_b32 v20, v14, v15 offset0:64 offset1:96
	v_add_u32_e32 v12, 0x400, v20
	;;#ASMSTART
	s_waitcnt vmcnt(2)
	;;#ASMEND
	ds_write2_b32 v12, v8, v9 offset1:32
	ds_write2_b32 v12, v10, v11 offset0:64 offset1:96
	v_add_u32_e32 v8, 0x800, v20
	;;#ASMSTART
	s_waitcnt vmcnt(1)
	;;#ASMEND
	ds_write2_b32 v8, v4, v5 offset1:32
	ds_write2_b32 v8, v6, v7 offset0:64 offset1:96
	v_add_u32_e32 v4, 0xc00, v20
	v_add_u32_e32 v91, s98, v91
	;;#ASMSTART
	s_waitcnt vmcnt(0)
	;;#ASMEND
	ds_write2_b32 v4, v0, v1 offset1:32
	ds_write2_b32 v4, v2, v3 offset0:64 offset1:96
	v_add_u32_e32 v0, 1, v71
	v_add_u32_e32 v56, s98, v18
	v_cmp_le_i32_e32 vcc, s12, v91
	ds_write_b32 v19, v0 offset:8
	v_add_u32_e32 v0, 2, v71
	s_or_b64 s[0:1], vcc, s[0:1]
	v_cmp_lt_i32_e32 vcc, 2, v56
	s_nop 1
	v_cndmask_b32_e32 v71, v71, v0, vcc
	s_andn2_b64 exec, exec, s[0:1]
	s_cbranch_execz .LBB187_41
.LBB187_38:                             ;   Parent Loop BB187_7 Depth=1
                                        ; =>  This Loop Header: Depth=2
                                        ;       Child Loop BB187_40 Depth 3
	v_cmp_gt_i32_e32 vcc, 3, v56
	s_mov_b32 s8, 0x55555556
	s_nop 0
	v_cndmask_b32_e64 v0, -3, 0, vcc
	v_add_u32_e32 v18, v0, v56
	v_mul_hi_i32 v0, v91, s8
	v_lshrrev_b32_e32 v1, 31, v0
	v_add_u32_e32 v0, v0, v1
	v_lshl_add_u32 v1, v0, 1, v0
	v_sub_u32_e32 v2, v91, v1
	v_lshlrev_b32_e32 v0, 7, v0
	v_ashrrev_i32_e32 v1, 31, v0
	v_mul_lo_u32 v2, s91, v2
	v_lshl_add_u64 v[0:1], v[16:17], 0, v[0:1]
	v_ashrrev_i32_e32 v3, 31, v2
	v_lshl_add_u64 v[0:1], v[0:1], 0, v[2:3]
	v_lshlrev_b32_e32 v19, 2, v18
	;;#ASMSTART
	global_load_dwordx4 v[12:15], v[0:1], off offset:0   sc0 sc1 nt  
	global_load_dwordx4 v[8:11], v[0:1], off offset:32  sc0 sc1 nt  
	global_load_dwordx4 v[4:7], v[0:1], off offset:64  sc0 sc1 nt  
	;; [unrolled: 1-line block ×3, first 2 shown]
	
	;;#ASMEND
	ds_read_b32 v20, v19 offset:20488
	v_add_u32_e32 v19, 0x5000, v19
	s_waitcnt lgkmcnt(0)
	v_cmp_ne_u32_e32 vcc, v20, v71
	s_and_saveexec_b64 s[8:9], vcc
	s_cbranch_execz .LBB187_37
; %bb.39:                               ;   in Loop: Header=BB187_38 Depth=2
	s_mov_b64 s[10:11], 0
.LBB187_40:                             ;   Parent Loop BB187_7 Depth=1
                                        ;     Parent Loop BB187_38 Depth=2
                                        ; =>    This Inner Loop Header: Depth=3
	;;#ASMSTART
	s_sleep 0
	;;#ASMEND
	ds_read_b32 v20, v19 offset:8
	s_waitcnt lgkmcnt(0)
	v_cmp_eq_u32_e32 vcc, v20, v71
	s_or_b64 s[10:11], vcc, s[10:11]
	s_andn2_b64 exec, exec, s[10:11]
	s_cbranch_execnz .LBB187_40
	s_branch .LBB187_37
.LBB187_41:                             ;   in Loop: Header=BB187_7 Depth=1
	s_or_b64 exec, exec, s[0:1]
.LBB187_42:                             ;   in Loop: Header=BB187_7 Depth=1
	s_or_b64 exec, exec, s[6:7]
	v_subrev_u32_e32 v91, s12, v91
.LBB187_43:                             ;   in Loop: Header=BB187_7 Depth=1
	s_or_b64 exec, exec, s[2:3]
.LBB187_44:                             ;   in Loop: Header=BB187_7 Depth=1
	v_readlane_b32 s0, v101, 23
	v_readlane_b32 s1, v101, 24
	s_andn2_saveexec_b64 s[0:1], s[0:1]
	s_cbranch_execz .LBB187_6
; %bb.45:                               ;   in Loop: Header=BB187_7 Depth=1
	s_lshl_b32 s10, s4, 1
	v_cmp_gt_i32_e32 vcc, s10, v91
	s_and_saveexec_b64 s[2:3], vcc
	s_cbranch_execz .LBB187_5
; %bb.46:                               ;   in Loop: Header=BB187_7 Depth=1
	s_mul_i32 s4, s39, s94
	s_ashr_i32 s6, s4, 31
	s_add_u32 s4, s16, s4
	v_add_u32_e32 v2, s5, v72
	s_addc_u32 s7, s17, s6
	s_ashr_i32 s8, s13, 31
	v_cmp_gt_u32_e32 vcc, 64, v2
	s_add_u32 s6, s4, s13
	s_addc_u32 s7, s7, s8
	v_cndmask_b32_e32 v0, 0, v86, vcc
	v_ashrrev_i32_e32 v1, 31, v0
	v_lshl_add_u64 v[0:1], s[6:7], 0, v[0:1]
	v_lshl_add_u64 v[16:17], v[0:1], 0, v[50:51]
	v_sub_u32_e32 v18, 63, v2
	s_mov_b64 s[4:5], 0
	s_branch .LBB187_48
.LBB187_47:                             ;   in Loop: Header=BB187_48 Depth=2
	s_or_b64 exec, exec, s[6:7]
	v_lshl_add_u32 v21, v19, 12, v87
	;;#ASMSTART
	s_waitcnt vmcnt(3)
	;;#ASMEND
	ds_write2_b32 v21, v12, v13 offset1:32
	ds_write2_b32 v21, v14, v15 offset0:64 offset1:96
	v_add_u32_e32 v12, 0x400, v21
	;;#ASMSTART
	s_waitcnt vmcnt(2)
	;;#ASMEND
	ds_write2_b32 v12, v8, v9 offset1:32
	ds_write2_b32 v12, v10, v11 offset0:64 offset1:96
	v_add_u32_e32 v8, 0x800, v21
	;; [unrolled: 6-line block ×3, first 2 shown]
	v_add_u32_e32 v91, s97, v91
	;;#ASMSTART
	s_waitcnt vmcnt(0)
	;;#ASMEND
	ds_write2_b32 v4, v0, v1 offset1:32
	ds_write2_b32 v4, v2, v3 offset0:64 offset1:96
	v_add_u32_e32 v0, 1, v71
	v_add_u32_e32 v56, s97, v19
	v_cmp_le_i32_e32 vcc, s10, v91
	ds_write_b32 v20, v0
	v_add_u32_e32 v0, 2, v71
	s_or_b64 s[4:5], vcc, s[4:5]
	v_cmp_lt_i32_e32 vcc, 1, v56
	s_nop 1
	v_cndmask_b32_e32 v71, v71, v0, vcc
	s_andn2_b64 exec, exec, s[4:5]
	s_cbranch_execz .LBB187_4
.LBB187_48:                             ;   Parent Loop BB187_7 Depth=1
                                        ; =>  This Loop Header: Depth=2
                                        ;       Child Loop BB187_50 Depth 3
	v_cmp_gt_i32_e32 vcc, 2, v56
	s_nop 1
	v_cndmask_b32_e64 v0, -2, 0, vcc
	v_add_u32_e32 v19, v0, v56
	v_lshrrev_b32_e32 v0, 31, v91
	v_add_u32_e32 v0, v91, v0
	v_and_b32_e32 v1, 0x7fffffe, v0
	v_sub_u32_e32 v1, v91, v1
	v_lshlrev_b32_e32 v1, 5, v1
	v_cmp_le_i32_e32 vcc, v1, v18
	v_lshlrev_b32_e32 v0, 6, v0
	v_and_b32_e32 v0, 0xffffff80, v0
	v_cndmask_b32_e32 v2, 0, v1, vcc
	v_ashrrev_i32_e32 v1, 31, v0
	v_mul_lo_u32 v2, v2, s94
	v_lshl_add_u64 v[0:1], v[16:17], 0, v[0:1]
	v_ashrrev_i32_e32 v3, 31, v2
	v_lshl_add_u64 v[0:1], v[0:1], 0, v[2:3]
	v_lshlrev_b32_e32 v20, 2, v19
	;;#ASMSTART
	global_load_dwordx4 v[12:15], v[0:1], off offset:0   
	global_load_dwordx4 v[8:11], v[0:1], off offset:32  
	;; [unrolled: 1-line block ×4, first 2 shown]
	
	;;#ASMEND
	ds_read_b32 v21, v20 offset:20480
	v_add_u32_e32 v20, 0x5000, v20
	s_waitcnt lgkmcnt(0)
	v_cmp_ne_u32_e32 vcc, v21, v71
	s_and_saveexec_b64 s[6:7], vcc
	s_cbranch_execz .LBB187_47
; %bb.49:                               ;   in Loop: Header=BB187_48 Depth=2
	s_mov_b64 s[8:9], 0
.LBB187_50:                             ;   Parent Loop BB187_7 Depth=1
                                        ;     Parent Loop BB187_48 Depth=2
                                        ; =>    This Inner Loop Header: Depth=3
	;;#ASMSTART
	s_sleep 0
	;;#ASMEND
	ds_read_b32 v21, v20
	s_waitcnt lgkmcnt(0)
	v_cmp_eq_u32_e32 vcc, v21, v71
	s_or_b64 s[8:9], vcc, s[8:9]
	s_andn2_b64 exec, exec, s[8:9]
	s_cbranch_execnz .LBB187_50
	s_branch .LBB187_47
.LBB187_51:
	s_endpgm
	.section	.rodata,"a",@progbits
	.p2align	6, 0x0
	.amdhsa_kernel _Z19_skinny_gemm_kernelILi2ELi3ELi1ELi32ELi8EEvPKhS1_P6__halfPKfiiiiiiii
		.amdhsa_group_segment_fixed_size 20500
		.amdhsa_private_segment_fixed_size 0
		.amdhsa_kernarg_size 64
		.amdhsa_user_sgpr_count 2
		.amdhsa_user_sgpr_dispatch_ptr 0
		.amdhsa_user_sgpr_queue_ptr 0
		.amdhsa_user_sgpr_kernarg_segment_ptr 1
		.amdhsa_user_sgpr_dispatch_id 0
		.amdhsa_user_sgpr_kernarg_preload_length 0
		.amdhsa_user_sgpr_kernarg_preload_offset 0
		.amdhsa_user_sgpr_private_segment_size 0
		.amdhsa_uses_dynamic_stack 0
		.amdhsa_enable_private_segment 0
		.amdhsa_system_sgpr_workgroup_id_x 1
		.amdhsa_system_sgpr_workgroup_id_y 0
		.amdhsa_system_sgpr_workgroup_id_z 0
		.amdhsa_system_sgpr_workgroup_info 0
		.amdhsa_system_vgpr_workitem_id 0
		.amdhsa_next_free_vgpr 102
		.amdhsa_next_free_sgpr 100
		.amdhsa_accum_offset 104
		.amdhsa_reserve_vcc 1
		.amdhsa_float_round_mode_32 0
		.amdhsa_float_round_mode_16_64 0
		.amdhsa_float_denorm_mode_32 3
		.amdhsa_float_denorm_mode_16_64 3
		.amdhsa_dx10_clamp 1
		.amdhsa_ieee_mode 1
		.amdhsa_fp16_overflow 0
		.amdhsa_tg_split 0
		.amdhsa_exception_fp_ieee_invalid_op 0
		.amdhsa_exception_fp_denorm_src 0
		.amdhsa_exception_fp_ieee_div_zero 0
		.amdhsa_exception_fp_ieee_overflow 0
		.amdhsa_exception_fp_ieee_underflow 0
		.amdhsa_exception_fp_ieee_inexact 0
		.amdhsa_exception_int_div_zero 0
	.end_amdhsa_kernel
	.section	.text._Z19_skinny_gemm_kernelILi2ELi3ELi1ELi32ELi8EEvPKhS1_P6__halfPKfiiiiiiii,"axG",@progbits,_Z19_skinny_gemm_kernelILi2ELi3ELi1ELi32ELi8EEvPKhS1_P6__halfPKfiiiiiiii,comdat
.Lfunc_end187:
	.size	_Z19_skinny_gemm_kernelILi2ELi3ELi1ELi32ELi8EEvPKhS1_P6__halfPKfiiiiiiii, .Lfunc_end187-_Z19_skinny_gemm_kernelILi2ELi3ELi1ELi32ELi8EEvPKhS1_P6__halfPKfiiiiiiii
                                        ; -- End function
	.set _Z19_skinny_gemm_kernelILi2ELi3ELi1ELi32ELi8EEvPKhS1_P6__halfPKfiiiiiiii.num_vgpr, 102
	.set _Z19_skinny_gemm_kernelILi2ELi3ELi1ELi32ELi8EEvPKhS1_P6__halfPKfiiiiiiii.num_agpr, 0
	.set _Z19_skinny_gemm_kernelILi2ELi3ELi1ELi32ELi8EEvPKhS1_P6__halfPKfiiiiiiii.numbered_sgpr, 100
	.set _Z19_skinny_gemm_kernelILi2ELi3ELi1ELi32ELi8EEvPKhS1_P6__halfPKfiiiiiiii.num_named_barrier, 0
	.set _Z19_skinny_gemm_kernelILi2ELi3ELi1ELi32ELi8EEvPKhS1_P6__halfPKfiiiiiiii.private_seg_size, 0
	.set _Z19_skinny_gemm_kernelILi2ELi3ELi1ELi32ELi8EEvPKhS1_P6__halfPKfiiiiiiii.uses_vcc, 1
	.set _Z19_skinny_gemm_kernelILi2ELi3ELi1ELi32ELi8EEvPKhS1_P6__halfPKfiiiiiiii.uses_flat_scratch, 0
	.set _Z19_skinny_gemm_kernelILi2ELi3ELi1ELi32ELi8EEvPKhS1_P6__halfPKfiiiiiiii.has_dyn_sized_stack, 0
	.set _Z19_skinny_gemm_kernelILi2ELi3ELi1ELi32ELi8EEvPKhS1_P6__halfPKfiiiiiiii.has_recursion, 0
	.set _Z19_skinny_gemm_kernelILi2ELi3ELi1ELi32ELi8EEvPKhS1_P6__halfPKfiiiiiiii.has_indirect_call, 0
	.section	.AMDGPU.csdata,"",@progbits
; Kernel info:
; codeLenInByte = 12160
; TotalNumSgprs: 106
; NumVgprs: 102
; NumAgprs: 0
; TotalNumVgprs: 102
; ScratchSize: 0
; MemoryBound: 0
; FloatMode: 240
; IeeeMode: 1
; LDSByteSize: 20500 bytes/workgroup (compile time only)
; SGPRBlocks: 13
; VGPRBlocks: 12
; NumSGPRsForWavesPerEU: 106
; NumVGPRsForWavesPerEU: 102
; AccumOffset: 104
; Occupancy: 4
; WaveLimiterHint : 0
; COMPUTE_PGM_RSRC2:SCRATCH_EN: 0
; COMPUTE_PGM_RSRC2:USER_SGPR: 2
; COMPUTE_PGM_RSRC2:TRAP_HANDLER: 0
; COMPUTE_PGM_RSRC2:TGID_X_EN: 1
; COMPUTE_PGM_RSRC2:TGID_Y_EN: 0
; COMPUTE_PGM_RSRC2:TGID_Z_EN: 0
; COMPUTE_PGM_RSRC2:TIDIG_COMP_CNT: 0
; COMPUTE_PGM_RSRC3_GFX90A:ACCUM_OFFSET: 25
; COMPUTE_PGM_RSRC3_GFX90A:TG_SPLIT: 0
	.section	.text._Z19_skinny_gemm_kernelILi2ELi3ELi2ELi16ELi4EEvPKhS1_P6__halfPKfiiiiiiii,"axG",@progbits,_Z19_skinny_gemm_kernelILi2ELi3ELi2ELi16ELi4EEvPKhS1_P6__halfPKfiiiiiiii,comdat
	.protected	_Z19_skinny_gemm_kernelILi2ELi3ELi2ELi16ELi4EEvPKhS1_P6__halfPKfiiiiiiii ; -- Begin function _Z19_skinny_gemm_kernelILi2ELi3ELi2ELi16ELi4EEvPKhS1_P6__halfPKfiiiiiiii
	.globl	_Z19_skinny_gemm_kernelILi2ELi3ELi2ELi16ELi4EEvPKhS1_P6__halfPKfiiiiiiii
	.p2align	8
	.type	_Z19_skinny_gemm_kernelILi2ELi3ELi2ELi16ELi4EEvPKhS1_P6__halfPKfiiiiiiii,@function
_Z19_skinny_gemm_kernelILi2ELi3ELi2ELi16ELi4EEvPKhS1_P6__halfPKfiiiiiiii: ; @_Z19_skinny_gemm_kernelILi2ELi3ELi2ELi16ELi4EEvPKhS1_P6__halfPKfiiiiiiii
; %bb.0:
	v_cmp_gt_u32_e32 vcc, 10, v0
	v_lshlrev_b32_e32 v1, 2, v0
	s_and_saveexec_b64 s[4:5], vcc
; %bb.1:
	v_mov_b32_e32 v2, 0
	ds_write_b32 v1, v2 offset:20480
; %bb.2:
	s_or_b64 exec, exec, s[4:5]
	s_load_dwordx8 s[20:27], s[0:1], 0x20
	s_waitcnt lgkmcnt(0)
	s_barrier
	s_add_i32 s3, s20, 31
	s_ashr_i32 s5, s3, 31
	s_add_i32 s4, s21, 47
	s_lshr_b32 s5, s5, 27
	s_mul_hi_i32 s4, s4, 0x2aaaaaab
	s_add_i32 s3, s3, s5
	s_ashr_i32 s33, s3, 5
	s_lshr_b32 s3, s4, 31
	s_ashr_i32 s50, s4, 3
	s_add_i32 s50, s50, s3
	s_mul_i32 s3, s50, s33
	s_mul_i32 s3, s3, s24
	s_add_i32 s4, s3, 0x12f
	s_mul_hi_i32 s4, s4, 0x6bca1af3
	s_lshr_b32 s5, s4, 31
	s_ashr_i32 s4, s4, 7
	s_add_i32 s4, s4, s5
	s_add_i32 s5, s2, 1
	s_mul_i32 s5, s4, s5
	v_cvt_f64_i32_e32 v[2:3], s3
	v_cvt_f64_u32_e32 v[4:5], s5
	v_min_f64 v[2:3], v[2:3], v[4:5]
	v_cvt_i32_f64_e32 v25, v[2:3]
	s_mul_i32 s51, s4, s2
	v_cmp_ge_i32_e32 vcc, s51, v25
	s_cbranch_vccnz .LBB188_53
; %bb.3:
	v_lshrrev_b32_e32 v2, 6, v0
	s_add_i32 s4, s26, s25
	s_load_dwordx8 s[36:43], s[0:1], 0x0
	v_cmp_le_i32_e64 s[0:1], s4, v2
	v_mov_b32_e32 v3, s25
	v_cmp_le_i32_e64 s[2:3], s25, v2
	v_mov_b32_e32 v4, s26
	v_cndmask_b32_e64 v4, 0, v4, s[0:1]
	v_cndmask_b32_e64 v3, 0, v3, s[2:3]
	s_abs_i32 s5, s24
	v_add_u32_e32 v3, v3, v4
	v_cvt_f32_u32_e32 v4, s5
	v_sub_u32_e32 v36, v2, v3
	s_ashr_i32 s6, s22, 31
	s_lshr_b32 s6, s6, 25
	v_rcp_iflag_f32_e32 v3, v4
	s_sub_i32 s9, 0, s5
	s_add_i32 s6, s22, s6
	s_ashr_i32 s6, s6, 7
	v_mul_f32_e32 v3, 0x4f7ffffe, v3
	v_cvt_u32_f32_e32 v3, v3
	s_abs_i32 s8, s6
	s_xor_b32 s7, s6, s24
	s_ashr_i32 s7, s7, 31
	v_readfirstlane_b32 s10, v3
	s_mul_i32 s9, s9, s10
	s_mul_hi_u32 s9, s10, s9
	s_add_i32 s10, s10, s9
	s_mul_hi_u32 s9, s8, s10
	s_mul_i32 s10, s9, s5
	s_sub_i32 s8, s8, s10
	s_add_i32 s10, s9, 1
	s_sub_i32 s11, s8, s5
	s_cmp_ge_u32 s8, s5
	s_cselect_b32 s9, s10, s9
	s_cselect_b32 s8, s11, s8
	s_add_i32 s10, s9, 1
	s_cmp_ge_u32 s8, s5
	s_cselect_b32 s5, s10, s9
	s_xor_b32 s5, s5, s7
	s_sub_i32 s52, s5, s7
	s_add_i32 s24, s24, -1
	s_mul_i32 s5, s52, s24
	s_add_i32 s4, s4, s27
	s_sub_i32 s53, s6, s5
	v_cmp_gt_i32_e64 s[4:5], s4, v2
	v_lshlrev_b32_e32 v2, 1, v0
	v_lshlrev_b32_e32 v3, 4, v0
	v_and_b32_e32 v1, 60, v1
	v_and_b32_e32 v2, 64, v2
	;; [unrolled: 1-line block ×3, first 2 shown]
	v_or3_b32 v57, v1, v2, v4
	v_and_b32_e32 v1, 1, v0
	v_lshrrev_b32_e32 v4, 2, v0
	s_abs_i32 s54, s33
	v_and_or_b32 v63, v4, 12, v1
	v_cvt_f32_u32_e32 v4, s54
	v_lshlrev_b32_e32 v2, 1, v1
	v_and_b32_e32 v24, 14, v0
	v_sub_u32_e32 v2, v0, v2
	v_bitop3_b32 v59, v0, 1, v0 bitop3:0xc
	v_bitop3_b32 v60, v0, 3, 1 bitop3:0x6c
	v_and_b32_e32 v30, 48, v3
	v_bfe_u32 v65, v0, 2, 4
	v_and_b32_e32 v1, 60, v0
	v_lshlrev_b32_e32 v3, 8, v0
	v_lshlrev_b32_e32 v0, 6, v0
	v_and_b32_e32 v3, 0x200, v3
	v_and_b32_e32 v0, 64, v0
	v_or3_b32 v66, v1, v3, v0
	v_rcp_iflag_f32_e32 v0, v4
	s_abs_i32 s56, s50
	v_cvt_f32_u32_e32 v1, s56
	v_mad_u64_u32 v[26:27], s[6:7], s21, v63, v[24:25]
	v_mul_f32_e32 v0, 0x4f7ffffe, v0
	v_cvt_u32_f32_e32 v0, v0
	v_rcp_iflag_f32_e32 v1, v1
	s_sub_i32 s6, 0, s54
	v_add_u32_e32 v2, 1, v2
	v_readfirstlane_b32 s7, v0
	v_mul_f32_e32 v0, 0x4f7ffffe, v1
	v_cvt_u32_f32_e32 v0, v0
	s_mul_i32 s6, s6, s7
	s_mul_hi_u32 s6, s7, s6
	s_add_i32 s58, s7, s6
	s_sub_i32 s6, 0, s56
	v_readfirstlane_b32 s7, v0
	v_mbcnt_lo_u32_b32 v0, -1, 0
	v_and_b32_e32 v2, 63, v2
	s_mul_i32 s6, s6, s7
	v_mbcnt_hi_u32_b32 v0, -1, v0
	v_lshl_add_u32 v28, s21, 4, v26
	v_mul_lo_u32 v32, s23, v65
	s_mul_hi_u32 s6, s7, s6
	v_and_or_b32 v0, v0, 64, v2
	v_cndmask_b32_e64 v56, 0, 1, s[0:1]
	v_or_b32_e32 v58, 0x3000, v57
	s_ashr_i32 s29, s21, 31
	s_mov_b32 s28, s21
	v_or_b32_e32 v61, 16, v24
	v_or_b32_e32 v62, 32, v24
	v_ashrrev_i32_e32 v27, 31, v26
	v_or_b32_e32 v64, 16, v63
	v_ashrrev_i32_e32 v29, 31, v28
	v_ashrrev_i32_e32 v33, 31, v32
	v_mov_b32_e32 v31, 0
	s_lshl_b32 s55, s23, 4
	v_mul_lo_u32 v67, s22, v65
	v_or_b32_e32 v68, 0x3000, v66
	s_ashr_i32 s57, s33, 31
	s_ashr_i32 s59, s50, 31
	s_add_i32 s60, s7, s6
	s_movk_i32 s61, 0x1800
	s_mov_b32 s62, 0x55555556
	v_lshlrev_b32_e32 v69, 2, v0
	v_mov_b32_e32 v70, v36
	s_branch .LBB188_7
.LBB188_4:                              ;   in Loop: Header=BB188_7 Depth=1
	s_or_b64 exec, exec, s[10:11]
.LBB188_5:                              ;   in Loop: Header=BB188_7 Depth=1
	s_or_b64 exec, exec, s[8:9]
	v_subrev_u32_e32 v70, s16, v70
.LBB188_6:                              ;   in Loop: Header=BB188_7 Depth=1
	s_or_b64 exec, exec, s[6:7]
	s_add_i32 s51, s51, 1
	v_cmp_ge_i32_e32 vcc, s51, v25
	s_cbranch_vccnz .LBB188_53
.LBB188_7:                              ; =>This Loop Header: Depth=1
                                        ;     Child Loop BB188_13 Depth 2
                                        ;       Child Loop BB188_15 Depth 3
                                        ;       Child Loop BB188_18 Depth 3
	;; [unrolled: 1-line block ×5, first 2 shown]
                                        ;     Child Loop BB188_40 Depth 2
                                        ;       Child Loop BB188_42 Depth 3
                                        ;     Child Loop BB188_50 Depth 2
                                        ;       Child Loop BB188_52 Depth 3
	s_abs_i32 s7, s51
	s_mul_hi_u32 s8, s7, s58
	s_mul_i32 s9, s8, s54
	s_ashr_i32 s6, s51, 31
	s_sub_i32 s7, s7, s9
	s_xor_b32 s6, s6, s57
	s_add_i32 s9, s8, 1
	s_sub_i32 s10, s7, s54
	s_cmp_ge_u32 s7, s54
	s_cselect_b32 s8, s9, s8
	s_cselect_b32 s7, s10, s7
	s_add_i32 s9, s8, 1
	s_cmp_ge_u32 s7, s54
	s_cselect_b32 s7, s9, s8
	s_xor_b32 s7, s7, s6
	s_sub_i32 s6, s7, s6
	s_abs_i32 s8, s6
	s_mul_i32 s7, s6, s33
	s_mul_hi_u32 s9, s8, s60
	s_sub_i32 s7, s51, s7
	s_mul_i32 s10, s9, s56
	s_lshl_b32 s63, s7, 5
	s_ashr_i32 s7, s6, 31
	s_sub_i32 s8, s8, s10
	s_xor_b32 s7, s7, s59
	s_add_i32 s10, s9, 1
	s_sub_i32 s11, s8, s56
	s_cmp_ge_u32 s8, s56
	s_cselect_b32 s9, s10, s9
	s_cselect_b32 s8, s11, s8
	s_add_i32 s10, s9, 1
	s_cmp_ge_u32 s8, s56
	s_cselect_b32 s8, s10, s9
	s_xor_b32 s8, s8, s7
	s_sub_i32 s7, s8, s7
	s_mul_i32 s8, s7, s52
	s_lshl_b32 s64, s8, 7
	s_cmp_eq_u32 s7, s24
	s_cselect_b32 s66, s53, s52
	s_sub_i32 s8, s63, s20
	s_add_i32 s8, s8, 32
	s_max_i32 s65, s8, 0
	s_and_saveexec_b64 s[8:9], s[2:3]
	s_xor_b64 s[30:31], exec, s[8:9]
	s_cbranch_execz .LBB188_46
; %bb.8:                                ;   in Loop: Header=BB188_7 Depth=1
	s_mul_i32 s7, s7, s50
	s_sub_i32 s6, s6, s7
	s_mul_i32 s6, s6, 48
	s_sub_i32 s18, s6, s21
	s_add_i32 s18, s18, 48
	s_max_i32 s7, s18, 0
	s_sub_i32 s34, s6, s7
	s_and_saveexec_b64 s[6:7], s[0:1]
	s_xor_b64 s[44:45], exec, s[6:7]
	s_cbranch_execz .LBB188_36
; %bb.9:                                ;   in Loop: Header=BB188_7 Depth=1
	s_and_saveexec_b64 s[46:47], s[4:5]
	s_cbranch_execz .LBB188_35
; %bb.10:                               ;   in Loop: Header=BB188_7 Depth=1
	s_waitcnt lgkmcnt(0)
	global_load_dword v71, v31, s[42:43]
	v_mov_b32_e32 v23, 0
	v_cmp_gt_i32_e32 vcc, s66, v70
	v_mov_b32_e32 v22, v23
	v_mov_b32_e32 v21, v23
	v_mov_b32_e32 v20, v23
	v_mov_b32_e32 v19, v23
	v_mov_b32_e32 v18, v23
	v_mov_b32_e32 v17, v23
	v_mov_b32_e32 v16, v23
	v_mov_b32_e32 v15, v23
	v_mov_b32_e32 v14, v23
	v_mov_b32_e32 v13, v23
	v_mov_b32_e32 v12, v23
	v_mov_b32_e32 v11, v23
	v_mov_b32_e32 v10, v23
	v_mov_b32_e32 v9, v23
	v_mov_b32_e32 v8, v23
	v_mov_b32_e32 v7, v23
	v_mov_b32_e32 v6, v23
	v_mov_b32_e32 v5, v23
	v_mov_b32_e32 v4, v23
	v_mov_b32_e32 v3, v23
	v_mov_b32_e32 v2, v23
	v_mov_b32_e32 v1, v23
	v_mov_b32_e32 v0, v23
	s_and_saveexec_b64 s[6:7], vcc
	s_cbranch_execz .LBB188_29
; %bb.11:                               ;   in Loop: Header=BB188_7 Depth=1
	v_mov_b32_e32 v0, 0
	s_mov_b64 s[8:9], 0
	v_mov_b32_e32 v1, v0
	v_mov_b32_e32 v2, v0
	;; [unrolled: 1-line block ×23, first 2 shown]
	s_branch .LBB188_13
.LBB188_12:                             ;   in Loop: Header=BB188_13 Depth=2
	s_or_b64 exec, exec, s[10:11]
	v_add_u32_e32 v51, 0x1000, v50
	ds_read2_b32 v[52:53], v51 offset1:32
	v_add_u32_e32 v54, 0x1400, v50
	v_add_u32_e32 v70, s27, v70
	s_waitcnt lgkmcnt(0)
	v_mfma_f32_16x16x32_fp8_fp8 v[12:15], v[34:35], v[52:53], v[12:15]
	ds_read2_b32 v[34:35], v51 offset0:128 offset1:160
	ds_read2_b32 v[50:51], v54 offset1:32
	v_mfma_f32_16x16x32_fp8_fp8 v[0:3], v[44:45], v[52:53], v[0:3]
	s_waitcnt lgkmcnt(1)
	v_mfma_f32_16x16x32_fp8_fp8 v[12:15], v[36:37], v[34:35], v[12:15]
	v_add_u32_e32 v36, s27, v72
	v_cmp_lt_i32_e32 vcc, 1, v36
	v_mfma_f32_16x16x32_fp8_fp8 v[0:3], v[46:47], v[34:35], v[0:3]
	v_add_u32_e32 v34, 2, v56
	v_cndmask_b32_e32 v56, v56, v34, vcc
	v_cmp_le_i32_e32 vcc, s66, v70
	s_waitcnt lgkmcnt(0)
	v_mfma_f32_16x16x32_fp8_fp8 v[12:15], v[38:39], v[50:51], v[12:15]
	ds_read2_b32 v[38:39], v54 offset0:128 offset1:160
	s_or_b64 s[8:9], vcc, s[8:9]
	;;#ASMSTART
	s_waitcnt lgkmcnt(0)
	;;#ASMEND
	v_mfma_f32_16x16x32_fp8_fp8 v[0:3], v[48:49], v[50:51], v[0:3]
	ds_write_b32 v73, v74 offset:20504
	s_waitcnt lgkmcnt(1)
	v_mfma_f32_16x16x32_fp8_fp8 v[12:15], v[40:41], v[38:39], v[12:15]
	v_mfma_f32_16x16x32_fp8_fp8 v[0:3], v[42:43], v[38:39], v[0:3]
	s_andn2_b64 exec, exec, s[8:9]
	s_cbranch_execz .LBB188_28
.LBB188_13:                             ;   Parent Loop BB188_7 Depth=1
                                        ; =>  This Loop Header: Depth=2
                                        ;       Child Loop BB188_15 Depth 3
                                        ;       Child Loop BB188_18 Depth 3
	;; [unrolled: 1-line block ×5, first 2 shown]
	v_cmp_gt_i32_e32 vcc, 2, v36
	s_nop 1
	v_cndmask_b32_e64 v34, -2, 0, vcc
	v_add_u32_e32 v72, v34, v36
	v_mul_lo_u32 v73, v72, 12
	ds_read_b32 v34, v73 offset:20496
	s_waitcnt lgkmcnt(0)
	v_cmp_ne_u32_e32 vcc, v34, v56
	s_and_saveexec_b64 s[10:11], vcc
	s_cbranch_execz .LBB188_16
; %bb.14:                               ;   in Loop: Header=BB188_13 Depth=2
	s_mov_b64 s[12:13], 0
.LBB188_15:                             ;   Parent Loop BB188_7 Depth=1
                                        ;     Parent Loop BB188_13 Depth=2
                                        ; =>    This Inner Loop Header: Depth=3
	;;#ASMSTART
	s_sleep 0
	;;#ASMEND
	ds_read_b32 v34, v73 offset:20496
	s_waitcnt lgkmcnt(0)
	v_cmp_eq_u32_e32 vcc, v34, v56
	s_or_b64 s[12:13], vcc, s[12:13]
	s_andn2_b64 exec, exec, s[12:13]
	s_cbranch_execnz .LBB188_15
.LBB188_16:                             ;   in Loop: Header=BB188_13 Depth=2
	s_or_b64 exec, exec, s[10:11]
	v_mul_lo_u32 v75, v72, s61
	v_or_b32_e32 v34, v57, v75
	ds_read2_b32 v[42:43], v34 offset1:32
	ds_read2_b32 v[50:51], v34 offset0:128 offset1:160
	v_add_u32_e32 v34, 0x400, v34
	v_add_u32_e32 v74, 1, v56
	ds_read2_b32 v[54:55], v34 offset1:32
	ds_read2_b32 v[52:53], v34 offset0:128 offset1:160
	;;#ASMSTART
	s_waitcnt lgkmcnt(0)
	;;#ASMEND
	ds_write_b32 v73, v74 offset:20496
	v_lshlrev_b32_e32 v76, 3, v72
	ds_read_b32 v34, v76 offset:20480
	s_waitcnt lgkmcnt(0)
	v_cmp_ne_u32_e32 vcc, v34, v56
	s_and_saveexec_b64 s[10:11], vcc
	s_cbranch_execz .LBB188_19
; %bb.17:                               ;   in Loop: Header=BB188_13 Depth=2
	s_mov_b64 s[12:13], 0
.LBB188_18:                             ;   Parent Loop BB188_7 Depth=1
                                        ;     Parent Loop BB188_13 Depth=2
                                        ; =>    This Inner Loop Header: Depth=3
	;;#ASMSTART
	s_sleep 0
	;;#ASMEND
	ds_read_b32 v34, v76 offset:20480
	s_waitcnt lgkmcnt(0)
	v_cmp_eq_u32_e32 vcc, v34, v56
	s_or_b64 s[12:13], vcc, s[12:13]
	s_andn2_b64 exec, exec, s[12:13]
	s_cbranch_execnz .LBB188_18
.LBB188_19:                             ;   in Loop: Header=BB188_13 Depth=2
	s_or_b64 exec, exec, s[10:11]
	v_lshlrev_b32_e32 v34, 12, v72
	v_add_u32_e32 v48, v58, v34
	ds_read2_b32 v[34:35], v48 offset1:32
	ds_read2_b32 v[36:37], v48 offset0:128 offset1:160
	v_add_u32_e32 v40, 0x400, v48
	ds_read2_b32 v[38:39], v40 offset1:32
	ds_read2_b32 v[40:41], v40 offset0:128 offset1:160
	ds_read_b32 v44, v76 offset:20484
	ds_write_b32 v76, v74 offset:20480
	s_waitcnt lgkmcnt(5)
	v_mfma_f32_16x16x32_fp8_fp8 v[20:23], v[34:35], v[42:43], v[20:23]
	s_waitcnt lgkmcnt(1)
	v_cmp_ne_u32_e32 vcc, v44, v56
	v_mfma_f32_16x16x32_fp8_fp8 v[20:23], v[36:37], v[50:51], v[20:23]
	v_mfma_f32_16x16x32_fp8_fp8 v[20:23], v[38:39], v[54:55], v[20:23]
	;; [unrolled: 1-line block ×3, first 2 shown]
	s_and_saveexec_b64 s[10:11], vcc
	s_cbranch_execz .LBB188_22
; %bb.20:                               ;   in Loop: Header=BB188_13 Depth=2
	s_mov_b64 s[12:13], 0
.LBB188_21:                             ;   Parent Loop BB188_7 Depth=1
                                        ;     Parent Loop BB188_13 Depth=2
                                        ; =>    This Inner Loop Header: Depth=3
	;;#ASMSTART
	s_sleep 0
	;;#ASMEND
	ds_read_b32 v44, v76 offset:20484
	s_waitcnt lgkmcnt(0)
	v_cmp_eq_u32_e32 vcc, v44, v56
	s_or_b64 s[12:13], vcc, s[12:13]
	s_andn2_b64 exec, exec, s[12:13]
	s_cbranch_execnz .LBB188_21
.LBB188_22:                             ;   in Loop: Header=BB188_13 Depth=2
	s_or_b64 exec, exec, s[10:11]
	v_add_u32_e32 v46, 0x800, v48
	ds_read2_b32 v[44:45], v46 offset1:32
	ds_read2_b32 v[46:47], v46 offset0:128 offset1:160
	v_add_u32_e32 v77, 0xc00, v48
	ds_read2_b32 v[48:49], v77 offset1:32
	ds_write_b32 v76, v74 offset:20484
	s_waitcnt lgkmcnt(3)
	v_mfma_f32_16x16x32_fp8_fp8 v[8:11], v[44:45], v[42:43], v[8:11]
	ds_read2_b32 v[42:43], v77 offset0:128 offset1:160
	s_waitcnt lgkmcnt(3)
	v_mfma_f32_16x16x32_fp8_fp8 v[8:11], v[46:47], v[50:51], v[8:11]
	ds_read_b32 v50, v73 offset:20500
	s_waitcnt lgkmcnt(0)
	v_cmp_ne_u32_e32 vcc, v50, v56
	v_mfma_f32_16x16x32_fp8_fp8 v[8:11], v[48:49], v[54:55], v[8:11]
	v_mfma_f32_16x16x32_fp8_fp8 v[8:11], v[42:43], v[52:53], v[8:11]
	s_and_saveexec_b64 s[10:11], vcc
	s_cbranch_execz .LBB188_25
; %bb.23:                               ;   in Loop: Header=BB188_13 Depth=2
	s_mov_b64 s[12:13], 0
.LBB188_24:                             ;   Parent Loop BB188_7 Depth=1
                                        ;     Parent Loop BB188_13 Depth=2
                                        ; =>    This Inner Loop Header: Depth=3
	;;#ASMSTART
	s_sleep 0
	;;#ASMEND
	ds_read_b32 v50, v73 offset:20500
	s_waitcnt lgkmcnt(0)
	v_cmp_eq_u32_e32 vcc, v50, v56
	s_or_b64 s[12:13], vcc, s[12:13]
	s_andn2_b64 exec, exec, s[12:13]
	s_cbranch_execnz .LBB188_24
.LBB188_25:                             ;   in Loop: Header=BB188_13 Depth=2
	s_or_b64 exec, exec, s[10:11]
	v_add_u32_e32 v50, v57, v75
	v_add_u32_e32 v51, 0x800, v50
	ds_read2_b32 v[52:53], v51 offset1:32
	s_waitcnt lgkmcnt(0)
	v_mfma_f32_16x16x32_fp8_fp8 v[16:19], v[34:35], v[52:53], v[16:19]
	v_mfma_f32_16x16x32_fp8_fp8 v[4:7], v[44:45], v[52:53], v[4:7]
	ds_read2_b32 v[52:53], v51 offset0:128 offset1:160
	v_add_u32_e32 v51, 0xc00, v50
	ds_read2_b32 v[54:55], v51 offset1:32
	s_waitcnt lgkmcnt(1)
	v_mfma_f32_16x16x32_fp8_fp8 v[16:19], v[36:37], v[52:53], v[16:19]
	ds_read2_b32 v[76:77], v51 offset0:128 offset1:160
	;;#ASMSTART
	s_waitcnt lgkmcnt(0)
	;;#ASMEND
	ds_read_b32 v51, v73 offset:20504
	v_mfma_f32_16x16x32_fp8_fp8 v[4:7], v[46:47], v[52:53], v[4:7]
	ds_write_b32 v73, v74 offset:20500
	s_waitcnt lgkmcnt(1)
	v_cmp_ne_u32_e32 vcc, v51, v56
	v_mfma_f32_16x16x32_fp8_fp8 v[16:19], v[38:39], v[54:55], v[16:19]
	v_mfma_f32_16x16x32_fp8_fp8 v[4:7], v[48:49], v[54:55], v[4:7]
	;; [unrolled: 1-line block ×4, first 2 shown]
	s_and_saveexec_b64 s[10:11], vcc
	s_cbranch_execz .LBB188_12
; %bb.26:                               ;   in Loop: Header=BB188_13 Depth=2
	s_mov_b64 s[12:13], 0
.LBB188_27:                             ;   Parent Loop BB188_7 Depth=1
                                        ;     Parent Loop BB188_13 Depth=2
                                        ; =>    This Inner Loop Header: Depth=3
	;;#ASMSTART
	s_sleep 0
	;;#ASMEND
	ds_read_b32 v51, v73 offset:20504
	s_waitcnt lgkmcnt(0)
	v_cmp_eq_u32_e32 vcc, v51, v56
	s_or_b64 s[12:13], vcc, s[12:13]
	s_andn2_b64 exec, exec, s[12:13]
	s_cbranch_execnz .LBB188_27
	s_branch .LBB188_12
.LBB188_28:                             ;   in Loop: Header=BB188_7 Depth=1
	s_or_b64 exec, exec, s[8:9]
.LBB188_29:                             ;   in Loop: Header=BB188_7 Depth=1
	s_or_b64 exec, exec, s[6:7]
	v_cmp_le_i32_e32 vcc, s18, v24
	v_cmp_eq_u32_e64 s[6:7], 2, v59
	v_cmp_eq_u32_e64 s[8:9], 3, v59
	s_waitcnt vmcnt(0)
	v_cndmask_b32_e32 v34, 0, v71, vcc
	v_pk_mul_f32 v[20:21], v[34:35], v[20:21] op_sel_hi:[0,1]
	v_cmp_eq_u32_e32 vcc, 1, v59
	v_pk_mul_f32 v[38:39], v[34:35], v[22:23] op_sel_hi:[0,1]
	v_cmp_eq_u32_e64 s[10:11], 0, v59
	v_cndmask_b32_e32 v22, v20, v21, vcc
	v_cndmask_b32_e64 v22, v22, v38, s[6:7]
	v_cndmask_b32_e64 v22, v22, v39, s[8:9]
	ds_bpermute_b32 v35, v69, v22
	v_cmp_le_i32_e64 s[14:15], s18, v61
	v_cmp_eq_u32_e64 s[12:13], 1, v60
	v_cmp_le_i32_e64 s[18:19], s18, v62
	v_cmp_eq_u32_e64 s[16:17], 3, v60
	s_waitcnt lgkmcnt(0)
	v_cndmask_b32_e64 v22, v39, v35, s[8:9]
	v_cndmask_b32_e64 v23, v38, v35, s[6:7]
	v_cndmask_b32_e32 v21, v21, v35, vcc
	v_cndmask_b32_e64 v35, v20, v35, s[10:11]
	v_cndmask_b32_e64 v20, 0, v71, s[14:15]
	v_pk_mul_f32 v[16:17], v[20:21], v[16:17] op_sel_hi:[0,1]
	v_pk_mul_f32 v[38:39], v[20:21], v[18:19] op_sel_hi:[0,1]
	v_cndmask_b32_e32 v18, v16, v17, vcc
	v_cndmask_b32_e64 v18, v18, v38, s[6:7]
	v_cndmask_b32_e64 v18, v18, v39, s[8:9]
	ds_bpermute_b32 v41, v69, v18
	v_cndmask_b32_e64 v37, v35, v21, s[12:13]
	v_cmp_eq_u32_e64 s[14:15], 2, v60
	s_waitcnt lgkmcnt(0)
	v_cndmask_b32_e64 v19, v39, v41, s[8:9]
	v_cndmask_b32_e64 v18, v37, v23, s[14:15]
	;; [unrolled: 1-line block ×3, first 2 shown]
	v_cndmask_b32_e32 v40, v17, v41, vcc
	v_cndmask_b32_e64 v41, v16, v41, s[10:11]
	v_cndmask_b32_e64 v16, 0, v71, s[18:19]
	v_pk_mul_f32 v[42:43], v[16:17], v[12:13] op_sel_hi:[0,1]
	v_pk_mul_f32 v[38:39], v[16:17], v[14:15] op_sel_hi:[0,1]
	v_cndmask_b32_e32 v12, v42, v43, vcc
	v_cndmask_b32_e64 v12, v12, v38, s[6:7]
	v_cndmask_b32_e64 v12, v12, v39, s[8:9]
	ds_bpermute_b32 v13, v69, v12
	v_cndmask_b32_e64 v12, v41, v40, s[12:13]
	v_cndmask_b32_e64 v12, v12, v37, s[14:15]
	;; [unrolled: 1-line block ×3, first 2 shown]
	v_cmp_ne_u32_e32 vcc, 0, v59
	ds_bpermute_b32 v14, v69, v12
	s_waitcnt lgkmcnt(1)
	v_cndmask_b32_e64 v15, v39, v13, s[8:9]
	v_cndmask_b32_e64 v38, v38, v13, s[6:7]
	v_cndmask_b32_e32 v12, v43, v13, vcc
	v_cndmask_b32_e64 v13, v42, v13, s[10:11]
	v_cndmask_b32_e64 v17, v13, v12, s[12:13]
	;; [unrolled: 1-line block ×5, first 2 shown]
	ds_bpermute_b32 v18, v69, v18
	ds_bpermute_b32 v39, v69, v17
	v_add_u32_e32 v17, s65, v63
	v_cmp_gt_u32_e32 vcc, 32, v17
	s_and_saveexec_b64 s[18:19], vcc
	s_cbranch_execz .LBB188_34
; %bb.30:                               ;   in Loop: Header=BB188_7 Depth=1
	v_cmp_eq_u32_e64 s[8:9], 1, v60
	v_cmp_eq_u32_e64 s[10:11], 0, v60
	v_cmp_eq_u32_e32 vcc, 3, v60
	s_waitcnt lgkmcnt(1)
	v_cndmask_b32_e64 v21, v21, v18, s[8:9]
	v_cndmask_b32_e64 v40, v40, v14, s[8:9]
	s_waitcnt lgkmcnt(0)
	v_cndmask_b32_e64 v42, v12, v39, s[8:9]
	s_mul_i32 s8, s63, s21
	s_ashr_i32 s9, s8, 31
	v_cndmask_b32_e64 v35, v35, v18, s[10:11]
	s_lshl_b64 s[8:9], s[8:9], 1
	v_cndmask_b32_e64 v41, v41, v14, s[10:11]
	v_cndmask_b32_e64 v43, v13, v39, s[10:11]
	s_add_u32 s10, s40, s8
	v_cvt_f16_f32_e32 v35, v35
	v_cvt_f16_f32_sdwa v21, v21 dst_sel:WORD_1 dst_unused:UNUSED_PAD src0_sel:DWORD
	s_addc_u32 s11, s41, s9
	s_ashr_i32 s35, s34, 31
	s_lshl_b64 s[8:9], s[34:35], 1
	s_add_u32 s48, s10, s8
	s_addc_u32 s49, s11, s9
	v_or_b32_e32 v21, v21, v35
	v_lshl_add_u64 v[12:13], v[26:27], 1, s[48:49]
	;;#ASMSTART
	global_atomic_pk_add_f16 v[12:13], v21, off
	
	;;#ASMEND
	v_cvt_f16_f32_e32 v21, v41
	v_cvt_f16_f32_sdwa v35, v40 dst_sel:WORD_1 dst_unused:UNUSED_PAD src0_sel:DWORD
	v_cvt_f16_f32_e32 v43, v43
	v_cvt_f16_f32_sdwa v42, v42 dst_sel:WORD_1 dst_unused:UNUSED_PAD src0_sel:DWORD
	v_cmp_eq_u32_e64 s[6:7], 2, v60
	v_lshl_add_u64 v[40:41], v[12:13], 0, 32
	v_or_b32_e32 v21, v35, v21
	v_cmp_gt_u32_e64 s[8:9], 30, v17
	;;#ASMSTART
	global_atomic_pk_add_f16 v[40:41], v21, off
	
	;;#ASMEND
	v_lshl_add_u64 v[40:41], v[12:13], 0, 64
	v_or_b32_e32 v21, v42, v43
	;;#ASMSTART
	global_atomic_pk_add_f16 v[40:41], v21, off
	
	;;#ASMEND
	s_and_b64 exec, exec, s[8:9]
	s_cbranch_execz .LBB188_34
; %bb.31:                               ;   in Loop: Header=BB188_7 Depth=1
	v_cndmask_b32_e32 v22, v22, v18, vcc
	v_cndmask_b32_e64 v18, v23, v18, s[6:7]
	v_cndmask_b32_e32 v19, v19, v14, vcc
	v_cndmask_b32_e64 v14, v37, v14, s[6:7]
	v_cndmask_b32_e32 v23, v15, v39, vcc
	v_cvt_f16_f32_e32 v15, v18
	v_cvt_f16_f32_sdwa v18, v22 dst_sel:WORD_1 dst_unused:UNUSED_PAD src0_sel:DWORD
	v_cvt_f16_f32_e32 v22, v14
	v_cvt_f16_f32_sdwa v19, v19 dst_sel:WORD_1 dst_unused:UNUSED_PAD src0_sel:DWORD
	v_mov_b32_e32 v35, v34
	v_or_b32_e32 v14, v18, v15
	v_mov_b32_e32 v18, v34
	v_or_b32_e32 v22, v19, v22
	v_mov_b32_e32 v19, v34
	v_pk_mul_f32 v[10:11], v[18:19], v[10:11]
	v_pk_mul_f32 v[18:19], v[34:35], v[8:9]
	v_cmp_eq_u32_e32 vcc, 1, v59
	v_cndmask_b32_e64 v37, v38, v39, s[6:7]
	v_cmp_eq_u32_e64 s[6:7], 2, v59
	v_cndmask_b32_e32 v8, v18, v19, vcc
	v_cmp_eq_u32_e64 s[8:9], 3, v59
	v_cndmask_b32_e64 v8, v8, v10, s[6:7]
	v_lshl_add_u64 v[12:13], s[28:29], 2, v[12:13]
	v_cndmask_b32_e64 v8, v8, v11, s[8:9]
	v_mov_b32_e32 v21, v20
	;;#ASMSTART
	global_atomic_pk_add_f16 v[12:13], v14, off
	
	;;#ASMEND
	v_lshl_add_u64 v[14:15], v[12:13], 0, 32
	ds_bpermute_b32 v34, v69, v8
	;;#ASMSTART
	global_atomic_pk_add_f16 v[14:15], v22, off
	
	;;#ASMEND
	v_cvt_f16_f32_sdwa v35, v23 dst_sel:WORD_1 dst_unused:UNUSED_PAD src0_sel:DWORD
	v_lshl_add_u64 v[22:23], v[12:13], 0, 64
	v_mov_b32_e32 v12, v20
	v_mov_b32_e32 v13, v20
	v_pk_mul_f32 v[6:7], v[12:13], v[6:7]
	v_pk_mul_f32 v[12:13], v[20:21], v[4:5]
	v_cmp_eq_u32_e64 s[10:11], 0, v59
	v_cndmask_b32_e32 v4, v12, v13, vcc
	v_cndmask_b32_e64 v4, v4, v6, s[6:7]
	v_cndmask_b32_e64 v4, v4, v7, s[8:9]
	s_waitcnt lgkmcnt(0)
	v_cndmask_b32_e64 v8, v11, v34, s[8:9]
	v_cndmask_b32_e64 v11, v18, v34, s[10:11]
	ds_bpermute_b32 v18, v69, v4
	v_cndmask_b32_e64 v9, v10, v34, s[6:7]
	v_cndmask_b32_e32 v10, v19, v34, vcc
	v_cmp_eq_u32_e64 s[12:13], 1, v60
	v_mov_b32_e32 v17, v16
	v_cmp_eq_u32_e64 s[14:15], 2, v60
	v_cndmask_b32_e64 v14, v11, v10, s[12:13]
	s_waitcnt lgkmcnt(0)
	v_cndmask_b32_e64 v5, v7, v18, s[8:9]
	v_cndmask_b32_e64 v4, v14, v9, s[14:15]
	;; [unrolled: 1-line block ×3, first 2 shown]
	v_cndmask_b32_e32 v13, v13, v18, vcc
	v_cndmask_b32_e64 v14, v12, v18, s[10:11]
	v_mov_b32_e32 v18, v16
	v_mov_b32_e32 v19, v16
	v_pk_mul_f32 v[16:17], v[16:17], v[0:1]
	v_pk_mul_f32 v[18:19], v[18:19], v[2:3]
	v_cndmask_b32_e32 v0, v16, v17, vcc
	v_cndmask_b32_e64 v0, v0, v18, s[6:7]
	v_cndmask_b32_e64 v0, v0, v19, s[8:9]
	ds_bpermute_b32 v1, v69, v0
	v_cndmask_b32_e64 v0, v14, v13, s[12:13]
	v_cmp_eq_u32_e64 s[16:17], 3, v60
	v_cndmask_b32_e64 v0, v0, v6, s[14:15]
	v_cmp_ne_u32_e32 vcc, 0, v59
	v_cndmask_b32_e64 v0, v0, v5, s[16:17]
	ds_bpermute_b32 v7, v69, v0
	s_waitcnt lgkmcnt(1)
	v_cndmask_b32_e64 v2, v19, v1, s[8:9]
	v_cndmask_b32_e64 v3, v18, v1, s[6:7]
	v_cndmask_b32_e32 v0, v17, v1, vcc
	v_cndmask_b32_e64 v1, v16, v1, s[10:11]
	v_cndmask_b32_e64 v12, v1, v0, s[12:13]
	v_cvt_f16_f32_e32 v15, v37
	v_cndmask_b32_e64 v12, v12, v3, s[14:15]
	v_cndmask_b32_e64 v4, v4, v8, s[16:17]
	;; [unrolled: 1-line block ×3, first 2 shown]
	ds_bpermute_b32 v4, v69, v4
	ds_bpermute_b32 v12, v69, v12
	v_or_b32_e32 v15, v35, v15
	;;#ASMSTART
	global_atomic_pk_add_f16 v[22:23], v15, off
	
	;;#ASMEND
	v_add_u32_e32 v15, s65, v64
	v_cmp_gt_u32_e32 vcc, 32, v15
	s_and_b64 exec, exec, vcc
	s_cbranch_execz .LBB188_34
; %bb.32:                               ;   in Loop: Header=BB188_7 Depth=1
	v_cmp_eq_u32_e64 s[8:9], 1, v60
	v_cmp_eq_u32_e64 s[10:11], 0, v60
	v_cmp_eq_u32_e32 vcc, 3, v60
	s_waitcnt lgkmcnt(1)
	v_cndmask_b32_e64 v10, v10, v4, s[8:9]
	v_cndmask_b32_e64 v11, v11, v4, s[10:11]
	v_cndmask_b32_e64 v13, v13, v7, s[8:9]
	v_cndmask_b32_e64 v14, v14, v7, s[10:11]
	v_cvt_f16_f32_e32 v11, v11
	v_cvt_f16_f32_sdwa v10, v10 dst_sel:WORD_1 dst_unused:UNUSED_PAD src0_sel:DWORD
	s_waitcnt lgkmcnt(0)
	v_cndmask_b32_e64 v16, v0, v12, s[8:9]
	v_cndmask_b32_e64 v17, v1, v12, s[10:11]
	v_cvt_f16_f32_e32 v14, v14
	v_cvt_f16_f32_sdwa v13, v13 dst_sel:WORD_1 dst_unused:UNUSED_PAD src0_sel:DWORD
	v_cvt_f16_f32_e32 v17, v17
	v_cvt_f16_f32_sdwa v16, v16 dst_sel:WORD_1 dst_unused:UNUSED_PAD src0_sel:DWORD
	v_lshl_add_u64 v[0:1], v[28:29], 1, s[48:49]
	v_or_b32_e32 v10, v10, v11
	v_cmp_eq_u32_e64 s[6:7], 2, v60
	;;#ASMSTART
	global_atomic_pk_add_f16 v[0:1], v10, off
	
	;;#ASMEND
	v_lshl_add_u64 v[10:11], v[0:1], 0, 32
	v_or_b32_e32 v13, v13, v14
	v_cmp_gt_u32_e64 s[8:9], 30, v15
	;;#ASMSTART
	global_atomic_pk_add_f16 v[10:11], v13, off
	
	;;#ASMEND
	v_lshl_add_u64 v[10:11], v[0:1], 0, 64
	v_or_b32_e32 v13, v16, v17
	;;#ASMSTART
	global_atomic_pk_add_f16 v[10:11], v13, off
	
	;;#ASMEND
	s_and_b64 exec, exec, s[8:9]
	s_cbranch_execz .LBB188_34
; %bb.33:                               ;   in Loop: Header=BB188_7 Depth=1
	v_cndmask_b32_e32 v8, v8, v4, vcc
	v_cndmask_b32_e64 v4, v9, v4, s[6:7]
	v_cndmask_b32_e32 v5, v5, v7, vcc
	v_cndmask_b32_e64 v6, v6, v7, s[6:7]
	v_cvt_f16_f32_e32 v4, v4
	v_cvt_f16_f32_sdwa v7, v8 dst_sel:WORD_1 dst_unused:UNUSED_PAD src0_sel:DWORD
	v_cndmask_b32_e32 v8, v2, v12, vcc
	v_cndmask_b32_e64 v9, v3, v12, s[6:7]
	v_cvt_f16_f32_sdwa v5, v5 dst_sel:WORD_1 dst_unused:UNUSED_PAD src0_sel:DWORD
	v_or_b32_e32 v2, v7, v4
	v_cvt_f16_f32_e32 v4, v6
	v_cvt_f16_f32_e32 v6, v9
	v_cvt_f16_f32_sdwa v7, v8 dst_sel:WORD_1 dst_unused:UNUSED_PAD src0_sel:DWORD
	v_lshl_add_u64 v[0:1], s[28:29], 2, v[0:1]
	;;#ASMSTART
	global_atomic_pk_add_f16 v[0:1], v2, off
	
	;;#ASMEND
	v_lshl_add_u64 v[2:3], v[0:1], 0, 32
	v_or_b32_e32 v4, v5, v4
	;;#ASMSTART
	global_atomic_pk_add_f16 v[2:3], v4, off
	
	;;#ASMEND
	v_lshl_add_u64 v[0:1], v[0:1], 0, 64
	v_or_b32_e32 v2, v7, v6
	;;#ASMSTART
	global_atomic_pk_add_f16 v[0:1], v2, off
	
	;;#ASMEND
.LBB188_34:                             ;   in Loop: Header=BB188_7 Depth=1
	s_or_b64 exec, exec, s[18:19]
	v_subrev_u32_e32 v70, s66, v70
.LBB188_35:                             ;   in Loop: Header=BB188_7 Depth=1
	s_or_b64 exec, exec, s[46:47]
.LBB188_36:                             ;   in Loop: Header=BB188_7 Depth=1
	s_andn2_saveexec_b64 s[6:7], s[44:45]
	s_cbranch_execz .LBB188_45
; %bb.37:                               ;   in Loop: Header=BB188_7 Depth=1
	s_mul_i32 s16, s66, 3
	v_cmp_gt_i32_e32 vcc, s16, v70
	s_and_saveexec_b64 s[8:9], vcc
	s_cbranch_execz .LBB188_44
; %bb.38:                               ;   in Loop: Header=BB188_7 Depth=1
	s_mul_i32 s10, s34, s23
	s_ashr_i32 s11, s10, 31
	s_waitcnt lgkmcnt(0)
	s_add_u32 s10, s38, s10
	s_addc_u32 s11, s39, s11
	s_ashr_i32 s12, s64, 31
	s_add_u32 s10, s10, s64
	s_addc_u32 s11, s11, s12
	v_lshl_add_u64 v[0:1], s[10:11], 0, v[32:33]
	v_lshl_add_u64 v[8:9], v[0:1], 0, v[30:31]
	s_mov_b64 s[10:11], 0
	s_branch .LBB188_40
.LBB188_39:                             ;   in Loop: Header=BB188_40 Depth=2
	s_or_b64 exec, exec, s[12:13]
	v_lshl_or_b32 v12, v10, 11, v66
	;;#ASMSTART
	s_waitcnt vmcnt(1)
	;;#ASMEND
	ds_write2_b32 v12, v4, v5 offset1:32
	ds_write2_b32 v12, v6, v7 offset0:64 offset1:96
	v_add_u32_e32 v4, 0x400, v12
	v_add_u32_e32 v70, s26, v70
	;;#ASMSTART
	s_waitcnt vmcnt(0)
	;;#ASMEND
	ds_write2_b32 v4, v0, v1 offset1:32
	ds_write2_b32 v4, v2, v3 offset0:64 offset1:96
	v_add_u32_e32 v0, 1, v56
	v_add_u32_e32 v36, s26, v10
	v_cmp_le_i32_e32 vcc, s16, v70
	ds_write_b32 v11, v0 offset:16
	v_add_u32_e32 v0, 2, v56
	s_or_b64 s[10:11], vcc, s[10:11]
	v_cmp_lt_i32_e32 vcc, 5, v36
	s_nop 1
	v_cndmask_b32_e32 v56, v56, v0, vcc
	s_andn2_b64 exec, exec, s[10:11]
	s_cbranch_execz .LBB188_43
.LBB188_40:                             ;   Parent Loop BB188_7 Depth=1
                                        ; =>  This Loop Header: Depth=2
                                        ;       Child Loop BB188_42 Depth 3
	v_cmp_gt_i32_e32 vcc, 6, v36
	s_nop 1
	v_cndmask_b32_e64 v0, -6, 0, vcc
	v_add_u32_e32 v10, v0, v36
	v_mul_hi_i32 v0, v70, s62
	v_lshrrev_b32_e32 v1, 31, v0
	v_add_u32_e32 v0, v0, v1
	v_lshl_add_u32 v1, v0, 1, v0
	v_sub_u32_e32 v2, v70, v1
	v_lshlrev_b32_e32 v0, 7, v0
	v_ashrrev_i32_e32 v1, 31, v0
	v_mul_lo_u32 v2, s55, v2
	v_lshl_add_u64 v[0:1], v[8:9], 0, v[0:1]
	v_ashrrev_i32_e32 v3, 31, v2
	v_lshl_add_u64 v[0:1], v[0:1], 0, v[2:3]
	v_lshlrev_b32_e32 v11, 2, v10
	;;#ASMSTART
	global_load_dwordx4 v[4:7], v[0:1], off offset:0   sc0 sc1 nt  
	global_load_dwordx4 v[0:3], v[0:1], off offset:64  sc0 sc1 nt  
	
	;;#ASMEND
	ds_read_b32 v12, v11 offset:20496
	v_add_u32_e32 v11, 0x5000, v11
	s_waitcnt lgkmcnt(0)
	v_cmp_ne_u32_e32 vcc, v12, v56
	s_and_saveexec_b64 s[12:13], vcc
	s_cbranch_execz .LBB188_39
; %bb.41:                               ;   in Loop: Header=BB188_40 Depth=2
	s_mov_b64 s[14:15], 0
.LBB188_42:                             ;   Parent Loop BB188_7 Depth=1
                                        ;     Parent Loop BB188_40 Depth=2
                                        ; =>    This Inner Loop Header: Depth=3
	;;#ASMSTART
	s_sleep 0
	;;#ASMEND
	ds_read_b32 v12, v11 offset:16
	s_waitcnt lgkmcnt(0)
	v_cmp_eq_u32_e32 vcc, v12, v56
	s_or_b64 s[14:15], vcc, s[14:15]
	s_andn2_b64 exec, exec, s[14:15]
	s_cbranch_execnz .LBB188_42
	s_branch .LBB188_39
.LBB188_43:                             ;   in Loop: Header=BB188_7 Depth=1
	s_or_b64 exec, exec, s[10:11]
.LBB188_44:                             ;   in Loop: Header=BB188_7 Depth=1
	s_or_b64 exec, exec, s[8:9]
	v_subrev_u32_e32 v70, s16, v70
.LBB188_45:                             ;   in Loop: Header=BB188_7 Depth=1
	s_or_b64 exec, exec, s[6:7]
.LBB188_46:                             ;   in Loop: Header=BB188_7 Depth=1
	s_andn2_saveexec_b64 s[6:7], s[30:31]
	s_cbranch_execz .LBB188_6
; %bb.47:                               ;   in Loop: Header=BB188_7 Depth=1
	s_lshl_b32 s16, s66, 1
	v_cmp_gt_i32_e32 vcc, s16, v70
	s_and_saveexec_b64 s[8:9], vcc
	s_cbranch_execz .LBB188_5
; %bb.48:                               ;   in Loop: Header=BB188_7 Depth=1
	s_mul_i32 s63, s63, s22
	s_ashr_i32 s10, s63, 31
	s_waitcnt lgkmcnt(0)
	s_add_u32 s11, s36, s63
	v_add_u32_e32 v2, s65, v65
	s_addc_u32 s12, s37, s10
	s_ashr_i32 s13, s64, 31
	v_cmp_gt_u32_e32 vcc, 32, v2
	s_add_u32 s10, s11, s64
	s_addc_u32 s11, s12, s13
	v_cndmask_b32_e32 v0, 0, v67, vcc
	v_ashrrev_i32_e32 v1, 31, v0
	v_lshl_add_u64 v[0:1], s[10:11], 0, v[0:1]
	v_lshl_add_u64 v[8:9], v[0:1], 0, v[30:31]
	v_sub_u32_e32 v10, 31, v2
	s_mov_b64 s[10:11], 0
	s_branch .LBB188_50
.LBB188_49:                             ;   in Loop: Header=BB188_50 Depth=2
	s_or_b64 exec, exec, s[12:13]
	v_lshl_add_u32 v13, v11, 11, v68
	;;#ASMSTART
	s_waitcnt vmcnt(1)
	;;#ASMEND
	ds_write2_b32 v13, v4, v5 offset1:32
	ds_write2_b32 v13, v6, v7 offset0:64 offset1:96
	v_add_u32_e32 v4, 0x400, v13
	v_add_u32_e32 v70, s25, v70
	;;#ASMSTART
	s_waitcnt vmcnt(0)
	;;#ASMEND
	ds_write2_b32 v4, v0, v1 offset1:32
	ds_write2_b32 v4, v2, v3 offset0:64 offset1:96
	v_add_u32_e32 v0, 1, v56
	v_add_u32_e32 v36, s25, v11
	v_cmp_le_i32_e32 vcc, s16, v70
	ds_write_b32 v12, v0
	v_add_u32_e32 v0, 2, v56
	s_or_b64 s[10:11], vcc, s[10:11]
	v_cmp_lt_i32_e32 vcc, 3, v36
	s_nop 1
	v_cndmask_b32_e32 v56, v56, v0, vcc
	s_andn2_b64 exec, exec, s[10:11]
	s_cbranch_execz .LBB188_4
.LBB188_50:                             ;   Parent Loop BB188_7 Depth=1
                                        ; =>  This Loop Header: Depth=2
                                        ;       Child Loop BB188_52 Depth 3
	v_cmp_gt_i32_e32 vcc, 4, v36
	s_nop 1
	v_cndmask_b32_e64 v0, -4, 0, vcc
	v_add_u32_e32 v11, v0, v36
	v_lshrrev_b32_e32 v0, 31, v70
	v_add_u32_e32 v0, v70, v0
	v_and_b32_e32 v1, 0xffffffe, v0
	v_sub_u32_e32 v1, v70, v1
	v_lshlrev_b32_e32 v1, 4, v1
	v_cmp_le_i32_e32 vcc, v1, v10
	v_lshlrev_b32_e32 v0, 6, v0
	v_and_b32_e32 v0, 0xffffff80, v0
	v_cndmask_b32_e32 v2, 0, v1, vcc
	v_ashrrev_i32_e32 v1, 31, v0
	v_mul_lo_u32 v2, v2, s22
	v_lshl_add_u64 v[0:1], v[8:9], 0, v[0:1]
	v_ashrrev_i32_e32 v3, 31, v2
	v_lshl_add_u64 v[0:1], v[0:1], 0, v[2:3]
	v_lshlrev_b32_e32 v12, 2, v11
	;;#ASMSTART
	global_load_dwordx4 v[4:7], v[0:1], off offset:0   
	global_load_dwordx4 v[0:3], v[0:1], off offset:64  
	
	;;#ASMEND
	ds_read_b32 v13, v12 offset:20480
	v_add_u32_e32 v12, 0x5000, v12
	s_waitcnt lgkmcnt(0)
	v_cmp_ne_u32_e32 vcc, v13, v56
	s_and_saveexec_b64 s[12:13], vcc
	s_cbranch_execz .LBB188_49
; %bb.51:                               ;   in Loop: Header=BB188_50 Depth=2
	s_mov_b64 s[14:15], 0
.LBB188_52:                             ;   Parent Loop BB188_7 Depth=1
                                        ;     Parent Loop BB188_50 Depth=2
                                        ; =>    This Inner Loop Header: Depth=3
	;;#ASMSTART
	s_sleep 0
	;;#ASMEND
	ds_read_b32 v13, v12
	s_waitcnt lgkmcnt(0)
	v_cmp_eq_u32_e32 vcc, v13, v56
	s_or_b64 s[14:15], vcc, s[14:15]
	s_andn2_b64 exec, exec, s[14:15]
	s_cbranch_execnz .LBB188_52
	s_branch .LBB188_49
.LBB188_53:
	s_endpgm
	.section	.rodata,"a",@progbits
	.p2align	6, 0x0
	.amdhsa_kernel _Z19_skinny_gemm_kernelILi2ELi3ELi2ELi16ELi4EEvPKhS1_P6__halfPKfiiiiiiii
		.amdhsa_group_segment_fixed_size 20520
		.amdhsa_private_segment_fixed_size 0
		.amdhsa_kernarg_size 64
		.amdhsa_user_sgpr_count 2
		.amdhsa_user_sgpr_dispatch_ptr 0
		.amdhsa_user_sgpr_queue_ptr 0
		.amdhsa_user_sgpr_kernarg_segment_ptr 1
		.amdhsa_user_sgpr_dispatch_id 0
		.amdhsa_user_sgpr_kernarg_preload_length 0
		.amdhsa_user_sgpr_kernarg_preload_offset 0
		.amdhsa_user_sgpr_private_segment_size 0
		.amdhsa_uses_dynamic_stack 0
		.amdhsa_enable_private_segment 0
		.amdhsa_system_sgpr_workgroup_id_x 1
		.amdhsa_system_sgpr_workgroup_id_y 0
		.amdhsa_system_sgpr_workgroup_id_z 0
		.amdhsa_system_sgpr_workgroup_info 0
		.amdhsa_system_vgpr_workitem_id 0
		.amdhsa_next_free_vgpr 78
		.amdhsa_next_free_sgpr 67
		.amdhsa_accum_offset 80
		.amdhsa_reserve_vcc 1
		.amdhsa_float_round_mode_32 0
		.amdhsa_float_round_mode_16_64 0
		.amdhsa_float_denorm_mode_32 3
		.amdhsa_float_denorm_mode_16_64 3
		.amdhsa_dx10_clamp 1
		.amdhsa_ieee_mode 1
		.amdhsa_fp16_overflow 0
		.amdhsa_tg_split 0
		.amdhsa_exception_fp_ieee_invalid_op 0
		.amdhsa_exception_fp_denorm_src 0
		.amdhsa_exception_fp_ieee_div_zero 0
		.amdhsa_exception_fp_ieee_overflow 0
		.amdhsa_exception_fp_ieee_underflow 0
		.amdhsa_exception_fp_ieee_inexact 0
		.amdhsa_exception_int_div_zero 0
	.end_amdhsa_kernel
	.section	.text._Z19_skinny_gemm_kernelILi2ELi3ELi2ELi16ELi4EEvPKhS1_P6__halfPKfiiiiiiii,"axG",@progbits,_Z19_skinny_gemm_kernelILi2ELi3ELi2ELi16ELi4EEvPKhS1_P6__halfPKfiiiiiiii,comdat
.Lfunc_end188:
	.size	_Z19_skinny_gemm_kernelILi2ELi3ELi2ELi16ELi4EEvPKhS1_P6__halfPKfiiiiiiii, .Lfunc_end188-_Z19_skinny_gemm_kernelILi2ELi3ELi2ELi16ELi4EEvPKhS1_P6__halfPKfiiiiiiii
                                        ; -- End function
	.set _Z19_skinny_gemm_kernelILi2ELi3ELi2ELi16ELi4EEvPKhS1_P6__halfPKfiiiiiiii.num_vgpr, 78
	.set _Z19_skinny_gemm_kernelILi2ELi3ELi2ELi16ELi4EEvPKhS1_P6__halfPKfiiiiiiii.num_agpr, 0
	.set _Z19_skinny_gemm_kernelILi2ELi3ELi2ELi16ELi4EEvPKhS1_P6__halfPKfiiiiiiii.numbered_sgpr, 67
	.set _Z19_skinny_gemm_kernelILi2ELi3ELi2ELi16ELi4EEvPKhS1_P6__halfPKfiiiiiiii.num_named_barrier, 0
	.set _Z19_skinny_gemm_kernelILi2ELi3ELi2ELi16ELi4EEvPKhS1_P6__halfPKfiiiiiiii.private_seg_size, 0
	.set _Z19_skinny_gemm_kernelILi2ELi3ELi2ELi16ELi4EEvPKhS1_P6__halfPKfiiiiiiii.uses_vcc, 1
	.set _Z19_skinny_gemm_kernelILi2ELi3ELi2ELi16ELi4EEvPKhS1_P6__halfPKfiiiiiiii.uses_flat_scratch, 0
	.set _Z19_skinny_gemm_kernelILi2ELi3ELi2ELi16ELi4EEvPKhS1_P6__halfPKfiiiiiiii.has_dyn_sized_stack, 0
	.set _Z19_skinny_gemm_kernelILi2ELi3ELi2ELi16ELi4EEvPKhS1_P6__halfPKfiiiiiiii.has_recursion, 0
	.set _Z19_skinny_gemm_kernelILi2ELi3ELi2ELi16ELi4EEvPKhS1_P6__halfPKfiiiiiiii.has_indirect_call, 0
	.section	.AMDGPU.csdata,"",@progbits
; Kernel info:
; codeLenInByte = 4816
; TotalNumSgprs: 73
; NumVgprs: 78
; NumAgprs: 0
; TotalNumVgprs: 78
; ScratchSize: 0
; MemoryBound: 0
; FloatMode: 240
; IeeeMode: 1
; LDSByteSize: 20520 bytes/workgroup (compile time only)
; SGPRBlocks: 9
; VGPRBlocks: 9
; NumSGPRsForWavesPerEU: 73
; NumVGPRsForWavesPerEU: 78
; AccumOffset: 80
; Occupancy: 6
; WaveLimiterHint : 0
; COMPUTE_PGM_RSRC2:SCRATCH_EN: 0
; COMPUTE_PGM_RSRC2:USER_SGPR: 2
; COMPUTE_PGM_RSRC2:TRAP_HANDLER: 0
; COMPUTE_PGM_RSRC2:TGID_X_EN: 1
; COMPUTE_PGM_RSRC2:TGID_Y_EN: 0
; COMPUTE_PGM_RSRC2:TGID_Z_EN: 0
; COMPUTE_PGM_RSRC2:TIDIG_COMP_CNT: 0
; COMPUTE_PGM_RSRC3_GFX90A:ACCUM_OFFSET: 19
; COMPUTE_PGM_RSRC3_GFX90A:TG_SPLIT: 0
	.section	.text._Z19_skinny_gemm_kernelILi2ELi3ELi2ELi16ELi8EEvPKhS1_P6__halfPKfiiiiiiii,"axG",@progbits,_Z19_skinny_gemm_kernelILi2ELi3ELi2ELi16ELi8EEvPKhS1_P6__halfPKfiiiiiiii,comdat
	.protected	_Z19_skinny_gemm_kernelILi2ELi3ELi2ELi16ELi8EEvPKhS1_P6__halfPKfiiiiiiii ; -- Begin function _Z19_skinny_gemm_kernelILi2ELi3ELi2ELi16ELi8EEvPKhS1_P6__halfPKfiiiiiiii
	.globl	_Z19_skinny_gemm_kernelILi2ELi3ELi2ELi16ELi8EEvPKhS1_P6__halfPKfiiiiiiii
	.p2align	8
	.type	_Z19_skinny_gemm_kernelILi2ELi3ELi2ELi16ELi8EEvPKhS1_P6__halfPKfiiiiiiii,@function
_Z19_skinny_gemm_kernelILi2ELi3ELi2ELi16ELi8EEvPKhS1_P6__halfPKfiiiiiiii: ; @_Z19_skinny_gemm_kernelILi2ELi3ELi2ELi16ELi8EEvPKhS1_P6__halfPKfiiiiiiii
; %bb.0:
	v_cmp_gt_u32_e32 vcc, 10, v0
	v_lshlrev_b32_e32 v1, 2, v0
	s_and_saveexec_b64 s[4:5], vcc
; %bb.1:
	v_mov_b32_e32 v2, 0
	ds_write_b32 v1, v2 offset:40960
; %bb.2:
	s_or_b64 exec, exec, s[4:5]
	s_load_dwordx8 s[20:27], s[0:1], 0x20
	s_waitcnt lgkmcnt(0)
	s_barrier
	s_add_i32 s3, s20, 31
	s_ashr_i32 s5, s3, 31
	s_add_i32 s4, s21, 47
	s_lshr_b32 s5, s5, 27
	s_mul_hi_i32 s4, s4, 0x2aaaaaab
	s_add_i32 s3, s3, s5
	s_ashr_i32 s33, s3, 5
	s_lshr_b32 s3, s4, 31
	s_ashr_i32 s50, s4, 3
	s_add_i32 s50, s50, s3
	s_mul_i32 s3, s50, s33
	s_mul_i32 s3, s3, s24
	s_add_i32 s4, s3, 0x12f
	s_mul_hi_i32 s4, s4, 0x6bca1af3
	s_lshr_b32 s5, s4, 31
	s_ashr_i32 s4, s4, 7
	s_add_i32 s4, s4, s5
	s_add_i32 s5, s2, 1
	s_mul_i32 s5, s4, s5
	v_cvt_f64_i32_e32 v[2:3], s3
	v_cvt_f64_u32_e32 v[4:5], s5
	v_min_f64 v[2:3], v[2:3], v[4:5]
	v_cvt_i32_f64_e32 v25, v[2:3]
	s_mul_i32 s51, s4, s2
	v_cmp_ge_i32_e32 vcc, s51, v25
	s_cbranch_vccnz .LBB189_53
; %bb.3:
	v_lshrrev_b32_e32 v2, 6, v0
	s_add_i32 s4, s26, s25
	s_load_dwordx8 s[36:43], s[0:1], 0x0
	v_cmp_le_i32_e64 s[0:1], s4, v2
	v_mov_b32_e32 v3, s25
	v_cmp_le_i32_e64 s[2:3], s25, v2
	v_mov_b32_e32 v4, s26
	v_cndmask_b32_e64 v4, 0, v4, s[0:1]
	v_cndmask_b32_e64 v3, 0, v3, s[2:3]
	s_abs_i32 s5, s24
	v_add_u32_e32 v3, v3, v4
	v_cvt_f32_u32_e32 v4, s5
	v_sub_u32_e32 v36, v2, v3
	s_ashr_i32 s6, s22, 31
	s_lshr_b32 s6, s6, 24
	v_rcp_iflag_f32_e32 v3, v4
	s_sub_i32 s9, 0, s5
	s_add_i32 s6, s22, s6
	s_ashr_i32 s6, s6, 8
	v_mul_f32_e32 v3, 0x4f7ffffe, v3
	v_cvt_u32_f32_e32 v3, v3
	s_abs_i32 s8, s6
	s_xor_b32 s7, s6, s24
	s_ashr_i32 s7, s7, 31
	v_readfirstlane_b32 s10, v3
	s_mul_i32 s9, s9, s10
	s_mul_hi_u32 s9, s10, s9
	s_add_i32 s10, s10, s9
	s_mul_hi_u32 s9, s8, s10
	s_mul_i32 s10, s9, s5
	s_sub_i32 s8, s8, s10
	s_add_i32 s10, s9, 1
	s_sub_i32 s11, s8, s5
	s_cmp_ge_u32 s8, s5
	s_cselect_b32 s9, s10, s9
	s_cselect_b32 s8, s11, s8
	s_add_i32 s10, s9, 1
	s_cmp_ge_u32 s8, s5
	s_cselect_b32 s5, s10, s9
	s_xor_b32 s5, s5, s7
	s_sub_i32 s52, s5, s7
	s_add_i32 s24, s24, -1
	s_mul_i32 s5, s52, s24
	s_add_i32 s4, s4, s27
	s_sub_i32 s53, s6, s5
	v_cmp_gt_i32_e64 s[4:5], s4, v2
	v_lshlrev_b32_e32 v2, 1, v0
	v_lshlrev_b32_e32 v3, 4, v0
	v_and_b32_e32 v1, 60, v1
	v_and_b32_e32 v2, 64, v2
	;; [unrolled: 1-line block ×3, first 2 shown]
	v_or3_b32 v75, v1, v2, v4
	v_and_b32_e32 v1, 1, v0
	v_lshrrev_b32_e32 v4, 2, v0
	s_abs_i32 s54, s33
	v_and_or_b32 v81, v4, 12, v1
	v_cvt_f32_u32_e32 v4, s54
	v_lshlrev_b32_e32 v2, 1, v1
	v_and_b32_e32 v24, 14, v0
	v_sub_u32_e32 v2, v0, v2
	v_bitop3_b32 v77, v0, 1, v0 bitop3:0xc
	v_bitop3_b32 v78, v0, 3, 1 bitop3:0x6c
	v_and_b32_e32 v30, 48, v3
	v_bfe_u32 v83, v0, 2, 4
	v_and_b32_e32 v1, 60, v0
	v_lshlrev_b32_e32 v3, 8, v0
	v_lshlrev_b32_e32 v0, 6, v0
	v_and_b32_e32 v3, 0x200, v3
	v_and_b32_e32 v0, 64, v0
	v_or3_b32 v84, v1, v3, v0
	v_rcp_iflag_f32_e32 v0, v4
	s_abs_i32 s56, s50
	v_cvt_f32_u32_e32 v1, s56
	v_mad_u64_u32 v[26:27], s[6:7], s21, v81, v[24:25]
	v_mul_f32_e32 v0, 0x4f7ffffe, v0
	v_cvt_u32_f32_e32 v0, v0
	v_rcp_iflag_f32_e32 v1, v1
	s_sub_i32 s6, 0, s54
	v_add_u32_e32 v2, 1, v2
	v_readfirstlane_b32 s7, v0
	v_mul_f32_e32 v0, 0x4f7ffffe, v1
	v_cvt_u32_f32_e32 v0, v0
	s_mul_i32 s6, s6, s7
	s_mul_hi_u32 s6, s7, s6
	s_add_i32 s58, s7, s6
	s_sub_i32 s6, 0, s56
	v_readfirstlane_b32 s7, v0
	v_mbcnt_lo_u32_b32 v0, -1, 0
	v_and_b32_e32 v2, 63, v2
	s_mul_i32 s6, s6, s7
	v_mbcnt_hi_u32_b32 v0, -1, v0
	v_lshl_add_u32 v28, s21, 4, v26
	v_mul_lo_u32 v32, s23, v83
	s_mul_hi_u32 s6, s7, s6
	v_and_or_b32 v0, v0, 64, v2
	v_cndmask_b32_e64 v74, 0, 1, s[0:1]
	v_or_b32_e32 v76, 0x6000, v75
	s_ashr_i32 s29, s21, 31
	s_mov_b32 s28, s21
	v_or_b32_e32 v79, 16, v24
	v_or_b32_e32 v80, 32, v24
	v_ashrrev_i32_e32 v27, 31, v26
	v_or_b32_e32 v82, 16, v81
	v_ashrrev_i32_e32 v29, 31, v28
	v_ashrrev_i32_e32 v33, 31, v32
	v_mov_b32_e32 v31, 0
	s_lshl_b32 s55, s23, 4
	v_mul_lo_u32 v85, s22, v83
	v_or_b32_e32 v86, 0x6000, v84
	s_ashr_i32 s57, s33, 31
	s_ashr_i32 s59, s50, 31
	s_add_i32 s60, s7, s6
	s_movk_i32 s61, 0x3000
	s_mov_b32 s62, 0x55555556
	v_lshlrev_b32_e32 v87, 2, v0
	v_mov_b32_e32 v88, v36
	s_branch .LBB189_7
.LBB189_4:                              ;   in Loop: Header=BB189_7 Depth=1
	s_or_b64 exec, exec, s[10:11]
.LBB189_5:                              ;   in Loop: Header=BB189_7 Depth=1
	s_or_b64 exec, exec, s[8:9]
	v_subrev_u32_e32 v88, s16, v88
.LBB189_6:                              ;   in Loop: Header=BB189_7 Depth=1
	s_or_b64 exec, exec, s[6:7]
	s_add_i32 s51, s51, 1
	v_cmp_ge_i32_e32 vcc, s51, v25
	s_cbranch_vccnz .LBB189_53
.LBB189_7:                              ; =>This Loop Header: Depth=1
                                        ;     Child Loop BB189_13 Depth 2
                                        ;       Child Loop BB189_15 Depth 3
                                        ;       Child Loop BB189_18 Depth 3
	;; [unrolled: 1-line block ×5, first 2 shown]
                                        ;     Child Loop BB189_40 Depth 2
                                        ;       Child Loop BB189_42 Depth 3
                                        ;     Child Loop BB189_50 Depth 2
                                        ;       Child Loop BB189_52 Depth 3
	s_abs_i32 s7, s51
	s_mul_hi_u32 s8, s7, s58
	s_mul_i32 s9, s8, s54
	s_ashr_i32 s6, s51, 31
	s_sub_i32 s7, s7, s9
	s_xor_b32 s6, s6, s57
	s_add_i32 s9, s8, 1
	s_sub_i32 s10, s7, s54
	s_cmp_ge_u32 s7, s54
	s_cselect_b32 s8, s9, s8
	s_cselect_b32 s7, s10, s7
	s_add_i32 s9, s8, 1
	s_cmp_ge_u32 s7, s54
	s_cselect_b32 s7, s9, s8
	s_xor_b32 s7, s7, s6
	s_sub_i32 s6, s7, s6
	s_abs_i32 s8, s6
	s_mul_i32 s7, s6, s33
	s_mul_hi_u32 s9, s8, s60
	s_sub_i32 s7, s51, s7
	s_mul_i32 s10, s9, s56
	s_lshl_b32 s63, s7, 5
	s_ashr_i32 s7, s6, 31
	s_sub_i32 s8, s8, s10
	s_xor_b32 s7, s7, s59
	s_add_i32 s10, s9, 1
	s_sub_i32 s11, s8, s56
	s_cmp_ge_u32 s8, s56
	s_cselect_b32 s9, s10, s9
	s_cselect_b32 s8, s11, s8
	s_add_i32 s10, s9, 1
	s_cmp_ge_u32 s8, s56
	s_cselect_b32 s8, s10, s9
	s_xor_b32 s8, s8, s7
	s_sub_i32 s7, s8, s7
	s_mul_i32 s8, s7, s52
	s_lshl_b32 s64, s8, 8
	s_cmp_eq_u32 s7, s24
	s_cselect_b32 s66, s53, s52
	s_sub_i32 s8, s63, s20
	s_add_i32 s8, s8, 32
	s_max_i32 s65, s8, 0
	s_and_saveexec_b64 s[8:9], s[2:3]
	s_xor_b64 s[30:31], exec, s[8:9]
	s_cbranch_execz .LBB189_46
; %bb.8:                                ;   in Loop: Header=BB189_7 Depth=1
	s_mul_i32 s7, s7, s50
	s_sub_i32 s6, s6, s7
	s_mul_i32 s6, s6, 48
	s_sub_i32 s18, s6, s21
	s_add_i32 s18, s18, 48
	s_max_i32 s7, s18, 0
	s_sub_i32 s34, s6, s7
	s_and_saveexec_b64 s[6:7], s[0:1]
	s_xor_b64 s[44:45], exec, s[6:7]
	s_cbranch_execz .LBB189_36
; %bb.9:                                ;   in Loop: Header=BB189_7 Depth=1
	s_and_saveexec_b64 s[46:47], s[4:5]
	s_cbranch_execz .LBB189_35
; %bb.10:                               ;   in Loop: Header=BB189_7 Depth=1
	s_waitcnt lgkmcnt(0)
	global_load_dword v89, v31, s[42:43]
	v_mov_b32_e32 v23, 0
	v_cmp_gt_i32_e32 vcc, s66, v88
	v_mov_b32_e32 v22, v23
	v_mov_b32_e32 v21, v23
	;; [unrolled: 1-line block ×23, first 2 shown]
	s_and_saveexec_b64 s[6:7], vcc
	s_cbranch_execz .LBB189_29
; %bb.11:                               ;   in Loop: Header=BB189_7 Depth=1
	v_mov_b32_e32 v0, 0
	s_mov_b64 s[8:9], 0
	v_mov_b32_e32 v1, v0
	v_mov_b32_e32 v2, v0
	;; [unrolled: 1-line block ×23, first 2 shown]
	s_branch .LBB189_13
.LBB189_12:                             ;   in Loop: Header=BB189_13 Depth=2
	s_or_b64 exec, exec, s[10:11]
	v_add_u32_e32 v67, 0x2000, v66
	ds_read2_b32 v[68:69], v67 offset1:32
	v_add_u32_e32 v88, s27, v88
	s_waitcnt lgkmcnt(0)
	v_mfma_f32_16x16x32_fp8_fp8 v[12:15], v[34:35], v[68:69], v[12:15]
	ds_read2_b32 v[34:35], v67 offset0:128 offset1:160
	v_add_u32_e32 v67, 0x2400, v66
	v_mfma_f32_16x16x32_fp8_fp8 v[0:3], v[50:51], v[68:69], v[0:3]
	s_waitcnt lgkmcnt(0)
	v_mfma_f32_16x16x32_fp8_fp8 v[12:15], v[36:37], v[34:35], v[12:15]
	ds_read2_b32 v[36:37], v67 offset1:32
	s_waitcnt lgkmcnt(0)
	v_mfma_f32_16x16x32_fp8_fp8 v[12:15], v[42:43], v[36:37], v[12:15]
	ds_read2_b32 v[42:43], v67 offset0:128 offset1:160
	v_add_u32_e32 v67, 0x2800, v66
	v_add_u32_e32 v66, 0x2c00, v66
	v_mfma_f32_16x16x32_fp8_fp8 v[0:3], v[52:53], v[34:35], v[0:3]
	v_add_u32_e32 v34, 2, v74
	s_waitcnt lgkmcnt(0)
	v_mfma_f32_16x16x32_fp8_fp8 v[12:15], v[38:39], v[42:43], v[12:15]
	ds_read2_b32 v[38:39], v67 offset1:32
	v_mfma_f32_16x16x32_fp8_fp8 v[0:3], v[58:59], v[36:37], v[0:3]
	v_add_u32_e32 v36, s27, v90
	v_cmp_lt_i32_e32 vcc, 1, v36
	v_mfma_f32_16x16x32_fp8_fp8 v[0:3], v[60:61], v[42:43], v[0:3]
	s_nop 0
	v_cndmask_b32_e32 v74, v74, v34, vcc
	v_cmp_le_i32_e32 vcc, s66, v88
	s_or_b64 s[8:9], vcc, s[8:9]
	s_waitcnt lgkmcnt(0)
	v_mfma_f32_16x16x32_fp8_fp8 v[12:15], v[44:45], v[38:39], v[12:15]
	ds_read2_b32 v[44:45], v67 offset0:128 offset1:160
	v_mfma_f32_16x16x32_fp8_fp8 v[0:3], v[62:63], v[38:39], v[0:3]
	s_waitcnt lgkmcnt(0)
	v_mfma_f32_16x16x32_fp8_fp8 v[12:15], v[40:41], v[44:45], v[12:15]
	ds_read2_b32 v[40:41], v66 offset1:32
	v_mfma_f32_16x16x32_fp8_fp8 v[0:3], v[64:65], v[44:45], v[0:3]
	s_waitcnt lgkmcnt(0)
	v_mfma_f32_16x16x32_fp8_fp8 v[12:15], v[46:47], v[40:41], v[12:15]
	ds_read2_b32 v[46:47], v66 offset0:128 offset1:160
	;;#ASMSTART
	s_waitcnt lgkmcnt(0)
	;;#ASMEND
	ds_write_b32 v91, v92 offset:40984
	v_mfma_f32_16x16x32_fp8_fp8 v[0:3], v[56:57], v[40:41], v[0:3]
	s_waitcnt lgkmcnt(1)
	v_mfma_f32_16x16x32_fp8_fp8 v[12:15], v[48:49], v[46:47], v[12:15]
	v_mfma_f32_16x16x32_fp8_fp8 v[0:3], v[54:55], v[46:47], v[0:3]
	s_andn2_b64 exec, exec, s[8:9]
	s_cbranch_execz .LBB189_28
.LBB189_13:                             ;   Parent Loop BB189_7 Depth=1
                                        ; =>  This Loop Header: Depth=2
                                        ;       Child Loop BB189_15 Depth 3
                                        ;       Child Loop BB189_18 Depth 3
	;; [unrolled: 1-line block ×5, first 2 shown]
	v_cmp_gt_i32_e32 vcc, 2, v36
	s_nop 1
	v_cndmask_b32_e64 v34, -2, 0, vcc
	v_add_u32_e32 v90, v34, v36
	v_mul_lo_u32 v91, v90, 12
	ds_read_b32 v34, v91 offset:40976
	s_waitcnt lgkmcnt(0)
	v_cmp_ne_u32_e32 vcc, v34, v74
	s_and_saveexec_b64 s[10:11], vcc
	s_cbranch_execz .LBB189_16
; %bb.14:                               ;   in Loop: Header=BB189_13 Depth=2
	s_mov_b64 s[12:13], 0
.LBB189_15:                             ;   Parent Loop BB189_7 Depth=1
                                        ;     Parent Loop BB189_13 Depth=2
                                        ; =>    This Inner Loop Header: Depth=3
	;;#ASMSTART
	s_sleep 0
	;;#ASMEND
	ds_read_b32 v34, v91 offset:40976
	s_waitcnt lgkmcnt(0)
	v_cmp_eq_u32_e32 vcc, v34, v74
	s_or_b64 s[12:13], vcc, s[12:13]
	s_andn2_b64 exec, exec, s[12:13]
	s_cbranch_execnz .LBB189_15
.LBB189_16:                             ;   in Loop: Header=BB189_13 Depth=2
	s_or_b64 exec, exec, s[10:11]
	v_mul_lo_u32 v93, v90, s61
	v_or_b32_e32 v34, v75, v93
	v_add_u32_e32 v35, 0x400, v34
	ds_read2_b32 v[54:55], v34 offset1:32
	ds_read2_b32 v[56:57], v34 offset0:128 offset1:160
	ds_read2_b32 v[62:63], v35 offset1:32
	ds_read2_b32 v[64:65], v35 offset0:128 offset1:160
	v_add_u32_e32 v35, 0x800, v34
	v_add_u32_e32 v34, 0xc00, v34
	;; [unrolled: 1-line block ×3, first 2 shown]
	ds_read2_b32 v[66:67], v35 offset1:32
	ds_read2_b32 v[68:69], v35 offset0:128 offset1:160
	ds_read2_b32 v[72:73], v34 offset1:32
	ds_read2_b32 v[70:71], v34 offset0:128 offset1:160
	;;#ASMSTART
	s_waitcnt lgkmcnt(0)
	;;#ASMEND
	ds_write_b32 v91, v92 offset:40976
	v_lshlrev_b32_e32 v94, 3, v90
	ds_read_b32 v34, v94 offset:40960
	s_waitcnt lgkmcnt(0)
	v_cmp_ne_u32_e32 vcc, v34, v74
	s_and_saveexec_b64 s[10:11], vcc
	s_cbranch_execz .LBB189_19
; %bb.17:                               ;   in Loop: Header=BB189_13 Depth=2
	s_mov_b64 s[12:13], 0
.LBB189_18:                             ;   Parent Loop BB189_7 Depth=1
                                        ;     Parent Loop BB189_13 Depth=2
                                        ; =>    This Inner Loop Header: Depth=3
	;;#ASMSTART
	s_sleep 0
	;;#ASMEND
	ds_read_b32 v34, v94 offset:40960
	s_waitcnt lgkmcnt(0)
	v_cmp_eq_u32_e32 vcc, v34, v74
	s_or_b64 s[12:13], vcc, s[12:13]
	s_andn2_b64 exec, exec, s[12:13]
	s_cbranch_execnz .LBB189_18
.LBB189_19:                             ;   in Loop: Header=BB189_13 Depth=2
	s_or_b64 exec, exec, s[10:11]
	v_lshlrev_b32_e32 v34, 13, v90
	v_add_u32_e32 v95, v76, v34
	ds_read2_b32 v[34:35], v95 offset1:32
	ds_read2_b32 v[36:37], v95 offset0:128 offset1:160
	v_add_u32_e32 v38, 0x400, v95
	ds_read2_b32 v[42:43], v38 offset1:32
	ds_read2_b32 v[38:39], v38 offset0:128 offset1:160
	;; [unrolled: 3-line block ×3, first 2 shown]
	v_add_u32_e32 v48, 0xc00, v95
	s_waitcnt lgkmcnt(5)
	v_mfma_f32_16x16x32_fp8_fp8 v[20:23], v[34:35], v[54:55], v[20:23]
	ds_read2_b32 v[46:47], v48 offset1:32
	ds_read2_b32 v[48:49], v48 offset0:128 offset1:160
	ds_read_b32 v50, v94 offset:40964
	ds_write_b32 v94, v92 offset:40960
	s_waitcnt lgkmcnt(8)
	v_mfma_f32_16x16x32_fp8_fp8 v[20:23], v[36:37], v[56:57], v[20:23]
	s_waitcnt lgkmcnt(1)
	v_cmp_ne_u32_e32 vcc, v50, v74
	v_mfma_f32_16x16x32_fp8_fp8 v[20:23], v[42:43], v[62:63], v[20:23]
	v_mfma_f32_16x16x32_fp8_fp8 v[20:23], v[38:39], v[64:65], v[20:23]
	;; [unrolled: 1-line block ×6, first 2 shown]
	s_and_saveexec_b64 s[10:11], vcc
	s_cbranch_execz .LBB189_22
; %bb.20:                               ;   in Loop: Header=BB189_13 Depth=2
	s_mov_b64 s[12:13], 0
.LBB189_21:                             ;   Parent Loop BB189_7 Depth=1
                                        ;     Parent Loop BB189_13 Depth=2
                                        ; =>    This Inner Loop Header: Depth=3
	;;#ASMSTART
	s_sleep 0
	;;#ASMEND
	ds_read_b32 v50, v94 offset:40964
	s_waitcnt lgkmcnt(0)
	v_cmp_eq_u32_e32 vcc, v50, v74
	s_or_b64 s[12:13], vcc, s[12:13]
	s_andn2_b64 exec, exec, s[12:13]
	s_cbranch_execnz .LBB189_21
.LBB189_22:                             ;   in Loop: Header=BB189_13 Depth=2
	s_or_b64 exec, exec, s[10:11]
	v_add_u32_e32 v52, 0x1000, v95
	ds_read2_b32 v[50:51], v52 offset1:32
	ds_read2_b32 v[52:53], v52 offset0:128 offset1:160
	v_add_u32_e32 v60, 0x1400, v95
	ds_read2_b32 v[58:59], v60 offset1:32
	ds_read2_b32 v[60:61], v60 offset0:128 offset1:160
	s_waitcnt lgkmcnt(3)
	v_mfma_f32_16x16x32_fp8_fp8 v[8:11], v[50:51], v[54:55], v[8:11]
	v_add_u32_e32 v54, 0x1800, v95
	ds_write_b32 v94, v92 offset:40964
	s_waitcnt lgkmcnt(3)
	v_mfma_f32_16x16x32_fp8_fp8 v[8:11], v[52:53], v[56:57], v[8:11]
	s_waitcnt lgkmcnt(2)
	v_mfma_f32_16x16x32_fp8_fp8 v[8:11], v[58:59], v[62:63], v[8:11]
	ds_read2_b32 v[62:63], v54 offset1:32
	s_waitcnt lgkmcnt(2)
	v_mfma_f32_16x16x32_fp8_fp8 v[8:11], v[60:61], v[64:65], v[8:11]
	ds_read2_b32 v[64:65], v54 offset0:128 offset1:160
	v_add_u32_e32 v54, 0x1c00, v95
	ds_read2_b32 v[56:57], v54 offset1:32
	ds_read2_b32 v[54:55], v54 offset0:128 offset1:160
	s_waitcnt lgkmcnt(3)
	v_mfma_f32_16x16x32_fp8_fp8 v[8:11], v[62:63], v[66:67], v[8:11]
	ds_read_b32 v66, v91 offset:40980
	s_waitcnt lgkmcnt(0)
	v_cmp_ne_u32_e32 vcc, v66, v74
	v_mfma_f32_16x16x32_fp8_fp8 v[8:11], v[64:65], v[68:69], v[8:11]
	v_mfma_f32_16x16x32_fp8_fp8 v[8:11], v[56:57], v[72:73], v[8:11]
	;; [unrolled: 1-line block ×3, first 2 shown]
	s_and_saveexec_b64 s[10:11], vcc
	s_cbranch_execz .LBB189_25
; %bb.23:                               ;   in Loop: Header=BB189_13 Depth=2
	s_mov_b64 s[12:13], 0
.LBB189_24:                             ;   Parent Loop BB189_7 Depth=1
                                        ;     Parent Loop BB189_13 Depth=2
                                        ; =>    This Inner Loop Header: Depth=3
	;;#ASMSTART
	s_sleep 0
	;;#ASMEND
	ds_read_b32 v66, v91 offset:40980
	s_waitcnt lgkmcnt(0)
	v_cmp_eq_u32_e32 vcc, v66, v74
	s_or_b64 s[12:13], vcc, s[12:13]
	s_andn2_b64 exec, exec, s[12:13]
	s_cbranch_execnz .LBB189_24
.LBB189_25:                             ;   in Loop: Header=BB189_13 Depth=2
	s_or_b64 exec, exec, s[10:11]
	v_add_u32_e32 v66, v75, v93
	v_add_u32_e32 v67, 0x1000, v66
	ds_read2_b32 v[68:69], v67 offset1:32
	s_waitcnt lgkmcnt(0)
	v_mfma_f32_16x16x32_fp8_fp8 v[16:19], v[34:35], v[68:69], v[16:19]
	v_mfma_f32_16x16x32_fp8_fp8 v[4:7], v[50:51], v[68:69], v[4:7]
	ds_read2_b32 v[68:69], v67 offset0:128 offset1:160
	v_add_u32_e32 v67, 0x1400, v66
	ds_read2_b32 v[70:71], v67 offset1:32
	s_waitcnt lgkmcnt(1)
	v_mfma_f32_16x16x32_fp8_fp8 v[16:19], v[36:37], v[68:69], v[16:19]
	ds_read2_b32 v[72:73], v67 offset0:128 offset1:160
	v_add_u32_e32 v67, 0x1800, v66
	ds_read2_b32 v[94:95], v67 offset1:32
	v_mfma_f32_16x16x32_fp8_fp8 v[4:7], v[52:53], v[68:69], v[4:7]
	ds_read2_b32 v[96:97], v67 offset0:128 offset1:160
	v_add_u32_e32 v67, 0x1c00, v66
	ds_read2_b32 v[98:99], v67 offset1:32
	s_waitcnt lgkmcnt(4)
	v_mfma_f32_16x16x32_fp8_fp8 v[16:19], v[42:43], v[70:71], v[16:19]
	ds_read2_b32 v[100:101], v67 offset0:128 offset1:160
	;;#ASMSTART
	s_waitcnt lgkmcnt(0)
	;;#ASMEND
	ds_read_b32 v67, v91 offset:40984
	v_mfma_f32_16x16x32_fp8_fp8 v[4:7], v[58:59], v[70:71], v[4:7]
	ds_write_b32 v91, v92 offset:40980
	s_waitcnt lgkmcnt(1)
	v_cmp_ne_u32_e32 vcc, v67, v74
	v_mfma_f32_16x16x32_fp8_fp8 v[16:19], v[38:39], v[72:73], v[16:19]
	v_mfma_f32_16x16x32_fp8_fp8 v[4:7], v[60:61], v[72:73], v[4:7]
	;; [unrolled: 1-line block ×10, first 2 shown]
	s_and_saveexec_b64 s[10:11], vcc
	s_cbranch_execz .LBB189_12
; %bb.26:                               ;   in Loop: Header=BB189_13 Depth=2
	s_mov_b64 s[12:13], 0
.LBB189_27:                             ;   Parent Loop BB189_7 Depth=1
                                        ;     Parent Loop BB189_13 Depth=2
                                        ; =>    This Inner Loop Header: Depth=3
	;;#ASMSTART
	s_sleep 0
	;;#ASMEND
	ds_read_b32 v67, v91 offset:40984
	s_waitcnt lgkmcnt(0)
	v_cmp_eq_u32_e32 vcc, v67, v74
	s_or_b64 s[12:13], vcc, s[12:13]
	s_andn2_b64 exec, exec, s[12:13]
	s_cbranch_execnz .LBB189_27
	s_branch .LBB189_12
.LBB189_28:                             ;   in Loop: Header=BB189_7 Depth=1
	s_or_b64 exec, exec, s[8:9]
.LBB189_29:                             ;   in Loop: Header=BB189_7 Depth=1
	s_or_b64 exec, exec, s[6:7]
	v_cmp_le_i32_e32 vcc, s18, v24
	v_cmp_eq_u32_e64 s[6:7], 2, v77
	v_cmp_eq_u32_e64 s[8:9], 3, v77
	s_waitcnt vmcnt(0)
	v_cndmask_b32_e32 v34, 0, v89, vcc
	v_pk_mul_f32 v[20:21], v[34:35], v[20:21] op_sel_hi:[0,1]
	v_cmp_eq_u32_e32 vcc, 1, v77
	v_pk_mul_f32 v[38:39], v[34:35], v[22:23] op_sel_hi:[0,1]
	v_cmp_eq_u32_e64 s[10:11], 0, v77
	v_cndmask_b32_e32 v22, v20, v21, vcc
	v_cndmask_b32_e64 v22, v22, v38, s[6:7]
	v_cndmask_b32_e64 v22, v22, v39, s[8:9]
	ds_bpermute_b32 v35, v87, v22
	v_cmp_le_i32_e64 s[14:15], s18, v79
	v_cmp_eq_u32_e64 s[12:13], 1, v78
	v_cmp_le_i32_e64 s[18:19], s18, v80
	v_cmp_eq_u32_e64 s[16:17], 3, v78
	s_waitcnt lgkmcnt(0)
	v_cndmask_b32_e64 v22, v39, v35, s[8:9]
	v_cndmask_b32_e64 v23, v38, v35, s[6:7]
	v_cndmask_b32_e32 v21, v21, v35, vcc
	v_cndmask_b32_e64 v35, v20, v35, s[10:11]
	v_cndmask_b32_e64 v20, 0, v89, s[14:15]
	v_pk_mul_f32 v[16:17], v[20:21], v[16:17] op_sel_hi:[0,1]
	v_pk_mul_f32 v[38:39], v[20:21], v[18:19] op_sel_hi:[0,1]
	v_cndmask_b32_e32 v18, v16, v17, vcc
	v_cndmask_b32_e64 v18, v18, v38, s[6:7]
	v_cndmask_b32_e64 v18, v18, v39, s[8:9]
	ds_bpermute_b32 v41, v87, v18
	v_cndmask_b32_e64 v37, v35, v21, s[12:13]
	v_cmp_eq_u32_e64 s[14:15], 2, v78
	s_waitcnt lgkmcnt(0)
	v_cndmask_b32_e64 v19, v39, v41, s[8:9]
	v_cndmask_b32_e64 v18, v37, v23, s[14:15]
	;; [unrolled: 1-line block ×3, first 2 shown]
	v_cndmask_b32_e32 v40, v17, v41, vcc
	v_cndmask_b32_e64 v41, v16, v41, s[10:11]
	v_cndmask_b32_e64 v16, 0, v89, s[18:19]
	v_pk_mul_f32 v[42:43], v[16:17], v[12:13] op_sel_hi:[0,1]
	v_pk_mul_f32 v[38:39], v[16:17], v[14:15] op_sel_hi:[0,1]
	v_cndmask_b32_e32 v12, v42, v43, vcc
	v_cndmask_b32_e64 v12, v12, v38, s[6:7]
	v_cndmask_b32_e64 v12, v12, v39, s[8:9]
	ds_bpermute_b32 v13, v87, v12
	v_cndmask_b32_e64 v12, v41, v40, s[12:13]
	v_cndmask_b32_e64 v12, v12, v37, s[14:15]
	;; [unrolled: 1-line block ×3, first 2 shown]
	v_cmp_ne_u32_e32 vcc, 0, v77
	ds_bpermute_b32 v14, v87, v12
	s_waitcnt lgkmcnt(1)
	v_cndmask_b32_e64 v15, v39, v13, s[8:9]
	v_cndmask_b32_e64 v38, v38, v13, s[6:7]
	v_cndmask_b32_e32 v12, v43, v13, vcc
	v_cndmask_b32_e64 v13, v42, v13, s[10:11]
	v_cndmask_b32_e64 v17, v13, v12, s[12:13]
	;; [unrolled: 1-line block ×5, first 2 shown]
	ds_bpermute_b32 v18, v87, v18
	ds_bpermute_b32 v39, v87, v17
	v_add_u32_e32 v17, s65, v81
	v_cmp_gt_u32_e32 vcc, 32, v17
	s_and_saveexec_b64 s[18:19], vcc
	s_cbranch_execz .LBB189_34
; %bb.30:                               ;   in Loop: Header=BB189_7 Depth=1
	v_cmp_eq_u32_e64 s[8:9], 1, v78
	v_cmp_eq_u32_e64 s[10:11], 0, v78
	v_cmp_eq_u32_e32 vcc, 3, v78
	s_waitcnt lgkmcnt(1)
	v_cndmask_b32_e64 v21, v21, v18, s[8:9]
	v_cndmask_b32_e64 v40, v40, v14, s[8:9]
	s_waitcnt lgkmcnt(0)
	v_cndmask_b32_e64 v42, v12, v39, s[8:9]
	s_mul_i32 s8, s63, s21
	s_ashr_i32 s9, s8, 31
	v_cndmask_b32_e64 v35, v35, v18, s[10:11]
	s_lshl_b64 s[8:9], s[8:9], 1
	v_cndmask_b32_e64 v41, v41, v14, s[10:11]
	v_cndmask_b32_e64 v43, v13, v39, s[10:11]
	s_add_u32 s10, s40, s8
	v_cvt_f16_f32_e32 v35, v35
	v_cvt_f16_f32_sdwa v21, v21 dst_sel:WORD_1 dst_unused:UNUSED_PAD src0_sel:DWORD
	s_addc_u32 s11, s41, s9
	s_ashr_i32 s35, s34, 31
	s_lshl_b64 s[8:9], s[34:35], 1
	s_add_u32 s48, s10, s8
	s_addc_u32 s49, s11, s9
	v_or_b32_e32 v21, v21, v35
	v_lshl_add_u64 v[12:13], v[26:27], 1, s[48:49]
	;;#ASMSTART
	global_atomic_pk_add_f16 v[12:13], v21, off
	
	;;#ASMEND
	v_cvt_f16_f32_e32 v21, v41
	v_cvt_f16_f32_sdwa v35, v40 dst_sel:WORD_1 dst_unused:UNUSED_PAD src0_sel:DWORD
	v_cvt_f16_f32_e32 v43, v43
	v_cvt_f16_f32_sdwa v42, v42 dst_sel:WORD_1 dst_unused:UNUSED_PAD src0_sel:DWORD
	v_cmp_eq_u32_e64 s[6:7], 2, v78
	v_lshl_add_u64 v[40:41], v[12:13], 0, 32
	v_or_b32_e32 v21, v35, v21
	v_cmp_gt_u32_e64 s[8:9], 30, v17
	;;#ASMSTART
	global_atomic_pk_add_f16 v[40:41], v21, off
	
	;;#ASMEND
	v_lshl_add_u64 v[40:41], v[12:13], 0, 64
	v_or_b32_e32 v21, v42, v43
	;;#ASMSTART
	global_atomic_pk_add_f16 v[40:41], v21, off
	
	;;#ASMEND
	s_and_b64 exec, exec, s[8:9]
	s_cbranch_execz .LBB189_34
; %bb.31:                               ;   in Loop: Header=BB189_7 Depth=1
	v_cndmask_b32_e32 v22, v22, v18, vcc
	v_cndmask_b32_e64 v18, v23, v18, s[6:7]
	v_cndmask_b32_e32 v19, v19, v14, vcc
	v_cndmask_b32_e64 v14, v37, v14, s[6:7]
	v_cndmask_b32_e32 v23, v15, v39, vcc
	v_cvt_f16_f32_e32 v15, v18
	v_cvt_f16_f32_sdwa v18, v22 dst_sel:WORD_1 dst_unused:UNUSED_PAD src0_sel:DWORD
	v_cvt_f16_f32_e32 v22, v14
	v_cvt_f16_f32_sdwa v19, v19 dst_sel:WORD_1 dst_unused:UNUSED_PAD src0_sel:DWORD
	v_mov_b32_e32 v35, v34
	v_or_b32_e32 v14, v18, v15
	v_mov_b32_e32 v18, v34
	v_or_b32_e32 v22, v19, v22
	v_mov_b32_e32 v19, v34
	v_pk_mul_f32 v[10:11], v[18:19], v[10:11]
	v_pk_mul_f32 v[18:19], v[34:35], v[8:9]
	v_cmp_eq_u32_e32 vcc, 1, v77
	v_cndmask_b32_e64 v37, v38, v39, s[6:7]
	v_cmp_eq_u32_e64 s[6:7], 2, v77
	v_cndmask_b32_e32 v8, v18, v19, vcc
	v_cmp_eq_u32_e64 s[8:9], 3, v77
	v_cndmask_b32_e64 v8, v8, v10, s[6:7]
	v_lshl_add_u64 v[12:13], s[28:29], 2, v[12:13]
	v_cndmask_b32_e64 v8, v8, v11, s[8:9]
	v_mov_b32_e32 v21, v20
	;;#ASMSTART
	global_atomic_pk_add_f16 v[12:13], v14, off
	
	;;#ASMEND
	v_lshl_add_u64 v[14:15], v[12:13], 0, 32
	ds_bpermute_b32 v34, v87, v8
	;;#ASMSTART
	global_atomic_pk_add_f16 v[14:15], v22, off
	
	;;#ASMEND
	v_cvt_f16_f32_sdwa v35, v23 dst_sel:WORD_1 dst_unused:UNUSED_PAD src0_sel:DWORD
	v_lshl_add_u64 v[22:23], v[12:13], 0, 64
	v_mov_b32_e32 v12, v20
	v_mov_b32_e32 v13, v20
	v_pk_mul_f32 v[6:7], v[12:13], v[6:7]
	v_pk_mul_f32 v[12:13], v[20:21], v[4:5]
	v_cmp_eq_u32_e64 s[10:11], 0, v77
	v_cndmask_b32_e32 v4, v12, v13, vcc
	v_cndmask_b32_e64 v4, v4, v6, s[6:7]
	v_cndmask_b32_e64 v4, v4, v7, s[8:9]
	s_waitcnt lgkmcnt(0)
	v_cndmask_b32_e64 v8, v11, v34, s[8:9]
	v_cndmask_b32_e64 v11, v18, v34, s[10:11]
	ds_bpermute_b32 v18, v87, v4
	v_cndmask_b32_e64 v9, v10, v34, s[6:7]
	v_cndmask_b32_e32 v10, v19, v34, vcc
	v_cmp_eq_u32_e64 s[12:13], 1, v78
	v_mov_b32_e32 v17, v16
	v_cmp_eq_u32_e64 s[14:15], 2, v78
	v_cndmask_b32_e64 v14, v11, v10, s[12:13]
	s_waitcnt lgkmcnt(0)
	v_cndmask_b32_e64 v5, v7, v18, s[8:9]
	v_cndmask_b32_e64 v4, v14, v9, s[14:15]
	;; [unrolled: 1-line block ×3, first 2 shown]
	v_cndmask_b32_e32 v13, v13, v18, vcc
	v_cndmask_b32_e64 v14, v12, v18, s[10:11]
	v_mov_b32_e32 v18, v16
	v_mov_b32_e32 v19, v16
	v_pk_mul_f32 v[16:17], v[16:17], v[0:1]
	v_pk_mul_f32 v[18:19], v[18:19], v[2:3]
	v_cndmask_b32_e32 v0, v16, v17, vcc
	v_cndmask_b32_e64 v0, v0, v18, s[6:7]
	v_cndmask_b32_e64 v0, v0, v19, s[8:9]
	ds_bpermute_b32 v1, v87, v0
	v_cndmask_b32_e64 v0, v14, v13, s[12:13]
	v_cmp_eq_u32_e64 s[16:17], 3, v78
	v_cndmask_b32_e64 v0, v0, v6, s[14:15]
	v_cmp_ne_u32_e32 vcc, 0, v77
	v_cndmask_b32_e64 v0, v0, v5, s[16:17]
	ds_bpermute_b32 v7, v87, v0
	s_waitcnt lgkmcnt(1)
	v_cndmask_b32_e64 v2, v19, v1, s[8:9]
	v_cndmask_b32_e64 v3, v18, v1, s[6:7]
	v_cndmask_b32_e32 v0, v17, v1, vcc
	v_cndmask_b32_e64 v1, v16, v1, s[10:11]
	v_cndmask_b32_e64 v12, v1, v0, s[12:13]
	v_cvt_f16_f32_e32 v15, v37
	v_cndmask_b32_e64 v12, v12, v3, s[14:15]
	v_cndmask_b32_e64 v4, v4, v8, s[16:17]
	;; [unrolled: 1-line block ×3, first 2 shown]
	ds_bpermute_b32 v4, v87, v4
	ds_bpermute_b32 v12, v87, v12
	v_or_b32_e32 v15, v35, v15
	;;#ASMSTART
	global_atomic_pk_add_f16 v[22:23], v15, off
	
	;;#ASMEND
	v_add_u32_e32 v15, s65, v82
	v_cmp_gt_u32_e32 vcc, 32, v15
	s_and_b64 exec, exec, vcc
	s_cbranch_execz .LBB189_34
; %bb.32:                               ;   in Loop: Header=BB189_7 Depth=1
	v_cmp_eq_u32_e64 s[8:9], 1, v78
	v_cmp_eq_u32_e64 s[10:11], 0, v78
	v_cmp_eq_u32_e32 vcc, 3, v78
	s_waitcnt lgkmcnt(1)
	v_cndmask_b32_e64 v10, v10, v4, s[8:9]
	v_cndmask_b32_e64 v11, v11, v4, s[10:11]
	;; [unrolled: 1-line block ×4, first 2 shown]
	v_cvt_f16_f32_e32 v11, v11
	v_cvt_f16_f32_sdwa v10, v10 dst_sel:WORD_1 dst_unused:UNUSED_PAD src0_sel:DWORD
	s_waitcnt lgkmcnt(0)
	v_cndmask_b32_e64 v16, v0, v12, s[8:9]
	v_cndmask_b32_e64 v17, v1, v12, s[10:11]
	v_cvt_f16_f32_e32 v14, v14
	v_cvt_f16_f32_sdwa v13, v13 dst_sel:WORD_1 dst_unused:UNUSED_PAD src0_sel:DWORD
	v_cvt_f16_f32_e32 v17, v17
	v_cvt_f16_f32_sdwa v16, v16 dst_sel:WORD_1 dst_unused:UNUSED_PAD src0_sel:DWORD
	v_lshl_add_u64 v[0:1], v[28:29], 1, s[48:49]
	v_or_b32_e32 v10, v10, v11
	v_cmp_eq_u32_e64 s[6:7], 2, v78
	;;#ASMSTART
	global_atomic_pk_add_f16 v[0:1], v10, off
	
	;;#ASMEND
	v_lshl_add_u64 v[10:11], v[0:1], 0, 32
	v_or_b32_e32 v13, v13, v14
	v_cmp_gt_u32_e64 s[8:9], 30, v15
	;;#ASMSTART
	global_atomic_pk_add_f16 v[10:11], v13, off
	
	;;#ASMEND
	v_lshl_add_u64 v[10:11], v[0:1], 0, 64
	v_or_b32_e32 v13, v16, v17
	;;#ASMSTART
	global_atomic_pk_add_f16 v[10:11], v13, off
	
	;;#ASMEND
	s_and_b64 exec, exec, s[8:9]
	s_cbranch_execz .LBB189_34
; %bb.33:                               ;   in Loop: Header=BB189_7 Depth=1
	v_cndmask_b32_e32 v8, v8, v4, vcc
	v_cndmask_b32_e64 v4, v9, v4, s[6:7]
	v_cndmask_b32_e32 v5, v5, v7, vcc
	v_cndmask_b32_e64 v6, v6, v7, s[6:7]
	v_cvt_f16_f32_e32 v4, v4
	v_cvt_f16_f32_sdwa v7, v8 dst_sel:WORD_1 dst_unused:UNUSED_PAD src0_sel:DWORD
	v_cndmask_b32_e32 v8, v2, v12, vcc
	v_cndmask_b32_e64 v9, v3, v12, s[6:7]
	v_cvt_f16_f32_sdwa v5, v5 dst_sel:WORD_1 dst_unused:UNUSED_PAD src0_sel:DWORD
	v_or_b32_e32 v2, v7, v4
	v_cvt_f16_f32_e32 v4, v6
	v_cvt_f16_f32_e32 v6, v9
	v_cvt_f16_f32_sdwa v7, v8 dst_sel:WORD_1 dst_unused:UNUSED_PAD src0_sel:DWORD
	v_lshl_add_u64 v[0:1], s[28:29], 2, v[0:1]
	;;#ASMSTART
	global_atomic_pk_add_f16 v[0:1], v2, off
	
	;;#ASMEND
	v_lshl_add_u64 v[2:3], v[0:1], 0, 32
	v_or_b32_e32 v4, v5, v4
	;;#ASMSTART
	global_atomic_pk_add_f16 v[2:3], v4, off
	
	;;#ASMEND
	v_lshl_add_u64 v[0:1], v[0:1], 0, 64
	v_or_b32_e32 v2, v7, v6
	;;#ASMSTART
	global_atomic_pk_add_f16 v[0:1], v2, off
	
	;;#ASMEND
.LBB189_34:                             ;   in Loop: Header=BB189_7 Depth=1
	s_or_b64 exec, exec, s[18:19]
	v_subrev_u32_e32 v88, s66, v88
.LBB189_35:                             ;   in Loop: Header=BB189_7 Depth=1
	s_or_b64 exec, exec, s[46:47]
.LBB189_36:                             ;   in Loop: Header=BB189_7 Depth=1
	s_andn2_saveexec_b64 s[6:7], s[44:45]
	s_cbranch_execz .LBB189_45
; %bb.37:                               ;   in Loop: Header=BB189_7 Depth=1
	s_mul_i32 s16, s66, 3
	v_cmp_gt_i32_e32 vcc, s16, v88
	s_and_saveexec_b64 s[8:9], vcc
	s_cbranch_execz .LBB189_44
; %bb.38:                               ;   in Loop: Header=BB189_7 Depth=1
	s_mul_i32 s10, s34, s23
	s_ashr_i32 s11, s10, 31
	s_waitcnt lgkmcnt(0)
	s_add_u32 s10, s38, s10
	s_addc_u32 s11, s39, s11
	s_ashr_i32 s12, s64, 31
	s_add_u32 s10, s10, s64
	s_addc_u32 s11, s11, s12
	v_lshl_add_u64 v[0:1], s[10:11], 0, v[32:33]
	v_lshl_add_u64 v[16:17], v[0:1], 0, v[30:31]
	s_mov_b64 s[10:11], 0
	s_branch .LBB189_40
.LBB189_39:                             ;   in Loop: Header=BB189_40 Depth=2
	s_or_b64 exec, exec, s[12:13]
	v_lshl_or_b32 v20, v18, 12, v84
	;;#ASMSTART
	s_waitcnt vmcnt(3)
	;;#ASMEND
	ds_write2_b32 v20, v12, v13 offset1:32
	ds_write2_b32 v20, v14, v15 offset0:64 offset1:96
	v_add_u32_e32 v12, 0x400, v20
	;;#ASMSTART
	s_waitcnt vmcnt(2)
	;;#ASMEND
	ds_write2_b32 v12, v8, v9 offset1:32
	ds_write2_b32 v12, v10, v11 offset0:64 offset1:96
	v_add_u32_e32 v8, 0x800, v20
	;;#ASMSTART
	s_waitcnt vmcnt(1)
	;;#ASMEND
	ds_write2_b32 v8, v4, v5 offset1:32
	ds_write2_b32 v8, v6, v7 offset0:64 offset1:96
	v_add_u32_e32 v4, 0xc00, v20
	v_add_u32_e32 v88, s26, v88
	;;#ASMSTART
	s_waitcnt vmcnt(0)
	;;#ASMEND
	ds_write2_b32 v4, v0, v1 offset1:32
	ds_write2_b32 v4, v2, v3 offset0:64 offset1:96
	v_add_u32_e32 v0, 1, v74
	v_add_u32_e32 v36, s26, v18
	v_cmp_le_i32_e32 vcc, s16, v88
	ds_write_b32 v19, v0 offset:16
	v_add_u32_e32 v0, 2, v74
	s_or_b64 s[10:11], vcc, s[10:11]
	v_cmp_lt_i32_e32 vcc, 5, v36
	s_nop 1
	v_cndmask_b32_e32 v74, v74, v0, vcc
	s_andn2_b64 exec, exec, s[10:11]
	s_cbranch_execz .LBB189_43
.LBB189_40:                             ;   Parent Loop BB189_7 Depth=1
                                        ; =>  This Loop Header: Depth=2
                                        ;       Child Loop BB189_42 Depth 3
	v_cmp_gt_i32_e32 vcc, 6, v36
	s_nop 1
	v_cndmask_b32_e64 v0, -6, 0, vcc
	v_add_u32_e32 v18, v0, v36
	v_mul_hi_i32 v0, v88, s62
	v_lshrrev_b32_e32 v1, 31, v0
	v_add_u32_e32 v0, v0, v1
	v_lshl_add_u32 v1, v0, 1, v0
	v_sub_u32_e32 v2, v88, v1
	v_lshlrev_b32_e32 v0, 8, v0
	v_ashrrev_i32_e32 v1, 31, v0
	v_mul_lo_u32 v2, s55, v2
	v_lshl_add_u64 v[0:1], v[16:17], 0, v[0:1]
	v_ashrrev_i32_e32 v3, 31, v2
	v_lshl_add_u64 v[0:1], v[0:1], 0, v[2:3]
	v_lshlrev_b32_e32 v19, 2, v18
	;;#ASMSTART
	global_load_dwordx4 v[12:15], v[0:1], off offset:0    sc0 sc1 nt  
	global_load_dwordx4 v[8:11], v[0:1], off offset:64   sc0 sc1 nt  
	global_load_dwordx4 v[4:7], v[0:1], off offset:128  sc0 sc1 nt  
	global_load_dwordx4 v[0:3], v[0:1], off offset:192  sc0 sc1 nt  
	
	;;#ASMEND
	ds_read_b32 v20, v19 offset:40976
	v_add_u32_e32 v19, 0xa000, v19
	s_waitcnt lgkmcnt(0)
	v_cmp_ne_u32_e32 vcc, v20, v74
	s_and_saveexec_b64 s[12:13], vcc
	s_cbranch_execz .LBB189_39
; %bb.41:                               ;   in Loop: Header=BB189_40 Depth=2
	s_mov_b64 s[14:15], 0
.LBB189_42:                             ;   Parent Loop BB189_7 Depth=1
                                        ;     Parent Loop BB189_40 Depth=2
                                        ; =>    This Inner Loop Header: Depth=3
	;;#ASMSTART
	s_sleep 0
	;;#ASMEND
	ds_read_b32 v20, v19 offset:16
	s_waitcnt lgkmcnt(0)
	v_cmp_eq_u32_e32 vcc, v20, v74
	s_or_b64 s[14:15], vcc, s[14:15]
	s_andn2_b64 exec, exec, s[14:15]
	s_cbranch_execnz .LBB189_42
	s_branch .LBB189_39
.LBB189_43:                             ;   in Loop: Header=BB189_7 Depth=1
	s_or_b64 exec, exec, s[10:11]
.LBB189_44:                             ;   in Loop: Header=BB189_7 Depth=1
	s_or_b64 exec, exec, s[8:9]
	v_subrev_u32_e32 v88, s16, v88
.LBB189_45:                             ;   in Loop: Header=BB189_7 Depth=1
	s_or_b64 exec, exec, s[6:7]
.LBB189_46:                             ;   in Loop: Header=BB189_7 Depth=1
	s_andn2_saveexec_b64 s[6:7], s[30:31]
	s_cbranch_execz .LBB189_6
; %bb.47:                               ;   in Loop: Header=BB189_7 Depth=1
	s_lshl_b32 s16, s66, 1
	v_cmp_gt_i32_e32 vcc, s16, v88
	s_and_saveexec_b64 s[8:9], vcc
	s_cbranch_execz .LBB189_5
; %bb.48:                               ;   in Loop: Header=BB189_7 Depth=1
	s_mul_i32 s63, s63, s22
	s_ashr_i32 s10, s63, 31
	s_waitcnt lgkmcnt(0)
	s_add_u32 s11, s36, s63
	v_add_u32_e32 v2, s65, v83
	s_addc_u32 s12, s37, s10
	s_ashr_i32 s13, s64, 31
	v_cmp_gt_u32_e32 vcc, 32, v2
	s_add_u32 s10, s11, s64
	s_addc_u32 s11, s12, s13
	v_cndmask_b32_e32 v0, 0, v85, vcc
	v_ashrrev_i32_e32 v1, 31, v0
	v_lshl_add_u64 v[0:1], s[10:11], 0, v[0:1]
	v_lshl_add_u64 v[16:17], v[0:1], 0, v[30:31]
	v_sub_u32_e32 v18, 31, v2
	s_mov_b64 s[10:11], 0
	s_branch .LBB189_50
.LBB189_49:                             ;   in Loop: Header=BB189_50 Depth=2
	s_or_b64 exec, exec, s[12:13]
	v_lshl_add_u32 v21, v19, 12, v86
	;;#ASMSTART
	s_waitcnt vmcnt(3)
	;;#ASMEND
	ds_write2_b32 v21, v12, v13 offset1:32
	ds_write2_b32 v21, v14, v15 offset0:64 offset1:96
	v_add_u32_e32 v12, 0x400, v21
	;;#ASMSTART
	s_waitcnt vmcnt(2)
	;;#ASMEND
	ds_write2_b32 v12, v8, v9 offset1:32
	ds_write2_b32 v12, v10, v11 offset0:64 offset1:96
	v_add_u32_e32 v8, 0x800, v21
	;; [unrolled: 6-line block ×3, first 2 shown]
	v_add_u32_e32 v88, s25, v88
	;;#ASMSTART
	s_waitcnt vmcnt(0)
	;;#ASMEND
	ds_write2_b32 v4, v0, v1 offset1:32
	ds_write2_b32 v4, v2, v3 offset0:64 offset1:96
	v_add_u32_e32 v0, 1, v74
	v_add_u32_e32 v36, s25, v19
	v_cmp_le_i32_e32 vcc, s16, v88
	ds_write_b32 v20, v0
	v_add_u32_e32 v0, 2, v74
	s_or_b64 s[10:11], vcc, s[10:11]
	v_cmp_lt_i32_e32 vcc, 3, v36
	s_nop 1
	v_cndmask_b32_e32 v74, v74, v0, vcc
	s_andn2_b64 exec, exec, s[10:11]
	s_cbranch_execz .LBB189_4
.LBB189_50:                             ;   Parent Loop BB189_7 Depth=1
                                        ; =>  This Loop Header: Depth=2
                                        ;       Child Loop BB189_52 Depth 3
	v_cmp_gt_i32_e32 vcc, 4, v36
	s_nop 1
	v_cndmask_b32_e64 v0, -4, 0, vcc
	v_add_u32_e32 v19, v0, v36
	v_lshrrev_b32_e32 v0, 31, v88
	v_add_u32_e32 v0, v88, v0
	v_and_b32_e32 v1, 0xffffffe, v0
	v_sub_u32_e32 v1, v88, v1
	v_lshlrev_b32_e32 v1, 4, v1
	v_cmp_le_i32_e32 vcc, v1, v18
	v_lshlrev_b32_e32 v0, 7, v0
	v_and_b32_e32 v0, 0xffffff00, v0
	v_cndmask_b32_e32 v2, 0, v1, vcc
	v_ashrrev_i32_e32 v1, 31, v0
	v_mul_lo_u32 v2, v2, s22
	v_lshl_add_u64 v[0:1], v[16:17], 0, v[0:1]
	v_ashrrev_i32_e32 v3, 31, v2
	v_lshl_add_u64 v[0:1], v[0:1], 0, v[2:3]
	v_lshlrev_b32_e32 v20, 2, v19
	;;#ASMSTART
	global_load_dwordx4 v[12:15], v[0:1], off offset:0    
	global_load_dwordx4 v[8:11], v[0:1], off offset:64   
	global_load_dwordx4 v[4:7], v[0:1], off offset:128  
	global_load_dwordx4 v[0:3], v[0:1], off offset:192  
	
	;;#ASMEND
	ds_read_b32 v21, v20 offset:40960
	v_add_u32_e32 v20, 0xa000, v20
	s_waitcnt lgkmcnt(0)
	v_cmp_ne_u32_e32 vcc, v21, v74
	s_and_saveexec_b64 s[12:13], vcc
	s_cbranch_execz .LBB189_49
; %bb.51:                               ;   in Loop: Header=BB189_50 Depth=2
	s_mov_b64 s[14:15], 0
.LBB189_52:                             ;   Parent Loop BB189_7 Depth=1
                                        ;     Parent Loop BB189_50 Depth=2
                                        ; =>    This Inner Loop Header: Depth=3
	;;#ASMSTART
	s_sleep 0
	;;#ASMEND
	ds_read_b32 v21, v20
	s_waitcnt lgkmcnt(0)
	v_cmp_eq_u32_e32 vcc, v21, v74
	s_or_b64 s[14:15], vcc, s[14:15]
	s_andn2_b64 exec, exec, s[14:15]
	s_cbranch_execnz .LBB189_52
	s_branch .LBB189_49
.LBB189_53:
	s_endpgm
	.section	.rodata,"a",@progbits
	.p2align	6, 0x0
	.amdhsa_kernel _Z19_skinny_gemm_kernelILi2ELi3ELi2ELi16ELi8EEvPKhS1_P6__halfPKfiiiiiiii
		.amdhsa_group_segment_fixed_size 41000
		.amdhsa_private_segment_fixed_size 0
		.amdhsa_kernarg_size 64
		.amdhsa_user_sgpr_count 2
		.amdhsa_user_sgpr_dispatch_ptr 0
		.amdhsa_user_sgpr_queue_ptr 0
		.amdhsa_user_sgpr_kernarg_segment_ptr 1
		.amdhsa_user_sgpr_dispatch_id 0
		.amdhsa_user_sgpr_kernarg_preload_length 0
		.amdhsa_user_sgpr_kernarg_preload_offset 0
		.amdhsa_user_sgpr_private_segment_size 0
		.amdhsa_uses_dynamic_stack 0
		.amdhsa_enable_private_segment 0
		.amdhsa_system_sgpr_workgroup_id_x 1
		.amdhsa_system_sgpr_workgroup_id_y 0
		.amdhsa_system_sgpr_workgroup_id_z 0
		.amdhsa_system_sgpr_workgroup_info 0
		.amdhsa_system_vgpr_workitem_id 0
		.amdhsa_next_free_vgpr 102
		.amdhsa_next_free_sgpr 67
		.amdhsa_accum_offset 104
		.amdhsa_reserve_vcc 1
		.amdhsa_float_round_mode_32 0
		.amdhsa_float_round_mode_16_64 0
		.amdhsa_float_denorm_mode_32 3
		.amdhsa_float_denorm_mode_16_64 3
		.amdhsa_dx10_clamp 1
		.amdhsa_ieee_mode 1
		.amdhsa_fp16_overflow 0
		.amdhsa_tg_split 0
		.amdhsa_exception_fp_ieee_invalid_op 0
		.amdhsa_exception_fp_denorm_src 0
		.amdhsa_exception_fp_ieee_div_zero 0
		.amdhsa_exception_fp_ieee_overflow 0
		.amdhsa_exception_fp_ieee_underflow 0
		.amdhsa_exception_fp_ieee_inexact 0
		.amdhsa_exception_int_div_zero 0
	.end_amdhsa_kernel
	.section	.text._Z19_skinny_gemm_kernelILi2ELi3ELi2ELi16ELi8EEvPKhS1_P6__halfPKfiiiiiiii,"axG",@progbits,_Z19_skinny_gemm_kernelILi2ELi3ELi2ELi16ELi8EEvPKhS1_P6__halfPKfiiiiiiii,comdat
.Lfunc_end189:
	.size	_Z19_skinny_gemm_kernelILi2ELi3ELi2ELi16ELi8EEvPKhS1_P6__halfPKfiiiiiiii, .Lfunc_end189-_Z19_skinny_gemm_kernelILi2ELi3ELi2ELi16ELi8EEvPKhS1_P6__halfPKfiiiiiiii
                                        ; -- End function
	.set _Z19_skinny_gemm_kernelILi2ELi3ELi2ELi16ELi8EEvPKhS1_P6__halfPKfiiiiiiii.num_vgpr, 102
	.set _Z19_skinny_gemm_kernelILi2ELi3ELi2ELi16ELi8EEvPKhS1_P6__halfPKfiiiiiiii.num_agpr, 0
	.set _Z19_skinny_gemm_kernelILi2ELi3ELi2ELi16ELi8EEvPKhS1_P6__halfPKfiiiiiiii.numbered_sgpr, 67
	.set _Z19_skinny_gemm_kernelILi2ELi3ELi2ELi16ELi8EEvPKhS1_P6__halfPKfiiiiiiii.num_named_barrier, 0
	.set _Z19_skinny_gemm_kernelILi2ELi3ELi2ELi16ELi8EEvPKhS1_P6__halfPKfiiiiiiii.private_seg_size, 0
	.set _Z19_skinny_gemm_kernelILi2ELi3ELi2ELi16ELi8EEvPKhS1_P6__halfPKfiiiiiiii.uses_vcc, 1
	.set _Z19_skinny_gemm_kernelILi2ELi3ELi2ELi16ELi8EEvPKhS1_P6__halfPKfiiiiiiii.uses_flat_scratch, 0
	.set _Z19_skinny_gemm_kernelILi2ELi3ELi2ELi16ELi8EEvPKhS1_P6__halfPKfiiiiiiii.has_dyn_sized_stack, 0
	.set _Z19_skinny_gemm_kernelILi2ELi3ELi2ELi16ELi8EEvPKhS1_P6__halfPKfiiiiiiii.has_recursion, 0
	.set _Z19_skinny_gemm_kernelILi2ELi3ELi2ELi16ELi8EEvPKhS1_P6__halfPKfiiiiiiii.has_indirect_call, 0
	.section	.AMDGPU.csdata,"",@progbits
; Kernel info:
; codeLenInByte = 5512
; TotalNumSgprs: 73
; NumVgprs: 102
; NumAgprs: 0
; TotalNumVgprs: 102
; ScratchSize: 0
; MemoryBound: 0
; FloatMode: 240
; IeeeMode: 1
; LDSByteSize: 41000 bytes/workgroup (compile time only)
; SGPRBlocks: 9
; VGPRBlocks: 12
; NumSGPRsForWavesPerEU: 73
; NumVGPRsForWavesPerEU: 102
; AccumOffset: 104
; Occupancy: 4
; WaveLimiterHint : 0
; COMPUTE_PGM_RSRC2:SCRATCH_EN: 0
; COMPUTE_PGM_RSRC2:USER_SGPR: 2
; COMPUTE_PGM_RSRC2:TRAP_HANDLER: 0
; COMPUTE_PGM_RSRC2:TGID_X_EN: 1
; COMPUTE_PGM_RSRC2:TGID_Y_EN: 0
; COMPUTE_PGM_RSRC2:TGID_Z_EN: 0
; COMPUTE_PGM_RSRC2:TIDIG_COMP_CNT: 0
; COMPUTE_PGM_RSRC3_GFX90A:ACCUM_OFFSET: 25
; COMPUTE_PGM_RSRC3_GFX90A:TG_SPLIT: 0
	.section	.text._Z19_skinny_gemm_kernelILi2ELi3ELi2ELi32ELi4EEvPKhS1_P6__halfPKfiiiiiiii,"axG",@progbits,_Z19_skinny_gemm_kernelILi2ELi3ELi2ELi32ELi4EEvPKhS1_P6__halfPKfiiiiiiii,comdat
	.protected	_Z19_skinny_gemm_kernelILi2ELi3ELi2ELi32ELi4EEvPKhS1_P6__halfPKfiiiiiiii ; -- Begin function _Z19_skinny_gemm_kernelILi2ELi3ELi2ELi32ELi4EEvPKhS1_P6__halfPKfiiiiiiii
	.globl	_Z19_skinny_gemm_kernelILi2ELi3ELi2ELi32ELi4EEvPKhS1_P6__halfPKfiiiiiiii
	.p2align	8
	.type	_Z19_skinny_gemm_kernelILi2ELi3ELi2ELi32ELi4EEvPKhS1_P6__halfPKfiiiiiiii,@function
_Z19_skinny_gemm_kernelILi2ELi3ELi2ELi32ELi4EEvPKhS1_P6__halfPKfiiiiiiii: ; @_Z19_skinny_gemm_kernelILi2ELi3ELi2ELi32ELi4EEvPKhS1_P6__halfPKfiiiiiiii
; %bb.0:
	v_cmp_gt_u32_e32 vcc, 10, v0
	s_and_saveexec_b64 s[4:5], vcc
; %bb.1:
	v_lshlrev_b32_e32 v1, 2, v0
	v_mov_b32_e32 v2, 0
	ds_write_b32 v1, v2 offset:20480
; %bb.2:
	s_or_b64 exec, exec, s[4:5]
	s_load_dwordx8 s[92:99], s[0:1], 0x20
	s_waitcnt lgkmcnt(0)
	s_barrier
	s_add_i32 s3, s92, 63
	s_ashr_i32 s5, s3, 31
	s_add_i32 s4, s93, 0x5f
	s_lshr_b32 s5, s5, 26
	s_mul_hi_i32 s4, s4, 0x2aaaaaab
	s_add_i32 s3, s3, s5
	s_ashr_i32 s14, s3, 6
	s_lshr_b32 s3, s4, 31
	s_ashr_i32 s4, s4, 4
	s_add_i32 s15, s4, s3
	s_mul_i32 s3, s15, s14
	s_mul_i32 s3, s3, s96
	s_add_i32 s4, s3, 0x12f
	s_mul_hi_i32 s4, s4, 0x6bca1af3
	s_lshr_b32 s5, s4, 31
	s_ashr_i32 s4, s4, 7
	s_add_i32 s4, s4, s5
	s_add_i32 s5, s2, 1
	s_mul_i32 s5, s4, s5
	v_cvt_f64_i32_e32 v[2:3], s3
	v_cvt_f64_u32_e32 v[4:5], s5
	v_min_f64 v[2:3], v[2:3], v[4:5]
	v_cvt_i32_f64_e32 v62, v[2:3]
	s_mul_i32 s33, s4, s2
	v_cmp_ge_i32_e32 vcc, s33, v62
	s_cbranch_vccnz .LBB190_51
; %bb.3:
	s_load_dwordx8 s[16:23], s[0:1], 0x0
	v_lshrrev_b32_e32 v1, 6, v0
	s_add_i32 s0, s98, s97
	v_cmp_le_i32_e64 s[24:25], s0, v1
	v_mov_b32_e32 v2, s97
	v_cmp_le_i32_e64 s[26:27], s97, v1
	v_mov_b32_e32 v3, s98
	v_cndmask_b32_e64 v3, 0, v3, s[24:25]
	v_cndmask_b32_e64 v2, 0, v2, s[26:27]
	s_abs_i32 s1, s96
	v_add_u32_e32 v2, v2, v3
	v_cvt_f32_u32_e32 v3, s1
	v_sub_u32_e32 v56, v1, v2
	s_ashr_i32 s2, s94, 31
	s_lshr_b32 s2, s2, 26
	v_rcp_iflag_f32_e32 v2, v3
	s_sub_i32 s5, 0, s1
	s_add_i32 s2, s94, s2
	s_ashr_i32 s2, s2, 6
	v_mul_f32_e32 v2, 0x4f7ffffe, v2
	v_cvt_u32_f32_e32 v2, v2
	s_abs_i32 s4, s2
	s_xor_b32 s3, s2, s96
	s_ashr_i32 s3, s3, 31
	v_readfirstlane_b32 s6, v2
	s_mul_i32 s5, s5, s6
	s_mul_hi_u32 s5, s6, s5
	s_add_i32 s6, s6, s5
	s_mul_hi_u32 s5, s4, s6
	s_mul_i32 s6, s5, s1
	s_sub_i32 s4, s4, s6
	s_add_i32 s6, s5, 1
	s_sub_i32 s7, s4, s1
	s_cmp_ge_u32 s4, s1
	s_cselect_b32 s5, s6, s5
	s_cselect_b32 s4, s7, s4
	s_add_i32 s6, s5, 1
	s_cmp_ge_u32 s4, s1
	s_cselect_b32 s1, s6, s5
	s_add_i32 s0, s0, s99
	v_and_b32_e32 v64, 31, v0
	v_lshrrev_b32_e32 v2, 3, v0
	v_cmp_gt_i32_e64 s[34:35], s0, v1
	v_lshlrev_b32_e32 v1, 2, v64
	v_and_b32_e32 v3, 4, v2
	v_lshlrev_b32_e32 v2, 6, v3
	v_or_b32_e32 v4, 0x3000, v1
	v_and_b32_e32 v5, 1, v0
	s_add_i32 s29, s96, -1
	v_or_b32_e32 v65, v4, v2
	v_or_b32_e32 v66, v1, v2
	v_lshlrev_b32_e32 v2, 1, v5
	v_lshrrev_b32_e32 v7, 1, v0
	s_abs_i32 s96, s14
	v_sub_u32_e32 v2, v0, v2
	v_and_b32_e32 v50, 16, v7
	v_cvt_f32_u32_e32 v7, s96
	v_add_u32_e32 v2, 1, v2
	v_and_b32_e32 v6, 63, v2
	v_bitop3_b32 v67, v0, 1, v0 bitop3:0xc
	v_bitop3_b32 v68, v0, 3, 1 bitop3:0x6c
	v_bitop3_b32 v69, v0, 5, 1 bitop3:0x6c
	v_bitop3_b32 v70, v0, 7, 1 bitop3:0x6c
	v_bitop3_b32 v71, v0, 9, 1 bitop3:0x6c
	v_bitop3_b32 v72, v0, 11, 1 bitop3:0x6c
	v_bitop3_b32 v73, v0, 13, 1 bitop3:0x6c
	v_bitop3_b32 v74, v0, 15, 1 bitop3:0x6c
	v_and_b32_e32 v2, 30, v0
	v_lshlrev_b32_e32 v0, 4, v0
                                        ; implicit-def: $vgpr92 : SGPR spill to VGPR lane
	v_and_b32_e32 v0, 0x200, v0
	v_writelane_b32 v92, s14, 0
	v_or_b32_e32 v77, v1, v0
	v_rcp_iflag_f32_e32 v1, v7
	v_writelane_b32 v92, s15, 1
	s_waitcnt lgkmcnt(0)
	v_writelane_b32 v92, s16, 2
	s_abs_i32 s90, s15
	v_or_b32_e32 v79, v4, v0
	v_writelane_b32 v92, s17, 3
	v_writelane_b32 v92, s18, 4
	v_mul_f32_e32 v0, 0x4f7ffffe, v1
	v_cvt_f32_u32_e32 v1, s90
	v_writelane_b32 v92, s19, 5
	v_writelane_b32 v92, s20, 6
	;; [unrolled: 1-line block ×4, first 2 shown]
	v_cvt_u32_f32_e32 v0, v0
	v_rcp_iflag_f32_e32 v1, v1
	v_writelane_b32 v92, s23, 9
	v_cndmask_b32_e64 v63, 0, 1, s[24:25]
	s_xor_b32 s1, s1, s3
	v_writelane_b32 v92, s24, 10
	s_sub_i32 s28, s1, s3
	s_mul_i32 s1, s28, s29
	v_writelane_b32 v92, s25, 11
	v_writelane_b32 v92, s26, 12
	s_sub_i32 s30, s2, s1
	v_readfirstlane_b32 s1, v0
	v_mul_f32_e32 v0, 0x4f7ffffe, v1
	v_writelane_b32 v92, s27, 13
	v_cvt_u32_f32_e32 v0, v0
	v_writelane_b32 v92, s28, 14
	s_sub_i32 s0, 0, s96
	v_writelane_b32 v92, s29, 15
	s_mul_i32 s0, s0, s1
	v_writelane_b32 v92, s30, 16
	s_mul_hi_u32 s0, s1, s0
	v_writelane_b32 v92, s34, 17
	s_ashr_i32 s31, s14, 31
	s_add_i32 s36, s1, s0
	s_sub_i32 s0, 0, s90
	v_readfirstlane_b32 s1, v0
	v_mbcnt_lo_u32_b32 v0, -1, 0
	v_writelane_b32 v92, s35, 18
	s_mul_i32 s0, s0, s1
	v_mbcnt_hi_u32_b32 v0, -1, v0
	v_writelane_b32 v92, s31, 19
	v_mov_b32_e32 v49, 0
	v_mul_lo_u32 v52, s95, v64
	v_or_b32_e32 v80, v5, v3
	s_ashr_i32 s37, s15, 31
	s_mul_hi_u32 s0, s1, s0
	v_and_or_b32 v0, v0, 64, v6
	v_writelane_b32 v92, s36, 20
	v_or_b32_e32 v75, 32, v64
	v_or_b32_e32 v76, 64, v64
	v_ashrrev_i32_e32 v53, 31, v52
	v_mov_b32_e32 v51, v49
	s_lshl_b32 s91, s95, 5
	v_mul_lo_u32 v78, s94, v64
	v_or_b32_e32 v81, 2, v80
	s_add_i32 s38, s1, s0
	v_lshlrev_b32_e32 v48, 1, v2
	v_lshlrev_b32_e32 v82, 2, v0
	v_mov_b32_e32 v83, v56
	v_writelane_b32 v92, s37, 21
	v_writelane_b32 v92, s38, 22
	s_branch .LBB190_7
.LBB190_4:                              ;   in Loop: Header=BB190_7 Depth=1
	s_or_b64 exec, exec, s[4:5]
.LBB190_5:                              ;   in Loop: Header=BB190_7 Depth=1
	s_or_b64 exec, exec, s[2:3]
	v_subrev_u32_e32 v83, s10, v83
.LBB190_6:                              ;   in Loop: Header=BB190_7 Depth=1
	s_or_b64 exec, exec, s[0:1]
	s_add_i32 s33, s33, 1
	v_cmp_ge_i32_e32 vcc, s33, v62
	s_cbranch_vccnz .LBB190_51
.LBB190_7:                              ; =>This Loop Header: Depth=1
                                        ;     Child Loop BB190_13 Depth 2
                                        ;       Child Loop BB190_15 Depth 3
                                        ;       Child Loop BB190_18 Depth 3
	;; [unrolled: 1-line block ×4, first 2 shown]
                                        ;     Child Loop BB190_29 Depth 2
                                        ;     Child Loop BB190_38 Depth 2
                                        ;       Child Loop BB190_40 Depth 3
                                        ;     Child Loop BB190_48 Depth 2
                                        ;       Child Loop BB190_50 Depth 3
	s_abs_i32 s1, s33
	s_mul_hi_u32 s2, s1, s36
	s_mul_i32 s3, s2, s96
	s_ashr_i32 s0, s33, 31
	s_sub_i32 s1, s1, s3
	s_xor_b32 s0, s0, s31
	s_add_i32 s3, s2, 1
	s_sub_i32 s4, s1, s96
	s_cmp_ge_u32 s1, s96
	s_cselect_b32 s2, s3, s2
	s_cselect_b32 s1, s4, s1
	s_add_i32 s3, s2, 1
	s_cmp_ge_u32 s1, s96
	s_cselect_b32 s1, s3, s2
	s_xor_b32 s1, s1, s0
	s_sub_i32 s0, s1, s0
	s_abs_i32 s2, s0
	s_mul_i32 s1, s0, s14
	s_mul_hi_u32 s3, s2, s38
	s_sub_i32 s1, s33, s1
	s_mul_i32 s4, s3, s90
	s_lshl_b32 s39, s1, 6
	s_ashr_i32 s1, s0, 31
	s_sub_i32 s2, s2, s4
	s_xor_b32 s1, s1, s37
	s_add_i32 s4, s3, 1
	s_sub_i32 s5, s2, s90
	s_cmp_ge_u32 s2, s90
	s_cselect_b32 s3, s4, s3
	s_cselect_b32 s2, s5, s2
	s_add_i32 s4, s3, 1
	s_cmp_ge_u32 s2, s90
	s_cselect_b32 s2, s4, s3
	s_xor_b32 s2, s2, s1
	s_sub_i32 s1, s2, s1
	s_mul_i32 s2, s1, s28
	s_lshl_b32 s13, s2, 6
	s_cmp_eq_u32 s1, s29
	s_cselect_b32 s4, s30, s28
	s_sub_i32 s2, s39, s92
	s_add_i32 s2, s2, 64
	s_max_i32 s5, s2, 0
	s_and_saveexec_b64 s[2:3], s[26:27]
	s_xor_b64 s[2:3], exec, s[2:3]
	v_writelane_b32 v92, s2, 23
	s_nop 1
	v_writelane_b32 v92, s3, 24
	s_cbranch_execz .LBB190_44
; %bb.8:                                ;   in Loop: Header=BB190_7 Depth=1
	s_mul_i32 s1, s1, s15
	s_sub_i32 s0, s0, s1
	s_mulk_i32 s0, 0x60
	s_sub_i32 s70, s0, s93
	s_addk_i32 s70, 0x60
	s_max_i32 s1, s70, 0
	s_sub_i32 s0, s0, s1
	v_writelane_b32 v92, s13, 25
	s_and_saveexec_b64 s[2:3], s[24:25]
	s_xor_b64 s[2:3], exec, s[2:3]
	s_cbranch_execz .LBB190_34
; %bb.9:                                ;   in Loop: Header=BB190_7 Depth=1
	s_mov_b64 s[6:7], exec
	v_writelane_b32 v92, s6, 26
	s_nop 1
	v_writelane_b32 v92, s7, 27
	s_and_b64 s[6:7], s[6:7], s[34:35]
	s_mov_b64 exec, s[6:7]
	s_cbranch_execz .LBB190_33
; %bb.10:                               ;   in Loop: Header=BB190_7 Depth=1
	global_load_dword v84, v49, s[22:23]
	v_mov_b32_e32 v47, 0
	v_cmp_gt_i32_e32 vcc, s4, v83
	v_mov_b32_e32 v46, v47
	v_mov_b32_e32 v45, v47
	;; [unrolled: 1-line block ×47, first 2 shown]
	s_and_saveexec_b64 s[6:7], vcc
	s_cbranch_execz .LBB190_26
; %bb.11:                               ;   in Loop: Header=BB190_7 Depth=1
	v_mov_b32_e32 v0, 0
	s_mov_b64 s[8:9], 0
	v_mov_b32_e32 v1, v0
	v_mov_b32_e32 v2, v0
	;; [unrolled: 1-line block ×47, first 2 shown]
	s_branch .LBB190_13
.LBB190_12:                             ;   in Loop: Header=BB190_13 Depth=2
	s_or_b64 exec, exec, s[10:11]
	v_add_u32_e32 v89, 0x1000, v88
	ds_read2_b32 v[90:91], v89 offset1:32
	v_add_u32_e32 v83, s99, v83
	s_waitcnt lgkmcnt(0)
	v_mfma_f32_32x32x16_fp8_fp8 v[0:15], v[60:61], v[90:91], v[0:15]
	ds_read2_b32 v[60:61], v89 offset0:128 offset1:160
	s_waitcnt lgkmcnt(0)
	v_mfma_f32_32x32x16_fp8_fp8 v[0:15], v[58:59], v[60:61], v[0:15]
	v_add_u32_e32 v60, 0x1400, v88
	ds_read2_b32 v[58:59], v60 offset1:32
	ds_read2_b32 v[60:61], v60 offset0:128 offset1:160
	ds_write_b32 v86, v87 offset:20500
	s_waitcnt lgkmcnt(2)
	v_mfma_f32_32x32x16_fp8_fp8 v[0:15], v[56:57], v[58:59], v[0:15]
	v_add_u32_e32 v56, s99, v85
	v_add_u32_e32 v57, 2, v63
	v_cmp_lt_i32_e32 vcc, 1, v56
	s_nop 1
	v_cndmask_b32_e32 v63, v63, v57, vcc
	v_cmp_le_i32_e32 vcc, s4, v83
	s_waitcnt lgkmcnt(1)
	v_mfma_f32_32x32x16_fp8_fp8 v[0:15], v[54:55], v[60:61], v[0:15]
	s_or_b64 s[8:9], vcc, s[8:9]
	s_andn2_b64 exec, exec, s[8:9]
	s_cbranch_execz .LBB190_25
.LBB190_13:                             ;   Parent Loop BB190_7 Depth=1
                                        ; =>  This Loop Header: Depth=2
                                        ;       Child Loop BB190_15 Depth 3
                                        ;       Child Loop BB190_18 Depth 3
	;; [unrolled: 1-line block ×4, first 2 shown]
	v_cmp_gt_i32_e32 vcc, 2, v56
	s_nop 1
	v_cndmask_b32_e64 v54, -2, 0, vcc
	v_add_u32_e32 v85, v54, v56
	v_mul_lo_u32 v86, v85, 24
	ds_read_b32 v54, v86 offset:20480
	s_waitcnt lgkmcnt(0)
	v_cmp_ne_u32_e32 vcc, v54, v63
	s_and_saveexec_b64 s[10:11], vcc
	s_cbranch_execz .LBB190_16
; %bb.14:                               ;   in Loop: Header=BB190_13 Depth=2
	s_mov_b64 s[12:13], 0
.LBB190_15:                             ;   Parent Loop BB190_7 Depth=1
                                        ;     Parent Loop BB190_13 Depth=2
                                        ; =>    This Inner Loop Header: Depth=3
	;;#ASMSTART
	s_sleep 0
	;;#ASMEND
	ds_read_b32 v54, v86 offset:20480
	s_waitcnt lgkmcnt(0)
	v_cmp_eq_u32_e32 vcc, v54, v63
	s_or_b64 s[12:13], vcc, s[12:13]
	s_andn2_b64 exec, exec, s[12:13]
	s_cbranch_execnz .LBB190_15
.LBB190_16:                             ;   in Loop: Header=BB190_13 Depth=2
	s_or_b64 exec, exec, s[10:11]
	v_lshl_add_u32 v54, v85, 11, v65
	ds_read2_b32 v[60:61], v54 offset1:32
	ds_read2_b32 v[58:59], v54 offset0:128 offset1:160
	v_add_u32_e32 v54, 0x400, v54
	ds_read2_b32 v[56:57], v54 offset1:32
	ds_read_b32 v88, v86 offset:20484
	ds_read2_b32 v[54:55], v54 offset0:128 offset1:160
	v_add_u32_e32 v87, 1, v63
	ds_write_b32 v86, v87 offset:20480
	s_waitcnt lgkmcnt(2)
	v_cmp_ne_u32_e32 vcc, v88, v63
	s_and_saveexec_b64 s[10:11], vcc
	s_cbranch_execz .LBB190_19
; %bb.17:                               ;   in Loop: Header=BB190_13 Depth=2
	s_mov_b64 s[12:13], 0
.LBB190_18:                             ;   Parent Loop BB190_7 Depth=1
                                        ;     Parent Loop BB190_13 Depth=2
                                        ; =>    This Inner Loop Header: Depth=3
	;;#ASMSTART
	s_sleep 0
	;;#ASMEND
	ds_read_b32 v88, v86 offset:20484
	s_waitcnt lgkmcnt(0)
	v_cmp_eq_u32_e32 vcc, v88, v63
	s_or_b64 s[12:13], vcc, s[12:13]
	s_andn2_b64 exec, exec, s[12:13]
	s_cbranch_execnz .LBB190_18
.LBB190_19:                             ;   in Loop: Header=BB190_13 Depth=2
	s_or_b64 exec, exec, s[10:11]
	s_movk_i32 s1, 0x1800
	v_mul_lo_u32 v88, v85, s1
	v_or_b32_e32 v89, v66, v88
	ds_read2_b32 v[90:91], v89 offset1:32
	ds_write_b32 v86, v87 offset:20484
	s_waitcnt lgkmcnt(1)
	v_mfma_f32_32x32x16_fp8_fp8 v[32:47], v[60:61], v[90:91], v[32:47]
	ds_read2_b32 v[90:91], v89 offset0:128 offset1:160
	v_add_u32_e32 v89, 0x400, v89
	s_waitcnt lgkmcnt(0)
	v_mfma_f32_32x32x16_fp8_fp8 v[32:47], v[58:59], v[90:91], v[32:47]
	ds_read2_b32 v[90:91], v89 offset1:32
	s_waitcnt lgkmcnt(0)
	v_mfma_f32_32x32x16_fp8_fp8 v[32:47], v[56:57], v[90:91], v[32:47]
	ds_read2_b32 v[90:91], v89 offset0:128 offset1:160
	ds_read_b32 v89, v86 offset:20492
	s_waitcnt lgkmcnt(0)
	v_cmp_ne_u32_e32 vcc, v89, v63
	v_mfma_f32_32x32x16_fp8_fp8 v[32:47], v[54:55], v[90:91], v[32:47]
	s_and_saveexec_b64 s[10:11], vcc
	s_cbranch_execz .LBB190_22
; %bb.20:                               ;   in Loop: Header=BB190_13 Depth=2
	s_mov_b64 s[12:13], 0
.LBB190_21:                             ;   Parent Loop BB190_7 Depth=1
                                        ;     Parent Loop BB190_13 Depth=2
                                        ; =>    This Inner Loop Header: Depth=3
	;;#ASMSTART
	s_sleep 0
	;;#ASMEND
	ds_read_b32 v89, v86 offset:20492
	s_waitcnt lgkmcnt(0)
	v_cmp_eq_u32_e32 vcc, v89, v63
	s_or_b64 s[12:13], vcc, s[12:13]
	s_andn2_b64 exec, exec, s[12:13]
	s_cbranch_execnz .LBB190_21
.LBB190_22:                             ;   in Loop: Header=BB190_13 Depth=2
	s_or_b64 exec, exec, s[10:11]
	v_add_u32_e32 v88, v66, v88
	v_add_u32_e32 v89, 0x800, v88
	ds_read2_b32 v[90:91], v89 offset1:32
	ds_write_b32 v86, v87 offset:20492
	s_waitcnt lgkmcnt(1)
	v_mfma_f32_32x32x16_fp8_fp8 v[16:31], v[60:61], v[90:91], v[16:31]
	ds_read2_b32 v[90:91], v89 offset0:128 offset1:160
	v_add_u32_e32 v89, 0xc00, v88
	s_waitcnt lgkmcnt(0)
	v_mfma_f32_32x32x16_fp8_fp8 v[16:31], v[58:59], v[90:91], v[16:31]
	ds_read2_b32 v[90:91], v89 offset1:32
	s_waitcnt lgkmcnt(0)
	v_mfma_f32_32x32x16_fp8_fp8 v[16:31], v[56:57], v[90:91], v[16:31]
	ds_read2_b32 v[90:91], v89 offset0:128 offset1:160
	ds_read_b32 v89, v86 offset:20500
	s_waitcnt lgkmcnt(0)
	v_cmp_ne_u32_e32 vcc, v89, v63
	v_mfma_f32_32x32x16_fp8_fp8 v[16:31], v[54:55], v[90:91], v[16:31]
	s_and_saveexec_b64 s[10:11], vcc
	s_cbranch_execz .LBB190_12
; %bb.23:                               ;   in Loop: Header=BB190_13 Depth=2
	s_mov_b64 s[12:13], 0
.LBB190_24:                             ;   Parent Loop BB190_7 Depth=1
                                        ;     Parent Loop BB190_13 Depth=2
                                        ; =>    This Inner Loop Header: Depth=3
	;;#ASMSTART
	s_sleep 0
	;;#ASMEND
	ds_read_b32 v89, v86 offset:20500
	s_waitcnt lgkmcnt(0)
	v_cmp_eq_u32_e32 vcc, v89, v63
	s_or_b64 s[12:13], vcc, s[12:13]
	s_andn2_b64 exec, exec, s[12:13]
	s_cbranch_execnz .LBB190_24
	s_branch .LBB190_12
.LBB190_25:                             ;   in Loop: Header=BB190_7 Depth=1
	s_or_b64 exec, exec, s[8:9]
.LBB190_26:                             ;   in Loop: Header=BB190_7 Depth=1
	s_or_b64 exec, exec, s[6:7]
	v_cmp_le_i32_e32 vcc, s70, v64
	v_cmp_eq_u32_e64 s[60:61], 1, v67
	v_cmp_eq_u32_e64 s[26:27], 2, v67
	s_waitcnt vmcnt(0)
	v_cndmask_b32_e32 v54, 0, v84, vcc
	v_pk_mul_f32 v[32:33], v[54:55], v[32:33] op_sel_hi:[0,1]
	v_pk_mul_f32 v[46:47], v[54:55], v[46:47] op_sel_hi:[0,1]
	;; [unrolled: 1-line block ×8, first 2 shown]
	v_cndmask_b32_e64 v54, v32, v33, s[60:61]
	v_cndmask_b32_e64 v54, v54, v34, s[26:27]
	v_cmp_eq_u32_e64 s[40:41], 3, v67
	v_cmp_eq_u32_e64 s[42:43], 4, v67
	v_cmp_eq_u32_e64 s[44:45], 5, v67
	v_cndmask_b32_e64 v54, v54, v35, s[40:41]
	v_cndmask_b32_e64 v54, v54, v36, s[42:43]
	v_cndmask_b32_e64 v54, v54, v37, s[44:45]
	v_cmp_eq_u32_e64 s[46:47], 6, v67
	v_cmp_eq_u32_e64 s[48:49], 7, v67
	v_cmp_eq_u32_e64 s[50:51], 8, v67
	v_cndmask_b32_e64 v54, v54, v38, s[46:47]
	;; [unrolled: 6-line block ×4, first 2 shown]
	v_cndmask_b32_e64 v54, v54, v45, s[62:63]
	v_cndmask_b32_e64 v54, v54, v46, s[64:65]
	v_cmp_eq_u32_e64 s[66:67], 15, v67
	s_mul_i32 s6, s39, s93
	s_ashr_i32 s7, s6, 31
	v_cndmask_b32_e64 v54, v54, v47, s[66:67]
	ds_bpermute_b32 v54, v82, v54
	s_lshl_b64 s[6:7], s[6:7], 1
	v_cmp_eq_u32_e64 s[36:37], 0, v67
	s_add_u32 s71, s20, s6
	v_cmp_eq_u32_e32 vcc, 1, v68
	s_waitcnt lgkmcnt(0)
	v_cndmask_b32_e64 v47, v47, v54, s[66:67]
	v_cndmask_b32_e64 v46, v46, v54, s[64:65]
	;; [unrolled: 1-line block ×16, first 2 shown]
	s_addc_u32 s72, s21, s7
	v_cndmask_b32_e32 v32, v54, v86, vcc
	v_cmp_eq_u32_e64 s[6:7], 2, v68
	v_cmp_eq_u32_e64 s[8:9], 3, v68
	v_cmp_eq_u32_e64 s[10:11], 4, v68
	v_cndmask_b32_e64 v32, v32, v85, s[6:7]
	v_cndmask_b32_e64 v32, v32, v61, s[8:9]
	v_cndmask_b32_e64 v32, v32, v60, s[10:11]
	v_cmp_eq_u32_e64 s[12:13], 5, v68
	v_cmp_eq_u32_e64 s[14:15], 6, v68
	v_cmp_eq_u32_e64 s[16:17], 7, v68
	v_cndmask_b32_e64 v32, v32, v59, s[12:13]
	v_cndmask_b32_e64 v32, v32, v58, s[14:15]
	v_cndmask_b32_e64 v32, v32, v57, s[16:17]
	;; [unrolled: 6-line block ×4, first 2 shown]
	v_cmp_eq_u32_e64 s[34:35], 14, v68
	v_writelane_b32 v92, s39, 28
	v_cmp_eq_u32_e64 s[38:39], 15, v68
	v_cndmask_b32_e64 v32, v32, v46, s[34:35]
	s_ashr_i32 s1, s0, 31
	v_cndmask_b32_e64 v32, v32, v47, s[38:39]
	ds_bpermute_b32 v55, v82, v32
	s_lshl_b64 s[68:69], s[0:1], 1
	s_add_u32 s68, s71, s68
	s_addc_u32 s69, s72, s69
	v_writelane_b32 v92, s68, 29
	s_waitcnt lgkmcnt(0)
	v_cndmask_b32_e64 v33, v47, v55, s[38:39]
	v_cndmask_b32_e64 v38, v42, v55, s[22:23]
	v_writelane_b32 v92, s69, 30
	v_cmp_le_i32_e64 s[68:69], s70, v75
	v_cmp_le_i32_e64 s[70:71], s70, v76
	v_cndmask_b32_e64 v42, v58, v55, s[14:15]
	v_cndmask_b32_e64 v32, 0, v84, s[68:69]
	;; [unrolled: 1-line block ×3, first 2 shown]
	v_pk_mul_f32 v[16:17], v[32:33], v[16:17] op_sel_hi:[0,1]
	v_pk_mul_f32 v[0:1], v[58:59], v[0:1] op_sel_hi:[0,1]
	v_cndmask_b32_e64 v35, v45, v55, s[30:31]
	v_cndmask_b32_e64 v36, v44, v55, s[28:29]
	;; [unrolled: 1-line block ×4, first 2 shown]
	v_pk_mul_f32 v[30:31], v[32:33], v[30:31] op_sel_hi:[0,1]
	v_pk_mul_f32 v[28:29], v[32:33], v[28:29] op_sel_hi:[0,1]
	v_pk_mul_f32 v[26:27], v[32:33], v[26:27] op_sel_hi:[0,1]
	v_pk_mul_f32 v[24:25], v[32:33], v[24:25] op_sel_hi:[0,1]
	v_pk_mul_f32 v[22:23], v[32:33], v[22:23] op_sel_hi:[0,1]
	v_pk_mul_f32 v[20:21], v[32:33], v[20:21] op_sel_hi:[0,1]
	v_pk_mul_f32 v[18:19], v[32:33], v[18:19] op_sel_hi:[0,1]
	v_cndmask_b32_e64 v32, v16, v17, s[60:61]
	v_pk_mul_f32 v[60:61], v[58:59], v[4:5] op_sel_hi:[0,1]
	v_pk_mul_f32 v[2:3], v[58:59], v[2:3] op_sel_hi:[0,1]
	v_cndmask_b32_e64 v4, v0, v1, s[60:61]
	v_cndmask_b32_e64 v32, v32, v18, s[26:27]
	;; [unrolled: 1-line block ×8, first 2 shown]
	v_pk_mul_f32 v[6:7], v[58:59], v[6:7] op_sel_hi:[0,1]
	v_cndmask_b32_e64 v4, v4, v61, s[44:45]
	v_cndmask_b32_e64 v32, v32, v22, s[46:47]
	v_cndmask_b32_e64 v4, v4, v6, s[46:47]
	v_cndmask_b32_e64 v32, v32, v23, s[48:49]
	v_pk_mul_f32 v[8:9], v[58:59], v[8:9] op_sel_hi:[0,1]
	v_cndmask_b32_e64 v4, v4, v7, s[48:49]
	v_cndmask_b32_e64 v32, v32, v24, s[50:51]
	v_cndmask_b32_e64 v4, v4, v8, s[50:51]
	v_cndmask_b32_e64 v32, v32, v25, s[52:53]
	;; [unrolled: 5-line block ×5, first 2 shown]
	v_cndmask_b32_e64 v4, v4, v15, s[66:67]
	ds_bpermute_b32 v32, v82, v32
	ds_bpermute_b32 v5, v82, v4
	v_cmp_eq_u32_e64 s[68:69], 0, v68
	v_cndmask_b32_e32 v47, v86, v55, vcc
	v_cmp_eq_u32_e64 s[70:71], 1, v69
	v_cndmask_b32_e64 v54, v54, v55, s[68:69]
	v_cndmask_b32_e64 v34, v46, v55, s[34:35]
	;; [unrolled: 1-line block ×9, first 2 shown]
	s_waitcnt lgkmcnt(1)
	v_cndmask_b32_e64 v4, v17, v32, s[60:61]
	v_cmp_eq_u32_e64 s[60:61], 2, v69
	v_cndmask_b32_e64 v18, v18, v32, s[26:27]
	s_waitcnt lgkmcnt(0)
	v_cndmask_b32_e64 v2, v2, v5, s[26:27]
	v_cmp_ne_u32_e64 s[26:27], 0, v67
	v_cndmask_b32_e64 v17, v55, v46, s[60:61]
	v_cndmask_b32_e64 v31, v31, v32, s[66:67]
	;; [unrolled: 1-line block ×3, first 2 shown]
	v_cmp_eq_u32_e64 s[66:67], 3, v69
	v_cndmask_b32_e64 v1, v1, v5, s[26:27]
	v_cndmask_b32_e64 v16, v16, v32, s[36:37]
	;; [unrolled: 1-line block ×6, first 2 shown]
	v_cmp_eq_u32_e64 s[64:65], 4, v69
	v_cndmask_b32_e64 v29, v29, v32, s[62:63]
	v_cndmask_b32_e64 v13, v13, v5, s[62:63]
	;; [unrolled: 1-line block ×22, first 2 shown]
	v_cndmask_b32_e32 v32, v16, v4, vcc
	v_cndmask_b32_e32 v5, v0, v1, vcc
	v_cndmask_b32_e64 v17, v17, v44, s[64:65]
	v_cmp_eq_u32_e64 s[62:63], 5, v69
	v_cndmask_b32_e64 v32, v32, v18, s[6:7]
	v_cndmask_b32_e64 v5, v5, v2, s[6:7]
	v_cndmask_b32_e64 v17, v17, v43, s[62:63]
	v_cmp_eq_u32_e64 s[58:59], 6, v69
	v_cndmask_b32_e64 v32, v32, v19, s[8:9]
	v_cndmask_b32_e64 v5, v5, v3, s[8:9]
	;; [unrolled: 4-line block ×11, first 2 shown]
	v_cndmask_b32_e64 v17, v17, v33, s[82:83]
	v_cndmask_b32_e64 v32, v32, v29, s[30:31]
	;; [unrolled: 1-line block ×3, first 2 shown]
	ds_bpermute_b32 v17, v82, v17
	v_cndmask_b32_e64 v32, v32, v30, s[34:35]
	v_cndmask_b32_e64 v5, v5, v14, s[34:35]
	;; [unrolled: 1-line block ×4, first 2 shown]
	ds_bpermute_b32 v32, v82, v32
	ds_bpermute_b32 v5, v82, v5
	v_cmp_eq_u32_e64 s[42:43], 0, v69
	s_waitcnt lgkmcnt(2)
	v_cndmask_b32_e64 v33, v33, v17, s[82:83]
	v_cndmask_b32_e64 v34, v34, v17, s[76:77]
	;; [unrolled: 1-line block ×16, first 2 shown]
	v_cmp_eq_u32_e64 s[26:27], 1, v70
	v_cmp_eq_u32_e64 s[36:37], 2, v70
	s_waitcnt lgkmcnt(1)
	v_cndmask_b32_e64 v30, v30, v32, s[34:35]
	v_cndmask_b32_e64 v54, v17, v47, s[26:27]
	v_cndmask_b32_e64 v54, v54, v46, s[36:37]
	s_waitcnt lgkmcnt(0)
	v_cndmask_b32_e64 v14, v14, v5, s[34:35]
	v_cmp_eq_u32_e64 s[34:35], 3, v70
	v_cndmask_b32_e32 v4, v4, v32, vcc
	v_cndmask_b32_e32 v1, v1, v5, vcc
	v_cndmask_b32_e64 v16, v16, v32, s[68:69]
	v_cndmask_b32_e64 v0, v0, v5, s[68:69]
	;; [unrolled: 1-line block ×7, first 2 shown]
	v_cmp_eq_u32_e64 s[30:31], 4, v70
	v_cndmask_b32_e64 v28, v28, v32, s[28:29]
	v_cndmask_b32_e64 v12, v12, v5, s[28:29]
	v_cndmask_b32_e64 v27, v27, v32, s[24:25]
	v_cndmask_b32_e64 v11, v11, v5, s[24:25]
	v_cndmask_b32_e64 v26, v26, v32, s[22:23]
	v_cndmask_b32_e64 v10, v10, v5, s[22:23]
	v_cndmask_b32_e64 v25, v25, v32, s[20:21]
	v_cndmask_b32_e64 v9, v9, v5, s[20:21]
	v_cndmask_b32_e64 v24, v24, v32, s[18:19]
	v_cndmask_b32_e64 v8, v8, v5, s[18:19]
	v_cndmask_b32_e64 v23, v23, v32, s[16:17]
	v_cndmask_b32_e64 v7, v7, v5, s[16:17]
	v_cndmask_b32_e64 v22, v22, v32, s[14:15]
	v_cndmask_b32_e64 v6, v6, v5, s[14:15]
	v_cndmask_b32_e64 v21, v21, v32, s[12:13]
	v_cndmask_b32_e64 v55, v55, v5, s[12:13]
	v_cndmask_b32_e64 v20, v20, v32, s[10:11]
	v_cndmask_b32_e64 v57, v57, v5, s[10:11]
	v_cndmask_b32_e64 v19, v19, v32, s[8:9]
	v_cndmask_b32_e64 v3, v3, v5, s[8:9]
	v_cndmask_b32_e64 v18, v18, v32, s[6:7]
	v_cndmask_b32_e64 v2, v2, v5, s[6:7]
	v_cndmask_b32_e64 v32, v16, v4, s[70:71]
	v_cndmask_b32_e64 v5, v0, v1, s[70:71]
	v_cndmask_b32_e64 v54, v54, v44, s[30:31]
	v_cmp_eq_u32_e64 s[38:39], 5, v70
	v_cndmask_b32_e64 v32, v32, v18, s[60:61]
	v_cndmask_b32_e64 v5, v5, v2, s[60:61]
	v_cndmask_b32_e64 v54, v54, v43, s[38:39]
	v_cmp_eq_u32_e64 s[24:25], 6, v70
	v_cndmask_b32_e64 v32, v32, v19, s[66:67]
	v_cndmask_b32_e64 v5, v5, v3, s[66:67]
	v_cndmask_b32_e64 v54, v54, v42, s[24:25]
	;; [unrolled: 4-line block ×11, first 2 shown]
	v_cndmask_b32_e64 v32, v32, v29, s[44:45]
	v_cndmask_b32_e64 v5, v5, v13, s[44:45]
	ds_bpermute_b32 v54, v82, v54
	v_cndmask_b32_e64 v32, v32, v30, s[76:77]
	v_cndmask_b32_e64 v5, v5, v14, s[76:77]
	;; [unrolled: 1-line block ×4, first 2 shown]
	ds_bpermute_b32 v32, v82, v32
	ds_bpermute_b32 v5, v82, v5
	v_cmp_eq_u32_e64 s[16:17], 0, v70
	s_waitcnt lgkmcnt(2)
	v_cndmask_b32_e64 v47, v47, v54, s[26:27]
	v_cmp_eq_u32_e64 s[8:9], 1, v71
	v_cndmask_b32_e64 v17, v17, v54, s[16:17]
	v_cndmask_b32_e64 v33, v33, v54, s[86:87]
	;; [unrolled: 1-line block ×16, first 2 shown]
	v_cmp_eq_u32_e64 s[14:15], 2, v71
	v_cmp_eq_u32_e64 s[18:19], 3, v71
	s_waitcnt lgkmcnt(1)
	v_cndmask_b32_e64 v4, v4, v32, s[70:71]
	v_cndmask_b32_e64 v54, v54, v46, s[14:15]
	s_waitcnt lgkmcnt(0)
	v_cndmask_b32_e64 v1, v1, v5, s[70:71]
	v_cndmask_b32_e64 v16, v16, v32, s[42:43]
	;; [unrolled: 1-line block ×10, first 2 shown]
	v_cmp_eq_u32_e64 s[28:29], 4, v71
	v_cndmask_b32_e64 v28, v28, v32, s[46:47]
	v_cndmask_b32_e64 v12, v12, v5, s[46:47]
	v_cndmask_b32_e64 v27, v27, v32, s[48:49]
	v_cndmask_b32_e64 v11, v11, v5, s[48:49]
	v_cndmask_b32_e64 v26, v26, v32, s[50:51]
	v_cndmask_b32_e64 v10, v10, v5, s[50:51]
	v_cndmask_b32_e64 v25, v25, v32, s[52:53]
	v_cndmask_b32_e64 v9, v9, v5, s[52:53]
	v_cndmask_b32_e64 v24, v24, v32, s[54:55]
	v_cndmask_b32_e64 v8, v8, v5, s[54:55]
	v_cndmask_b32_e64 v23, v23, v32, s[56:57]
	v_cndmask_b32_e64 v7, v7, v5, s[56:57]
	v_cndmask_b32_e64 v22, v22, v32, s[58:59]
	v_cndmask_b32_e64 v6, v6, v5, s[58:59]
	v_cndmask_b32_e64 v21, v21, v32, s[62:63]
	v_cndmask_b32_e64 v55, v55, v5, s[62:63]
	v_cndmask_b32_e64 v20, v20, v32, s[64:65]
	v_cndmask_b32_e64 v57, v57, v5, s[64:65]
	v_cndmask_b32_e64 v19, v19, v32, s[66:67]
	v_cndmask_b32_e64 v3, v3, v5, s[66:67]
	v_cndmask_b32_e64 v18, v18, v32, s[60:61]
	v_cndmask_b32_e64 v2, v2, v5, s[60:61]
	v_cndmask_b32_e64 v32, v16, v4, s[26:27]
	v_cndmask_b32_e64 v5, v0, v1, s[26:27]
	v_cndmask_b32_e64 v54, v54, v44, s[28:29]
	v_cmp_eq_u32_e64 s[40:41], 5, v71
	v_cndmask_b32_e64 v32, v32, v18, s[36:37]
	v_cndmask_b32_e64 v5, v5, v2, s[36:37]
	v_cndmask_b32_e64 v54, v54, v43, s[40:41]
	v_cmp_eq_u32_e64 s[48:49], 6, v71
	v_cndmask_b32_e64 v32, v32, v19, s[34:35]
	v_cndmask_b32_e64 v5, v5, v3, s[34:35]
	v_cndmask_b32_e64 v54, v54, v42, s[48:49]
	;; [unrolled: 4-line block ×11, first 2 shown]
	v_cndmask_b32_e64 v32, v32, v29, s[12:13]
	v_cndmask_b32_e64 v5, v5, v13, s[12:13]
	ds_bpermute_b32 v54, v82, v54
	v_cndmask_b32_e64 v32, v32, v30, s[10:11]
	v_cndmask_b32_e64 v5, v5, v14, s[10:11]
	;; [unrolled: 1-line block ×4, first 2 shown]
	ds_bpermute_b32 v32, v82, v32
	ds_bpermute_b32 v5, v82, v5
	v_cmp_eq_u32_e64 s[60:61], 0, v71
	s_waitcnt lgkmcnt(2)
	v_cndmask_b32_e64 v47, v47, v54, s[8:9]
	v_cmp_eq_u32_e32 vcc, 1, v72
	v_cndmask_b32_e64 v17, v17, v54, s[60:61]
	v_cndmask_b32_e64 v33, v33, v54, s[88:89]
	;; [unrolled: 1-line block ×15, first 2 shown]
	v_cndmask_b32_e32 v54, v17, v47, vcc
	v_cmp_eq_u32_e64 s[6:7], 2, v72
	s_waitcnt lgkmcnt(1)
	v_cndmask_b32_e64 v30, v30, v32, s[10:11]
	s_waitcnt lgkmcnt(0)
	v_cndmask_b32_e64 v14, v14, v5, s[10:11]
	v_cndmask_b32_e64 v54, v54, v46, s[6:7]
	v_cmp_eq_u32_e64 s[10:11], 3, v72
	v_cndmask_b32_e64 v29, v29, v32, s[12:13]
	v_cndmask_b32_e64 v13, v13, v5, s[12:13]
	;; [unrolled: 1-line block ×3, first 2 shown]
	v_cmp_eq_u32_e64 s[12:13], 4, v72
	v_cmp_eq_u32_e64 s[42:43], 5, v72
	;; [unrolled: 1-line block ×3, first 2 shown]
	v_cndmask_b32_e64 v54, v54, v44, s[12:13]
	v_cndmask_b32_e64 v54, v54, v43, s[42:43]
	;; [unrolled: 1-line block ×7, first 2 shown]
	v_cmp_eq_u32_e64 s[52:53], 7, v72
	v_cndmask_b32_e64 v9, v9, v5, s[72:73]
	v_cndmask_b32_e64 v8, v8, v5, s[20:21]
	;; [unrolled: 1-line block ×11, first 2 shown]
	v_cmp_eq_u32_e64 s[54:55], 8, v72
	v_cndmask_b32_e64 v0, v5, v58, s[8:9]
	v_cndmask_b32_e64 v31, v31, v32, s[86:87]
	;; [unrolled: 1-line block ×8, first 2 shown]
	v_cmp_eq_u32_e64 s[56:57], 9, v72
	v_cndmask_b32_e64 v23, v23, v32, s[22:23]
	v_cndmask_b32_e64 v22, v22, v32, s[24:25]
	;; [unrolled: 1-line block ×10, first 2 shown]
	v_cmp_eq_u32_e64 s[62:63], 10, v72
	v_cndmask_b32_e64 v1, v32, v4, s[8:9]
	v_cndmask_b32_e64 v0, v0, v3, s[18:19]
	v_cndmask_b32_e64 v54, v54, v38, s[62:63]
	v_cmp_eq_u32_e64 s[66:67], 11, v72
	v_cndmask_b32_e64 v1, v1, v18, s[14:15]
	v_cndmask_b32_e64 v0, v0, v57, s[28:29]
	v_cndmask_b32_e64 v54, v54, v37, s[66:67]
	;; [unrolled: 4-line block ×6, first 2 shown]
	v_cndmask_b32_e64 v1, v1, v23, s[46:47]
	v_cndmask_b32_e64 v0, v0, v9, s[68:69]
	ds_bpermute_b32 v54, v82, v54
	v_cndmask_b32_e64 v1, v1, v24, s[44:45]
	v_cndmask_b32_e64 v0, v0, v10, s[76:77]
	;; [unrolled: 1-line block ×10, first 2 shown]
	v_cmp_eq_u32_e64 s[34:35], 0, v72
	s_waitcnt lgkmcnt(0)
	v_cndmask_b32_e32 v47, v47, v54, vcc
	v_cndmask_b32_e64 v1, v1, v29, s[64:65]
	v_cndmask_b32_e64 v0, v0, v15, s[88:89]
	v_cndmask_b32_e64 v17, v17, v54, s[34:35]
	v_cmp_eq_u32_e64 s[16:17], 1, v73
	v_cndmask_b32_e64 v46, v46, v54, s[6:7]
	v_cndmask_b32_e64 v1, v1, v30, s[84:85]
	ds_bpermute_b32 v60, v82, v0
	v_cndmask_b32_e64 v0, v17, v47, s[16:17]
	v_cmp_eq_u32_e64 s[20:21], 2, v73
	v_cndmask_b32_e64 v45, v45, v54, s[10:11]
	v_cndmask_b32_e64 v1, v1, v31, s[88:89]
	;; [unrolled: 1-line block ×3, first 2 shown]
	v_cmp_eq_u32_e64 s[22:23], 3, v73
	v_cndmask_b32_e64 v44, v44, v54, s[12:13]
	ds_bpermute_b32 v59, v82, v1
	v_cndmask_b32_e64 v0, v0, v45, s[22:23]
	v_cmp_eq_u32_e64 s[24:25], 4, v73
	v_cndmask_b32_e64 v43, v43, v54, s[42:43]
	v_cmp_eq_u32_e64 s[26:27], 5, v73
	v_cndmask_b32_e64 v0, v0, v44, s[24:25]
	v_cndmask_b32_e64 v42, v42, v54, s[50:51]
	;; [unrolled: 1-line block ×3, first 2 shown]
	v_cmp_eq_u32_e64 s[30:31], 6, v73
	v_cndmask_b32_e64 v41, v41, v54, s[52:53]
	v_cmp_eq_u32_e64 s[36:37], 7, v73
	v_cndmask_b32_e64 v0, v0, v42, s[30:31]
	v_cndmask_b32_e64 v40, v40, v54, s[54:55]
	;; [unrolled: 1-line block ×3, first 2 shown]
	v_cmp_eq_u32_e64 s[38:39], 8, v73
	v_cndmask_b32_e64 v39, v39, v54, s[56:57]
	s_waitcnt lgkmcnt(0)
	v_cndmask_b32_e64 v24, v24, v59, s[44:45]
	v_cndmask_b32_e64 v0, v0, v40, s[38:39]
	v_cndmask_b32_e64 v8, v8, v60, s[44:45]
	v_cmp_eq_u32_e64 s[44:45], 9, v73
	v_cndmask_b32_e64 v38, v38, v54, s[62:63]
	v_cndmask_b32_e64 v23, v23, v59, s[46:47]
	v_cndmask_b32_e64 v0, v0, v39, s[44:45]
	v_cndmask_b32_e64 v7, v7, v60, s[46:47]
	v_cmp_eq_u32_e64 s[46:47], 10, v73
	v_cndmask_b32_e64 v37, v37, v54, s[66:67]
	;; [unrolled: 5-line block ×3, first 2 shown]
	v_cndmask_b32_e64 v34, v34, v54, s[74:75]
	v_cndmask_b32_e64 v35, v35, v54, s[72:73]
	;; [unrolled: 1-line block ×6, first 2 shown]
	v_cmp_eq_u32_e64 s[40:41], 12, v73
	v_cndmask_b32_e64 v20, v20, v59, s[28:29]
	v_cndmask_b32_e64 v55, v57, v60, s[28:29]
	v_cndmask_b32_e64 v0, v0, v36, s[40:41]
	v_cmp_eq_u32_e64 s[28:29], 13, v73
	v_cndmask_b32_e64 v27, v27, v59, s[58:59]
	v_cndmask_b32_e64 v11, v11, v60, s[58:59]
	v_cndmask_b32_e64 v0, v0, v35, s[28:29]
	;; [unrolled: 4-line block ×4, first 2 shown]
	ds_bpermute_b32 v57, v82, v0
	v_cndmask_b32_e64 v32, v32, v59, s[60:61]
	v_cndmask_b32_e64 v18, v18, v59, s[14:15]
	;; [unrolled: 1-line block ×4, first 2 shown]
	s_waitcnt lgkmcnt(0)
	v_cndmask_b32_e64 v1, v43, v57, s[26:27]
	v_cndmask_b32_e64 v3, v45, v57, s[22:23]
	;; [unrolled: 1-line block ×5, first 2 shown]
	v_cndmask_b32_e32 v44, v32, v4, vcc
	v_cndmask_b32_e32 v5, v45, v43, vcc
	v_cndmask_b32_e64 v44, v44, v18, s[6:7]
	v_cndmask_b32_e64 v5, v5, v84, s[6:7]
	v_cndmask_b32_e64 v44, v44, v19, s[10:11]
	v_cndmask_b32_e64 v5, v5, v61, s[10:11]
	v_cndmask_b32_e64 v44, v44, v20, s[12:13]
	v_cndmask_b32_e64 v5, v5, v55, s[12:13]
	v_cndmask_b32_e64 v44, v44, v21, s[42:43]
	v_cndmask_b32_e64 v5, v5, v54, s[42:43]
	v_cndmask_b32_e64 v44, v44, v22, s[50:51]
	v_cndmask_b32_e64 v5, v5, v6, s[50:51]
	v_cndmask_b32_e64 v44, v44, v23, s[52:53]
	v_cndmask_b32_e64 v5, v5, v7, s[52:53]
	v_cndmask_b32_e64 v25, v25, v59, s[68:69]
	v_cndmask_b32_e64 v9, v9, v60, s[68:69]
	v_cndmask_b32_e64 v44, v44, v24, s[54:55]
	v_cndmask_b32_e64 v5, v5, v8, s[54:55]
	v_cndmask_b32_e64 v26, v26, v59, s[76:77]
	v_cndmask_b32_e64 v10, v10, v60, s[76:77]
	v_cndmask_b32_e64 v44, v44, v25, s[56:57]
	v_cndmask_b32_e64 v5, v5, v9, s[56:57]
	v_cndmask_b32_e64 v44, v44, v26, s[62:63]
	v_cndmask_b32_e64 v5, v5, v10, s[62:63]
	v_cndmask_b32_e64 v28, v28, v59, s[82:83]
	v_cndmask_b32_e64 v12, v12, v60, s[82:83]
	v_cndmask_b32_e64 v44, v44, v27, s[66:67]
	v_cndmask_b32_e64 v5, v5, v11, s[66:67]
	v_cndmask_b32_e64 v44, v44, v28, s[70:71]
	v_cndmask_b32_e64 v5, v5, v12, s[70:71]
	v_cndmask_b32_e64 v30, v30, v59, s[84:85]
	v_cndmask_b32_e64 v14, v14, v60, s[84:85]
	v_cndmask_b32_e64 v44, v44, v29, s[72:73]
	v_cndmask_b32_e64 v5, v5, v13, s[72:73]
	v_cndmask_b32_e64 v31, v31, v59, s[88:89]
	v_cndmask_b32_e64 v15, v15, v60, s[88:89]
	v_cndmask_b32_e64 v44, v44, v30, s[74:75]
	v_cndmask_b32_e64 v5, v5, v14, s[74:75]
	v_cndmask_b32_e64 v44, v44, v31, s[78:79]
	v_cndmask_b32_e64 v5, v5, v15, s[78:79]
	v_cmp_eq_u32_e64 s[76:77], 0, v73
	v_cndmask_b32_e64 v16, v46, v57, s[20:21]
	v_cndmask_b32_e64 v0, v47, v57, s[16:17]
	ds_bpermute_b32 v44, v82, v44
	ds_bpermute_b32 v46, v82, v5
	v_cndmask_b32_e64 v47, v17, v57, s[76:77]
	v_cmp_eq_u32_e64 s[8:9], 1, v74
	v_cmp_eq_u32_e64 s[14:15], 2, v74
	;; [unrolled: 1-line block ×3, first 2 shown]
	v_cndmask_b32_e64 v5, v47, v0, s[8:9]
	v_cndmask_b32_e64 v5, v5, v16, s[14:15]
	;; [unrolled: 1-line block ×3, first 2 shown]
	v_cmp_eq_u32_e64 s[60:61], 4, v74
	v_cmp_eq_u32_e64 s[68:69], 5, v74
	v_cndmask_b32_e64 v42, v42, v57, s[30:31]
	v_cndmask_b32_e64 v5, v5, v2, s[60:61]
	v_cndmask_b32_e64 v5, v5, v1, s[68:69]
	s_waitcnt lgkmcnt(1)
	v_cndmask_b32_e64 v27, v27, v44, s[66:67]
	s_waitcnt lgkmcnt(0)
	v_cndmask_b32_e64 v60, v11, v46, s[66:67]
	v_cmp_eq_u32_e64 s[66:67], 6, v74
	v_cndmask_b32_e32 v91, v4, v44, vcc
	v_cndmask_b32_e64 v32, v32, v44, s[34:35]
	v_cndmask_b32_e64 v41, v41, v57, s[36:37]
	v_cndmask_b32_e64 v5, v5, v42, s[66:67]
	v_cndmask_b32_e64 v26, v26, v44, s[62:63]
	v_cndmask_b32_e64 v85, v10, v46, s[62:63]
	v_cmp_eq_u32_e64 s[62:63], 7, v74
	v_cndmask_b32_e64 v18, v18, v44, s[6:7]
	v_cndmask_b32_e64 v4, v32, v91, s[16:17]
	v_cndmask_b32_e64 v40, v40, v57, s[38:39]
	v_cndmask_b32_e64 v5, v5, v41, s[62:63]
	v_cndmask_b32_e64 v25, v25, v44, s[56:57]
	v_cndmask_b32_e64 v86, v9, v46, s[56:57]
	v_cmp_eq_u32_e64 s[56:57], 8, v74
	v_cndmask_b32_e64 v19, v19, v44, s[10:11]
	;; [unrolled: 7-line block ×5, first 2 shown]
	v_cndmask_b32_e64 v36, v36, v57, s[40:41]
	v_cndmask_b32_e64 v5, v5, v37, s[50:51]
	v_cndmask_b32_e64 v54, v54, v46, s[42:43]
	v_cmp_eq_u32_e64 s[42:43], 12, v74
	v_cndmask_b32_e64 v4, v4, v22, s[30:31]
	v_cndmask_b32_e64 v35, v35, v57, s[28:29]
	v_cndmask_b32_e64 v5, v5, v36, s[42:43]
	v_cndmask_b32_e64 v55, v55, v46, s[12:13]
	v_cmp_eq_u32_e64 s[12:13], 13, v74
	v_cndmask_b32_e64 v4, v4, v23, s[36:37]
	;; [unrolled: 5-line block ×4, first 2 shown]
	v_cndmask_b32_e64 v4, v4, v26, s[46:47]
	v_cndmask_b32_e64 v5, v5, v33, s[6:7]
	;; [unrolled: 1-line block ×3, first 2 shown]
	ds_bpermute_b32 v90, v82, v5
	v_cndmask_b32_e64 v4, v4, v27, s[48:49]
	v_cndmask_b32_e64 v29, v29, v44, s[72:73]
	;; [unrolled: 1-line block ×9, first 2 shown]
	s_waitcnt lgkmcnt(0)
	v_cndmask_b32_e64 v15, v33, v90, s[6:7]
	ds_bpermute_b32 v33, v82, v4
	v_cndmask_b32_e64 v57, v14, v46, s[74:75]
	v_cndmask_b32_e64 v14, v34, v90, s[10:11]
	;; [unrolled: 1-line block ×4, first 2 shown]
	s_waitcnt lgkmcnt(0)
	v_cndmask_b32_e64 v34, v91, v33, s[16:17]
	v_cndmask_b32_e64 v32, v32, v33, s[76:77]
	;; [unrolled: 1-line block ×32, first 2 shown]
	ds_bpermute_b32 v33, v82, v1
	v_cndmask_b32_e64 v58, v13, v46, s[72:73]
	v_cndmask_b32_e32 v43, v43, v46, vcc
	v_cndmask_b32_e64 v13, v35, v90, s[12:13]
	v_cndmask_b32_e64 v35, v45, v46, s[34:35]
	s_waitcnt lgkmcnt(0)
	v_cndmask_b32_e64 v31, v16, v33, s[6:7]
	v_cndmask_b32_e64 v16, v35, v43, s[16:17]
	;; [unrolled: 1-line block ×17, first 2 shown]
	ds_bpermute_b32 v16, v82, v16
	v_cndmask_b32_e64 v11, v37, v90, s[50:51]
	v_cndmask_b32_e64 v7, v41, v90, s[62:63]
	;; [unrolled: 1-line block ×4, first 2 shown]
	s_waitcnt lgkmcnt(0)
	v_cndmask_b32_e64 v37, v57, v16, s[58:59]
	v_cndmask_b32_e64 v41, v85, v16, s[46:47]
	;; [unrolled: 1-line block ×33, first 2 shown]
	ds_bpermute_b32 v87, v82, v16
	v_cmp_eq_u32_e32 vcc, 0, v74
	v_cndmask_b32_e64 v1, v0, v90, s[8:9]
	v_readlane_b32 s24, v92, 10
	v_cndmask_b32_e32 v0, v47, v90, vcc
	s_waitcnt lgkmcnt(0)
	v_cndmask_b32_e64 v47, v36, v87, s[6:7]
	v_readlane_b32 s6, v92, 29
	v_readlane_b32 s7, v92, 30
	;; [unrolled: 1-line block ×4, first 2 shown]
	v_subrev_u32_e32 v83, s4, v83
	s_mov_b32 s1, 0
	v_cndmask_b32_e64 v6, v42, v90, s[66:67]
	v_cndmask_b32_e64 v3, v3, v90, s[18:19]
	;; [unrolled: 1-line block ×16, first 2 shown]
	v_cndmask_b32_e32 v16, v32, v33, vcc
	v_cndmask_b32_e64 v46, v37, v87, s[10:11]
	v_cndmask_b32_e64 v45, v38, v87, s[12:13]
	;; [unrolled: 1-line block ×14, first 2 shown]
	v_cndmask_b32_e32 v32, v86, v87, vcc
	v_lshl_add_u64 v[54:55], s[6:7], 0, v[48:49]
	s_mov_b64 s[6:7], 0
	s_mov_b32 s16, 0
	v_readlane_b32 s25, v92, 11
	v_readlane_b32 s27, v92, 13
	;; [unrolled: 1-line block ×10, first 2 shown]
	s_mov_b64 s[20:21], 0x80
                                        ; implicit-def: $sgpr8_sgpr9
	s_branch .LBB190_29
.LBB190_27:                             ;   in Loop: Header=BB190_29 Depth=2
	s_or_b64 exec, exec, s[12:13]
	s_andn2_b64 s[8:9], s[8:9], exec
	s_and_b64 s[12:13], s[14:15], exec
	s_or_b64 s[8:9], s[8:9], s[12:13]
.LBB190_28:                             ;   in Loop: Header=BB190_29 Depth=2
	s_or_b64 exec, exec, s[10:11]
	s_and_b64 s[10:11], exec, s[8:9]
	s_or_b64 s[6:7], s[10:11], s[6:7]
	s_andn2_b64 exec, exec, s[6:7]
	s_cbranch_execz .LBB190_32
.LBB190_29:                             ;   Parent Loop BB190_7 Depth=1
                                        ; =>  This Inner Loop Header: Depth=2
	s_and_b32 s12, s1, 24
	v_or_b32_e32 v57, s12, v80
	v_add_u32_e32 v58, s5, v57
	v_cmp_gt_u32_e32 vcc, 32, v58
	s_or_b64 s[8:9], s[8:9], exec
	s_and_saveexec_b64 s[10:11], vcc
	s_cbranch_execz .LBB190_28
; %bb.30:                               ;   in Loop: Header=BB190_29 Depth=2
	s_add_i32 s13, s16, 1
	s_set_gpr_idx_on s16, gpr_idx(SRC0)
	v_mov_b32_e32 v58, v0
	s_set_gpr_idx_off
	v_cvt_f16_f32_e32 v60, v58
	s_set_gpr_idx_on s13, gpr_idx(SRC0)
	v_mov_b32_e32 v58, v0
	s_set_gpr_idx_off
	v_cvt_f16_f32_sdwa v61, v58 dst_sel:WORD_1 dst_unused:UNUSED_PAD src0_sel:DWORD
	v_mul_lo_u32 v58, v57, s93
	v_ashrrev_i32_e32 v59, 31, v58
	v_lshl_add_u64 v[58:59], v[58:59], 1, v[54:55]
	v_or_b32_e32 v57, v61, v60
	;;#ASMSTART
	global_atomic_pk_add_f16 v[58:59], v57, off
	
	;;#ASMEND
	s_set_gpr_idx_on s16, gpr_idx(SRC0)
	v_mov_b32_e32 v57, v16
	s_set_gpr_idx_off
	v_cvt_f16_f32_e32 v57, v57
	s_set_gpr_idx_on s13, gpr_idx(SRC0)
	v_mov_b32_e32 v60, v16
	s_set_gpr_idx_off
	v_cvt_f16_f32_sdwa v84, v60 dst_sel:WORD_1 dst_unused:UNUSED_PAD src0_sel:DWORD
	v_lshl_add_u64 v[60:61], v[58:59], 0, 64
	v_lshl_add_u64 v[58:59], v[58:59], 0, s[20:21]
	s_mov_b64 s[14:15], -1
	v_or_b32_e32 v57, v84, v57
	;;#ASMSTART
	global_atomic_pk_add_f16 v[60:61], v57, off
	
	;;#ASMEND
	s_set_gpr_idx_on s16, gpr_idx(SRC0)
	v_mov_b32_e32 v57, v32
	s_set_gpr_idx_off
	v_cvt_f16_f32_e32 v57, v57
	s_set_gpr_idx_on s13, gpr_idx(SRC0)
	v_mov_b32_e32 v60, v32
	s_set_gpr_idx_off
	v_cvt_f16_f32_sdwa v60, v60 dst_sel:WORD_1 dst_unused:UNUSED_PAD src0_sel:DWORD
	s_nop 0
	v_or_b32_e32 v57, v60, v57
	;;#ASMSTART
	global_atomic_pk_add_f16 v[58:59], v57, off
	
	;;#ASMEND
	v_or_b32_e32 v57, s12, v81
	v_add_u32_e32 v58, s5, v57
	v_cmp_gt_u32_e32 vcc, 32, v58
	s_and_saveexec_b64 s[12:13], vcc
	s_cbranch_execz .LBB190_27
; %bb.31:                               ;   in Loop: Header=BB190_29 Depth=2
	s_add_i32 s14, s16, 2
	s_add_i32 s15, s16, 3
	s_set_gpr_idx_on s14, gpr_idx(SRC0)
	v_mov_b32_e32 v58, v0
	s_set_gpr_idx_off
	v_cvt_f16_f32_e32 v60, v58
	s_set_gpr_idx_on s15, gpr_idx(SRC0)
	v_mov_b32_e32 v58, v0
	s_set_gpr_idx_off
	v_cvt_f16_f32_sdwa v61, v58 dst_sel:WORD_1 dst_unused:UNUSED_PAD src0_sel:DWORD
	v_mul_lo_u32 v58, v57, s93
	v_ashrrev_i32_e32 v59, 31, v58
	v_lshl_add_u64 v[58:59], v[58:59], 1, v[54:55]
	v_or_b32_e32 v57, v61, v60
	;;#ASMSTART
	global_atomic_pk_add_f16 v[58:59], v57, off
	
	;;#ASMEND
	s_set_gpr_idx_on s14, gpr_idx(SRC0)
	v_mov_b32_e32 v57, v16
	s_set_gpr_idx_off
	v_cvt_f16_f32_e32 v57, v57
	s_set_gpr_idx_on s15, gpr_idx(SRC0)
	v_mov_b32_e32 v60, v16
	s_set_gpr_idx_off
	v_cvt_f16_f32_sdwa v84, v60 dst_sel:WORD_1 dst_unused:UNUSED_PAD src0_sel:DWORD
	v_lshl_add_u64 v[60:61], v[58:59], 0, 64
	s_add_i32 s16, s16, 4
	s_add_i32 s1, s1, 8
	v_or_b32_e32 v57, v84, v57
	;;#ASMSTART
	global_atomic_pk_add_f16 v[60:61], v57, off
	
	;;#ASMEND
	s_set_gpr_idx_on s14, gpr_idx(SRC0)
	v_mov_b32_e32 v57, v32
	s_set_gpr_idx_off
	v_cvt_f16_f32_e32 v57, v57
	s_set_gpr_idx_on s15, gpr_idx(SRC0)
	v_mov_b32_e32 v60, v32
	s_set_gpr_idx_off
	v_cvt_f16_f32_sdwa v60, v60 dst_sel:WORD_1 dst_unused:UNUSED_PAD src0_sel:DWORD
	s_cmp_eq_u32 s16, 16
	s_cselect_b64 s[14:15], -1, 0
	s_orn2_b64 s[14:15], s[14:15], exec
	v_lshl_add_u64 v[58:59], v[58:59], 0, s[20:21]
	v_or_b32_e32 v57, v60, v57
	;;#ASMSTART
	global_atomic_pk_add_f16 v[58:59], v57, off
	
	;;#ASMEND
	s_branch .LBB190_27
.LBB190_32:                             ;   in Loop: Header=BB190_7 Depth=1
	s_or_b64 exec, exec, s[6:7]
	v_readlane_b32 s16, v92, 2
	v_readlane_b32 s14, v92, 0
	;; [unrolled: 1-line block ×11, first 2 shown]
.LBB190_33:                             ;   in Loop: Header=BB190_7 Depth=1
	v_readlane_b32 s6, v92, 26
	v_readlane_b32 s7, v92, 27
	s_or_b64 exec, exec, s[6:7]
.LBB190_34:                             ;   in Loop: Header=BB190_7 Depth=1
	s_or_saveexec_b64 s[2:3], s[2:3]
	v_readlane_b32 s13, v92, 25
	s_xor_b64 exec, exec, s[2:3]
	s_cbranch_execz .LBB190_43
; %bb.35:                               ;   in Loop: Header=BB190_7 Depth=1
	s_mul_i32 s12, s4, 3
	v_cmp_gt_i32_e32 vcc, s12, v83
	s_and_saveexec_b64 s[6:7], vcc
	s_cbranch_execz .LBB190_42
; %bb.36:                               ;   in Loop: Header=BB190_7 Depth=1
	s_mul_i32 s0, s0, s95
	s_ashr_i32 s1, s0, 31
	s_add_u32 s0, s18, s0
	s_addc_u32 s1, s19, s1
	s_ashr_i32 s8, s13, 31
	s_add_u32 s0, s0, s13
	s_addc_u32 s1, s1, s8
	v_lshl_add_u64 v[0:1], s[0:1], 0, v[52:53]
	v_lshl_add_u64 v[8:9], v[0:1], 0, v[50:51]
	s_mov_b64 s[0:1], 0
	s_branch .LBB190_38
.LBB190_37:                             ;   in Loop: Header=BB190_38 Depth=2
	s_or_b64 exec, exec, s[8:9]
	v_lshl_or_b32 v12, v10, 11, v77
	;;#ASMSTART
	s_waitcnt vmcnt(1)
	;;#ASMEND
	ds_write2_b32 v12, v4, v5 offset1:32
	ds_write2_b32 v12, v6, v7 offset0:64 offset1:96
	v_add_u32_e32 v4, 0x400, v12
	v_add_u32_e32 v83, s98, v83
	;;#ASMSTART
	s_waitcnt vmcnt(0)
	;;#ASMEND
	ds_write2_b32 v4, v0, v1 offset1:32
	ds_write2_b32 v4, v2, v3 offset0:64 offset1:96
	v_add_u32_e32 v0, 1, v63
	v_add_u32_e32 v56, s98, v10
	v_cmp_le_i32_e32 vcc, s12, v83
	ds_write_b32 v11, v0 offset:16
	v_add_u32_e32 v0, 2, v63
	s_or_b64 s[0:1], vcc, s[0:1]
	v_cmp_lt_i32_e32 vcc, 5, v56
	s_nop 1
	v_cndmask_b32_e32 v63, v63, v0, vcc
	s_andn2_b64 exec, exec, s[0:1]
	s_cbranch_execz .LBB190_41
.LBB190_38:                             ;   Parent Loop BB190_7 Depth=1
                                        ; =>  This Loop Header: Depth=2
                                        ;       Child Loop BB190_40 Depth 3
	v_cmp_gt_i32_e32 vcc, 6, v56
	s_mov_b32 s8, 0x55555556
	s_nop 0
	v_cndmask_b32_e64 v0, -6, 0, vcc
	v_add_u32_e32 v10, v0, v56
	v_mul_hi_i32 v0, v83, s8
	v_lshrrev_b32_e32 v1, 31, v0
	v_add_u32_e32 v0, v0, v1
	v_lshl_add_u32 v1, v0, 1, v0
	v_sub_u32_e32 v2, v83, v1
	v_lshlrev_b32_e32 v0, 6, v0
	v_ashrrev_i32_e32 v1, 31, v0
	v_mul_lo_u32 v2, s91, v2
	v_lshl_add_u64 v[0:1], v[8:9], 0, v[0:1]
	v_ashrrev_i32_e32 v3, 31, v2
	v_lshl_add_u64 v[0:1], v[0:1], 0, v[2:3]
	v_lshlrev_b32_e32 v11, 2, v10
	;;#ASMSTART
	global_load_dwordx4 v[4:7], v[0:1], off offset:0   sc0 sc1 nt  
	global_load_dwordx4 v[0:3], v[0:1], off offset:32  sc0 sc1 nt  
	
	;;#ASMEND
	ds_read_b32 v12, v11 offset:20496
	v_add_u32_e32 v11, 0x5000, v11
	s_waitcnt lgkmcnt(0)
	v_cmp_ne_u32_e32 vcc, v12, v63
	s_and_saveexec_b64 s[8:9], vcc
	s_cbranch_execz .LBB190_37
; %bb.39:                               ;   in Loop: Header=BB190_38 Depth=2
	s_mov_b64 s[10:11], 0
.LBB190_40:                             ;   Parent Loop BB190_7 Depth=1
                                        ;     Parent Loop BB190_38 Depth=2
                                        ; =>    This Inner Loop Header: Depth=3
	;;#ASMSTART
	s_sleep 0
	;;#ASMEND
	ds_read_b32 v12, v11 offset:16
	s_waitcnt lgkmcnt(0)
	v_cmp_eq_u32_e32 vcc, v12, v63
	s_or_b64 s[10:11], vcc, s[10:11]
	s_andn2_b64 exec, exec, s[10:11]
	s_cbranch_execnz .LBB190_40
	s_branch .LBB190_37
.LBB190_41:                             ;   in Loop: Header=BB190_7 Depth=1
	s_or_b64 exec, exec, s[0:1]
.LBB190_42:                             ;   in Loop: Header=BB190_7 Depth=1
	s_or_b64 exec, exec, s[6:7]
	v_subrev_u32_e32 v83, s12, v83
.LBB190_43:                             ;   in Loop: Header=BB190_7 Depth=1
	s_or_b64 exec, exec, s[2:3]
.LBB190_44:                             ;   in Loop: Header=BB190_7 Depth=1
	v_readlane_b32 s0, v92, 23
	v_readlane_b32 s1, v92, 24
	s_andn2_saveexec_b64 s[0:1], s[0:1]
	s_cbranch_execz .LBB190_6
; %bb.45:                               ;   in Loop: Header=BB190_7 Depth=1
	s_lshl_b32 s10, s4, 1
	v_cmp_gt_i32_e32 vcc, s10, v83
	s_and_saveexec_b64 s[2:3], vcc
	s_cbranch_execz .LBB190_5
; %bb.46:                               ;   in Loop: Header=BB190_7 Depth=1
	s_mul_i32 s4, s39, s94
	s_ashr_i32 s6, s4, 31
	s_add_u32 s4, s16, s4
	v_add_u32_e32 v2, s5, v64
	s_addc_u32 s7, s17, s6
	s_ashr_i32 s8, s13, 31
	v_cmp_gt_u32_e32 vcc, 64, v2
	s_add_u32 s6, s4, s13
	s_addc_u32 s7, s7, s8
	v_cndmask_b32_e32 v0, 0, v78, vcc
	v_ashrrev_i32_e32 v1, 31, v0
	v_lshl_add_u64 v[0:1], s[6:7], 0, v[0:1]
	v_lshl_add_u64 v[8:9], v[0:1], 0, v[50:51]
	v_sub_u32_e32 v10, 63, v2
	s_mov_b64 s[4:5], 0
	s_branch .LBB190_48
.LBB190_47:                             ;   in Loop: Header=BB190_48 Depth=2
	s_or_b64 exec, exec, s[6:7]
	v_lshl_add_u32 v13, v11, 11, v79
	;;#ASMSTART
	s_waitcnt vmcnt(1)
	;;#ASMEND
	ds_write2_b32 v13, v4, v5 offset1:32
	ds_write2_b32 v13, v6, v7 offset0:64 offset1:96
	v_add_u32_e32 v4, 0x400, v13
	v_add_u32_e32 v83, s97, v83
	;;#ASMSTART
	s_waitcnt vmcnt(0)
	;;#ASMEND
	ds_write2_b32 v4, v0, v1 offset1:32
	ds_write2_b32 v4, v2, v3 offset0:64 offset1:96
	v_add_u32_e32 v0, 1, v63
	v_add_u32_e32 v56, s97, v11
	v_cmp_le_i32_e32 vcc, s10, v83
	ds_write_b32 v12, v0
	v_add_u32_e32 v0, 2, v63
	s_or_b64 s[4:5], vcc, s[4:5]
	v_cmp_lt_i32_e32 vcc, 3, v56
	s_nop 1
	v_cndmask_b32_e32 v63, v63, v0, vcc
	s_andn2_b64 exec, exec, s[4:5]
	s_cbranch_execz .LBB190_4
.LBB190_48:                             ;   Parent Loop BB190_7 Depth=1
                                        ; =>  This Loop Header: Depth=2
                                        ;       Child Loop BB190_50 Depth 3
	v_cmp_gt_i32_e32 vcc, 4, v56
	s_nop 1
	v_cndmask_b32_e64 v0, -4, 0, vcc
	v_add_u32_e32 v11, v0, v56
	v_lshrrev_b32_e32 v0, 31, v83
	v_add_u32_e32 v0, v83, v0
	v_and_b32_e32 v1, 0x7fffffe, v0
	v_sub_u32_e32 v1, v83, v1
	v_lshlrev_b32_e32 v1, 5, v1
	v_cmp_le_i32_e32 vcc, v1, v10
	v_lshlrev_b32_e32 v0, 5, v0
	v_and_b32_e32 v0, 0xffffffc0, v0
	v_cndmask_b32_e32 v2, 0, v1, vcc
	v_ashrrev_i32_e32 v1, 31, v0
	v_mul_lo_u32 v2, v2, s94
	v_lshl_add_u64 v[0:1], v[8:9], 0, v[0:1]
	v_ashrrev_i32_e32 v3, 31, v2
	v_lshl_add_u64 v[0:1], v[0:1], 0, v[2:3]
	v_lshlrev_b32_e32 v12, 2, v11
	;;#ASMSTART
	global_load_dwordx4 v[4:7], v[0:1], off offset:0   
	global_load_dwordx4 v[0:3], v[0:1], off offset:32  
	
	;;#ASMEND
	ds_read_b32 v13, v12 offset:20480
	v_add_u32_e32 v12, 0x5000, v12
	s_waitcnt lgkmcnt(0)
	v_cmp_ne_u32_e32 vcc, v13, v63
	s_and_saveexec_b64 s[6:7], vcc
	s_cbranch_execz .LBB190_47
; %bb.49:                               ;   in Loop: Header=BB190_48 Depth=2
	s_mov_b64 s[8:9], 0
.LBB190_50:                             ;   Parent Loop BB190_7 Depth=1
                                        ;     Parent Loop BB190_48 Depth=2
                                        ; =>    This Inner Loop Header: Depth=3
	;;#ASMSTART
	s_sleep 0
	;;#ASMEND
	ds_read_b32 v13, v12
	s_waitcnt lgkmcnt(0)
	v_cmp_eq_u32_e32 vcc, v13, v63
	s_or_b64 s[8:9], vcc, s[8:9]
	s_andn2_b64 exec, exec, s[8:9]
	s_cbranch_execnz .LBB190_50
	s_branch .LBB190_47
.LBB190_51:
	s_endpgm
	.section	.rodata,"a",@progbits
	.p2align	6, 0x0
	.amdhsa_kernel _Z19_skinny_gemm_kernelILi2ELi3ELi2ELi32ELi4EEvPKhS1_P6__halfPKfiiiiiiii
		.amdhsa_group_segment_fixed_size 20520
		.amdhsa_private_segment_fixed_size 0
		.amdhsa_kernarg_size 64
		.amdhsa_user_sgpr_count 2
		.amdhsa_user_sgpr_dispatch_ptr 0
		.amdhsa_user_sgpr_queue_ptr 0
		.amdhsa_user_sgpr_kernarg_segment_ptr 1
		.amdhsa_user_sgpr_dispatch_id 0
		.amdhsa_user_sgpr_kernarg_preload_length 0
		.amdhsa_user_sgpr_kernarg_preload_offset 0
		.amdhsa_user_sgpr_private_segment_size 0
		.amdhsa_uses_dynamic_stack 0
		.amdhsa_enable_private_segment 0
		.amdhsa_system_sgpr_workgroup_id_x 1
		.amdhsa_system_sgpr_workgroup_id_y 0
		.amdhsa_system_sgpr_workgroup_id_z 0
		.amdhsa_system_sgpr_workgroup_info 0
		.amdhsa_system_vgpr_workitem_id 0
		.amdhsa_next_free_vgpr 93
		.amdhsa_next_free_sgpr 100
		.amdhsa_accum_offset 96
		.amdhsa_reserve_vcc 1
		.amdhsa_float_round_mode_32 0
		.amdhsa_float_round_mode_16_64 0
		.amdhsa_float_denorm_mode_32 3
		.amdhsa_float_denorm_mode_16_64 3
		.amdhsa_dx10_clamp 1
		.amdhsa_ieee_mode 1
		.amdhsa_fp16_overflow 0
		.amdhsa_tg_split 0
		.amdhsa_exception_fp_ieee_invalid_op 0
		.amdhsa_exception_fp_denorm_src 0
		.amdhsa_exception_fp_ieee_div_zero 0
		.amdhsa_exception_fp_ieee_overflow 0
		.amdhsa_exception_fp_ieee_underflow 0
		.amdhsa_exception_fp_ieee_inexact 0
		.amdhsa_exception_int_div_zero 0
	.end_amdhsa_kernel
	.section	.text._Z19_skinny_gemm_kernelILi2ELi3ELi2ELi32ELi4EEvPKhS1_P6__halfPKfiiiiiiii,"axG",@progbits,_Z19_skinny_gemm_kernelILi2ELi3ELi2ELi32ELi4EEvPKhS1_P6__halfPKfiiiiiiii,comdat
.Lfunc_end190:
	.size	_Z19_skinny_gemm_kernelILi2ELi3ELi2ELi32ELi4EEvPKhS1_P6__halfPKfiiiiiiii, .Lfunc_end190-_Z19_skinny_gemm_kernelILi2ELi3ELi2ELi32ELi4EEvPKhS1_P6__halfPKfiiiiiiii
                                        ; -- End function
	.set _Z19_skinny_gemm_kernelILi2ELi3ELi2ELi32ELi4EEvPKhS1_P6__halfPKfiiiiiiii.num_vgpr, 93
	.set _Z19_skinny_gemm_kernelILi2ELi3ELi2ELi32ELi4EEvPKhS1_P6__halfPKfiiiiiiii.num_agpr, 0
	.set _Z19_skinny_gemm_kernelILi2ELi3ELi2ELi32ELi4EEvPKhS1_P6__halfPKfiiiiiiii.numbered_sgpr, 100
	.set _Z19_skinny_gemm_kernelILi2ELi3ELi2ELi32ELi4EEvPKhS1_P6__halfPKfiiiiiiii.num_named_barrier, 0
	.set _Z19_skinny_gemm_kernelILi2ELi3ELi2ELi32ELi4EEvPKhS1_P6__halfPKfiiiiiiii.private_seg_size, 0
	.set _Z19_skinny_gemm_kernelILi2ELi3ELi2ELi32ELi4EEvPKhS1_P6__halfPKfiiiiiiii.uses_vcc, 1
	.set _Z19_skinny_gemm_kernelILi2ELi3ELi2ELi32ELi4EEvPKhS1_P6__halfPKfiiiiiiii.uses_flat_scratch, 0
	.set _Z19_skinny_gemm_kernelILi2ELi3ELi2ELi32ELi4EEvPKhS1_P6__halfPKfiiiiiiii.has_dyn_sized_stack, 0
	.set _Z19_skinny_gemm_kernelILi2ELi3ELi2ELi32ELi4EEvPKhS1_P6__halfPKfiiiiiiii.has_recursion, 0
	.set _Z19_skinny_gemm_kernelILi2ELi3ELi2ELi32ELi4EEvPKhS1_P6__halfPKfiiiiiiii.has_indirect_call, 0
	.section	.AMDGPU.csdata,"",@progbits
; Kernel info:
; codeLenInByte = 11612
; TotalNumSgprs: 106
; NumVgprs: 93
; NumAgprs: 0
; TotalNumVgprs: 93
; ScratchSize: 0
; MemoryBound: 0
; FloatMode: 240
; IeeeMode: 1
; LDSByteSize: 20520 bytes/workgroup (compile time only)
; SGPRBlocks: 13
; VGPRBlocks: 11
; NumSGPRsForWavesPerEU: 106
; NumVGPRsForWavesPerEU: 93
; AccumOffset: 96
; Occupancy: 5
; WaveLimiterHint : 0
; COMPUTE_PGM_RSRC2:SCRATCH_EN: 0
; COMPUTE_PGM_RSRC2:USER_SGPR: 2
; COMPUTE_PGM_RSRC2:TRAP_HANDLER: 0
; COMPUTE_PGM_RSRC2:TGID_X_EN: 1
; COMPUTE_PGM_RSRC2:TGID_Y_EN: 0
; COMPUTE_PGM_RSRC2:TGID_Z_EN: 0
; COMPUTE_PGM_RSRC2:TIDIG_COMP_CNT: 0
; COMPUTE_PGM_RSRC3_GFX90A:ACCUM_OFFSET: 23
; COMPUTE_PGM_RSRC3_GFX90A:TG_SPLIT: 0
	.section	.text._Z19_skinny_gemm_kernelILi2ELi3ELi2ELi32ELi8EEvPKhS1_P6__halfPKfiiiiiiii,"axG",@progbits,_Z19_skinny_gemm_kernelILi2ELi3ELi2ELi32ELi8EEvPKhS1_P6__halfPKfiiiiiiii,comdat
	.protected	_Z19_skinny_gemm_kernelILi2ELi3ELi2ELi32ELi8EEvPKhS1_P6__halfPKfiiiiiiii ; -- Begin function _Z19_skinny_gemm_kernelILi2ELi3ELi2ELi32ELi8EEvPKhS1_P6__halfPKfiiiiiiii
	.globl	_Z19_skinny_gemm_kernelILi2ELi3ELi2ELi32ELi8EEvPKhS1_P6__halfPKfiiiiiiii
	.p2align	8
	.type	_Z19_skinny_gemm_kernelILi2ELi3ELi2ELi32ELi8EEvPKhS1_P6__halfPKfiiiiiiii,@function
_Z19_skinny_gemm_kernelILi2ELi3ELi2ELi32ELi8EEvPKhS1_P6__halfPKfiiiiiiii: ; @_Z19_skinny_gemm_kernelILi2ELi3ELi2ELi32ELi8EEvPKhS1_P6__halfPKfiiiiiiii
; %bb.0:
	v_cmp_gt_u32_e32 vcc, 10, v0
	s_and_saveexec_b64 s[4:5], vcc
; %bb.1:
	v_lshlrev_b32_e32 v1, 2, v0
	v_mov_b32_e32 v2, 0
	ds_write_b32 v1, v2 offset:40960
; %bb.2:
	s_or_b64 exec, exec, s[4:5]
	s_load_dwordx8 s[92:99], s[0:1], 0x20
	s_waitcnt lgkmcnt(0)
	s_barrier
	s_add_i32 s3, s92, 63
	s_ashr_i32 s5, s3, 31
	s_add_i32 s4, s93, 0x5f
	s_lshr_b32 s5, s5, 26
	s_mul_hi_i32 s4, s4, 0x2aaaaaab
	s_add_i32 s3, s3, s5
	s_ashr_i32 s14, s3, 6
	s_lshr_b32 s3, s4, 31
	s_ashr_i32 s4, s4, 4
	s_add_i32 s15, s4, s3
	s_mul_i32 s3, s15, s14
	s_mul_i32 s3, s3, s96
	s_add_i32 s4, s3, 0x12f
	s_mul_hi_i32 s4, s4, 0x6bca1af3
	s_lshr_b32 s5, s4, 31
	s_ashr_i32 s4, s4, 7
	s_add_i32 s4, s4, s5
	s_add_i32 s5, s2, 1
	s_mul_i32 s5, s4, s5
	v_cvt_f64_i32_e32 v[2:3], s3
	v_cvt_f64_u32_e32 v[4:5], s5
	v_min_f64 v[2:3], v[2:3], v[4:5]
	v_cvt_i32_f64_e32 v70, v[2:3]
	s_mul_i32 s33, s4, s2
	v_cmp_ge_i32_e32 vcc, s33, v70
	s_cbranch_vccnz .LBB191_51
; %bb.3:
	s_load_dwordx8 s[16:23], s[0:1], 0x0
	v_lshrrev_b32_e32 v1, 6, v0
	s_add_i32 s0, s98, s97
	v_cmp_le_i32_e64 s[24:25], s0, v1
	v_mov_b32_e32 v2, s97
	v_cmp_le_i32_e64 s[26:27], s97, v1
	v_mov_b32_e32 v3, s98
	v_cndmask_b32_e64 v3, 0, v3, s[24:25]
	v_cndmask_b32_e64 v2, 0, v2, s[26:27]
	s_abs_i32 s1, s96
	v_add_u32_e32 v2, v2, v3
	v_cvt_f32_u32_e32 v3, s1
	v_sub_u32_e32 v56, v1, v2
	s_ashr_i32 s2, s94, 31
	s_lshr_b32 s2, s2, 25
	v_rcp_iflag_f32_e32 v2, v3
	s_sub_i32 s5, 0, s1
	s_add_i32 s2, s94, s2
	s_ashr_i32 s2, s2, 7
	v_mul_f32_e32 v2, 0x4f7ffffe, v2
	v_cvt_u32_f32_e32 v2, v2
	s_abs_i32 s4, s2
	s_xor_b32 s3, s2, s96
	s_ashr_i32 s3, s3, 31
	v_readfirstlane_b32 s6, v2
	s_mul_i32 s5, s5, s6
	s_mul_hi_u32 s5, s6, s5
	s_add_i32 s6, s6, s5
	s_mul_hi_u32 s5, s4, s6
	s_mul_i32 s6, s5, s1
	s_sub_i32 s4, s4, s6
	s_add_i32 s6, s5, 1
	s_sub_i32 s7, s4, s1
	s_cmp_ge_u32 s4, s1
	s_cselect_b32 s5, s6, s5
	s_cselect_b32 s4, s7, s4
	s_add_i32 s6, s5, 1
	s_cmp_ge_u32 s4, s1
	s_cselect_b32 s1, s6, s5
	s_add_i32 s0, s0, s99
	v_and_b32_e32 v72, 31, v0
	v_lshrrev_b32_e32 v2, 3, v0
	v_cmp_gt_i32_e64 s[34:35], s0, v1
	v_lshlrev_b32_e32 v1, 2, v72
	v_and_b32_e32 v3, 4, v2
	v_lshlrev_b32_e32 v2, 6, v3
	v_or_b32_e32 v4, 0x6000, v1
	v_and_b32_e32 v5, 1, v0
	s_add_i32 s29, s96, -1
	v_or_b32_e32 v73, v4, v2
	v_or_b32_e32 v74, v1, v2
	v_lshlrev_b32_e32 v2, 1, v5
	v_lshrrev_b32_e32 v7, 1, v0
	s_abs_i32 s96, s14
	v_sub_u32_e32 v2, v0, v2
	v_and_b32_e32 v50, 16, v7
	v_cvt_f32_u32_e32 v7, s96
	v_add_u32_e32 v2, 1, v2
	v_and_b32_e32 v6, 63, v2
	v_bitop3_b32 v75, v0, 1, v0 bitop3:0xc
	v_bitop3_b32 v76, v0, 3, 1 bitop3:0x6c
	;; [unrolled: 1-line block ×8, first 2 shown]
	v_and_b32_e32 v2, 30, v0
	v_lshlrev_b32_e32 v0, 4, v0
                                        ; implicit-def: $vgpr101 : SGPR spill to VGPR lane
	v_and_b32_e32 v0, 0x200, v0
	v_writelane_b32 v101, s14, 0
	v_or_b32_e32 v85, v1, v0
	v_rcp_iflag_f32_e32 v1, v7
	v_writelane_b32 v101, s15, 1
	s_waitcnt lgkmcnt(0)
	v_writelane_b32 v101, s16, 2
	s_abs_i32 s90, s15
	v_or_b32_e32 v87, v4, v0
	v_writelane_b32 v101, s17, 3
	v_writelane_b32 v101, s18, 4
	v_mul_f32_e32 v0, 0x4f7ffffe, v1
	v_cvt_f32_u32_e32 v1, s90
	v_writelane_b32 v101, s19, 5
	v_writelane_b32 v101, s20, 6
	;; [unrolled: 1-line block ×4, first 2 shown]
	v_cvt_u32_f32_e32 v0, v0
	v_rcp_iflag_f32_e32 v1, v1
	v_writelane_b32 v101, s23, 9
	v_cndmask_b32_e64 v71, 0, 1, s[24:25]
	s_xor_b32 s1, s1, s3
	v_writelane_b32 v101, s24, 10
	s_sub_i32 s28, s1, s3
	s_mul_i32 s1, s28, s29
	v_writelane_b32 v101, s25, 11
	v_writelane_b32 v101, s26, 12
	s_sub_i32 s30, s2, s1
	v_readfirstlane_b32 s1, v0
	v_mul_f32_e32 v0, 0x4f7ffffe, v1
	v_writelane_b32 v101, s27, 13
	v_cvt_u32_f32_e32 v0, v0
	v_writelane_b32 v101, s28, 14
	s_sub_i32 s0, 0, s96
	v_writelane_b32 v101, s29, 15
	s_mul_i32 s0, s0, s1
	v_writelane_b32 v101, s30, 16
	s_mul_hi_u32 s0, s1, s0
	v_writelane_b32 v101, s34, 17
	s_ashr_i32 s31, s14, 31
	s_add_i32 s36, s1, s0
	s_sub_i32 s0, 0, s90
	v_readfirstlane_b32 s1, v0
	v_mbcnt_lo_u32_b32 v0, -1, 0
	v_writelane_b32 v101, s35, 18
	s_mul_i32 s0, s0, s1
	v_mbcnt_hi_u32_b32 v0, -1, v0
	v_writelane_b32 v101, s31, 19
	v_mov_b32_e32 v49, 0
	v_mul_lo_u32 v52, s95, v72
	v_or_b32_e32 v88, v5, v3
	s_ashr_i32 s37, s15, 31
	s_mul_hi_u32 s0, s1, s0
	v_and_or_b32 v0, v0, 64, v6
	v_writelane_b32 v101, s36, 20
	v_or_b32_e32 v83, 32, v72
	v_or_b32_e32 v84, 64, v72
	v_ashrrev_i32_e32 v53, 31, v52
	v_mov_b32_e32 v51, v49
	s_lshl_b32 s91, s95, 5
	v_mul_lo_u32 v86, s94, v72
	v_or_b32_e32 v89, 2, v88
	s_add_i32 s38, s1, s0
	v_lshlrev_b32_e32 v48, 1, v2
	v_lshlrev_b32_e32 v90, 2, v0
	v_mov_b32_e32 v91, v56
	v_writelane_b32 v101, s37, 21
	v_writelane_b32 v101, s38, 22
	s_branch .LBB191_7
.LBB191_4:                              ;   in Loop: Header=BB191_7 Depth=1
	s_or_b64 exec, exec, s[4:5]
.LBB191_5:                              ;   in Loop: Header=BB191_7 Depth=1
	s_or_b64 exec, exec, s[2:3]
	v_subrev_u32_e32 v91, s10, v91
.LBB191_6:                              ;   in Loop: Header=BB191_7 Depth=1
	s_or_b64 exec, exec, s[0:1]
	s_add_i32 s33, s33, 1
	v_cmp_ge_i32_e32 vcc, s33, v70
	s_cbranch_vccnz .LBB191_51
.LBB191_7:                              ; =>This Loop Header: Depth=1
                                        ;     Child Loop BB191_13 Depth 2
                                        ;       Child Loop BB191_15 Depth 3
                                        ;       Child Loop BB191_18 Depth 3
	;; [unrolled: 1-line block ×4, first 2 shown]
                                        ;     Child Loop BB191_29 Depth 2
                                        ;     Child Loop BB191_38 Depth 2
                                        ;       Child Loop BB191_40 Depth 3
                                        ;     Child Loop BB191_48 Depth 2
                                        ;       Child Loop BB191_50 Depth 3
	s_abs_i32 s1, s33
	s_mul_hi_u32 s2, s1, s36
	s_mul_i32 s3, s2, s96
	s_ashr_i32 s0, s33, 31
	s_sub_i32 s1, s1, s3
	s_xor_b32 s0, s0, s31
	s_add_i32 s3, s2, 1
	s_sub_i32 s4, s1, s96
	s_cmp_ge_u32 s1, s96
	s_cselect_b32 s2, s3, s2
	s_cselect_b32 s1, s4, s1
	s_add_i32 s3, s2, 1
	s_cmp_ge_u32 s1, s96
	s_cselect_b32 s1, s3, s2
	s_xor_b32 s1, s1, s0
	s_sub_i32 s0, s1, s0
	s_abs_i32 s2, s0
	s_mul_i32 s1, s0, s14
	s_mul_hi_u32 s3, s2, s38
	s_sub_i32 s1, s33, s1
	s_mul_i32 s4, s3, s90
	s_lshl_b32 s39, s1, 6
	s_ashr_i32 s1, s0, 31
	s_sub_i32 s2, s2, s4
	s_xor_b32 s1, s1, s37
	s_add_i32 s4, s3, 1
	s_sub_i32 s5, s2, s90
	s_cmp_ge_u32 s2, s90
	s_cselect_b32 s3, s4, s3
	s_cselect_b32 s2, s5, s2
	s_add_i32 s4, s3, 1
	s_cmp_ge_u32 s2, s90
	s_cselect_b32 s2, s4, s3
	s_xor_b32 s2, s2, s1
	s_sub_i32 s1, s2, s1
	s_mul_i32 s2, s1, s28
	s_lshl_b32 s13, s2, 7
	s_cmp_eq_u32 s1, s29
	s_cselect_b32 s4, s30, s28
	s_sub_i32 s2, s39, s92
	s_add_i32 s2, s2, 64
	s_max_i32 s5, s2, 0
	s_and_saveexec_b64 s[2:3], s[26:27]
	s_xor_b64 s[2:3], exec, s[2:3]
	v_writelane_b32 v101, s2, 23
	s_nop 1
	v_writelane_b32 v101, s3, 24
	s_cbranch_execz .LBB191_44
; %bb.8:                                ;   in Loop: Header=BB191_7 Depth=1
	s_mul_i32 s1, s1, s15
	s_sub_i32 s0, s0, s1
	s_mulk_i32 s0, 0x60
	s_sub_i32 s70, s0, s93
	s_addk_i32 s70, 0x60
	s_max_i32 s1, s70, 0
	s_sub_i32 s0, s0, s1
	v_writelane_b32 v101, s13, 25
	s_and_saveexec_b64 s[2:3], s[24:25]
	s_xor_b64 s[2:3], exec, s[2:3]
	s_cbranch_execz .LBB191_34
; %bb.9:                                ;   in Loop: Header=BB191_7 Depth=1
	s_mov_b64 s[6:7], exec
	v_writelane_b32 v101, s6, 26
	s_nop 1
	v_writelane_b32 v101, s7, 27
	s_and_b64 s[6:7], s[6:7], s[34:35]
	s_mov_b64 exec, s[6:7]
	s_cbranch_execz .LBB191_33
; %bb.10:                               ;   in Loop: Header=BB191_7 Depth=1
	global_load_dword v92, v49, s[22:23]
	v_mov_b32_e32 v47, 0
	v_cmp_gt_i32_e32 vcc, s4, v91
	v_mov_b32_e32 v46, v47
	v_mov_b32_e32 v45, v47
	;; [unrolled: 1-line block ×47, first 2 shown]
	s_and_saveexec_b64 s[6:7], vcc
	s_cbranch_execz .LBB191_26
; %bb.11:                               ;   in Loop: Header=BB191_7 Depth=1
	v_mov_b32_e32 v0, 0
	s_mov_b64 s[8:9], 0
	v_mov_b32_e32 v1, v0
	v_mov_b32_e32 v2, v0
	;; [unrolled: 1-line block ×47, first 2 shown]
	s_branch .LBB191_13
.LBB191_12:                             ;   in Loop: Header=BB191_13 Depth=2
	s_or_b64 exec, exec, s[10:11]
	v_add_u32_e32 v97, 0x2000, v96
	ds_read2_b32 v[98:99], v97 offset1:32
	v_add_u32_e32 v91, s99, v91
	s_waitcnt lgkmcnt(0)
	v_mfma_f32_32x32x16_fp8_fp8 v[0:15], v[68:69], v[98:99], v[0:15]
	ds_read2_b32 v[68:69], v97 offset0:128 offset1:160
	s_waitcnt lgkmcnt(0)
	v_mfma_f32_32x32x16_fp8_fp8 v[0:15], v[66:67], v[68:69], v[0:15]
	v_add_u32_e32 v68, 0x2400, v96
	ds_read2_b32 v[66:67], v68 offset1:32
	s_waitcnt lgkmcnt(0)
	v_mfma_f32_32x32x16_fp8_fp8 v[0:15], v[64:65], v[66:67], v[0:15]
	ds_read2_b32 v[64:65], v68 offset0:128 offset1:160
	s_waitcnt lgkmcnt(0)
	v_mfma_f32_32x32x16_fp8_fp8 v[0:15], v[62:63], v[64:65], v[0:15]
	v_add_u32_e32 v64, 0x2800, v96
	ds_read2_b32 v[62:63], v64 offset1:32
	;; [unrolled: 7-line block ×3, first 2 shown]
	ds_read2_b32 v[60:61], v60 offset0:128 offset1:160
	ds_write_b32 v94, v95 offset:40980
	s_waitcnt lgkmcnt(2)
	v_mfma_f32_32x32x16_fp8_fp8 v[0:15], v[56:57], v[58:59], v[0:15]
	v_add_u32_e32 v56, s99, v93
	v_add_u32_e32 v57, 2, v71
	v_cmp_lt_i32_e32 vcc, 1, v56
	s_nop 1
	v_cndmask_b32_e32 v71, v71, v57, vcc
	v_cmp_le_i32_e32 vcc, s4, v91
	s_waitcnt lgkmcnt(1)
	v_mfma_f32_32x32x16_fp8_fp8 v[0:15], v[54:55], v[60:61], v[0:15]
	s_or_b64 s[8:9], vcc, s[8:9]
	s_andn2_b64 exec, exec, s[8:9]
	s_cbranch_execz .LBB191_25
.LBB191_13:                             ;   Parent Loop BB191_7 Depth=1
                                        ; =>  This Loop Header: Depth=2
                                        ;       Child Loop BB191_15 Depth 3
                                        ;       Child Loop BB191_18 Depth 3
	;; [unrolled: 1-line block ×4, first 2 shown]
	v_cmp_gt_i32_e32 vcc, 2, v56
	s_nop 1
	v_cndmask_b32_e64 v54, -2, 0, vcc
	v_add_u32_e32 v93, v54, v56
	v_mul_lo_u32 v94, v93, 24
	ds_read_b32 v54, v94 offset:40960
	s_waitcnt lgkmcnt(0)
	v_cmp_ne_u32_e32 vcc, v54, v71
	s_and_saveexec_b64 s[10:11], vcc
	s_cbranch_execz .LBB191_16
; %bb.14:                               ;   in Loop: Header=BB191_13 Depth=2
	s_mov_b64 s[12:13], 0
.LBB191_15:                             ;   Parent Loop BB191_7 Depth=1
                                        ;     Parent Loop BB191_13 Depth=2
                                        ; =>    This Inner Loop Header: Depth=3
	;;#ASMSTART
	s_sleep 0
	;;#ASMEND
	ds_read_b32 v54, v94 offset:40960
	s_waitcnt lgkmcnt(0)
	v_cmp_eq_u32_e32 vcc, v54, v71
	s_or_b64 s[12:13], vcc, s[12:13]
	s_andn2_b64 exec, exec, s[12:13]
	s_cbranch_execnz .LBB191_15
.LBB191_16:                             ;   in Loop: Header=BB191_13 Depth=2
	s_or_b64 exec, exec, s[10:11]
	v_lshl_add_u32 v54, v93, 12, v73
	v_add_u32_e32 v55, 0x400, v54
	ds_read2_b32 v[68:69], v54 offset1:32
	ds_read2_b32 v[66:67], v54 offset0:128 offset1:160
	ds_read2_b32 v[64:65], v55 offset1:32
	ds_read2_b32 v[62:63], v55 offset0:128 offset1:160
	v_add_u32_e32 v55, 0x800, v54
	v_add_u32_e32 v54, 0xc00, v54
	ds_read2_b32 v[60:61], v55 offset1:32
	ds_read2_b32 v[58:59], v55 offset0:128 offset1:160
	ds_read2_b32 v[56:57], v54 offset1:32
	ds_read_b32 v96, v94 offset:40964
	ds_read2_b32 v[54:55], v54 offset0:128 offset1:160
	v_add_u32_e32 v95, 1, v71
	ds_write_b32 v94, v95 offset:40960
	s_waitcnt lgkmcnt(2)
	v_cmp_ne_u32_e32 vcc, v96, v71
	s_and_saveexec_b64 s[10:11], vcc
	s_cbranch_execz .LBB191_19
; %bb.17:                               ;   in Loop: Header=BB191_13 Depth=2
	s_mov_b64 s[12:13], 0
.LBB191_18:                             ;   Parent Loop BB191_7 Depth=1
                                        ;     Parent Loop BB191_13 Depth=2
                                        ; =>    This Inner Loop Header: Depth=3
	;;#ASMSTART
	s_sleep 0
	;;#ASMEND
	ds_read_b32 v96, v94 offset:40964
	s_waitcnt lgkmcnt(0)
	v_cmp_eq_u32_e32 vcc, v96, v71
	s_or_b64 s[12:13], vcc, s[12:13]
	s_andn2_b64 exec, exec, s[12:13]
	s_cbranch_execnz .LBB191_18
.LBB191_19:                             ;   in Loop: Header=BB191_13 Depth=2
	s_or_b64 exec, exec, s[10:11]
	s_movk_i32 s1, 0x3000
	v_mul_lo_u32 v96, v93, s1
	v_or_b32_e32 v97, v74, v96
	ds_read2_b32 v[98:99], v97 offset1:32
	v_add_u32_e32 v100, 0x400, v97
	ds_write_b32 v94, v95 offset:40964
	s_waitcnt lgkmcnt(1)
	v_mfma_f32_32x32x16_fp8_fp8 v[32:47], v[68:69], v[98:99], v[32:47]
	ds_read2_b32 v[98:99], v97 offset0:128 offset1:160
	s_waitcnt lgkmcnt(0)
	v_mfma_f32_32x32x16_fp8_fp8 v[32:47], v[66:67], v[98:99], v[32:47]
	ds_read2_b32 v[98:99], v100 offset1:32
	s_waitcnt lgkmcnt(0)
	v_mfma_f32_32x32x16_fp8_fp8 v[32:47], v[64:65], v[98:99], v[32:47]
	ds_read2_b32 v[98:99], v100 offset0:128 offset1:160
	v_add_u32_e32 v100, 0x800, v97
	v_add_u32_e32 v97, 0xc00, v97
	s_waitcnt lgkmcnt(0)
	v_mfma_f32_32x32x16_fp8_fp8 v[32:47], v[62:63], v[98:99], v[32:47]
	ds_read2_b32 v[98:99], v100 offset1:32
	s_waitcnt lgkmcnt(0)
	v_mfma_f32_32x32x16_fp8_fp8 v[32:47], v[60:61], v[98:99], v[32:47]
	ds_read2_b32 v[98:99], v100 offset0:128 offset1:160
	s_waitcnt lgkmcnt(0)
	v_mfma_f32_32x32x16_fp8_fp8 v[32:47], v[58:59], v[98:99], v[32:47]
	ds_read2_b32 v[98:99], v97 offset1:32
	s_waitcnt lgkmcnt(0)
	v_mfma_f32_32x32x16_fp8_fp8 v[32:47], v[56:57], v[98:99], v[32:47]
	ds_read2_b32 v[98:99], v97 offset0:128 offset1:160
	ds_read_b32 v97, v94 offset:40972
	s_waitcnt lgkmcnt(0)
	v_cmp_ne_u32_e32 vcc, v97, v71
	v_mfma_f32_32x32x16_fp8_fp8 v[32:47], v[54:55], v[98:99], v[32:47]
	s_and_saveexec_b64 s[10:11], vcc
	s_cbranch_execz .LBB191_22
; %bb.20:                               ;   in Loop: Header=BB191_13 Depth=2
	s_mov_b64 s[12:13], 0
.LBB191_21:                             ;   Parent Loop BB191_7 Depth=1
                                        ;     Parent Loop BB191_13 Depth=2
                                        ; =>    This Inner Loop Header: Depth=3
	;;#ASMSTART
	s_sleep 0
	;;#ASMEND
	ds_read_b32 v97, v94 offset:40972
	s_waitcnt lgkmcnt(0)
	v_cmp_eq_u32_e32 vcc, v97, v71
	s_or_b64 s[12:13], vcc, s[12:13]
	s_andn2_b64 exec, exec, s[12:13]
	s_cbranch_execnz .LBB191_21
.LBB191_22:                             ;   in Loop: Header=BB191_13 Depth=2
	s_or_b64 exec, exec, s[10:11]
	v_add_u32_e32 v96, v74, v96
	v_add_u32_e32 v97, 0x1000, v96
	ds_read2_b32 v[98:99], v97 offset1:32
	ds_write_b32 v94, v95 offset:40972
	s_waitcnt lgkmcnt(1)
	v_mfma_f32_32x32x16_fp8_fp8 v[16:31], v[68:69], v[98:99], v[16:31]
	ds_read2_b32 v[98:99], v97 offset0:128 offset1:160
	v_add_u32_e32 v97, 0x1400, v96
	s_waitcnt lgkmcnt(0)
	v_mfma_f32_32x32x16_fp8_fp8 v[16:31], v[66:67], v[98:99], v[16:31]
	ds_read2_b32 v[98:99], v97 offset1:32
	s_waitcnt lgkmcnt(0)
	v_mfma_f32_32x32x16_fp8_fp8 v[16:31], v[64:65], v[98:99], v[16:31]
	ds_read2_b32 v[98:99], v97 offset0:128 offset1:160
	v_add_u32_e32 v97, 0x1800, v96
	s_waitcnt lgkmcnt(0)
	v_mfma_f32_32x32x16_fp8_fp8 v[16:31], v[62:63], v[98:99], v[16:31]
	ds_read2_b32 v[98:99], v97 offset1:32
	;; [unrolled: 7-line block ×3, first 2 shown]
	s_waitcnt lgkmcnt(0)
	v_mfma_f32_32x32x16_fp8_fp8 v[16:31], v[56:57], v[98:99], v[16:31]
	ds_read2_b32 v[98:99], v97 offset0:128 offset1:160
	ds_read_b32 v97, v94 offset:40980
	s_waitcnt lgkmcnt(0)
	v_cmp_ne_u32_e32 vcc, v97, v71
	v_mfma_f32_32x32x16_fp8_fp8 v[16:31], v[54:55], v[98:99], v[16:31]
	s_and_saveexec_b64 s[10:11], vcc
	s_cbranch_execz .LBB191_12
; %bb.23:                               ;   in Loop: Header=BB191_13 Depth=2
	s_mov_b64 s[12:13], 0
.LBB191_24:                             ;   Parent Loop BB191_7 Depth=1
                                        ;     Parent Loop BB191_13 Depth=2
                                        ; =>    This Inner Loop Header: Depth=3
	;;#ASMSTART
	s_sleep 0
	;;#ASMEND
	ds_read_b32 v97, v94 offset:40980
	s_waitcnt lgkmcnt(0)
	v_cmp_eq_u32_e32 vcc, v97, v71
	s_or_b64 s[12:13], vcc, s[12:13]
	s_andn2_b64 exec, exec, s[12:13]
	s_cbranch_execnz .LBB191_24
	s_branch .LBB191_12
.LBB191_25:                             ;   in Loop: Header=BB191_7 Depth=1
	s_or_b64 exec, exec, s[8:9]
.LBB191_26:                             ;   in Loop: Header=BB191_7 Depth=1
	s_or_b64 exec, exec, s[6:7]
	v_cmp_le_i32_e32 vcc, s70, v72
	v_cmp_eq_u32_e64 s[60:61], 1, v75
	v_cmp_eq_u32_e64 s[26:27], 2, v75
	s_waitcnt vmcnt(0)
	v_cndmask_b32_e32 v54, 0, v92, vcc
	v_pk_mul_f32 v[32:33], v[54:55], v[32:33] op_sel_hi:[0,1]
	v_pk_mul_f32 v[46:47], v[54:55], v[46:47] op_sel_hi:[0,1]
	;; [unrolled: 1-line block ×8, first 2 shown]
	v_cndmask_b32_e64 v54, v32, v33, s[60:61]
	v_cndmask_b32_e64 v54, v54, v34, s[26:27]
	v_cmp_eq_u32_e64 s[40:41], 3, v75
	v_cmp_eq_u32_e64 s[42:43], 4, v75
	v_cmp_eq_u32_e64 s[44:45], 5, v75
	v_cndmask_b32_e64 v54, v54, v35, s[40:41]
	v_cndmask_b32_e64 v54, v54, v36, s[42:43]
	v_cndmask_b32_e64 v54, v54, v37, s[44:45]
	v_cmp_eq_u32_e64 s[46:47], 6, v75
	v_cmp_eq_u32_e64 s[48:49], 7, v75
	v_cmp_eq_u32_e64 s[50:51], 8, v75
	v_cndmask_b32_e64 v54, v54, v38, s[46:47]
	;; [unrolled: 6-line block ×4, first 2 shown]
	v_cndmask_b32_e64 v54, v54, v45, s[62:63]
	v_cndmask_b32_e64 v54, v54, v46, s[64:65]
	v_cmp_eq_u32_e64 s[66:67], 15, v75
	s_mul_i32 s6, s39, s93
	s_ashr_i32 s7, s6, 31
	v_cndmask_b32_e64 v54, v54, v47, s[66:67]
	ds_bpermute_b32 v54, v90, v54
	s_lshl_b64 s[6:7], s[6:7], 1
	v_cmp_eq_u32_e64 s[36:37], 0, v75
	s_add_u32 s71, s20, s6
	v_cmp_eq_u32_e32 vcc, 1, v76
	s_waitcnt lgkmcnt(0)
	v_cndmask_b32_e64 v47, v47, v54, s[66:67]
	v_cndmask_b32_e64 v46, v46, v54, s[64:65]
	v_cndmask_b32_e64 v45, v45, v54, s[62:63]
	v_cndmask_b32_e64 v44, v44, v54, s[58:59]
	v_cndmask_b32_e64 v43, v43, v54, s[56:57]
	v_cndmask_b32_e64 v42, v42, v54, s[54:55]
	v_cndmask_b32_e64 v41, v41, v54, s[52:53]
	v_cndmask_b32_e64 v40, v40, v54, s[50:51]
	v_cndmask_b32_e64 v57, v39, v54, s[48:49]
	v_cndmask_b32_e64 v58, v38, v54, s[46:47]
	v_cndmask_b32_e64 v59, v37, v54, s[44:45]
	v_cndmask_b32_e64 v60, v36, v54, s[42:43]
	v_cndmask_b32_e64 v61, v35, v54, s[40:41]
	v_cndmask_b32_e64 v62, v34, v54, s[26:27]
	v_cndmask_b32_e64 v63, v33, v54, s[60:61]
	v_cndmask_b32_e64 v54, v32, v54, s[36:37]
	s_addc_u32 s72, s21, s7
	v_cndmask_b32_e32 v32, v54, v63, vcc
	v_cmp_eq_u32_e64 s[6:7], 2, v76
	v_cmp_eq_u32_e64 s[8:9], 3, v76
	v_cmp_eq_u32_e64 s[10:11], 4, v76
	v_cndmask_b32_e64 v32, v32, v62, s[6:7]
	v_cndmask_b32_e64 v32, v32, v61, s[8:9]
	v_cndmask_b32_e64 v32, v32, v60, s[10:11]
	v_cmp_eq_u32_e64 s[12:13], 5, v76
	v_cmp_eq_u32_e64 s[14:15], 6, v76
	v_cmp_eq_u32_e64 s[16:17], 7, v76
	v_cndmask_b32_e64 v32, v32, v59, s[12:13]
	v_cndmask_b32_e64 v32, v32, v58, s[14:15]
	v_cndmask_b32_e64 v32, v32, v57, s[16:17]
	;; [unrolled: 6-line block ×4, first 2 shown]
	v_cmp_eq_u32_e64 s[34:35], 14, v76
	v_writelane_b32 v101, s39, 28
	v_cmp_eq_u32_e64 s[38:39], 15, v76
	v_cndmask_b32_e64 v32, v32, v46, s[34:35]
	s_ashr_i32 s1, s0, 31
	v_cndmask_b32_e64 v32, v32, v47, s[38:39]
	ds_bpermute_b32 v55, v90, v32
	s_lshl_b64 s[68:69], s[0:1], 1
	s_add_u32 s68, s71, s68
	s_addc_u32 s69, s72, s69
	v_writelane_b32 v101, s68, 29
	s_waitcnt lgkmcnt(0)
	v_cndmask_b32_e64 v33, v47, v55, s[38:39]
	v_cndmask_b32_e64 v38, v42, v55, s[22:23]
	v_writelane_b32 v101, s69, 30
	v_cmp_le_i32_e64 s[68:69], s70, v83
	v_cmp_le_i32_e64 s[70:71], s70, v84
	v_cndmask_b32_e64 v42, v58, v55, s[14:15]
	v_cndmask_b32_e64 v32, 0, v92, s[68:69]
	;; [unrolled: 1-line block ×3, first 2 shown]
	v_pk_mul_f32 v[16:17], v[32:33], v[16:17] op_sel_hi:[0,1]
	v_pk_mul_f32 v[0:1], v[58:59], v[0:1] op_sel_hi:[0,1]
	v_cndmask_b32_e64 v35, v45, v55, s[30:31]
	v_cndmask_b32_e64 v36, v44, v55, s[28:29]
	;; [unrolled: 1-line block ×4, first 2 shown]
	v_pk_mul_f32 v[30:31], v[32:33], v[30:31] op_sel_hi:[0,1]
	v_pk_mul_f32 v[28:29], v[32:33], v[28:29] op_sel_hi:[0,1]
	;; [unrolled: 1-line block ×7, first 2 shown]
	v_cndmask_b32_e64 v32, v16, v17, s[60:61]
	v_pk_mul_f32 v[60:61], v[58:59], v[4:5] op_sel_hi:[0,1]
	v_pk_mul_f32 v[2:3], v[58:59], v[2:3] op_sel_hi:[0,1]
	v_cndmask_b32_e64 v4, v0, v1, s[60:61]
	v_cndmask_b32_e64 v32, v32, v18, s[26:27]
	;; [unrolled: 1-line block ×8, first 2 shown]
	v_pk_mul_f32 v[6:7], v[58:59], v[6:7] op_sel_hi:[0,1]
	v_cndmask_b32_e64 v4, v4, v61, s[44:45]
	v_cndmask_b32_e64 v32, v32, v22, s[46:47]
	v_cndmask_b32_e64 v4, v4, v6, s[46:47]
	v_cndmask_b32_e64 v32, v32, v23, s[48:49]
	v_pk_mul_f32 v[8:9], v[58:59], v[8:9] op_sel_hi:[0,1]
	v_cndmask_b32_e64 v4, v4, v7, s[48:49]
	v_cndmask_b32_e64 v32, v32, v24, s[50:51]
	v_cndmask_b32_e64 v4, v4, v8, s[50:51]
	v_cndmask_b32_e64 v32, v32, v25, s[52:53]
	;; [unrolled: 5-line block ×5, first 2 shown]
	v_cndmask_b32_e64 v4, v4, v15, s[66:67]
	ds_bpermute_b32 v32, v90, v32
	ds_bpermute_b32 v5, v90, v4
	v_cmp_eq_u32_e64 s[68:69], 0, v76
	v_cndmask_b32_e32 v47, v63, v55, vcc
	v_cmp_eq_u32_e64 s[70:71], 1, v77
	v_cndmask_b32_e64 v54, v54, v55, s[68:69]
	s_waitcnt lgkmcnt(1)
	v_cndmask_b32_e64 v18, v18, v32, s[26:27]
	s_waitcnt lgkmcnt(0)
	v_cndmask_b32_e64 v2, v2, v5, s[26:27]
	v_cmp_ne_u32_e64 s[26:27], 0, v75
	v_cndmask_b32_e64 v34, v46, v55, s[34:35]
	v_cndmask_b32_e64 v37, v43, v55, s[24:25]
	;; [unrolled: 1-line block ×9, first 2 shown]
	v_cmp_eq_u32_e64 s[60:61], 2, v77
	v_cndmask_b32_e64 v1, v1, v5, s[26:27]
	v_cndmask_b32_e64 v16, v16, v32, s[36:37]
	;; [unrolled: 1-line block ×6, first 2 shown]
	v_cmp_eq_u32_e64 s[66:67], 3, v77
	v_cndmask_b32_e64 v30, v30, v32, s[64:65]
	v_cndmask_b32_e64 v14, v14, v5, s[64:65]
	;; [unrolled: 1-line block ×24, first 2 shown]
	v_cndmask_b32_e32 v32, v16, v4, vcc
	v_cndmask_b32_e32 v5, v0, v1, vcc
	v_cndmask_b32_e64 v17, v17, v45, s[66:67]
	v_cmp_eq_u32_e64 s[64:65], 4, v77
	v_cndmask_b32_e64 v32, v32, v18, s[6:7]
	v_cndmask_b32_e64 v5, v5, v2, s[6:7]
	v_cndmask_b32_e64 v17, v17, v44, s[64:65]
	v_cmp_eq_u32_e64 s[62:63], 5, v77
	v_cndmask_b32_e64 v32, v32, v19, s[8:9]
	v_cndmask_b32_e64 v5, v5, v3, s[8:9]
	;; [unrolled: 4-line block ×12, first 2 shown]
	v_cndmask_b32_e64 v17, v17, v33, s[82:83]
	v_cndmask_b32_e64 v32, v32, v30, s[34:35]
	;; [unrolled: 1-line block ×3, first 2 shown]
	ds_bpermute_b32 v17, v90, v17
	v_cndmask_b32_e64 v32, v32, v31, s[38:39]
	v_cndmask_b32_e64 v5, v5, v15, s[38:39]
	ds_bpermute_b32 v32, v90, v32
	ds_bpermute_b32 v5, v90, v5
	v_cmp_eq_u32_e64 s[40:41], 0, v77
	s_waitcnt lgkmcnt(2)
	v_cndmask_b32_e64 v33, v33, v17, s[82:83]
	v_cndmask_b32_e64 v34, v34, v17, s[78:79]
	;; [unrolled: 1-line block ×16, first 2 shown]
	v_cmp_eq_u32_e64 s[26:27], 1, v78
	v_cmp_eq_u32_e64 s[36:37], 2, v78
	s_waitcnt lgkmcnt(1)
	v_cndmask_b32_e32 v4, v4, v32, vcc
	v_cndmask_b32_e64 v54, v17, v47, s[26:27]
	s_waitcnt lgkmcnt(0)
	v_cndmask_b32_e32 v1, v1, v5, vcc
	v_cndmask_b32_e64 v16, v16, v32, s[68:69]
	v_cndmask_b32_e64 v0, v0, v5, s[68:69]
	;; [unrolled: 1-line block ×7, first 2 shown]
	v_cmp_eq_u32_e64 s[34:35], 3, v78
	v_cndmask_b32_e64 v29, v29, v32, s[30:31]
	v_cndmask_b32_e64 v13, v13, v5, s[30:31]
	;; [unrolled: 1-line block ×27, first 2 shown]
	v_cmp_eq_u32_e64 s[30:31], 4, v78
	v_cndmask_b32_e64 v32, v32, v18, s[60:61]
	v_cndmask_b32_e64 v5, v5, v2, s[60:61]
	v_cndmask_b32_e64 v54, v54, v44, s[30:31]
	v_cmp_eq_u32_e64 s[28:29], 5, v78
	v_cndmask_b32_e64 v32, v32, v19, s[66:67]
	v_cndmask_b32_e64 v5, v5, v3, s[66:67]
	v_cndmask_b32_e64 v54, v54, v43, s[28:29]
	;; [unrolled: 4-line block ×12, first 2 shown]
	v_cndmask_b32_e64 v32, v32, v30, s[78:79]
	v_cndmask_b32_e64 v5, v5, v14, s[78:79]
	ds_bpermute_b32 v54, v90, v54
	v_cndmask_b32_e64 v32, v32, v31, s[82:83]
	v_cndmask_b32_e64 v5, v5, v15, s[82:83]
	ds_bpermute_b32 v32, v90, v32
	ds_bpermute_b32 v5, v90, v5
	v_cmp_eq_u32_e64 s[16:17], 0, v78
	s_waitcnt lgkmcnt(2)
	v_cndmask_b32_e64 v47, v47, v54, s[26:27]
	v_cmp_eq_u32_e64 s[6:7], 1, v79
	v_cndmask_b32_e64 v17, v17, v54, s[16:17]
	v_cndmask_b32_e64 v33, v33, v54, s[8:9]
	;; [unrolled: 1-line block ×16, first 2 shown]
	v_cmp_eq_u32_e64 s[14:15], 2, v79
	s_waitcnt lgkmcnt(1)
	v_cndmask_b32_e64 v4, v4, v32, s[70:71]
	s_waitcnt lgkmcnt(0)
	v_cndmask_b32_e64 v1, v1, v5, s[70:71]
	v_cndmask_b32_e64 v16, v16, v32, s[40:41]
	v_cndmask_b32_e64 v0, v0, v5, s[40:41]
	v_cndmask_b32_e64 v31, v31, v32, s[82:83]
	v_cndmask_b32_e64 v15, v15, v5, s[82:83]
	v_cndmask_b32_e64 v54, v54, v46, s[14:15]
	v_cndmask_b32_e64 v30, v30, v32, s[78:79]
	v_cndmask_b32_e64 v14, v14, v5, s[78:79]
	v_cmp_eq_u32_e64 s[18:19], 3, v79
	v_cndmask_b32_e64 v29, v29, v32, s[44:45]
	v_cndmask_b32_e64 v13, v13, v5, s[44:45]
	;; [unrolled: 1-line block ×27, first 2 shown]
	v_cmp_eq_u32_e64 s[24:25], 4, v79
	v_cndmask_b32_e64 v32, v32, v18, s[36:37]
	v_cndmask_b32_e64 v5, v5, v2, s[36:37]
	v_cndmask_b32_e64 v54, v54, v44, s[24:25]
	v_cmp_eq_u32_e64 s[38:39], 5, v79
	v_cndmask_b32_e64 v32, v32, v19, s[34:35]
	v_cndmask_b32_e64 v5, v5, v3, s[34:35]
	v_cndmask_b32_e64 v54, v54, v43, s[38:39]
	;; [unrolled: 4-line block ×12, first 2 shown]
	v_cndmask_b32_e64 v32, v32, v30, s[10:11]
	v_cndmask_b32_e64 v5, v5, v14, s[10:11]
	ds_bpermute_b32 v54, v90, v54
	v_cndmask_b32_e64 v32, v32, v31, s[8:9]
	v_cndmask_b32_e64 v5, v5, v15, s[8:9]
	ds_bpermute_b32 v32, v90, v32
	ds_bpermute_b32 v5, v90, v5
	v_cmp_eq_u32_e64 s[50:51], 0, v79
	s_waitcnt lgkmcnt(2)
	v_cndmask_b32_e64 v47, v47, v54, s[6:7]
	v_cmp_eq_u32_e32 vcc, 1, v80
	v_cndmask_b32_e64 v17, v17, v54, s[50:51]
	v_cndmask_b32_e64 v33, v33, v54, s[88:89]
	;; [unrolled: 1-line block ×15, first 2 shown]
	v_cndmask_b32_e32 v54, v17, v47, vcc
	s_waitcnt lgkmcnt(1)
	v_cndmask_b32_e64 v31, v31, v32, s[8:9]
	s_waitcnt lgkmcnt(0)
	v_cndmask_b32_e64 v15, v15, v5, s[8:9]
	v_cmp_eq_u32_e64 s[8:9], 2, v80
	v_cndmask_b32_e64 v30, v30, v32, s[10:11]
	v_cndmask_b32_e64 v14, v14, v5, s[10:11]
	;; [unrolled: 1-line block ×3, first 2 shown]
	v_cmp_eq_u32_e64 s[10:11], 3, v80
	v_cndmask_b32_e64 v29, v29, v32, s[12:13]
	v_cndmask_b32_e64 v13, v13, v5, s[12:13]
	;; [unrolled: 1-line block ×3, first 2 shown]
	v_cmp_eq_u32_e64 s[12:13], 4, v80
	v_cmp_eq_u32_e64 s[40:41], 5, v80
	v_cndmask_b32_e64 v27, v27, v32, s[46:47]
	v_cndmask_b32_e64 v54, v54, v44, s[12:13]
	;; [unrolled: 1-line block ×4, first 2 shown]
	v_cmp_eq_u32_e64 s[46:47], 6, v80
	v_cmp_eq_u32_e64 s[54:55], 7, v80
	v_cndmask_b32_e64 v59, v1, v5, s[26:27]
	v_cndmask_b32_e64 v54, v54, v42, s[46:47]
	v_cndmask_b32_e64 v61, v0, v5, s[16:17]
	v_cndmask_b32_e64 v54, v54, v41, s[54:55]
	v_cmp_eq_u32_e64 s[56:57], 8, v80
	v_cndmask_b32_e64 v2, v2, v5, s[36:37]
	v_cndmask_b32_e64 v0, v61, v59, s[6:7]
	;; [unrolled: 1-line block ×7, first 2 shown]
	v_cmp_eq_u32_e64 s[58:59], 9, v80
	v_cndmask_b32_e64 v23, v23, v32, s[22:23]
	v_cndmask_b32_e64 v22, v22, v32, s[42:43]
	;; [unrolled: 1-line block ×11, first 2 shown]
	v_cmp_eq_u32_e64 s[60:61], 10, v80
	v_cndmask_b32_e64 v57, v57, v5, s[30:31]
	v_cndmask_b32_e64 v1, v32, v58, s[6:7]
	;; [unrolled: 1-line block ×4, first 2 shown]
	v_cmp_eq_u32_e64 s[62:63], 11, v80
	v_cndmask_b32_e64 v55, v55, v5, s[28:29]
	v_cndmask_b32_e64 v1, v1, v18, s[14:15]
	;; [unrolled: 1-line block ×5, first 2 shown]
	v_cmp_eq_u32_e64 s[64:65], 12, v80
	v_cndmask_b32_e64 v1, v1, v19, s[18:19]
	v_cndmask_b32_e64 v0, v0, v55, s[38:39]
	v_cndmask_b32_e64 v7, v7, v5, s[22:23]
	v_cndmask_b32_e64 v54, v54, v36, s[64:65]
	v_cmp_eq_u32_e64 s[66:67], 13, v80
	v_cndmask_b32_e64 v1, v1, v20, s[24:25]
	v_cndmask_b32_e64 v0, v0, v6, s[44:45]
	v_cndmask_b32_e64 v8, v8, v5, s[20:21]
	v_cndmask_b32_e64 v54, v54, v35, s[66:67]
	;; [unrolled: 5-line block ×4, first 2 shown]
	v_cndmask_b32_e64 v1, v1, v23, s[52:53]
	v_cndmask_b32_e64 v0, v0, v9, s[68:69]
	ds_bpermute_b32 v54, v90, v54
	v_cndmask_b32_e64 v1, v1, v24, s[48:49]
	v_cndmask_b32_e64 v0, v0, v10, s[72:73]
	;; [unrolled: 1-line block ×9, first 2 shown]
	v_cmp_eq_u32_e64 s[20:21], 0, v80
	v_cndmask_b32_e64 v1, v1, v28, s[82:83]
	v_cndmask_b32_e64 v0, v0, v14, s[86:87]
	s_waitcnt lgkmcnt(0)
	v_cndmask_b32_e32 v47, v47, v54, vcc
	v_cndmask_b32_e64 v1, v1, v29, s[84:85]
	v_cndmask_b32_e64 v0, v0, v15, s[88:89]
	;; [unrolled: 1-line block ×3, first 2 shown]
	v_cmp_eq_u32_e64 s[16:17], 1, v81
	v_cndmask_b32_e64 v46, v46, v54, s[8:9]
	v_cndmask_b32_e64 v1, v1, v30, s[86:87]
	ds_bpermute_b32 v62, v90, v0
	v_cndmask_b32_e64 v0, v17, v47, s[16:17]
	v_cmp_eq_u32_e64 s[22:23], 2, v81
	v_cndmask_b32_e64 v45, v45, v54, s[10:11]
	v_cndmask_b32_e64 v1, v1, v31, s[88:89]
	;; [unrolled: 1-line block ×3, first 2 shown]
	v_cmp_eq_u32_e64 s[26:27], 3, v81
	v_cndmask_b32_e64 v44, v44, v54, s[12:13]
	ds_bpermute_b32 v60, v90, v1
	v_cndmask_b32_e64 v0, v0, v45, s[26:27]
	v_cmp_eq_u32_e64 s[28:29], 4, v81
	v_cndmask_b32_e64 v43, v43, v54, s[40:41]
	v_cmp_eq_u32_e64 s[30:31], 5, v81
	v_cndmask_b32_e64 v0, v0, v44, s[28:29]
	v_cndmask_b32_e64 v42, v42, v54, s[46:47]
	;; [unrolled: 1-line block ×3, first 2 shown]
	v_cmp_eq_u32_e64 s[34:35], 6, v81
	v_cndmask_b32_e64 v41, v41, v54, s[54:55]
	v_cmp_eq_u32_e64 s[36:37], 7, v81
	v_cndmask_b32_e64 v0, v0, v42, s[34:35]
	v_cndmask_b32_e64 v40, v40, v54, s[56:57]
	;; [unrolled: 1-line block ×3, first 2 shown]
	v_cmp_eq_u32_e64 s[42:43], 8, v81
	v_cndmask_b32_e64 v39, v39, v54, s[58:59]
	s_waitcnt lgkmcnt(0)
	v_cndmask_b32_e64 v24, v24, v60, s[48:49]
	v_cndmask_b32_e64 v0, v0, v40, s[42:43]
	;; [unrolled: 1-line block ×3, first 2 shown]
	v_cmp_eq_u32_e64 s[48:49], 9, v81
	v_cndmask_b32_e64 v38, v38, v54, s[60:61]
	v_cndmask_b32_e64 v23, v23, v60, s[52:53]
	;; [unrolled: 1-line block ×4, first 2 shown]
	v_cmp_eq_u32_e64 s[52:53], 10, v81
	v_cndmask_b32_e64 v33, v33, v54, s[74:75]
	v_cndmask_b32_e64 v34, v34, v54, s[70:71]
	;; [unrolled: 1-line block ×8, first 2 shown]
	v_cmp_eq_u32_e64 s[44:45], 11, v81
	v_cndmask_b32_e64 v21, v21, v60, s[38:39]
	v_cndmask_b32_e64 v55, v55, v62, s[38:39]
	v_cndmask_b32_e64 v0, v0, v37, s[44:45]
	v_cmp_eq_u32_e64 s[38:39], 12, v81
	v_cndmask_b32_e64 v20, v20, v60, s[24:25]
	v_cndmask_b32_e64 v57, v57, v62, s[24:25]
	v_cndmask_b32_e64 v0, v0, v36, s[38:39]
	;; [unrolled: 4-line block ×5, first 2 shown]
	ds_bpermute_b32 v18, v90, v0
	v_cndmask_b32_e64 v9, v9, v62, s[68:69]
	v_cndmask_b32_e64 v26, v26, v60, s[72:73]
	;; [unrolled: 1-line block ×4, first 2 shown]
	s_waitcnt lgkmcnt(0)
	v_cndmask_b32_e64 v1, v43, v18, s[30:31]
	v_cndmask_b32_e64 v2, v44, v18, s[28:29]
	v_cndmask_b32_e64 v16, v46, v18, s[22:23]
	v_cndmask_b32_e64 v43, v58, v60, s[6:7]
	v_cndmask_b32_e64 v44, v59, v62, s[6:7]
	v_cndmask_b32_e64 v46, v61, v62, s[50:51]
	v_cndmask_b32_e64 v3, v45, v18, s[26:27]
	v_cndmask_b32_e64 v0, v47, v18, s[16:17]
	v_cndmask_b32_e32 v45, v32, v43, vcc
	v_cndmask_b32_e32 v47, v46, v44, vcc
	v_cndmask_b32_e64 v45, v45, v5, s[8:9]
	v_cndmask_b32_e64 v47, v47, v6, s[8:9]
	;; [unrolled: 1-line block ×37, first 2 shown]
	ds_bpermute_b32 v45, v90, v45
	ds_bpermute_b32 v47, v90, v47
	v_cmp_eq_u32_e64 s[6:7], 0, v81
	v_cndmask_b32_e64 v33, v33, v18, s[14:15]
	v_cndmask_b32_e64 v34, v34, v18, s[18:19]
	v_cndmask_b32_e64 v35, v35, v18, s[24:25]
	v_cndmask_b32_e64 v36, v36, v18, s[38:39]
	v_cndmask_b32_e64 v37, v37, v18, s[44:45]
	v_cndmask_b32_e64 v38, v38, v18, s[52:53]
	v_cndmask_b32_e64 v39, v39, v18, s[48:49]
	v_cndmask_b32_e64 v40, v40, v18, s[42:43]
	v_cndmask_b32_e64 v41, v41, v18, s[36:37]
	v_cndmask_b32_e64 v42, v42, v18, s[34:35]
	v_cndmask_b32_e64 v18, v17, v18, s[6:7]
	v_cmp_eq_u32_e64 s[50:51], 1, v82
	v_cmp_eq_u32_e64 s[68:69], 2, v82
	s_waitcnt lgkmcnt(0)
	v_cndmask_b32_e64 v17, v15, v47, s[74:75]
	v_cndmask_b32_e64 v58, v18, v0, s[50:51]
	;; [unrolled: 1-line block ×5, first 2 shown]
	v_cmp_eq_u32_e64 s[70:71], 3, v82
	v_cndmask_b32_e64 v29, v29, v45, s[66:67]
	v_cndmask_b32_e64 v59, v13, v47, s[66:67]
	v_cndmask_b32_e64 v14, v15, v3, s[70:71]
	v_cmp_eq_u32_e64 s[66:67], 4, v82
	v_cndmask_b32_e64 v28, v28, v45, s[64:65]
	v_cndmask_b32_e64 v60, v12, v47, s[64:65]
	v_cndmask_b32_e64 v13, v14, v2, s[66:67]
	;; [unrolled: 4-line block ×12, first 2 shown]
	v_cmp_eq_u32_e64 s[8:9], 15, v82
	v_cndmask_b32_e32 v43, v43, v45, vcc
	v_cndmask_b32_e64 v32, v32, v45, s[20:21]
	v_cndmask_b32_e64 v4, v4, v33, s[8:9]
	ds_bpermute_b32 v69, v90, v4
	v_cndmask_b32_e64 v4, v32, v43, s[16:17]
	v_cndmask_b32_e64 v4, v4, v67, s[22:23]
	;; [unrolled: 1-line block ×16, first 2 shown]
	s_waitcnt lgkmcnt(0)
	v_cndmask_b32_e64 v15, v33, v69, s[8:9]
	ds_bpermute_b32 v33, v90, v4
	v_cndmask_b32_e64 v13, v35, v69, s[12:13]
	v_cndmask_b32_e64 v14, v34, v69, s[10:11]
	;; [unrolled: 1-line block ×4, first 2 shown]
	s_waitcnt lgkmcnt(0)
	v_cndmask_b32_e64 v35, v43, v33, s[16:17]
	v_cndmask_b32_e64 v32, v32, v33, s[6:7]
	v_cndmask_b32_e64 v34, v67, v33, s[22:23]
	v_cndmask_b32_e64 v1, v32, v35, s[50:51]
	v_cndmask_b32_e64 v19, v19, v33, s[26:27]
	v_cndmask_b32_e64 v1, v1, v34, s[68:69]
	v_cndmask_b32_e64 v20, v20, v33, s[28:29]
	v_cndmask_b32_e64 v1, v1, v19, s[70:71]
	v_cndmask_b32_e64 v21, v21, v33, s[30:31]
	v_cndmask_b32_e64 v1, v1, v20, s[66:67]
	v_cndmask_b32_e64 v22, v22, v33, s[34:35]
	v_cndmask_b32_e64 v1, v1, v21, s[64:65]
	v_cndmask_b32_e64 v23, v23, v33, s[36:37]
	v_cndmask_b32_e64 v1, v1, v22, s[62:63]
	v_cndmask_b32_e64 v24, v24, v33, s[42:43]
	v_cndmask_b32_e64 v1, v1, v23, s[60:61]
	v_cndmask_b32_e64 v25, v25, v33, s[48:49]
	v_cndmask_b32_e64 v1, v1, v24, s[58:59]
	v_cndmask_b32_e64 v26, v26, v33, s[52:53]
	v_cndmask_b32_e64 v1, v1, v25, s[56:57]
	v_cndmask_b32_e64 v27, v27, v33, s[44:45]
	v_cndmask_b32_e64 v1, v1, v26, s[54:55]
	v_cndmask_b32_e64 v28, v28, v33, s[38:39]
	v_cndmask_b32_e64 v1, v1, v27, s[46:47]
	v_cndmask_b32_e64 v29, v29, v33, s[24:25]
	v_cndmask_b32_e64 v1, v1, v28, s[40:41]
	v_cndmask_b32_e64 v30, v30, v33, s[18:19]
	v_cndmask_b32_e64 v1, v1, v29, s[12:13]
	v_cndmask_b32_e64 v2, v16, v69, s[68:69]
	v_cndmask_b32_e64 v16, v31, v33, s[14:15]
	v_cndmask_b32_e64 v1, v1, v30, s[10:11]
	v_cndmask_b32_e64 v1, v1, v16, s[8:9]
	ds_bpermute_b32 v33, v90, v1
	v_cndmask_b32_e32 v44, v44, v47, vcc
	v_cndmask_b32_e64 v12, v36, v69, s[40:41]
	v_cndmask_b32_e64 v36, v46, v47, s[20:21]
	;; [unrolled: 1-line block ×3, first 2 shown]
	s_waitcnt lgkmcnt(0)
	v_cndmask_b32_e64 v31, v16, v33, s[8:9]
	v_cndmask_b32_e64 v16, v36, v44, s[16:17]
	v_cndmask_b32_e64 v16, v16, v68, s[22:23]
	v_cndmask_b32_e64 v16, v16, v66, s[26:27]
	v_cndmask_b32_e64 v16, v16, v57, s[28:29]
	v_cndmask_b32_e64 v16, v16, v55, s[30:31]
	v_cndmask_b32_e64 v16, v16, v54, s[34:35]
	v_cndmask_b32_e64 v16, v16, v65, s[36:37]
	v_cndmask_b32_e64 v16, v16, v64, s[42:43]
	v_cndmask_b32_e64 v16, v16, v63, s[48:49]
	v_cndmask_b32_e64 v16, v16, v62, s[52:53]
	v_cndmask_b32_e64 v16, v16, v61, s[44:45]
	v_cndmask_b32_e64 v16, v16, v60, s[38:39]
	v_cndmask_b32_e64 v16, v16, v59, s[24:25]
	v_cndmask_b32_e64 v16, v16, v58, s[18:19]
	v_cndmask_b32_e64 v16, v16, v17, s[14:15]
	ds_bpermute_b32 v16, v90, v16
	v_cndmask_b32_e64 v9, v39, v69, s[56:57]
	v_cndmask_b32_e64 v11, v37, v69, s[46:47]
	;; [unrolled: 1-line block ×4, first 2 shown]
	s_waitcnt lgkmcnt(0)
	v_cndmask_b32_e64 v38, v58, v16, s[18:19]
	v_cndmask_b32_e64 v39, v59, v16, s[24:25]
	;; [unrolled: 1-line block ×32, first 2 shown]
	ds_bpermute_b32 v65, v90, v16
	v_readlane_b32 s6, v101, 29
	v_cmp_eq_u32_e32 vcc, 0, v82
	v_readlane_b32 s7, v101, 30
	v_readlane_b32 s24, v101, 10
	v_readlane_b32 s26, v101, 12
	v_readlane_b32 s34, v101, 17
	v_subrev_u32_e32 v91, s4, v91
	s_mov_b32 s1, 0
	v_cndmask_b32_e64 v3, v3, v69, s[70:71]
	v_cndmask_b32_e64 v1, v0, v69, s[50:51]
	v_cndmask_b32_e32 v0, v18, v69, vcc
	v_cndmask_b32_e64 v30, v30, v33, s[10:11]
	v_cndmask_b32_e64 v29, v29, v33, s[12:13]
	;; [unrolled: 1-line block ×14, first 2 shown]
	v_cndmask_b32_e32 v16, v32, v33, vcc
	s_waitcnt lgkmcnt(0)
	v_cndmask_b32_e64 v47, v37, v65, s[8:9]
	v_cndmask_b32_e64 v46, v38, v65, s[10:11]
	;; [unrolled: 1-line block ×15, first 2 shown]
	v_cndmask_b32_e32 v32, v64, v65, vcc
	v_lshl_add_u64 v[54:55], s[6:7], 0, v[48:49]
	s_mov_b64 s[6:7], 0
	s_mov_b32 s16, 0
	v_readlane_b32 s25, v101, 11
	v_readlane_b32 s27, v101, 13
	;; [unrolled: 1-line block ×10, first 2 shown]
	s_mov_b64 s[20:21], 0x80
                                        ; implicit-def: $sgpr8_sgpr9
	s_branch .LBB191_29
.LBB191_27:                             ;   in Loop: Header=BB191_29 Depth=2
	s_or_b64 exec, exec, s[12:13]
	s_andn2_b64 s[8:9], s[8:9], exec
	s_and_b64 s[12:13], s[14:15], exec
	s_or_b64 s[8:9], s[8:9], s[12:13]
.LBB191_28:                             ;   in Loop: Header=BB191_29 Depth=2
	s_or_b64 exec, exec, s[10:11]
	s_and_b64 s[10:11], exec, s[8:9]
	s_or_b64 s[6:7], s[10:11], s[6:7]
	s_andn2_b64 exec, exec, s[6:7]
	s_cbranch_execz .LBB191_32
.LBB191_29:                             ;   Parent Loop BB191_7 Depth=1
                                        ; =>  This Inner Loop Header: Depth=2
	s_and_b32 s12, s1, 24
	v_or_b32_e32 v57, s12, v88
	v_add_u32_e32 v58, s5, v57
	v_cmp_gt_u32_e32 vcc, 32, v58
	s_or_b64 s[8:9], s[8:9], exec
	s_and_saveexec_b64 s[10:11], vcc
	s_cbranch_execz .LBB191_28
; %bb.30:                               ;   in Loop: Header=BB191_29 Depth=2
	s_add_i32 s13, s16, 1
	s_set_gpr_idx_on s16, gpr_idx(SRC0)
	v_mov_b32_e32 v58, v0
	s_set_gpr_idx_off
	v_cvt_f16_f32_e32 v60, v58
	s_set_gpr_idx_on s13, gpr_idx(SRC0)
	v_mov_b32_e32 v58, v0
	s_set_gpr_idx_off
	v_cvt_f16_f32_sdwa v61, v58 dst_sel:WORD_1 dst_unused:UNUSED_PAD src0_sel:DWORD
	v_mul_lo_u32 v58, v57, s93
	v_ashrrev_i32_e32 v59, 31, v58
	v_lshl_add_u64 v[58:59], v[58:59], 1, v[54:55]
	v_or_b32_e32 v57, v61, v60
	;;#ASMSTART
	global_atomic_pk_add_f16 v[58:59], v57, off
	
	;;#ASMEND
	s_set_gpr_idx_on s16, gpr_idx(SRC0)
	v_mov_b32_e32 v57, v16
	s_set_gpr_idx_off
	v_cvt_f16_f32_e32 v57, v57
	s_set_gpr_idx_on s13, gpr_idx(SRC0)
	v_mov_b32_e32 v60, v16
	s_set_gpr_idx_off
	v_cvt_f16_f32_sdwa v62, v60 dst_sel:WORD_1 dst_unused:UNUSED_PAD src0_sel:DWORD
	v_lshl_add_u64 v[60:61], v[58:59], 0, 64
	v_lshl_add_u64 v[58:59], v[58:59], 0, s[20:21]
	s_mov_b64 s[14:15], -1
	v_or_b32_e32 v57, v62, v57
	;;#ASMSTART
	global_atomic_pk_add_f16 v[60:61], v57, off
	
	;;#ASMEND
	s_set_gpr_idx_on s16, gpr_idx(SRC0)
	v_mov_b32_e32 v57, v32
	s_set_gpr_idx_off
	v_cvt_f16_f32_e32 v57, v57
	s_set_gpr_idx_on s13, gpr_idx(SRC0)
	v_mov_b32_e32 v60, v32
	s_set_gpr_idx_off
	v_cvt_f16_f32_sdwa v60, v60 dst_sel:WORD_1 dst_unused:UNUSED_PAD src0_sel:DWORD
	s_nop 0
	v_or_b32_e32 v57, v60, v57
	;;#ASMSTART
	global_atomic_pk_add_f16 v[58:59], v57, off
	
	;;#ASMEND
	v_or_b32_e32 v57, s12, v89
	v_add_u32_e32 v58, s5, v57
	v_cmp_gt_u32_e32 vcc, 32, v58
	s_and_saveexec_b64 s[12:13], vcc
	s_cbranch_execz .LBB191_27
; %bb.31:                               ;   in Loop: Header=BB191_29 Depth=2
	s_add_i32 s14, s16, 2
	s_add_i32 s15, s16, 3
	s_set_gpr_idx_on s14, gpr_idx(SRC0)
	v_mov_b32_e32 v58, v0
	s_set_gpr_idx_off
	v_cvt_f16_f32_e32 v60, v58
	s_set_gpr_idx_on s15, gpr_idx(SRC0)
	v_mov_b32_e32 v58, v0
	s_set_gpr_idx_off
	v_cvt_f16_f32_sdwa v61, v58 dst_sel:WORD_1 dst_unused:UNUSED_PAD src0_sel:DWORD
	v_mul_lo_u32 v58, v57, s93
	v_ashrrev_i32_e32 v59, 31, v58
	v_lshl_add_u64 v[58:59], v[58:59], 1, v[54:55]
	v_or_b32_e32 v57, v61, v60
	;;#ASMSTART
	global_atomic_pk_add_f16 v[58:59], v57, off
	
	;;#ASMEND
	s_set_gpr_idx_on s14, gpr_idx(SRC0)
	v_mov_b32_e32 v57, v16
	s_set_gpr_idx_off
	v_cvt_f16_f32_e32 v57, v57
	s_set_gpr_idx_on s15, gpr_idx(SRC0)
	v_mov_b32_e32 v60, v16
	s_set_gpr_idx_off
	v_cvt_f16_f32_sdwa v62, v60 dst_sel:WORD_1 dst_unused:UNUSED_PAD src0_sel:DWORD
	v_lshl_add_u64 v[60:61], v[58:59], 0, 64
	s_add_i32 s16, s16, 4
	s_add_i32 s1, s1, 8
	v_or_b32_e32 v57, v62, v57
	;;#ASMSTART
	global_atomic_pk_add_f16 v[60:61], v57, off
	
	;;#ASMEND
	s_set_gpr_idx_on s14, gpr_idx(SRC0)
	v_mov_b32_e32 v57, v32
	s_set_gpr_idx_off
	v_cvt_f16_f32_e32 v57, v57
	s_set_gpr_idx_on s15, gpr_idx(SRC0)
	v_mov_b32_e32 v60, v32
	s_set_gpr_idx_off
	v_cvt_f16_f32_sdwa v60, v60 dst_sel:WORD_1 dst_unused:UNUSED_PAD src0_sel:DWORD
	s_cmp_eq_u32 s16, 16
	s_cselect_b64 s[14:15], -1, 0
	s_orn2_b64 s[14:15], s[14:15], exec
	v_lshl_add_u64 v[58:59], v[58:59], 0, s[20:21]
	v_or_b32_e32 v57, v60, v57
	;;#ASMSTART
	global_atomic_pk_add_f16 v[58:59], v57, off
	
	;;#ASMEND
	s_branch .LBB191_27
.LBB191_32:                             ;   in Loop: Header=BB191_7 Depth=1
	s_or_b64 exec, exec, s[6:7]
	v_readlane_b32 s16, v101, 2
	v_readlane_b32 s14, v101, 0
	;; [unrolled: 1-line block ×11, first 2 shown]
.LBB191_33:                             ;   in Loop: Header=BB191_7 Depth=1
	v_readlane_b32 s6, v101, 26
	v_readlane_b32 s7, v101, 27
	s_or_b64 exec, exec, s[6:7]
.LBB191_34:                             ;   in Loop: Header=BB191_7 Depth=1
	s_or_saveexec_b64 s[2:3], s[2:3]
	v_readlane_b32 s13, v101, 25
	s_xor_b64 exec, exec, s[2:3]
	s_cbranch_execz .LBB191_43
; %bb.35:                               ;   in Loop: Header=BB191_7 Depth=1
	s_mul_i32 s12, s4, 3
	v_cmp_gt_i32_e32 vcc, s12, v91
	s_and_saveexec_b64 s[6:7], vcc
	s_cbranch_execz .LBB191_42
; %bb.36:                               ;   in Loop: Header=BB191_7 Depth=1
	s_mul_i32 s0, s0, s95
	s_ashr_i32 s1, s0, 31
	s_add_u32 s0, s18, s0
	s_addc_u32 s1, s19, s1
	s_ashr_i32 s8, s13, 31
	s_add_u32 s0, s0, s13
	s_addc_u32 s1, s1, s8
	v_lshl_add_u64 v[0:1], s[0:1], 0, v[52:53]
	v_lshl_add_u64 v[16:17], v[0:1], 0, v[50:51]
	s_mov_b64 s[0:1], 0
	s_branch .LBB191_38
.LBB191_37:                             ;   in Loop: Header=BB191_38 Depth=2
	s_or_b64 exec, exec, s[8:9]
	v_lshl_or_b32 v20, v18, 12, v85
	;;#ASMSTART
	s_waitcnt vmcnt(3)
	;;#ASMEND
	ds_write2_b32 v20, v12, v13 offset1:32
	ds_write2_b32 v20, v14, v15 offset0:64 offset1:96
	v_add_u32_e32 v12, 0x400, v20
	;;#ASMSTART
	s_waitcnt vmcnt(2)
	;;#ASMEND
	ds_write2_b32 v12, v8, v9 offset1:32
	ds_write2_b32 v12, v10, v11 offset0:64 offset1:96
	v_add_u32_e32 v8, 0x800, v20
	;; [unrolled: 6-line block ×3, first 2 shown]
	v_add_u32_e32 v91, s98, v91
	;;#ASMSTART
	s_waitcnt vmcnt(0)
	;;#ASMEND
	ds_write2_b32 v4, v0, v1 offset1:32
	ds_write2_b32 v4, v2, v3 offset0:64 offset1:96
	v_add_u32_e32 v0, 1, v71
	v_add_u32_e32 v56, s98, v18
	v_cmp_le_i32_e32 vcc, s12, v91
	ds_write_b32 v19, v0 offset:16
	v_add_u32_e32 v0, 2, v71
	s_or_b64 s[0:1], vcc, s[0:1]
	v_cmp_lt_i32_e32 vcc, 5, v56
	s_nop 1
	v_cndmask_b32_e32 v71, v71, v0, vcc
	s_andn2_b64 exec, exec, s[0:1]
	s_cbranch_execz .LBB191_41
.LBB191_38:                             ;   Parent Loop BB191_7 Depth=1
                                        ; =>  This Loop Header: Depth=2
                                        ;       Child Loop BB191_40 Depth 3
	v_cmp_gt_i32_e32 vcc, 6, v56
	s_mov_b32 s8, 0x55555556
	s_nop 0
	v_cndmask_b32_e64 v0, -6, 0, vcc
	v_add_u32_e32 v18, v0, v56
	v_mul_hi_i32 v0, v91, s8
	v_lshrrev_b32_e32 v1, 31, v0
	v_add_u32_e32 v0, v0, v1
	v_lshl_add_u32 v1, v0, 1, v0
	v_sub_u32_e32 v2, v91, v1
	v_lshlrev_b32_e32 v0, 7, v0
	v_ashrrev_i32_e32 v1, 31, v0
	v_mul_lo_u32 v2, s91, v2
	v_lshl_add_u64 v[0:1], v[16:17], 0, v[0:1]
	v_ashrrev_i32_e32 v3, 31, v2
	v_lshl_add_u64 v[0:1], v[0:1], 0, v[2:3]
	v_lshlrev_b32_e32 v19, 2, v18
	;;#ASMSTART
	global_load_dwordx4 v[12:15], v[0:1], off offset:0   sc0 sc1 nt  
	global_load_dwordx4 v[8:11], v[0:1], off offset:32  sc0 sc1 nt  
	global_load_dwordx4 v[4:7], v[0:1], off offset:64  sc0 sc1 nt  
	;; [unrolled: 1-line block ×3, first 2 shown]
	
	;;#ASMEND
	ds_read_b32 v20, v19 offset:40976
	v_add_u32_e32 v19, 0xa000, v19
	s_waitcnt lgkmcnt(0)
	v_cmp_ne_u32_e32 vcc, v20, v71
	s_and_saveexec_b64 s[8:9], vcc
	s_cbranch_execz .LBB191_37
; %bb.39:                               ;   in Loop: Header=BB191_38 Depth=2
	s_mov_b64 s[10:11], 0
.LBB191_40:                             ;   Parent Loop BB191_7 Depth=1
                                        ;     Parent Loop BB191_38 Depth=2
                                        ; =>    This Inner Loop Header: Depth=3
	;;#ASMSTART
	s_sleep 0
	;;#ASMEND
	ds_read_b32 v20, v19 offset:16
	s_waitcnt lgkmcnt(0)
	v_cmp_eq_u32_e32 vcc, v20, v71
	s_or_b64 s[10:11], vcc, s[10:11]
	s_andn2_b64 exec, exec, s[10:11]
	s_cbranch_execnz .LBB191_40
	s_branch .LBB191_37
.LBB191_41:                             ;   in Loop: Header=BB191_7 Depth=1
	s_or_b64 exec, exec, s[0:1]
.LBB191_42:                             ;   in Loop: Header=BB191_7 Depth=1
	s_or_b64 exec, exec, s[6:7]
	v_subrev_u32_e32 v91, s12, v91
.LBB191_43:                             ;   in Loop: Header=BB191_7 Depth=1
	s_or_b64 exec, exec, s[2:3]
.LBB191_44:                             ;   in Loop: Header=BB191_7 Depth=1
	v_readlane_b32 s0, v101, 23
	v_readlane_b32 s1, v101, 24
	s_andn2_saveexec_b64 s[0:1], s[0:1]
	s_cbranch_execz .LBB191_6
; %bb.45:                               ;   in Loop: Header=BB191_7 Depth=1
	s_lshl_b32 s10, s4, 1
	v_cmp_gt_i32_e32 vcc, s10, v91
	s_and_saveexec_b64 s[2:3], vcc
	s_cbranch_execz .LBB191_5
; %bb.46:                               ;   in Loop: Header=BB191_7 Depth=1
	s_mul_i32 s4, s39, s94
	s_ashr_i32 s6, s4, 31
	s_add_u32 s4, s16, s4
	v_add_u32_e32 v2, s5, v72
	s_addc_u32 s7, s17, s6
	s_ashr_i32 s8, s13, 31
	v_cmp_gt_u32_e32 vcc, 64, v2
	s_add_u32 s6, s4, s13
	s_addc_u32 s7, s7, s8
	v_cndmask_b32_e32 v0, 0, v86, vcc
	v_ashrrev_i32_e32 v1, 31, v0
	v_lshl_add_u64 v[0:1], s[6:7], 0, v[0:1]
	v_lshl_add_u64 v[16:17], v[0:1], 0, v[50:51]
	v_sub_u32_e32 v18, 63, v2
	s_mov_b64 s[4:5], 0
	s_branch .LBB191_48
.LBB191_47:                             ;   in Loop: Header=BB191_48 Depth=2
	s_or_b64 exec, exec, s[6:7]
	v_lshl_add_u32 v21, v19, 12, v87
	;;#ASMSTART
	s_waitcnt vmcnt(3)
	;;#ASMEND
	ds_write2_b32 v21, v12, v13 offset1:32
	ds_write2_b32 v21, v14, v15 offset0:64 offset1:96
	v_add_u32_e32 v12, 0x400, v21
	;;#ASMSTART
	s_waitcnt vmcnt(2)
	;;#ASMEND
	ds_write2_b32 v12, v8, v9 offset1:32
	ds_write2_b32 v12, v10, v11 offset0:64 offset1:96
	v_add_u32_e32 v8, 0x800, v21
	;; [unrolled: 6-line block ×3, first 2 shown]
	v_add_u32_e32 v91, s97, v91
	;;#ASMSTART
	s_waitcnt vmcnt(0)
	;;#ASMEND
	ds_write2_b32 v4, v0, v1 offset1:32
	ds_write2_b32 v4, v2, v3 offset0:64 offset1:96
	v_add_u32_e32 v0, 1, v71
	v_add_u32_e32 v56, s97, v19
	v_cmp_le_i32_e32 vcc, s10, v91
	ds_write_b32 v20, v0
	v_add_u32_e32 v0, 2, v71
	s_or_b64 s[4:5], vcc, s[4:5]
	v_cmp_lt_i32_e32 vcc, 3, v56
	s_nop 1
	v_cndmask_b32_e32 v71, v71, v0, vcc
	s_andn2_b64 exec, exec, s[4:5]
	s_cbranch_execz .LBB191_4
.LBB191_48:                             ;   Parent Loop BB191_7 Depth=1
                                        ; =>  This Loop Header: Depth=2
                                        ;       Child Loop BB191_50 Depth 3
	v_cmp_gt_i32_e32 vcc, 4, v56
	s_nop 1
	v_cndmask_b32_e64 v0, -4, 0, vcc
	v_add_u32_e32 v19, v0, v56
	v_lshrrev_b32_e32 v0, 31, v91
	v_add_u32_e32 v0, v91, v0
	v_and_b32_e32 v1, 0x7fffffe, v0
	v_sub_u32_e32 v1, v91, v1
	v_lshlrev_b32_e32 v1, 5, v1
	v_cmp_le_i32_e32 vcc, v1, v18
	v_lshlrev_b32_e32 v0, 6, v0
	v_and_b32_e32 v0, 0xffffff80, v0
	v_cndmask_b32_e32 v2, 0, v1, vcc
	v_ashrrev_i32_e32 v1, 31, v0
	v_mul_lo_u32 v2, v2, s94
	v_lshl_add_u64 v[0:1], v[16:17], 0, v[0:1]
	v_ashrrev_i32_e32 v3, 31, v2
	v_lshl_add_u64 v[0:1], v[0:1], 0, v[2:3]
	v_lshlrev_b32_e32 v20, 2, v19
	;;#ASMSTART
	global_load_dwordx4 v[12:15], v[0:1], off offset:0   
	global_load_dwordx4 v[8:11], v[0:1], off offset:32  
	;; [unrolled: 1-line block ×4, first 2 shown]
	
	;;#ASMEND
	ds_read_b32 v21, v20 offset:40960
	v_add_u32_e32 v20, 0xa000, v20
	s_waitcnt lgkmcnt(0)
	v_cmp_ne_u32_e32 vcc, v21, v71
	s_and_saveexec_b64 s[6:7], vcc
	s_cbranch_execz .LBB191_47
; %bb.49:                               ;   in Loop: Header=BB191_48 Depth=2
	s_mov_b64 s[8:9], 0
.LBB191_50:                             ;   Parent Loop BB191_7 Depth=1
                                        ;     Parent Loop BB191_48 Depth=2
                                        ; =>    This Inner Loop Header: Depth=3
	;;#ASMSTART
	s_sleep 0
	;;#ASMEND
	ds_read_b32 v21, v20
	s_waitcnt lgkmcnt(0)
	v_cmp_eq_u32_e32 vcc, v21, v71
	s_or_b64 s[8:9], vcc, s[8:9]
	s_andn2_b64 exec, exec, s[8:9]
	s_cbranch_execnz .LBB191_50
	s_branch .LBB191_47
.LBB191_51:
	s_endpgm
	.section	.rodata,"a",@progbits
	.p2align	6, 0x0
	.amdhsa_kernel _Z19_skinny_gemm_kernelILi2ELi3ELi2ELi32ELi8EEvPKhS1_P6__halfPKfiiiiiiii
		.amdhsa_group_segment_fixed_size 41000
		.amdhsa_private_segment_fixed_size 0
		.amdhsa_kernarg_size 64
		.amdhsa_user_sgpr_count 2
		.amdhsa_user_sgpr_dispatch_ptr 0
		.amdhsa_user_sgpr_queue_ptr 0
		.amdhsa_user_sgpr_kernarg_segment_ptr 1
		.amdhsa_user_sgpr_dispatch_id 0
		.amdhsa_user_sgpr_kernarg_preload_length 0
		.amdhsa_user_sgpr_kernarg_preload_offset 0
		.amdhsa_user_sgpr_private_segment_size 0
		.amdhsa_uses_dynamic_stack 0
		.amdhsa_enable_private_segment 0
		.amdhsa_system_sgpr_workgroup_id_x 1
		.amdhsa_system_sgpr_workgroup_id_y 0
		.amdhsa_system_sgpr_workgroup_id_z 0
		.amdhsa_system_sgpr_workgroup_info 0
		.amdhsa_system_vgpr_workitem_id 0
		.amdhsa_next_free_vgpr 102
		.amdhsa_next_free_sgpr 100
		.amdhsa_accum_offset 104
		.amdhsa_reserve_vcc 1
		.amdhsa_float_round_mode_32 0
		.amdhsa_float_round_mode_16_64 0
		.amdhsa_float_denorm_mode_32 3
		.amdhsa_float_denorm_mode_16_64 3
		.amdhsa_dx10_clamp 1
		.amdhsa_ieee_mode 1
		.amdhsa_fp16_overflow 0
		.amdhsa_tg_split 0
		.amdhsa_exception_fp_ieee_invalid_op 0
		.amdhsa_exception_fp_denorm_src 0
		.amdhsa_exception_fp_ieee_div_zero 0
		.amdhsa_exception_fp_ieee_overflow 0
		.amdhsa_exception_fp_ieee_underflow 0
		.amdhsa_exception_fp_ieee_inexact 0
		.amdhsa_exception_int_div_zero 0
	.end_amdhsa_kernel
	.section	.text._Z19_skinny_gemm_kernelILi2ELi3ELi2ELi32ELi8EEvPKhS1_P6__halfPKfiiiiiiii,"axG",@progbits,_Z19_skinny_gemm_kernelILi2ELi3ELi2ELi32ELi8EEvPKhS1_P6__halfPKfiiiiiiii,comdat
.Lfunc_end191:
	.size	_Z19_skinny_gemm_kernelILi2ELi3ELi2ELi32ELi8EEvPKhS1_P6__halfPKfiiiiiiii, .Lfunc_end191-_Z19_skinny_gemm_kernelILi2ELi3ELi2ELi32ELi8EEvPKhS1_P6__halfPKfiiiiiiii
                                        ; -- End function
	.set _Z19_skinny_gemm_kernelILi2ELi3ELi2ELi32ELi8EEvPKhS1_P6__halfPKfiiiiiiii.num_vgpr, 102
	.set _Z19_skinny_gemm_kernelILi2ELi3ELi2ELi32ELi8EEvPKhS1_P6__halfPKfiiiiiiii.num_agpr, 0
	.set _Z19_skinny_gemm_kernelILi2ELi3ELi2ELi32ELi8EEvPKhS1_P6__halfPKfiiiiiiii.numbered_sgpr, 100
	.set _Z19_skinny_gemm_kernelILi2ELi3ELi2ELi32ELi8EEvPKhS1_P6__halfPKfiiiiiiii.num_named_barrier, 0
	.set _Z19_skinny_gemm_kernelILi2ELi3ELi2ELi32ELi8EEvPKhS1_P6__halfPKfiiiiiiii.private_seg_size, 0
	.set _Z19_skinny_gemm_kernelILi2ELi3ELi2ELi32ELi8EEvPKhS1_P6__halfPKfiiiiiiii.uses_vcc, 1
	.set _Z19_skinny_gemm_kernelILi2ELi3ELi2ELi32ELi8EEvPKhS1_P6__halfPKfiiiiiiii.uses_flat_scratch, 0
	.set _Z19_skinny_gemm_kernelILi2ELi3ELi2ELi32ELi8EEvPKhS1_P6__halfPKfiiiiiiii.has_dyn_sized_stack, 0
	.set _Z19_skinny_gemm_kernelILi2ELi3ELi2ELi32ELi8EEvPKhS1_P6__halfPKfiiiiiiii.has_recursion, 0
	.set _Z19_skinny_gemm_kernelILi2ELi3ELi2ELi32ELi8EEvPKhS1_P6__halfPKfiiiiiiii.has_indirect_call, 0
	.section	.AMDGPU.csdata,"",@progbits
; Kernel info:
; codeLenInByte = 12168
; TotalNumSgprs: 106
; NumVgprs: 102
; NumAgprs: 0
; TotalNumVgprs: 102
; ScratchSize: 0
; MemoryBound: 0
; FloatMode: 240
; IeeeMode: 1
; LDSByteSize: 41000 bytes/workgroup (compile time only)
; SGPRBlocks: 13
; VGPRBlocks: 12
; NumSGPRsForWavesPerEU: 106
; NumVGPRsForWavesPerEU: 102
; AccumOffset: 104
; Occupancy: 4
; WaveLimiterHint : 0
; COMPUTE_PGM_RSRC2:SCRATCH_EN: 0
; COMPUTE_PGM_RSRC2:USER_SGPR: 2
; COMPUTE_PGM_RSRC2:TRAP_HANDLER: 0
; COMPUTE_PGM_RSRC2:TGID_X_EN: 1
; COMPUTE_PGM_RSRC2:TGID_Y_EN: 0
; COMPUTE_PGM_RSRC2:TGID_Z_EN: 0
; COMPUTE_PGM_RSRC2:TIDIG_COMP_CNT: 0
; COMPUTE_PGM_RSRC3_GFX90A:ACCUM_OFFSET: 25
; COMPUTE_PGM_RSRC3_GFX90A:TG_SPLIT: 0
	.section	.text._Z19_skinny_gemm_kernelILi2ELi3ELi3ELi16ELi4EEvPKhS1_P6__halfPKfiiiiiiii,"axG",@progbits,_Z19_skinny_gemm_kernelILi2ELi3ELi3ELi16ELi4EEvPKhS1_P6__halfPKfiiiiiiii,comdat
	.protected	_Z19_skinny_gemm_kernelILi2ELi3ELi3ELi16ELi4EEvPKhS1_P6__halfPKfiiiiiiii ; -- Begin function _Z19_skinny_gemm_kernelILi2ELi3ELi3ELi16ELi4EEvPKhS1_P6__halfPKfiiiiiiii
	.globl	_Z19_skinny_gemm_kernelILi2ELi3ELi3ELi16ELi4EEvPKhS1_P6__halfPKfiiiiiiii
	.p2align	8
	.type	_Z19_skinny_gemm_kernelILi2ELi3ELi3ELi16ELi4EEvPKhS1_P6__halfPKfiiiiiiii,@function
_Z19_skinny_gemm_kernelILi2ELi3ELi3ELi16ELi4EEvPKhS1_P6__halfPKfiiiiiiii: ; @_Z19_skinny_gemm_kernelILi2ELi3ELi3ELi16ELi4EEvPKhS1_P6__halfPKfiiiiiiii
; %bb.0:
	v_cmp_gt_u32_e32 vcc, 15, v0
	v_lshlrev_b32_e32 v1, 2, v0
	s_and_saveexec_b64 s[4:5], vcc
; %bb.1:
	v_mov_b32_e32 v2, 0
	ds_write_b32 v1, v2 offset:30720
; %bb.2:
	s_or_b64 exec, exec, s[4:5]
	s_load_dwordx8 s[20:27], s[0:1], 0x20
	s_waitcnt lgkmcnt(0)
	s_barrier
	s_add_i32 s3, s20, 31
	s_ashr_i32 s5, s3, 31
	s_add_i32 s4, s21, 47
	s_lshr_b32 s5, s5, 27
	s_mul_hi_i32 s4, s4, 0x2aaaaaab
	s_add_i32 s3, s3, s5
	s_ashr_i32 s33, s3, 5
	s_lshr_b32 s3, s4, 31
	s_ashr_i32 s50, s4, 3
	s_add_i32 s50, s50, s3
	s_mul_i32 s3, s50, s33
	s_mul_i32 s3, s3, s24
	s_add_i32 s4, s3, 0x12f
	s_mul_hi_i32 s4, s4, 0x6bca1af3
	s_lshr_b32 s5, s4, 31
	s_ashr_i32 s4, s4, 7
	s_add_i32 s4, s4, s5
	s_add_i32 s5, s2, 1
	s_mul_i32 s5, s4, s5
	v_cvt_f64_i32_e32 v[2:3], s3
	v_cvt_f64_u32_e32 v[4:5], s5
	v_min_f64 v[2:3], v[2:3], v[4:5]
	v_cvt_i32_f64_e32 v25, v[2:3]
	s_mul_i32 s51, s4, s2
	v_cmp_ge_i32_e32 vcc, s51, v25
	s_cbranch_vccnz .LBB192_53
; %bb.3:
	v_lshrrev_b32_e32 v2, 6, v0
	s_add_i32 s4, s26, s25
	s_load_dwordx8 s[36:43], s[0:1], 0x0
	v_cmp_le_i32_e64 s[0:1], s4, v2
	v_mov_b32_e32 v3, s25
	v_cmp_le_i32_e64 s[2:3], s25, v2
	v_mov_b32_e32 v4, s26
	v_cndmask_b32_e64 v4, 0, v4, s[0:1]
	v_cndmask_b32_e64 v3, 0, v3, s[2:3]
	s_abs_i32 s5, s24
	v_add_u32_e32 v3, v3, v4
	v_cvt_f32_u32_e32 v4, s5
	v_sub_u32_e32 v36, v2, v3
	s_ashr_i32 s6, s22, 31
	s_lshr_b32 s6, s6, 25
	v_rcp_iflag_f32_e32 v3, v4
	s_sub_i32 s9, 0, s5
	s_add_i32 s6, s22, s6
	s_ashr_i32 s6, s6, 7
	v_mul_f32_e32 v3, 0x4f7ffffe, v3
	v_cvt_u32_f32_e32 v3, v3
	s_abs_i32 s8, s6
	s_xor_b32 s7, s6, s24
	s_ashr_i32 s7, s7, 31
	v_readfirstlane_b32 s10, v3
	s_mul_i32 s9, s9, s10
	s_mul_hi_u32 s9, s10, s9
	s_add_i32 s10, s10, s9
	s_mul_hi_u32 s9, s8, s10
	s_mul_i32 s10, s9, s5
	s_sub_i32 s8, s8, s10
	s_add_i32 s10, s9, 1
	s_sub_i32 s11, s8, s5
	s_cmp_ge_u32 s8, s5
	s_cselect_b32 s9, s10, s9
	s_cselect_b32 s8, s11, s8
	s_add_i32 s10, s9, 1
	s_cmp_ge_u32 s8, s5
	s_cselect_b32 s5, s10, s9
	s_xor_b32 s5, s5, s7
	s_sub_i32 s52, s5, s7
	s_add_i32 s24, s24, -1
	s_mul_i32 s5, s52, s24
	s_add_i32 s4, s4, s27
	s_sub_i32 s53, s6, s5
	v_cmp_gt_i32_e64 s[4:5], s4, v2
	v_lshlrev_b32_e32 v2, 1, v0
	v_lshlrev_b32_e32 v3, 4, v0
	v_and_b32_e32 v1, 60, v1
	v_and_b32_e32 v2, 64, v2
	;; [unrolled: 1-line block ×3, first 2 shown]
	v_or3_b32 v57, v1, v2, v4
	v_and_b32_e32 v1, 1, v0
	v_lshrrev_b32_e32 v4, 2, v0
	s_abs_i32 s54, s33
	v_and_or_b32 v63, v4, 12, v1
	v_cvt_f32_u32_e32 v4, s54
	v_lshlrev_b32_e32 v2, 1, v1
	v_and_b32_e32 v24, 14, v0
	v_sub_u32_e32 v2, v0, v2
	v_bitop3_b32 v59, v0, 1, v0 bitop3:0xc
	v_bitop3_b32 v60, v0, 3, 1 bitop3:0x6c
	v_and_b32_e32 v30, 48, v3
	v_bfe_u32 v65, v0, 2, 4
	v_and_b32_e32 v1, 60, v0
	v_lshlrev_b32_e32 v3, 8, v0
	v_lshlrev_b32_e32 v0, 6, v0
	v_and_b32_e32 v3, 0x200, v3
	v_and_b32_e32 v0, 64, v0
	v_or3_b32 v66, v1, v3, v0
	v_rcp_iflag_f32_e32 v0, v4
	s_abs_i32 s56, s50
	v_cvt_f32_u32_e32 v1, s56
	v_mad_u64_u32 v[26:27], s[6:7], s21, v63, v[24:25]
	v_mul_f32_e32 v0, 0x4f7ffffe, v0
	v_cvt_u32_f32_e32 v0, v0
	v_rcp_iflag_f32_e32 v1, v1
	s_sub_i32 s6, 0, s54
	v_add_u32_e32 v2, 1, v2
	v_readfirstlane_b32 s7, v0
	v_mul_f32_e32 v0, 0x4f7ffffe, v1
	v_cvt_u32_f32_e32 v0, v0
	s_mul_i32 s6, s6, s7
	s_mul_hi_u32 s6, s7, s6
	s_add_i32 s58, s7, s6
	s_sub_i32 s6, 0, s56
	v_readfirstlane_b32 s7, v0
	v_mbcnt_lo_u32_b32 v0, -1, 0
	v_and_b32_e32 v2, 63, v2
	s_mul_i32 s6, s6, s7
	v_mbcnt_hi_u32_b32 v0, -1, v0
	v_lshl_add_u32 v28, s21, 4, v26
	v_mul_lo_u32 v32, s23, v65
	s_mul_hi_u32 s6, s7, s6
	v_and_or_b32 v0, v0, 64, v2
	v_cndmask_b32_e64 v56, 0, 1, s[0:1]
	v_or_b32_e32 v58, 0x4800, v57
	s_ashr_i32 s29, s21, 31
	s_mov_b32 s28, s21
	v_or_b32_e32 v61, 16, v24
	v_or_b32_e32 v62, 32, v24
	v_ashrrev_i32_e32 v27, 31, v26
	v_or_b32_e32 v64, 16, v63
	v_ashrrev_i32_e32 v29, 31, v28
	v_ashrrev_i32_e32 v33, 31, v32
	v_mov_b32_e32 v31, 0
	s_lshl_b32 s55, s23, 4
	v_mul_lo_u32 v67, s22, v65
	v_or_b32_e32 v68, 0x4800, v66
	s_ashr_i32 s57, s33, 31
	s_ashr_i32 s59, s50, 31
	s_add_i32 s60, s7, s6
	s_movk_i32 s61, 0x1800
	s_mov_b32 s62, 0x55555556
	v_lshlrev_b32_e32 v69, 2, v0
	v_mov_b32_e32 v70, v36
	s_branch .LBB192_7
.LBB192_4:                              ;   in Loop: Header=BB192_7 Depth=1
	s_or_b64 exec, exec, s[10:11]
.LBB192_5:                              ;   in Loop: Header=BB192_7 Depth=1
	s_or_b64 exec, exec, s[8:9]
	v_subrev_u32_e32 v70, s16, v70
.LBB192_6:                              ;   in Loop: Header=BB192_7 Depth=1
	s_or_b64 exec, exec, s[6:7]
	s_add_i32 s51, s51, 1
	v_cmp_ge_i32_e32 vcc, s51, v25
	s_cbranch_vccnz .LBB192_53
.LBB192_7:                              ; =>This Loop Header: Depth=1
                                        ;     Child Loop BB192_13 Depth 2
                                        ;       Child Loop BB192_15 Depth 3
                                        ;       Child Loop BB192_18 Depth 3
	;; [unrolled: 1-line block ×5, first 2 shown]
                                        ;     Child Loop BB192_40 Depth 2
                                        ;       Child Loop BB192_42 Depth 3
                                        ;     Child Loop BB192_50 Depth 2
                                        ;       Child Loop BB192_52 Depth 3
	s_abs_i32 s7, s51
	s_mul_hi_u32 s8, s7, s58
	s_mul_i32 s9, s8, s54
	s_ashr_i32 s6, s51, 31
	s_sub_i32 s7, s7, s9
	s_xor_b32 s6, s6, s57
	s_add_i32 s9, s8, 1
	s_sub_i32 s10, s7, s54
	s_cmp_ge_u32 s7, s54
	s_cselect_b32 s8, s9, s8
	s_cselect_b32 s7, s10, s7
	s_add_i32 s9, s8, 1
	s_cmp_ge_u32 s7, s54
	s_cselect_b32 s7, s9, s8
	s_xor_b32 s7, s7, s6
	s_sub_i32 s6, s7, s6
	s_abs_i32 s8, s6
	s_mul_i32 s7, s6, s33
	s_mul_hi_u32 s9, s8, s60
	s_sub_i32 s7, s51, s7
	s_mul_i32 s10, s9, s56
	s_lshl_b32 s63, s7, 5
	s_ashr_i32 s7, s6, 31
	s_sub_i32 s8, s8, s10
	s_xor_b32 s7, s7, s59
	s_add_i32 s10, s9, 1
	s_sub_i32 s11, s8, s56
	s_cmp_ge_u32 s8, s56
	s_cselect_b32 s9, s10, s9
	s_cselect_b32 s8, s11, s8
	s_add_i32 s10, s9, 1
	s_cmp_ge_u32 s8, s56
	s_cselect_b32 s8, s10, s9
	s_xor_b32 s8, s8, s7
	s_sub_i32 s7, s8, s7
	s_mul_i32 s8, s7, s52
	s_lshl_b32 s64, s8, 7
	s_cmp_eq_u32 s7, s24
	s_cselect_b32 s66, s53, s52
	s_sub_i32 s8, s63, s20
	s_add_i32 s8, s8, 32
	s_max_i32 s65, s8, 0
	s_and_saveexec_b64 s[8:9], s[2:3]
	s_xor_b64 s[30:31], exec, s[8:9]
	s_cbranch_execz .LBB192_46
; %bb.8:                                ;   in Loop: Header=BB192_7 Depth=1
	s_mul_i32 s7, s7, s50
	s_sub_i32 s6, s6, s7
	s_mul_i32 s6, s6, 48
	s_sub_i32 s18, s6, s21
	s_add_i32 s18, s18, 48
	s_max_i32 s7, s18, 0
	s_sub_i32 s34, s6, s7
	s_and_saveexec_b64 s[6:7], s[0:1]
	s_xor_b64 s[44:45], exec, s[6:7]
	s_cbranch_execz .LBB192_36
; %bb.9:                                ;   in Loop: Header=BB192_7 Depth=1
	s_and_saveexec_b64 s[46:47], s[4:5]
	s_cbranch_execz .LBB192_35
; %bb.10:                               ;   in Loop: Header=BB192_7 Depth=1
	s_waitcnt lgkmcnt(0)
	global_load_dword v71, v31, s[42:43]
	v_mov_b32_e32 v23, 0
	v_cmp_gt_i32_e32 vcc, s66, v70
	v_mov_b32_e32 v22, v23
	v_mov_b32_e32 v21, v23
	;; [unrolled: 1-line block ×23, first 2 shown]
	s_and_saveexec_b64 s[6:7], vcc
	s_cbranch_execz .LBB192_29
; %bb.11:                               ;   in Loop: Header=BB192_7 Depth=1
	v_mov_b32_e32 v0, 0
	s_mov_b64 s[8:9], 0
	v_mov_b32_e32 v1, v0
	v_mov_b32_e32 v2, v0
	;; [unrolled: 1-line block ×23, first 2 shown]
	s_branch .LBB192_13
.LBB192_12:                             ;   in Loop: Header=BB192_13 Depth=2
	s_or_b64 exec, exec, s[10:11]
	v_add_u32_e32 v51, 0x1000, v50
	ds_read2_b32 v[52:53], v51 offset1:32
	v_add_u32_e32 v54, 0x1400, v50
	v_add_u32_e32 v70, s27, v70
	s_waitcnt lgkmcnt(0)
	v_mfma_f32_16x16x32_fp8_fp8 v[12:15], v[34:35], v[52:53], v[12:15]
	ds_read2_b32 v[34:35], v51 offset0:128 offset1:160
	ds_read2_b32 v[50:51], v54 offset1:32
	v_mfma_f32_16x16x32_fp8_fp8 v[0:3], v[44:45], v[52:53], v[0:3]
	s_waitcnt lgkmcnt(1)
	v_mfma_f32_16x16x32_fp8_fp8 v[12:15], v[36:37], v[34:35], v[12:15]
	v_add_u32_e32 v36, s27, v72
	v_cmp_lt_i32_e32 vcc, 2, v36
	v_mfma_f32_16x16x32_fp8_fp8 v[0:3], v[46:47], v[34:35], v[0:3]
	v_add_u32_e32 v34, 2, v56
	v_cndmask_b32_e32 v56, v56, v34, vcc
	v_cmp_le_i32_e32 vcc, s66, v70
	s_waitcnt lgkmcnt(0)
	v_mfma_f32_16x16x32_fp8_fp8 v[12:15], v[38:39], v[50:51], v[12:15]
	ds_read2_b32 v[38:39], v54 offset0:128 offset1:160
	s_or_b64 s[8:9], vcc, s[8:9]
	;;#ASMSTART
	s_waitcnt lgkmcnt(0)
	;;#ASMEND
	v_mfma_f32_16x16x32_fp8_fp8 v[0:3], v[48:49], v[50:51], v[0:3]
	ds_write_b32 v73, v74 offset:30752
	s_waitcnt lgkmcnt(1)
	v_mfma_f32_16x16x32_fp8_fp8 v[12:15], v[40:41], v[38:39], v[12:15]
	v_mfma_f32_16x16x32_fp8_fp8 v[0:3], v[42:43], v[38:39], v[0:3]
	s_andn2_b64 exec, exec, s[8:9]
	s_cbranch_execz .LBB192_28
.LBB192_13:                             ;   Parent Loop BB192_7 Depth=1
                                        ; =>  This Loop Header: Depth=2
                                        ;       Child Loop BB192_15 Depth 3
                                        ;       Child Loop BB192_18 Depth 3
	;; [unrolled: 1-line block ×5, first 2 shown]
	v_cmp_gt_i32_e32 vcc, 3, v36
	s_nop 1
	v_cndmask_b32_e64 v34, -3, 0, vcc
	v_add_u32_e32 v72, v34, v36
	v_mul_lo_u32 v73, v72, 12
	ds_read_b32 v34, v73 offset:30744
	s_waitcnt lgkmcnt(0)
	v_cmp_ne_u32_e32 vcc, v34, v56
	s_and_saveexec_b64 s[10:11], vcc
	s_cbranch_execz .LBB192_16
; %bb.14:                               ;   in Loop: Header=BB192_13 Depth=2
	s_mov_b64 s[12:13], 0
.LBB192_15:                             ;   Parent Loop BB192_7 Depth=1
                                        ;     Parent Loop BB192_13 Depth=2
                                        ; =>    This Inner Loop Header: Depth=3
	;;#ASMSTART
	s_sleep 0
	;;#ASMEND
	ds_read_b32 v34, v73 offset:30744
	s_waitcnt lgkmcnt(0)
	v_cmp_eq_u32_e32 vcc, v34, v56
	s_or_b64 s[12:13], vcc, s[12:13]
	s_andn2_b64 exec, exec, s[12:13]
	s_cbranch_execnz .LBB192_15
.LBB192_16:                             ;   in Loop: Header=BB192_13 Depth=2
	s_or_b64 exec, exec, s[10:11]
	v_mul_lo_u32 v75, v72, s61
	v_or_b32_e32 v34, v57, v75
	ds_read2_b32 v[42:43], v34 offset1:32
	ds_read2_b32 v[50:51], v34 offset0:128 offset1:160
	v_add_u32_e32 v34, 0x400, v34
	v_add_u32_e32 v74, 1, v56
	ds_read2_b32 v[54:55], v34 offset1:32
	ds_read2_b32 v[52:53], v34 offset0:128 offset1:160
	;;#ASMSTART
	s_waitcnt lgkmcnt(0)
	;;#ASMEND
	ds_write_b32 v73, v74 offset:30744
	v_lshlrev_b32_e32 v76, 3, v72
	ds_read_b32 v34, v76 offset:30720
	s_waitcnt lgkmcnt(0)
	v_cmp_ne_u32_e32 vcc, v34, v56
	s_and_saveexec_b64 s[10:11], vcc
	s_cbranch_execz .LBB192_19
; %bb.17:                               ;   in Loop: Header=BB192_13 Depth=2
	s_mov_b64 s[12:13], 0
.LBB192_18:                             ;   Parent Loop BB192_7 Depth=1
                                        ;     Parent Loop BB192_13 Depth=2
                                        ; =>    This Inner Loop Header: Depth=3
	;;#ASMSTART
	s_sleep 0
	;;#ASMEND
	ds_read_b32 v34, v76 offset:30720
	s_waitcnt lgkmcnt(0)
	v_cmp_eq_u32_e32 vcc, v34, v56
	s_or_b64 s[12:13], vcc, s[12:13]
	s_andn2_b64 exec, exec, s[12:13]
	s_cbranch_execnz .LBB192_18
.LBB192_19:                             ;   in Loop: Header=BB192_13 Depth=2
	s_or_b64 exec, exec, s[10:11]
	v_lshlrev_b32_e32 v34, 12, v72
	v_add_u32_e32 v48, v58, v34
	ds_read2_b32 v[34:35], v48 offset1:32
	ds_read2_b32 v[36:37], v48 offset0:128 offset1:160
	v_add_u32_e32 v40, 0x400, v48
	ds_read2_b32 v[38:39], v40 offset1:32
	ds_read2_b32 v[40:41], v40 offset0:128 offset1:160
	ds_read_b32 v44, v76 offset:30724
	ds_write_b32 v76, v74 offset:30720
	s_waitcnt lgkmcnt(5)
	v_mfma_f32_16x16x32_fp8_fp8 v[20:23], v[34:35], v[42:43], v[20:23]
	s_waitcnt lgkmcnt(1)
	v_cmp_ne_u32_e32 vcc, v44, v56
	v_mfma_f32_16x16x32_fp8_fp8 v[20:23], v[36:37], v[50:51], v[20:23]
	v_mfma_f32_16x16x32_fp8_fp8 v[20:23], v[38:39], v[54:55], v[20:23]
	;; [unrolled: 1-line block ×3, first 2 shown]
	s_and_saveexec_b64 s[10:11], vcc
	s_cbranch_execz .LBB192_22
; %bb.20:                               ;   in Loop: Header=BB192_13 Depth=2
	s_mov_b64 s[12:13], 0
.LBB192_21:                             ;   Parent Loop BB192_7 Depth=1
                                        ;     Parent Loop BB192_13 Depth=2
                                        ; =>    This Inner Loop Header: Depth=3
	;;#ASMSTART
	s_sleep 0
	;;#ASMEND
	ds_read_b32 v44, v76 offset:30724
	s_waitcnt lgkmcnt(0)
	v_cmp_eq_u32_e32 vcc, v44, v56
	s_or_b64 s[12:13], vcc, s[12:13]
	s_andn2_b64 exec, exec, s[12:13]
	s_cbranch_execnz .LBB192_21
.LBB192_22:                             ;   in Loop: Header=BB192_13 Depth=2
	s_or_b64 exec, exec, s[10:11]
	v_add_u32_e32 v46, 0x800, v48
	ds_read2_b32 v[44:45], v46 offset1:32
	ds_read2_b32 v[46:47], v46 offset0:128 offset1:160
	v_add_u32_e32 v77, 0xc00, v48
	ds_read2_b32 v[48:49], v77 offset1:32
	ds_write_b32 v76, v74 offset:30724
	s_waitcnt lgkmcnt(3)
	v_mfma_f32_16x16x32_fp8_fp8 v[8:11], v[44:45], v[42:43], v[8:11]
	ds_read2_b32 v[42:43], v77 offset0:128 offset1:160
	s_waitcnt lgkmcnt(3)
	v_mfma_f32_16x16x32_fp8_fp8 v[8:11], v[46:47], v[50:51], v[8:11]
	ds_read_b32 v50, v73 offset:30748
	s_waitcnt lgkmcnt(0)
	v_cmp_ne_u32_e32 vcc, v50, v56
	v_mfma_f32_16x16x32_fp8_fp8 v[8:11], v[48:49], v[54:55], v[8:11]
	v_mfma_f32_16x16x32_fp8_fp8 v[8:11], v[42:43], v[52:53], v[8:11]
	s_and_saveexec_b64 s[10:11], vcc
	s_cbranch_execz .LBB192_25
; %bb.23:                               ;   in Loop: Header=BB192_13 Depth=2
	s_mov_b64 s[12:13], 0
.LBB192_24:                             ;   Parent Loop BB192_7 Depth=1
                                        ;     Parent Loop BB192_13 Depth=2
                                        ; =>    This Inner Loop Header: Depth=3
	;;#ASMSTART
	s_sleep 0
	;;#ASMEND
	ds_read_b32 v50, v73 offset:30748
	s_waitcnt lgkmcnt(0)
	v_cmp_eq_u32_e32 vcc, v50, v56
	s_or_b64 s[12:13], vcc, s[12:13]
	s_andn2_b64 exec, exec, s[12:13]
	s_cbranch_execnz .LBB192_24
.LBB192_25:                             ;   in Loop: Header=BB192_13 Depth=2
	s_or_b64 exec, exec, s[10:11]
	v_add_u32_e32 v50, v57, v75
	v_add_u32_e32 v51, 0x800, v50
	ds_read2_b32 v[52:53], v51 offset1:32
	s_waitcnt lgkmcnt(0)
	v_mfma_f32_16x16x32_fp8_fp8 v[16:19], v[34:35], v[52:53], v[16:19]
	v_mfma_f32_16x16x32_fp8_fp8 v[4:7], v[44:45], v[52:53], v[4:7]
	ds_read2_b32 v[52:53], v51 offset0:128 offset1:160
	v_add_u32_e32 v51, 0xc00, v50
	ds_read2_b32 v[54:55], v51 offset1:32
	s_waitcnt lgkmcnt(1)
	v_mfma_f32_16x16x32_fp8_fp8 v[16:19], v[36:37], v[52:53], v[16:19]
	ds_read2_b32 v[76:77], v51 offset0:128 offset1:160
	;;#ASMSTART
	s_waitcnt lgkmcnt(0)
	;;#ASMEND
	ds_read_b32 v51, v73 offset:30752
	v_mfma_f32_16x16x32_fp8_fp8 v[4:7], v[46:47], v[52:53], v[4:7]
	ds_write_b32 v73, v74 offset:30748
	s_waitcnt lgkmcnt(1)
	v_cmp_ne_u32_e32 vcc, v51, v56
	v_mfma_f32_16x16x32_fp8_fp8 v[16:19], v[38:39], v[54:55], v[16:19]
	v_mfma_f32_16x16x32_fp8_fp8 v[4:7], v[48:49], v[54:55], v[4:7]
	;; [unrolled: 1-line block ×4, first 2 shown]
	s_and_saveexec_b64 s[10:11], vcc
	s_cbranch_execz .LBB192_12
; %bb.26:                               ;   in Loop: Header=BB192_13 Depth=2
	s_mov_b64 s[12:13], 0
.LBB192_27:                             ;   Parent Loop BB192_7 Depth=1
                                        ;     Parent Loop BB192_13 Depth=2
                                        ; =>    This Inner Loop Header: Depth=3
	;;#ASMSTART
	s_sleep 0
	;;#ASMEND
	ds_read_b32 v51, v73 offset:30752
	s_waitcnt lgkmcnt(0)
	v_cmp_eq_u32_e32 vcc, v51, v56
	s_or_b64 s[12:13], vcc, s[12:13]
	s_andn2_b64 exec, exec, s[12:13]
	s_cbranch_execnz .LBB192_27
	s_branch .LBB192_12
.LBB192_28:                             ;   in Loop: Header=BB192_7 Depth=1
	s_or_b64 exec, exec, s[8:9]
.LBB192_29:                             ;   in Loop: Header=BB192_7 Depth=1
	s_or_b64 exec, exec, s[6:7]
	v_cmp_le_i32_e32 vcc, s18, v24
	v_cmp_eq_u32_e64 s[6:7], 2, v59
	v_cmp_eq_u32_e64 s[8:9], 3, v59
	s_waitcnt vmcnt(0)
	v_cndmask_b32_e32 v34, 0, v71, vcc
	v_pk_mul_f32 v[20:21], v[34:35], v[20:21] op_sel_hi:[0,1]
	v_cmp_eq_u32_e32 vcc, 1, v59
	v_pk_mul_f32 v[38:39], v[34:35], v[22:23] op_sel_hi:[0,1]
	v_cmp_eq_u32_e64 s[10:11], 0, v59
	v_cndmask_b32_e32 v22, v20, v21, vcc
	v_cndmask_b32_e64 v22, v22, v38, s[6:7]
	v_cndmask_b32_e64 v22, v22, v39, s[8:9]
	ds_bpermute_b32 v35, v69, v22
	v_cmp_le_i32_e64 s[14:15], s18, v61
	v_cmp_eq_u32_e64 s[12:13], 1, v60
	v_cmp_le_i32_e64 s[18:19], s18, v62
	v_cmp_eq_u32_e64 s[16:17], 3, v60
	s_waitcnt lgkmcnt(0)
	v_cndmask_b32_e64 v22, v39, v35, s[8:9]
	v_cndmask_b32_e64 v23, v38, v35, s[6:7]
	v_cndmask_b32_e32 v21, v21, v35, vcc
	v_cndmask_b32_e64 v35, v20, v35, s[10:11]
	v_cndmask_b32_e64 v20, 0, v71, s[14:15]
	v_pk_mul_f32 v[16:17], v[20:21], v[16:17] op_sel_hi:[0,1]
	v_pk_mul_f32 v[38:39], v[20:21], v[18:19] op_sel_hi:[0,1]
	v_cndmask_b32_e32 v18, v16, v17, vcc
	v_cndmask_b32_e64 v18, v18, v38, s[6:7]
	v_cndmask_b32_e64 v18, v18, v39, s[8:9]
	ds_bpermute_b32 v41, v69, v18
	v_cndmask_b32_e64 v37, v35, v21, s[12:13]
	v_cmp_eq_u32_e64 s[14:15], 2, v60
	s_waitcnt lgkmcnt(0)
	v_cndmask_b32_e64 v19, v39, v41, s[8:9]
	v_cndmask_b32_e64 v18, v37, v23, s[14:15]
	;; [unrolled: 1-line block ×3, first 2 shown]
	v_cndmask_b32_e32 v40, v17, v41, vcc
	v_cndmask_b32_e64 v41, v16, v41, s[10:11]
	v_cndmask_b32_e64 v16, 0, v71, s[18:19]
	v_pk_mul_f32 v[42:43], v[16:17], v[12:13] op_sel_hi:[0,1]
	v_pk_mul_f32 v[38:39], v[16:17], v[14:15] op_sel_hi:[0,1]
	v_cndmask_b32_e32 v12, v42, v43, vcc
	v_cndmask_b32_e64 v12, v12, v38, s[6:7]
	v_cndmask_b32_e64 v12, v12, v39, s[8:9]
	ds_bpermute_b32 v13, v69, v12
	v_cndmask_b32_e64 v12, v41, v40, s[12:13]
	v_cndmask_b32_e64 v12, v12, v37, s[14:15]
	;; [unrolled: 1-line block ×3, first 2 shown]
	v_cmp_ne_u32_e32 vcc, 0, v59
	ds_bpermute_b32 v14, v69, v12
	s_waitcnt lgkmcnt(1)
	v_cndmask_b32_e64 v15, v39, v13, s[8:9]
	v_cndmask_b32_e64 v38, v38, v13, s[6:7]
	v_cndmask_b32_e32 v12, v43, v13, vcc
	v_cndmask_b32_e64 v13, v42, v13, s[10:11]
	v_cndmask_b32_e64 v17, v13, v12, s[12:13]
	;; [unrolled: 1-line block ×5, first 2 shown]
	ds_bpermute_b32 v18, v69, v18
	ds_bpermute_b32 v39, v69, v17
	v_add_u32_e32 v17, s65, v63
	v_cmp_gt_u32_e32 vcc, 32, v17
	s_and_saveexec_b64 s[18:19], vcc
	s_cbranch_execz .LBB192_34
; %bb.30:                               ;   in Loop: Header=BB192_7 Depth=1
	v_cmp_eq_u32_e64 s[8:9], 1, v60
	v_cmp_eq_u32_e64 s[10:11], 0, v60
	v_cmp_eq_u32_e32 vcc, 3, v60
	s_waitcnt lgkmcnt(1)
	v_cndmask_b32_e64 v21, v21, v18, s[8:9]
	v_cndmask_b32_e64 v40, v40, v14, s[8:9]
	s_waitcnt lgkmcnt(0)
	v_cndmask_b32_e64 v42, v12, v39, s[8:9]
	s_mul_i32 s8, s63, s21
	s_ashr_i32 s9, s8, 31
	v_cndmask_b32_e64 v35, v35, v18, s[10:11]
	s_lshl_b64 s[8:9], s[8:9], 1
	v_cndmask_b32_e64 v41, v41, v14, s[10:11]
	v_cndmask_b32_e64 v43, v13, v39, s[10:11]
	s_add_u32 s10, s40, s8
	v_cvt_f16_f32_e32 v35, v35
	v_cvt_f16_f32_sdwa v21, v21 dst_sel:WORD_1 dst_unused:UNUSED_PAD src0_sel:DWORD
	s_addc_u32 s11, s41, s9
	s_ashr_i32 s35, s34, 31
	s_lshl_b64 s[8:9], s[34:35], 1
	s_add_u32 s48, s10, s8
	s_addc_u32 s49, s11, s9
	v_or_b32_e32 v21, v21, v35
	v_lshl_add_u64 v[12:13], v[26:27], 1, s[48:49]
	;;#ASMSTART
	global_atomic_pk_add_f16 v[12:13], v21, off
	
	;;#ASMEND
	v_cvt_f16_f32_e32 v21, v41
	v_cvt_f16_f32_sdwa v35, v40 dst_sel:WORD_1 dst_unused:UNUSED_PAD src0_sel:DWORD
	v_cvt_f16_f32_e32 v43, v43
	v_cvt_f16_f32_sdwa v42, v42 dst_sel:WORD_1 dst_unused:UNUSED_PAD src0_sel:DWORD
	v_cmp_eq_u32_e64 s[6:7], 2, v60
	v_lshl_add_u64 v[40:41], v[12:13], 0, 32
	v_or_b32_e32 v21, v35, v21
	v_cmp_gt_u32_e64 s[8:9], 30, v17
	;;#ASMSTART
	global_atomic_pk_add_f16 v[40:41], v21, off
	
	;;#ASMEND
	v_lshl_add_u64 v[40:41], v[12:13], 0, 64
	v_or_b32_e32 v21, v42, v43
	;;#ASMSTART
	global_atomic_pk_add_f16 v[40:41], v21, off
	
	;;#ASMEND
	s_and_b64 exec, exec, s[8:9]
	s_cbranch_execz .LBB192_34
; %bb.31:                               ;   in Loop: Header=BB192_7 Depth=1
	v_cndmask_b32_e32 v22, v22, v18, vcc
	v_cndmask_b32_e64 v18, v23, v18, s[6:7]
	v_cndmask_b32_e32 v19, v19, v14, vcc
	v_cndmask_b32_e64 v14, v37, v14, s[6:7]
	v_cndmask_b32_e32 v23, v15, v39, vcc
	v_cvt_f16_f32_e32 v15, v18
	v_cvt_f16_f32_sdwa v18, v22 dst_sel:WORD_1 dst_unused:UNUSED_PAD src0_sel:DWORD
	v_cvt_f16_f32_e32 v22, v14
	v_cvt_f16_f32_sdwa v19, v19 dst_sel:WORD_1 dst_unused:UNUSED_PAD src0_sel:DWORD
	v_mov_b32_e32 v35, v34
	v_or_b32_e32 v14, v18, v15
	v_mov_b32_e32 v18, v34
	v_or_b32_e32 v22, v19, v22
	v_mov_b32_e32 v19, v34
	v_pk_mul_f32 v[10:11], v[18:19], v[10:11]
	v_pk_mul_f32 v[18:19], v[34:35], v[8:9]
	v_cmp_eq_u32_e32 vcc, 1, v59
	v_cndmask_b32_e64 v37, v38, v39, s[6:7]
	v_cmp_eq_u32_e64 s[6:7], 2, v59
	v_cndmask_b32_e32 v8, v18, v19, vcc
	v_cmp_eq_u32_e64 s[8:9], 3, v59
	v_cndmask_b32_e64 v8, v8, v10, s[6:7]
	v_lshl_add_u64 v[12:13], s[28:29], 2, v[12:13]
	v_cndmask_b32_e64 v8, v8, v11, s[8:9]
	v_mov_b32_e32 v21, v20
	;;#ASMSTART
	global_atomic_pk_add_f16 v[12:13], v14, off
	
	;;#ASMEND
	v_lshl_add_u64 v[14:15], v[12:13], 0, 32
	ds_bpermute_b32 v34, v69, v8
	;;#ASMSTART
	global_atomic_pk_add_f16 v[14:15], v22, off
	
	;;#ASMEND
	v_cvt_f16_f32_sdwa v35, v23 dst_sel:WORD_1 dst_unused:UNUSED_PAD src0_sel:DWORD
	v_lshl_add_u64 v[22:23], v[12:13], 0, 64
	v_mov_b32_e32 v12, v20
	v_mov_b32_e32 v13, v20
	v_pk_mul_f32 v[6:7], v[12:13], v[6:7]
	v_pk_mul_f32 v[12:13], v[20:21], v[4:5]
	v_cmp_eq_u32_e64 s[10:11], 0, v59
	v_cndmask_b32_e32 v4, v12, v13, vcc
	v_cndmask_b32_e64 v4, v4, v6, s[6:7]
	v_cndmask_b32_e64 v4, v4, v7, s[8:9]
	s_waitcnt lgkmcnt(0)
	v_cndmask_b32_e64 v8, v11, v34, s[8:9]
	v_cndmask_b32_e64 v11, v18, v34, s[10:11]
	ds_bpermute_b32 v18, v69, v4
	v_cndmask_b32_e64 v9, v10, v34, s[6:7]
	v_cndmask_b32_e32 v10, v19, v34, vcc
	v_cmp_eq_u32_e64 s[12:13], 1, v60
	v_mov_b32_e32 v17, v16
	v_cmp_eq_u32_e64 s[14:15], 2, v60
	v_cndmask_b32_e64 v14, v11, v10, s[12:13]
	s_waitcnt lgkmcnt(0)
	v_cndmask_b32_e64 v5, v7, v18, s[8:9]
	v_cndmask_b32_e64 v4, v14, v9, s[14:15]
	;; [unrolled: 1-line block ×3, first 2 shown]
	v_cndmask_b32_e32 v13, v13, v18, vcc
	v_cndmask_b32_e64 v14, v12, v18, s[10:11]
	v_mov_b32_e32 v18, v16
	v_mov_b32_e32 v19, v16
	v_pk_mul_f32 v[16:17], v[16:17], v[0:1]
	v_pk_mul_f32 v[18:19], v[18:19], v[2:3]
	v_cndmask_b32_e32 v0, v16, v17, vcc
	v_cndmask_b32_e64 v0, v0, v18, s[6:7]
	v_cndmask_b32_e64 v0, v0, v19, s[8:9]
	ds_bpermute_b32 v1, v69, v0
	v_cndmask_b32_e64 v0, v14, v13, s[12:13]
	v_cmp_eq_u32_e64 s[16:17], 3, v60
	v_cndmask_b32_e64 v0, v0, v6, s[14:15]
	v_cmp_ne_u32_e32 vcc, 0, v59
	v_cndmask_b32_e64 v0, v0, v5, s[16:17]
	ds_bpermute_b32 v7, v69, v0
	s_waitcnt lgkmcnt(1)
	v_cndmask_b32_e64 v2, v19, v1, s[8:9]
	v_cndmask_b32_e64 v3, v18, v1, s[6:7]
	v_cndmask_b32_e32 v0, v17, v1, vcc
	v_cndmask_b32_e64 v1, v16, v1, s[10:11]
	v_cndmask_b32_e64 v12, v1, v0, s[12:13]
	v_cvt_f16_f32_e32 v15, v37
	v_cndmask_b32_e64 v12, v12, v3, s[14:15]
	v_cndmask_b32_e64 v4, v4, v8, s[16:17]
	;; [unrolled: 1-line block ×3, first 2 shown]
	ds_bpermute_b32 v4, v69, v4
	ds_bpermute_b32 v12, v69, v12
	v_or_b32_e32 v15, v35, v15
	;;#ASMSTART
	global_atomic_pk_add_f16 v[22:23], v15, off
	
	;;#ASMEND
	v_add_u32_e32 v15, s65, v64
	v_cmp_gt_u32_e32 vcc, 32, v15
	s_and_b64 exec, exec, vcc
	s_cbranch_execz .LBB192_34
; %bb.32:                               ;   in Loop: Header=BB192_7 Depth=1
	v_cmp_eq_u32_e64 s[8:9], 1, v60
	v_cmp_eq_u32_e64 s[10:11], 0, v60
	v_cmp_eq_u32_e32 vcc, 3, v60
	s_waitcnt lgkmcnt(1)
	v_cndmask_b32_e64 v10, v10, v4, s[8:9]
	v_cndmask_b32_e64 v11, v11, v4, s[10:11]
	;; [unrolled: 1-line block ×4, first 2 shown]
	v_cvt_f16_f32_e32 v11, v11
	v_cvt_f16_f32_sdwa v10, v10 dst_sel:WORD_1 dst_unused:UNUSED_PAD src0_sel:DWORD
	s_waitcnt lgkmcnt(0)
	v_cndmask_b32_e64 v16, v0, v12, s[8:9]
	v_cndmask_b32_e64 v17, v1, v12, s[10:11]
	v_cvt_f16_f32_e32 v14, v14
	v_cvt_f16_f32_sdwa v13, v13 dst_sel:WORD_1 dst_unused:UNUSED_PAD src0_sel:DWORD
	v_cvt_f16_f32_e32 v17, v17
	v_cvt_f16_f32_sdwa v16, v16 dst_sel:WORD_1 dst_unused:UNUSED_PAD src0_sel:DWORD
	v_lshl_add_u64 v[0:1], v[28:29], 1, s[48:49]
	v_or_b32_e32 v10, v10, v11
	v_cmp_eq_u32_e64 s[6:7], 2, v60
	;;#ASMSTART
	global_atomic_pk_add_f16 v[0:1], v10, off
	
	;;#ASMEND
	v_lshl_add_u64 v[10:11], v[0:1], 0, 32
	v_or_b32_e32 v13, v13, v14
	v_cmp_gt_u32_e64 s[8:9], 30, v15
	;;#ASMSTART
	global_atomic_pk_add_f16 v[10:11], v13, off
	
	;;#ASMEND
	v_lshl_add_u64 v[10:11], v[0:1], 0, 64
	v_or_b32_e32 v13, v16, v17
	;;#ASMSTART
	global_atomic_pk_add_f16 v[10:11], v13, off
	
	;;#ASMEND
	s_and_b64 exec, exec, s[8:9]
	s_cbranch_execz .LBB192_34
; %bb.33:                               ;   in Loop: Header=BB192_7 Depth=1
	v_cndmask_b32_e32 v8, v8, v4, vcc
	v_cndmask_b32_e64 v4, v9, v4, s[6:7]
	v_cndmask_b32_e32 v5, v5, v7, vcc
	v_cndmask_b32_e64 v6, v6, v7, s[6:7]
	v_cvt_f16_f32_e32 v4, v4
	v_cvt_f16_f32_sdwa v7, v8 dst_sel:WORD_1 dst_unused:UNUSED_PAD src0_sel:DWORD
	v_cndmask_b32_e32 v8, v2, v12, vcc
	v_cndmask_b32_e64 v9, v3, v12, s[6:7]
	v_cvt_f16_f32_sdwa v5, v5 dst_sel:WORD_1 dst_unused:UNUSED_PAD src0_sel:DWORD
	v_or_b32_e32 v2, v7, v4
	v_cvt_f16_f32_e32 v4, v6
	v_cvt_f16_f32_e32 v6, v9
	v_cvt_f16_f32_sdwa v7, v8 dst_sel:WORD_1 dst_unused:UNUSED_PAD src0_sel:DWORD
	v_lshl_add_u64 v[0:1], s[28:29], 2, v[0:1]
	;;#ASMSTART
	global_atomic_pk_add_f16 v[0:1], v2, off
	
	;;#ASMEND
	v_lshl_add_u64 v[2:3], v[0:1], 0, 32
	v_or_b32_e32 v4, v5, v4
	;;#ASMSTART
	global_atomic_pk_add_f16 v[2:3], v4, off
	
	;;#ASMEND
	v_lshl_add_u64 v[0:1], v[0:1], 0, 64
	v_or_b32_e32 v2, v7, v6
	;;#ASMSTART
	global_atomic_pk_add_f16 v[0:1], v2, off
	
	;;#ASMEND
.LBB192_34:                             ;   in Loop: Header=BB192_7 Depth=1
	s_or_b64 exec, exec, s[18:19]
	v_subrev_u32_e32 v70, s66, v70
.LBB192_35:                             ;   in Loop: Header=BB192_7 Depth=1
	s_or_b64 exec, exec, s[46:47]
.LBB192_36:                             ;   in Loop: Header=BB192_7 Depth=1
	s_andn2_saveexec_b64 s[6:7], s[44:45]
	s_cbranch_execz .LBB192_45
; %bb.37:                               ;   in Loop: Header=BB192_7 Depth=1
	s_mul_i32 s16, s66, 3
	v_cmp_gt_i32_e32 vcc, s16, v70
	s_and_saveexec_b64 s[8:9], vcc
	s_cbranch_execz .LBB192_44
; %bb.38:                               ;   in Loop: Header=BB192_7 Depth=1
	s_mul_i32 s10, s34, s23
	s_ashr_i32 s11, s10, 31
	s_waitcnt lgkmcnt(0)
	s_add_u32 s10, s38, s10
	s_addc_u32 s11, s39, s11
	s_ashr_i32 s12, s64, 31
	s_add_u32 s10, s10, s64
	s_addc_u32 s11, s11, s12
	v_lshl_add_u64 v[0:1], s[10:11], 0, v[32:33]
	v_lshl_add_u64 v[8:9], v[0:1], 0, v[30:31]
	s_mov_b64 s[10:11], 0
	s_branch .LBB192_40
.LBB192_39:                             ;   in Loop: Header=BB192_40 Depth=2
	s_or_b64 exec, exec, s[12:13]
	v_lshl_or_b32 v12, v10, 11, v66
	;;#ASMSTART
	s_waitcnt vmcnt(1)
	;;#ASMEND
	ds_write2_b32 v12, v4, v5 offset1:32
	ds_write2_b32 v12, v6, v7 offset0:64 offset1:96
	v_add_u32_e32 v4, 0x400, v12
	v_add_u32_e32 v70, s26, v70
	;;#ASMSTART
	s_waitcnt vmcnt(0)
	;;#ASMEND
	ds_write2_b32 v4, v0, v1 offset1:32
	ds_write2_b32 v4, v2, v3 offset0:64 offset1:96
	v_add_u32_e32 v0, 1, v56
	v_add_u32_e32 v36, s26, v10
	v_cmp_le_i32_e32 vcc, s16, v70
	ds_write_b32 v11, v0 offset:24
	v_add_u32_e32 v0, 2, v56
	s_or_b64 s[10:11], vcc, s[10:11]
	v_cmp_lt_i32_e32 vcc, 8, v36
	s_nop 1
	v_cndmask_b32_e32 v56, v56, v0, vcc
	s_andn2_b64 exec, exec, s[10:11]
	s_cbranch_execz .LBB192_43
.LBB192_40:                             ;   Parent Loop BB192_7 Depth=1
                                        ; =>  This Loop Header: Depth=2
                                        ;       Child Loop BB192_42 Depth 3
	v_cmp_gt_i32_e32 vcc, 9, v36
	s_nop 1
	v_cndmask_b32_e64 v0, -9, 0, vcc
	v_add_u32_e32 v10, v0, v36
	v_mul_hi_i32 v0, v70, s62
	v_lshrrev_b32_e32 v1, 31, v0
	v_add_u32_e32 v0, v0, v1
	v_lshl_add_u32 v1, v0, 1, v0
	v_sub_u32_e32 v2, v70, v1
	v_lshlrev_b32_e32 v0, 7, v0
	v_ashrrev_i32_e32 v1, 31, v0
	v_mul_lo_u32 v2, s55, v2
	v_lshl_add_u64 v[0:1], v[8:9], 0, v[0:1]
	v_ashrrev_i32_e32 v3, 31, v2
	v_lshl_add_u64 v[0:1], v[0:1], 0, v[2:3]
	v_lshlrev_b32_e32 v11, 2, v10
	;;#ASMSTART
	global_load_dwordx4 v[4:7], v[0:1], off offset:0   sc0 sc1 nt  
	global_load_dwordx4 v[0:3], v[0:1], off offset:64  sc0 sc1 nt  
	
	;;#ASMEND
	ds_read_b32 v12, v11 offset:30744
	v_add_u32_e32 v11, 0x7800, v11
	s_waitcnt lgkmcnt(0)
	v_cmp_ne_u32_e32 vcc, v12, v56
	s_and_saveexec_b64 s[12:13], vcc
	s_cbranch_execz .LBB192_39
; %bb.41:                               ;   in Loop: Header=BB192_40 Depth=2
	s_mov_b64 s[14:15], 0
.LBB192_42:                             ;   Parent Loop BB192_7 Depth=1
                                        ;     Parent Loop BB192_40 Depth=2
                                        ; =>    This Inner Loop Header: Depth=3
	;;#ASMSTART
	s_sleep 0
	;;#ASMEND
	ds_read_b32 v12, v11 offset:24
	s_waitcnt lgkmcnt(0)
	v_cmp_eq_u32_e32 vcc, v12, v56
	s_or_b64 s[14:15], vcc, s[14:15]
	s_andn2_b64 exec, exec, s[14:15]
	s_cbranch_execnz .LBB192_42
	s_branch .LBB192_39
.LBB192_43:                             ;   in Loop: Header=BB192_7 Depth=1
	s_or_b64 exec, exec, s[10:11]
.LBB192_44:                             ;   in Loop: Header=BB192_7 Depth=1
	s_or_b64 exec, exec, s[8:9]
	v_subrev_u32_e32 v70, s16, v70
.LBB192_45:                             ;   in Loop: Header=BB192_7 Depth=1
	s_or_b64 exec, exec, s[6:7]
.LBB192_46:                             ;   in Loop: Header=BB192_7 Depth=1
	s_andn2_saveexec_b64 s[6:7], s[30:31]
	s_cbranch_execz .LBB192_6
; %bb.47:                               ;   in Loop: Header=BB192_7 Depth=1
	s_lshl_b32 s16, s66, 1
	v_cmp_gt_i32_e32 vcc, s16, v70
	s_and_saveexec_b64 s[8:9], vcc
	s_cbranch_execz .LBB192_5
; %bb.48:                               ;   in Loop: Header=BB192_7 Depth=1
	s_mul_i32 s63, s63, s22
	s_ashr_i32 s10, s63, 31
	s_waitcnt lgkmcnt(0)
	s_add_u32 s11, s36, s63
	v_add_u32_e32 v2, s65, v65
	s_addc_u32 s12, s37, s10
	s_ashr_i32 s13, s64, 31
	v_cmp_gt_u32_e32 vcc, 32, v2
	s_add_u32 s10, s11, s64
	s_addc_u32 s11, s12, s13
	v_cndmask_b32_e32 v0, 0, v67, vcc
	v_ashrrev_i32_e32 v1, 31, v0
	v_lshl_add_u64 v[0:1], s[10:11], 0, v[0:1]
	v_lshl_add_u64 v[8:9], v[0:1], 0, v[30:31]
	v_sub_u32_e32 v10, 31, v2
	s_mov_b64 s[10:11], 0
	s_branch .LBB192_50
.LBB192_49:                             ;   in Loop: Header=BB192_50 Depth=2
	s_or_b64 exec, exec, s[12:13]
	v_lshl_add_u32 v13, v11, 11, v68
	;;#ASMSTART
	s_waitcnt vmcnt(1)
	;;#ASMEND
	ds_write2_b32 v13, v4, v5 offset1:32
	ds_write2_b32 v13, v6, v7 offset0:64 offset1:96
	v_add_u32_e32 v4, 0x400, v13
	v_add_u32_e32 v70, s25, v70
	;;#ASMSTART
	s_waitcnt vmcnt(0)
	;;#ASMEND
	ds_write2_b32 v4, v0, v1 offset1:32
	ds_write2_b32 v4, v2, v3 offset0:64 offset1:96
	v_add_u32_e32 v0, 1, v56
	v_add_u32_e32 v36, s25, v11
	v_cmp_le_i32_e32 vcc, s16, v70
	ds_write_b32 v12, v0
	v_add_u32_e32 v0, 2, v56
	s_or_b64 s[10:11], vcc, s[10:11]
	v_cmp_lt_i32_e32 vcc, 5, v36
	s_nop 1
	v_cndmask_b32_e32 v56, v56, v0, vcc
	s_andn2_b64 exec, exec, s[10:11]
	s_cbranch_execz .LBB192_4
.LBB192_50:                             ;   Parent Loop BB192_7 Depth=1
                                        ; =>  This Loop Header: Depth=2
                                        ;       Child Loop BB192_52 Depth 3
	v_cmp_gt_i32_e32 vcc, 6, v36
	s_nop 1
	v_cndmask_b32_e64 v0, -6, 0, vcc
	v_add_u32_e32 v11, v0, v36
	v_lshrrev_b32_e32 v0, 31, v70
	v_add_u32_e32 v0, v70, v0
	v_and_b32_e32 v1, 0xffffffe, v0
	v_sub_u32_e32 v1, v70, v1
	v_lshlrev_b32_e32 v1, 4, v1
	v_cmp_le_i32_e32 vcc, v1, v10
	v_lshlrev_b32_e32 v0, 6, v0
	v_and_b32_e32 v0, 0xffffff80, v0
	v_cndmask_b32_e32 v2, 0, v1, vcc
	v_ashrrev_i32_e32 v1, 31, v0
	v_mul_lo_u32 v2, v2, s22
	v_lshl_add_u64 v[0:1], v[8:9], 0, v[0:1]
	v_ashrrev_i32_e32 v3, 31, v2
	v_lshl_add_u64 v[0:1], v[0:1], 0, v[2:3]
	v_lshlrev_b32_e32 v12, 2, v11
	;;#ASMSTART
	global_load_dwordx4 v[4:7], v[0:1], off offset:0   
	global_load_dwordx4 v[0:3], v[0:1], off offset:64  
	
	;;#ASMEND
	ds_read_b32 v13, v12 offset:30720
	v_add_u32_e32 v12, 0x7800, v12
	s_waitcnt lgkmcnt(0)
	v_cmp_ne_u32_e32 vcc, v13, v56
	s_and_saveexec_b64 s[12:13], vcc
	s_cbranch_execz .LBB192_49
; %bb.51:                               ;   in Loop: Header=BB192_50 Depth=2
	s_mov_b64 s[14:15], 0
.LBB192_52:                             ;   Parent Loop BB192_7 Depth=1
                                        ;     Parent Loop BB192_50 Depth=2
                                        ; =>    This Inner Loop Header: Depth=3
	;;#ASMSTART
	s_sleep 0
	;;#ASMEND
	ds_read_b32 v13, v12
	s_waitcnt lgkmcnt(0)
	v_cmp_eq_u32_e32 vcc, v13, v56
	s_or_b64 s[14:15], vcc, s[14:15]
	s_andn2_b64 exec, exec, s[14:15]
	s_cbranch_execnz .LBB192_52
	s_branch .LBB192_49
.LBB192_53:
	s_endpgm
	.section	.rodata,"a",@progbits
	.p2align	6, 0x0
	.amdhsa_kernel _Z19_skinny_gemm_kernelILi2ELi3ELi3ELi16ELi4EEvPKhS1_P6__halfPKfiiiiiiii
		.amdhsa_group_segment_fixed_size 30780
		.amdhsa_private_segment_fixed_size 0
		.amdhsa_kernarg_size 64
		.amdhsa_user_sgpr_count 2
		.amdhsa_user_sgpr_dispatch_ptr 0
		.amdhsa_user_sgpr_queue_ptr 0
		.amdhsa_user_sgpr_kernarg_segment_ptr 1
		.amdhsa_user_sgpr_dispatch_id 0
		.amdhsa_user_sgpr_kernarg_preload_length 0
		.amdhsa_user_sgpr_kernarg_preload_offset 0
		.amdhsa_user_sgpr_private_segment_size 0
		.amdhsa_uses_dynamic_stack 0
		.amdhsa_enable_private_segment 0
		.amdhsa_system_sgpr_workgroup_id_x 1
		.amdhsa_system_sgpr_workgroup_id_y 0
		.amdhsa_system_sgpr_workgroup_id_z 0
		.amdhsa_system_sgpr_workgroup_info 0
		.amdhsa_system_vgpr_workitem_id 0
		.amdhsa_next_free_vgpr 78
		.amdhsa_next_free_sgpr 67
		.amdhsa_accum_offset 80
		.amdhsa_reserve_vcc 1
		.amdhsa_float_round_mode_32 0
		.amdhsa_float_round_mode_16_64 0
		.amdhsa_float_denorm_mode_32 3
		.amdhsa_float_denorm_mode_16_64 3
		.amdhsa_dx10_clamp 1
		.amdhsa_ieee_mode 1
		.amdhsa_fp16_overflow 0
		.amdhsa_tg_split 0
		.amdhsa_exception_fp_ieee_invalid_op 0
		.amdhsa_exception_fp_denorm_src 0
		.amdhsa_exception_fp_ieee_div_zero 0
		.amdhsa_exception_fp_ieee_overflow 0
		.amdhsa_exception_fp_ieee_underflow 0
		.amdhsa_exception_fp_ieee_inexact 0
		.amdhsa_exception_int_div_zero 0
	.end_amdhsa_kernel
	.section	.text._Z19_skinny_gemm_kernelILi2ELi3ELi3ELi16ELi4EEvPKhS1_P6__halfPKfiiiiiiii,"axG",@progbits,_Z19_skinny_gemm_kernelILi2ELi3ELi3ELi16ELi4EEvPKhS1_P6__halfPKfiiiiiiii,comdat
.Lfunc_end192:
	.size	_Z19_skinny_gemm_kernelILi2ELi3ELi3ELi16ELi4EEvPKhS1_P6__halfPKfiiiiiiii, .Lfunc_end192-_Z19_skinny_gemm_kernelILi2ELi3ELi3ELi16ELi4EEvPKhS1_P6__halfPKfiiiiiiii
                                        ; -- End function
	.set _Z19_skinny_gemm_kernelILi2ELi3ELi3ELi16ELi4EEvPKhS1_P6__halfPKfiiiiiiii.num_vgpr, 78
	.set _Z19_skinny_gemm_kernelILi2ELi3ELi3ELi16ELi4EEvPKhS1_P6__halfPKfiiiiiiii.num_agpr, 0
	.set _Z19_skinny_gemm_kernelILi2ELi3ELi3ELi16ELi4EEvPKhS1_P6__halfPKfiiiiiiii.numbered_sgpr, 67
	.set _Z19_skinny_gemm_kernelILi2ELi3ELi3ELi16ELi4EEvPKhS1_P6__halfPKfiiiiiiii.num_named_barrier, 0
	.set _Z19_skinny_gemm_kernelILi2ELi3ELi3ELi16ELi4EEvPKhS1_P6__halfPKfiiiiiiii.private_seg_size, 0
	.set _Z19_skinny_gemm_kernelILi2ELi3ELi3ELi16ELi4EEvPKhS1_P6__halfPKfiiiiiiii.uses_vcc, 1
	.set _Z19_skinny_gemm_kernelILi2ELi3ELi3ELi16ELi4EEvPKhS1_P6__halfPKfiiiiiiii.uses_flat_scratch, 0
	.set _Z19_skinny_gemm_kernelILi2ELi3ELi3ELi16ELi4EEvPKhS1_P6__halfPKfiiiiiiii.has_dyn_sized_stack, 0
	.set _Z19_skinny_gemm_kernelILi2ELi3ELi3ELi16ELi4EEvPKhS1_P6__halfPKfiiiiiiii.has_recursion, 0
	.set _Z19_skinny_gemm_kernelILi2ELi3ELi3ELi16ELi4EEvPKhS1_P6__halfPKfiiiiiiii.has_indirect_call, 0
	.section	.AMDGPU.csdata,"",@progbits
; Kernel info:
; codeLenInByte = 4816
; TotalNumSgprs: 73
; NumVgprs: 78
; NumAgprs: 0
; TotalNumVgprs: 78
; ScratchSize: 0
; MemoryBound: 0
; FloatMode: 240
; IeeeMode: 1
; LDSByteSize: 30780 bytes/workgroup (compile time only)
; SGPRBlocks: 9
; VGPRBlocks: 9
; NumSGPRsForWavesPerEU: 73
; NumVGPRsForWavesPerEU: 78
; AccumOffset: 80
; Occupancy: 6
; WaveLimiterHint : 0
; COMPUTE_PGM_RSRC2:SCRATCH_EN: 0
; COMPUTE_PGM_RSRC2:USER_SGPR: 2
; COMPUTE_PGM_RSRC2:TRAP_HANDLER: 0
; COMPUTE_PGM_RSRC2:TGID_X_EN: 1
; COMPUTE_PGM_RSRC2:TGID_Y_EN: 0
; COMPUTE_PGM_RSRC2:TGID_Z_EN: 0
; COMPUTE_PGM_RSRC2:TIDIG_COMP_CNT: 0
; COMPUTE_PGM_RSRC3_GFX90A:ACCUM_OFFSET: 19
; COMPUTE_PGM_RSRC3_GFX90A:TG_SPLIT: 0
	.section	.text._Z19_skinny_gemm_kernelILi2ELi3ELi3ELi16ELi8EEvPKhS1_P6__halfPKfiiiiiiii,"axG",@progbits,_Z19_skinny_gemm_kernelILi2ELi3ELi3ELi16ELi8EEvPKhS1_P6__halfPKfiiiiiiii,comdat
	.protected	_Z19_skinny_gemm_kernelILi2ELi3ELi3ELi16ELi8EEvPKhS1_P6__halfPKfiiiiiiii ; -- Begin function _Z19_skinny_gemm_kernelILi2ELi3ELi3ELi16ELi8EEvPKhS1_P6__halfPKfiiiiiiii
	.globl	_Z19_skinny_gemm_kernelILi2ELi3ELi3ELi16ELi8EEvPKhS1_P6__halfPKfiiiiiiii
	.p2align	8
	.type	_Z19_skinny_gemm_kernelILi2ELi3ELi3ELi16ELi8EEvPKhS1_P6__halfPKfiiiiiiii,@function
_Z19_skinny_gemm_kernelILi2ELi3ELi3ELi16ELi8EEvPKhS1_P6__halfPKfiiiiiiii: ; @_Z19_skinny_gemm_kernelILi2ELi3ELi3ELi16ELi8EEvPKhS1_P6__halfPKfiiiiiiii
; %bb.0:
	v_cmp_gt_u32_e32 vcc, 15, v0
	v_lshlrev_b32_e32 v1, 2, v0
	s_and_saveexec_b64 s[4:5], vcc
; %bb.1:
	v_mov_b32_e32 v2, 0
	ds_write_b32 v1, v2 offset:61440
; %bb.2:
	s_or_b64 exec, exec, s[4:5]
	s_load_dwordx8 s[20:27], s[0:1], 0x20
	s_waitcnt lgkmcnt(0)
	s_barrier
	s_add_i32 s3, s20, 31
	s_ashr_i32 s5, s3, 31
	s_add_i32 s4, s21, 47
	s_lshr_b32 s5, s5, 27
	s_mul_hi_i32 s4, s4, 0x2aaaaaab
	s_add_i32 s3, s3, s5
	s_ashr_i32 s33, s3, 5
	s_lshr_b32 s3, s4, 31
	s_ashr_i32 s50, s4, 3
	s_add_i32 s50, s50, s3
	s_mul_i32 s3, s50, s33
	s_mul_i32 s3, s3, s24
	s_add_i32 s4, s3, 0x12f
	s_mul_hi_i32 s4, s4, 0x6bca1af3
	s_lshr_b32 s5, s4, 31
	s_ashr_i32 s4, s4, 7
	s_add_i32 s4, s4, s5
	s_add_i32 s5, s2, 1
	s_mul_i32 s5, s4, s5
	v_cvt_f64_i32_e32 v[2:3], s3
	v_cvt_f64_u32_e32 v[4:5], s5
	v_min_f64 v[2:3], v[2:3], v[4:5]
	v_cvt_i32_f64_e32 v25, v[2:3]
	s_mul_i32 s51, s4, s2
	v_cmp_ge_i32_e32 vcc, s51, v25
	s_cbranch_vccnz .LBB193_53
; %bb.3:
	v_lshrrev_b32_e32 v2, 6, v0
	s_add_i32 s4, s26, s25
	s_load_dwordx8 s[36:43], s[0:1], 0x0
	v_cmp_le_i32_e64 s[0:1], s4, v2
	v_mov_b32_e32 v3, s25
	v_cmp_le_i32_e64 s[2:3], s25, v2
	v_mov_b32_e32 v4, s26
	v_cndmask_b32_e64 v4, 0, v4, s[0:1]
	v_cndmask_b32_e64 v3, 0, v3, s[2:3]
	s_abs_i32 s5, s24
	v_add_u32_e32 v3, v3, v4
	v_cvt_f32_u32_e32 v4, s5
	v_sub_u32_e32 v36, v2, v3
	s_ashr_i32 s6, s22, 31
	s_lshr_b32 s6, s6, 24
	v_rcp_iflag_f32_e32 v3, v4
	s_sub_i32 s9, 0, s5
	s_add_i32 s6, s22, s6
	s_ashr_i32 s6, s6, 8
	v_mul_f32_e32 v3, 0x4f7ffffe, v3
	v_cvt_u32_f32_e32 v3, v3
	s_abs_i32 s8, s6
	s_xor_b32 s7, s6, s24
	s_ashr_i32 s7, s7, 31
	v_readfirstlane_b32 s10, v3
	s_mul_i32 s9, s9, s10
	s_mul_hi_u32 s9, s10, s9
	s_add_i32 s10, s10, s9
	s_mul_hi_u32 s9, s8, s10
	s_mul_i32 s10, s9, s5
	s_sub_i32 s8, s8, s10
	s_add_i32 s10, s9, 1
	s_sub_i32 s11, s8, s5
	s_cmp_ge_u32 s8, s5
	s_cselect_b32 s9, s10, s9
	s_cselect_b32 s8, s11, s8
	s_add_i32 s10, s9, 1
	s_cmp_ge_u32 s8, s5
	s_cselect_b32 s5, s10, s9
	s_xor_b32 s5, s5, s7
	s_sub_i32 s52, s5, s7
	s_add_i32 s24, s24, -1
	s_mul_i32 s5, s52, s24
	s_add_i32 s4, s4, s27
	s_sub_i32 s53, s6, s5
	v_cmp_gt_i32_e64 s[4:5], s4, v2
	v_lshlrev_b32_e32 v2, 1, v0
	v_lshlrev_b32_e32 v3, 4, v0
	v_and_b32_e32 v1, 60, v1
	v_and_b32_e32 v2, 64, v2
	;; [unrolled: 1-line block ×3, first 2 shown]
	v_or3_b32 v75, v1, v2, v4
	v_and_b32_e32 v1, 1, v0
	v_lshrrev_b32_e32 v4, 2, v0
	s_abs_i32 s54, s33
	v_and_or_b32 v81, v4, 12, v1
	v_cvt_f32_u32_e32 v4, s54
	v_lshlrev_b32_e32 v2, 1, v1
	v_and_b32_e32 v24, 14, v0
	v_sub_u32_e32 v2, v0, v2
	v_bitop3_b32 v77, v0, 1, v0 bitop3:0xc
	v_bitop3_b32 v78, v0, 3, 1 bitop3:0x6c
	v_and_b32_e32 v30, 48, v3
	v_bfe_u32 v83, v0, 2, 4
	v_and_b32_e32 v1, 60, v0
	v_lshlrev_b32_e32 v3, 8, v0
	v_lshlrev_b32_e32 v0, 6, v0
	v_and_b32_e32 v3, 0x200, v3
	v_and_b32_e32 v0, 64, v0
	v_or3_b32 v84, v1, v3, v0
	v_rcp_iflag_f32_e32 v0, v4
	s_abs_i32 s56, s50
	v_cvt_f32_u32_e32 v1, s56
	v_mad_u64_u32 v[26:27], s[6:7], s21, v81, v[24:25]
	v_mul_f32_e32 v0, 0x4f7ffffe, v0
	v_cvt_u32_f32_e32 v0, v0
	v_rcp_iflag_f32_e32 v1, v1
	s_sub_i32 s6, 0, s54
	v_add_u32_e32 v2, 1, v2
	v_readfirstlane_b32 s7, v0
	v_mul_f32_e32 v0, 0x4f7ffffe, v1
	v_cvt_u32_f32_e32 v0, v0
	s_mul_i32 s6, s6, s7
	s_mul_hi_u32 s6, s7, s6
	s_add_i32 s58, s7, s6
	s_sub_i32 s6, 0, s56
	v_readfirstlane_b32 s7, v0
	v_mbcnt_lo_u32_b32 v0, -1, 0
	v_and_b32_e32 v2, 63, v2
	s_mul_i32 s6, s6, s7
	v_mbcnt_hi_u32_b32 v0, -1, v0
	v_lshl_add_u32 v28, s21, 4, v26
	v_mul_lo_u32 v32, s23, v83
	s_mul_hi_u32 s6, s7, s6
	v_and_or_b32 v0, v0, 64, v2
	v_cndmask_b32_e64 v74, 0, 1, s[0:1]
	v_or_b32_e32 v76, 0x9000, v75
	s_ashr_i32 s29, s21, 31
	s_mov_b32 s28, s21
	v_or_b32_e32 v79, 16, v24
	v_or_b32_e32 v80, 32, v24
	v_ashrrev_i32_e32 v27, 31, v26
	v_or_b32_e32 v82, 16, v81
	v_ashrrev_i32_e32 v29, 31, v28
	v_ashrrev_i32_e32 v33, 31, v32
	v_mov_b32_e32 v31, 0
	s_lshl_b32 s55, s23, 4
	v_mul_lo_u32 v85, s22, v83
	v_or_b32_e32 v86, 0x9000, v84
	s_ashr_i32 s57, s33, 31
	s_ashr_i32 s59, s50, 31
	s_add_i32 s60, s7, s6
	s_movk_i32 s61, 0x3000
	s_mov_b32 s62, 0x55555556
	v_lshlrev_b32_e32 v87, 2, v0
	v_mov_b32_e32 v88, v36
	s_branch .LBB193_7
.LBB193_4:                              ;   in Loop: Header=BB193_7 Depth=1
	s_or_b64 exec, exec, s[10:11]
.LBB193_5:                              ;   in Loop: Header=BB193_7 Depth=1
	s_or_b64 exec, exec, s[8:9]
	v_subrev_u32_e32 v88, s16, v88
.LBB193_6:                              ;   in Loop: Header=BB193_7 Depth=1
	s_or_b64 exec, exec, s[6:7]
	s_add_i32 s51, s51, 1
	v_cmp_ge_i32_e32 vcc, s51, v25
	s_cbranch_vccnz .LBB193_53
.LBB193_7:                              ; =>This Loop Header: Depth=1
                                        ;     Child Loop BB193_13 Depth 2
                                        ;       Child Loop BB193_15 Depth 3
                                        ;       Child Loop BB193_18 Depth 3
	;; [unrolled: 1-line block ×5, first 2 shown]
                                        ;     Child Loop BB193_40 Depth 2
                                        ;       Child Loop BB193_42 Depth 3
                                        ;     Child Loop BB193_50 Depth 2
                                        ;       Child Loop BB193_52 Depth 3
	s_abs_i32 s7, s51
	s_mul_hi_u32 s8, s7, s58
	s_mul_i32 s9, s8, s54
	s_ashr_i32 s6, s51, 31
	s_sub_i32 s7, s7, s9
	s_xor_b32 s6, s6, s57
	s_add_i32 s9, s8, 1
	s_sub_i32 s10, s7, s54
	s_cmp_ge_u32 s7, s54
	s_cselect_b32 s8, s9, s8
	s_cselect_b32 s7, s10, s7
	s_add_i32 s9, s8, 1
	s_cmp_ge_u32 s7, s54
	s_cselect_b32 s7, s9, s8
	s_xor_b32 s7, s7, s6
	s_sub_i32 s6, s7, s6
	s_abs_i32 s8, s6
	s_mul_i32 s7, s6, s33
	s_mul_hi_u32 s9, s8, s60
	s_sub_i32 s7, s51, s7
	s_mul_i32 s10, s9, s56
	s_lshl_b32 s63, s7, 5
	s_ashr_i32 s7, s6, 31
	s_sub_i32 s8, s8, s10
	s_xor_b32 s7, s7, s59
	s_add_i32 s10, s9, 1
	s_sub_i32 s11, s8, s56
	s_cmp_ge_u32 s8, s56
	s_cselect_b32 s9, s10, s9
	s_cselect_b32 s8, s11, s8
	s_add_i32 s10, s9, 1
	s_cmp_ge_u32 s8, s56
	s_cselect_b32 s8, s10, s9
	s_xor_b32 s8, s8, s7
	s_sub_i32 s7, s8, s7
	s_mul_i32 s8, s7, s52
	s_lshl_b32 s64, s8, 8
	s_cmp_eq_u32 s7, s24
	s_cselect_b32 s66, s53, s52
	s_sub_i32 s8, s63, s20
	s_add_i32 s8, s8, 32
	s_max_i32 s65, s8, 0
	s_and_saveexec_b64 s[8:9], s[2:3]
	s_xor_b64 s[30:31], exec, s[8:9]
	s_cbranch_execz .LBB193_46
; %bb.8:                                ;   in Loop: Header=BB193_7 Depth=1
	s_mul_i32 s7, s7, s50
	s_sub_i32 s6, s6, s7
	s_mul_i32 s6, s6, 48
	s_sub_i32 s18, s6, s21
	s_add_i32 s18, s18, 48
	s_max_i32 s7, s18, 0
	s_sub_i32 s34, s6, s7
	s_and_saveexec_b64 s[6:7], s[0:1]
	s_xor_b64 s[44:45], exec, s[6:7]
	s_cbranch_execz .LBB193_36
; %bb.9:                                ;   in Loop: Header=BB193_7 Depth=1
	s_and_saveexec_b64 s[46:47], s[4:5]
	s_cbranch_execz .LBB193_35
; %bb.10:                               ;   in Loop: Header=BB193_7 Depth=1
	s_waitcnt lgkmcnt(0)
	global_load_dword v89, v31, s[42:43]
	v_mov_b32_e32 v23, 0
	v_cmp_gt_i32_e32 vcc, s66, v88
	v_mov_b32_e32 v22, v23
	v_mov_b32_e32 v21, v23
	;; [unrolled: 1-line block ×23, first 2 shown]
	s_and_saveexec_b64 s[6:7], vcc
	s_cbranch_execz .LBB193_29
; %bb.11:                               ;   in Loop: Header=BB193_7 Depth=1
	v_mov_b32_e32 v0, 0
	s_mov_b64 s[8:9], 0
	v_mov_b32_e32 v1, v0
	v_mov_b32_e32 v2, v0
	;; [unrolled: 1-line block ×23, first 2 shown]
	s_branch .LBB193_13
.LBB193_12:                             ;   in Loop: Header=BB193_13 Depth=2
	s_or_b64 exec, exec, s[10:11]
	v_add_u32_e32 v67, 0x2000, v66
	ds_read2_b32 v[68:69], v67 offset1:32
	v_add_u32_e32 v88, s27, v88
	s_waitcnt lgkmcnt(0)
	v_mfma_f32_16x16x32_fp8_fp8 v[12:15], v[34:35], v[68:69], v[12:15]
	ds_read2_b32 v[34:35], v67 offset0:128 offset1:160
	v_add_u32_e32 v67, 0x2400, v66
	v_mfma_f32_16x16x32_fp8_fp8 v[0:3], v[50:51], v[68:69], v[0:3]
	s_waitcnt lgkmcnt(0)
	v_mfma_f32_16x16x32_fp8_fp8 v[12:15], v[36:37], v[34:35], v[12:15]
	ds_read2_b32 v[36:37], v67 offset1:32
	s_waitcnt lgkmcnt(0)
	v_mfma_f32_16x16x32_fp8_fp8 v[12:15], v[42:43], v[36:37], v[12:15]
	ds_read2_b32 v[42:43], v67 offset0:128 offset1:160
	v_add_u32_e32 v67, 0x2800, v66
	v_add_u32_e32 v66, 0x2c00, v66
	v_mfma_f32_16x16x32_fp8_fp8 v[0:3], v[52:53], v[34:35], v[0:3]
	v_add_u32_e32 v34, 2, v74
	s_waitcnt lgkmcnt(0)
	v_mfma_f32_16x16x32_fp8_fp8 v[12:15], v[38:39], v[42:43], v[12:15]
	ds_read2_b32 v[38:39], v67 offset1:32
	v_mfma_f32_16x16x32_fp8_fp8 v[0:3], v[58:59], v[36:37], v[0:3]
	v_add_u32_e32 v36, s27, v90
	v_cmp_lt_i32_e32 vcc, 2, v36
	v_mfma_f32_16x16x32_fp8_fp8 v[0:3], v[60:61], v[42:43], v[0:3]
	s_nop 0
	v_cndmask_b32_e32 v74, v74, v34, vcc
	v_cmp_le_i32_e32 vcc, s66, v88
	s_or_b64 s[8:9], vcc, s[8:9]
	s_waitcnt lgkmcnt(0)
	v_mfma_f32_16x16x32_fp8_fp8 v[12:15], v[44:45], v[38:39], v[12:15]
	ds_read2_b32 v[44:45], v67 offset0:128 offset1:160
	v_mfma_f32_16x16x32_fp8_fp8 v[0:3], v[62:63], v[38:39], v[0:3]
	s_waitcnt lgkmcnt(0)
	v_mfma_f32_16x16x32_fp8_fp8 v[12:15], v[40:41], v[44:45], v[12:15]
	ds_read2_b32 v[40:41], v66 offset1:32
	v_mfma_f32_16x16x32_fp8_fp8 v[0:3], v[64:65], v[44:45], v[0:3]
	s_waitcnt lgkmcnt(0)
	v_mfma_f32_16x16x32_fp8_fp8 v[12:15], v[46:47], v[40:41], v[12:15]
	ds_read2_b32 v[46:47], v66 offset0:128 offset1:160
	;;#ASMSTART
	s_waitcnt lgkmcnt(0)
	;;#ASMEND
	ds_write_b32 v91, v92 offset:61472
	v_mfma_f32_16x16x32_fp8_fp8 v[0:3], v[56:57], v[40:41], v[0:3]
	s_waitcnt lgkmcnt(1)
	v_mfma_f32_16x16x32_fp8_fp8 v[12:15], v[48:49], v[46:47], v[12:15]
	v_mfma_f32_16x16x32_fp8_fp8 v[0:3], v[54:55], v[46:47], v[0:3]
	s_andn2_b64 exec, exec, s[8:9]
	s_cbranch_execz .LBB193_28
.LBB193_13:                             ;   Parent Loop BB193_7 Depth=1
                                        ; =>  This Loop Header: Depth=2
                                        ;       Child Loop BB193_15 Depth 3
                                        ;       Child Loop BB193_18 Depth 3
	;; [unrolled: 1-line block ×5, first 2 shown]
	v_cmp_gt_i32_e32 vcc, 3, v36
	s_nop 1
	v_cndmask_b32_e64 v34, -3, 0, vcc
	v_add_u32_e32 v90, v34, v36
	v_mul_lo_u32 v91, v90, 12
	ds_read_b32 v34, v91 offset:61464
	s_waitcnt lgkmcnt(0)
	v_cmp_ne_u32_e32 vcc, v34, v74
	s_and_saveexec_b64 s[10:11], vcc
	s_cbranch_execz .LBB193_16
; %bb.14:                               ;   in Loop: Header=BB193_13 Depth=2
	s_mov_b64 s[12:13], 0
.LBB193_15:                             ;   Parent Loop BB193_7 Depth=1
                                        ;     Parent Loop BB193_13 Depth=2
                                        ; =>    This Inner Loop Header: Depth=3
	;;#ASMSTART
	s_sleep 0
	;;#ASMEND
	ds_read_b32 v34, v91 offset:61464
	s_waitcnt lgkmcnt(0)
	v_cmp_eq_u32_e32 vcc, v34, v74
	s_or_b64 s[12:13], vcc, s[12:13]
	s_andn2_b64 exec, exec, s[12:13]
	s_cbranch_execnz .LBB193_15
.LBB193_16:                             ;   in Loop: Header=BB193_13 Depth=2
	s_or_b64 exec, exec, s[10:11]
	v_mul_lo_u32 v93, v90, s61
	v_or_b32_e32 v34, v75, v93
	v_add_u32_e32 v35, 0x400, v34
	ds_read2_b32 v[54:55], v34 offset1:32
	ds_read2_b32 v[56:57], v34 offset0:128 offset1:160
	ds_read2_b32 v[62:63], v35 offset1:32
	ds_read2_b32 v[64:65], v35 offset0:128 offset1:160
	v_add_u32_e32 v35, 0x800, v34
	v_add_u32_e32 v34, 0xc00, v34
	;; [unrolled: 1-line block ×3, first 2 shown]
	ds_read2_b32 v[66:67], v35 offset1:32
	ds_read2_b32 v[68:69], v35 offset0:128 offset1:160
	ds_read2_b32 v[72:73], v34 offset1:32
	ds_read2_b32 v[70:71], v34 offset0:128 offset1:160
	;;#ASMSTART
	s_waitcnt lgkmcnt(0)
	;;#ASMEND
	ds_write_b32 v91, v92 offset:61464
	v_lshlrev_b32_e32 v94, 3, v90
	ds_read_b32 v34, v94 offset:61440
	s_waitcnt lgkmcnt(0)
	v_cmp_ne_u32_e32 vcc, v34, v74
	s_and_saveexec_b64 s[10:11], vcc
	s_cbranch_execz .LBB193_19
; %bb.17:                               ;   in Loop: Header=BB193_13 Depth=2
	s_mov_b64 s[12:13], 0
.LBB193_18:                             ;   Parent Loop BB193_7 Depth=1
                                        ;     Parent Loop BB193_13 Depth=2
                                        ; =>    This Inner Loop Header: Depth=3
	;;#ASMSTART
	s_sleep 0
	;;#ASMEND
	ds_read_b32 v34, v94 offset:61440
	s_waitcnt lgkmcnt(0)
	v_cmp_eq_u32_e32 vcc, v34, v74
	s_or_b64 s[12:13], vcc, s[12:13]
	s_andn2_b64 exec, exec, s[12:13]
	s_cbranch_execnz .LBB193_18
.LBB193_19:                             ;   in Loop: Header=BB193_13 Depth=2
	s_or_b64 exec, exec, s[10:11]
	v_lshlrev_b32_e32 v34, 13, v90
	v_add_u32_e32 v95, v76, v34
	ds_read2_b32 v[34:35], v95 offset1:32
	ds_read2_b32 v[36:37], v95 offset0:128 offset1:160
	v_add_u32_e32 v38, 0x400, v95
	ds_read2_b32 v[42:43], v38 offset1:32
	ds_read2_b32 v[38:39], v38 offset0:128 offset1:160
	;; [unrolled: 3-line block ×3, first 2 shown]
	v_add_u32_e32 v48, 0xc00, v95
	s_waitcnt lgkmcnt(5)
	v_mfma_f32_16x16x32_fp8_fp8 v[20:23], v[34:35], v[54:55], v[20:23]
	ds_read2_b32 v[46:47], v48 offset1:32
	ds_read2_b32 v[48:49], v48 offset0:128 offset1:160
	ds_read_b32 v50, v94 offset:61444
	ds_write_b32 v94, v92 offset:61440
	s_waitcnt lgkmcnt(8)
	v_mfma_f32_16x16x32_fp8_fp8 v[20:23], v[36:37], v[56:57], v[20:23]
	s_waitcnt lgkmcnt(1)
	v_cmp_ne_u32_e32 vcc, v50, v74
	v_mfma_f32_16x16x32_fp8_fp8 v[20:23], v[42:43], v[62:63], v[20:23]
	v_mfma_f32_16x16x32_fp8_fp8 v[20:23], v[38:39], v[64:65], v[20:23]
	;; [unrolled: 1-line block ×6, first 2 shown]
	s_and_saveexec_b64 s[10:11], vcc
	s_cbranch_execz .LBB193_22
; %bb.20:                               ;   in Loop: Header=BB193_13 Depth=2
	s_mov_b64 s[12:13], 0
.LBB193_21:                             ;   Parent Loop BB193_7 Depth=1
                                        ;     Parent Loop BB193_13 Depth=2
                                        ; =>    This Inner Loop Header: Depth=3
	;;#ASMSTART
	s_sleep 0
	;;#ASMEND
	ds_read_b32 v50, v94 offset:61444
	s_waitcnt lgkmcnt(0)
	v_cmp_eq_u32_e32 vcc, v50, v74
	s_or_b64 s[12:13], vcc, s[12:13]
	s_andn2_b64 exec, exec, s[12:13]
	s_cbranch_execnz .LBB193_21
.LBB193_22:                             ;   in Loop: Header=BB193_13 Depth=2
	s_or_b64 exec, exec, s[10:11]
	v_add_u32_e32 v52, 0x1000, v95
	ds_read2_b32 v[50:51], v52 offset1:32
	ds_read2_b32 v[52:53], v52 offset0:128 offset1:160
	v_add_u32_e32 v60, 0x1400, v95
	ds_read2_b32 v[58:59], v60 offset1:32
	ds_read2_b32 v[60:61], v60 offset0:128 offset1:160
	s_waitcnt lgkmcnt(3)
	v_mfma_f32_16x16x32_fp8_fp8 v[8:11], v[50:51], v[54:55], v[8:11]
	v_add_u32_e32 v54, 0x1800, v95
	ds_write_b32 v94, v92 offset:61444
	s_waitcnt lgkmcnt(3)
	v_mfma_f32_16x16x32_fp8_fp8 v[8:11], v[52:53], v[56:57], v[8:11]
	s_waitcnt lgkmcnt(2)
	v_mfma_f32_16x16x32_fp8_fp8 v[8:11], v[58:59], v[62:63], v[8:11]
	ds_read2_b32 v[62:63], v54 offset1:32
	s_waitcnt lgkmcnt(2)
	v_mfma_f32_16x16x32_fp8_fp8 v[8:11], v[60:61], v[64:65], v[8:11]
	ds_read2_b32 v[64:65], v54 offset0:128 offset1:160
	v_add_u32_e32 v54, 0x1c00, v95
	ds_read2_b32 v[56:57], v54 offset1:32
	ds_read2_b32 v[54:55], v54 offset0:128 offset1:160
	s_waitcnt lgkmcnt(3)
	v_mfma_f32_16x16x32_fp8_fp8 v[8:11], v[62:63], v[66:67], v[8:11]
	ds_read_b32 v66, v91 offset:61468
	s_waitcnt lgkmcnt(0)
	v_cmp_ne_u32_e32 vcc, v66, v74
	v_mfma_f32_16x16x32_fp8_fp8 v[8:11], v[64:65], v[68:69], v[8:11]
	v_mfma_f32_16x16x32_fp8_fp8 v[8:11], v[56:57], v[72:73], v[8:11]
	;; [unrolled: 1-line block ×3, first 2 shown]
	s_and_saveexec_b64 s[10:11], vcc
	s_cbranch_execz .LBB193_25
; %bb.23:                               ;   in Loop: Header=BB193_13 Depth=2
	s_mov_b64 s[12:13], 0
.LBB193_24:                             ;   Parent Loop BB193_7 Depth=1
                                        ;     Parent Loop BB193_13 Depth=2
                                        ; =>    This Inner Loop Header: Depth=3
	;;#ASMSTART
	s_sleep 0
	;;#ASMEND
	ds_read_b32 v66, v91 offset:61468
	s_waitcnt lgkmcnt(0)
	v_cmp_eq_u32_e32 vcc, v66, v74
	s_or_b64 s[12:13], vcc, s[12:13]
	s_andn2_b64 exec, exec, s[12:13]
	s_cbranch_execnz .LBB193_24
.LBB193_25:                             ;   in Loop: Header=BB193_13 Depth=2
	s_or_b64 exec, exec, s[10:11]
	v_add_u32_e32 v66, v75, v93
	v_add_u32_e32 v67, 0x1000, v66
	ds_read2_b32 v[68:69], v67 offset1:32
	s_waitcnt lgkmcnt(0)
	v_mfma_f32_16x16x32_fp8_fp8 v[16:19], v[34:35], v[68:69], v[16:19]
	v_mfma_f32_16x16x32_fp8_fp8 v[4:7], v[50:51], v[68:69], v[4:7]
	ds_read2_b32 v[68:69], v67 offset0:128 offset1:160
	v_add_u32_e32 v67, 0x1400, v66
	ds_read2_b32 v[70:71], v67 offset1:32
	s_waitcnt lgkmcnt(1)
	v_mfma_f32_16x16x32_fp8_fp8 v[16:19], v[36:37], v[68:69], v[16:19]
	ds_read2_b32 v[72:73], v67 offset0:128 offset1:160
	v_add_u32_e32 v67, 0x1800, v66
	ds_read2_b32 v[94:95], v67 offset1:32
	v_mfma_f32_16x16x32_fp8_fp8 v[4:7], v[52:53], v[68:69], v[4:7]
	ds_read2_b32 v[96:97], v67 offset0:128 offset1:160
	v_add_u32_e32 v67, 0x1c00, v66
	ds_read2_b32 v[98:99], v67 offset1:32
	s_waitcnt lgkmcnt(4)
	v_mfma_f32_16x16x32_fp8_fp8 v[16:19], v[42:43], v[70:71], v[16:19]
	ds_read2_b32 v[100:101], v67 offset0:128 offset1:160
	;;#ASMSTART
	s_waitcnt lgkmcnt(0)
	;;#ASMEND
	ds_read_b32 v67, v91 offset:61472
	v_mfma_f32_16x16x32_fp8_fp8 v[4:7], v[58:59], v[70:71], v[4:7]
	ds_write_b32 v91, v92 offset:61468
	s_waitcnt lgkmcnt(1)
	v_cmp_ne_u32_e32 vcc, v67, v74
	v_mfma_f32_16x16x32_fp8_fp8 v[16:19], v[38:39], v[72:73], v[16:19]
	v_mfma_f32_16x16x32_fp8_fp8 v[4:7], v[60:61], v[72:73], v[4:7]
	;; [unrolled: 1-line block ×10, first 2 shown]
	s_and_saveexec_b64 s[10:11], vcc
	s_cbranch_execz .LBB193_12
; %bb.26:                               ;   in Loop: Header=BB193_13 Depth=2
	s_mov_b64 s[12:13], 0
.LBB193_27:                             ;   Parent Loop BB193_7 Depth=1
                                        ;     Parent Loop BB193_13 Depth=2
                                        ; =>    This Inner Loop Header: Depth=3
	;;#ASMSTART
	s_sleep 0
	;;#ASMEND
	ds_read_b32 v67, v91 offset:61472
	s_waitcnt lgkmcnt(0)
	v_cmp_eq_u32_e32 vcc, v67, v74
	s_or_b64 s[12:13], vcc, s[12:13]
	s_andn2_b64 exec, exec, s[12:13]
	s_cbranch_execnz .LBB193_27
	s_branch .LBB193_12
.LBB193_28:                             ;   in Loop: Header=BB193_7 Depth=1
	s_or_b64 exec, exec, s[8:9]
.LBB193_29:                             ;   in Loop: Header=BB193_7 Depth=1
	s_or_b64 exec, exec, s[6:7]
	v_cmp_le_i32_e32 vcc, s18, v24
	v_cmp_eq_u32_e64 s[6:7], 2, v77
	v_cmp_eq_u32_e64 s[8:9], 3, v77
	s_waitcnt vmcnt(0)
	v_cndmask_b32_e32 v34, 0, v89, vcc
	v_pk_mul_f32 v[20:21], v[34:35], v[20:21] op_sel_hi:[0,1]
	v_cmp_eq_u32_e32 vcc, 1, v77
	v_pk_mul_f32 v[38:39], v[34:35], v[22:23] op_sel_hi:[0,1]
	v_cmp_eq_u32_e64 s[10:11], 0, v77
	v_cndmask_b32_e32 v22, v20, v21, vcc
	v_cndmask_b32_e64 v22, v22, v38, s[6:7]
	v_cndmask_b32_e64 v22, v22, v39, s[8:9]
	ds_bpermute_b32 v35, v87, v22
	v_cmp_le_i32_e64 s[14:15], s18, v79
	v_cmp_eq_u32_e64 s[12:13], 1, v78
	v_cmp_le_i32_e64 s[18:19], s18, v80
	v_cmp_eq_u32_e64 s[16:17], 3, v78
	s_waitcnt lgkmcnt(0)
	v_cndmask_b32_e64 v22, v39, v35, s[8:9]
	v_cndmask_b32_e64 v23, v38, v35, s[6:7]
	v_cndmask_b32_e32 v21, v21, v35, vcc
	v_cndmask_b32_e64 v35, v20, v35, s[10:11]
	v_cndmask_b32_e64 v20, 0, v89, s[14:15]
	v_pk_mul_f32 v[16:17], v[20:21], v[16:17] op_sel_hi:[0,1]
	v_pk_mul_f32 v[38:39], v[20:21], v[18:19] op_sel_hi:[0,1]
	v_cndmask_b32_e32 v18, v16, v17, vcc
	v_cndmask_b32_e64 v18, v18, v38, s[6:7]
	v_cndmask_b32_e64 v18, v18, v39, s[8:9]
	ds_bpermute_b32 v41, v87, v18
	v_cndmask_b32_e64 v37, v35, v21, s[12:13]
	v_cmp_eq_u32_e64 s[14:15], 2, v78
	s_waitcnt lgkmcnt(0)
	v_cndmask_b32_e64 v19, v39, v41, s[8:9]
	v_cndmask_b32_e64 v18, v37, v23, s[14:15]
	;; [unrolled: 1-line block ×3, first 2 shown]
	v_cndmask_b32_e32 v40, v17, v41, vcc
	v_cndmask_b32_e64 v41, v16, v41, s[10:11]
	v_cndmask_b32_e64 v16, 0, v89, s[18:19]
	v_pk_mul_f32 v[42:43], v[16:17], v[12:13] op_sel_hi:[0,1]
	v_pk_mul_f32 v[38:39], v[16:17], v[14:15] op_sel_hi:[0,1]
	v_cndmask_b32_e32 v12, v42, v43, vcc
	v_cndmask_b32_e64 v12, v12, v38, s[6:7]
	v_cndmask_b32_e64 v12, v12, v39, s[8:9]
	ds_bpermute_b32 v13, v87, v12
	v_cndmask_b32_e64 v12, v41, v40, s[12:13]
	v_cndmask_b32_e64 v12, v12, v37, s[14:15]
	;; [unrolled: 1-line block ×3, first 2 shown]
	v_cmp_ne_u32_e32 vcc, 0, v77
	ds_bpermute_b32 v14, v87, v12
	s_waitcnt lgkmcnt(1)
	v_cndmask_b32_e64 v15, v39, v13, s[8:9]
	v_cndmask_b32_e64 v38, v38, v13, s[6:7]
	v_cndmask_b32_e32 v12, v43, v13, vcc
	v_cndmask_b32_e64 v13, v42, v13, s[10:11]
	v_cndmask_b32_e64 v17, v13, v12, s[12:13]
	;; [unrolled: 1-line block ×5, first 2 shown]
	ds_bpermute_b32 v18, v87, v18
	ds_bpermute_b32 v39, v87, v17
	v_add_u32_e32 v17, s65, v81
	v_cmp_gt_u32_e32 vcc, 32, v17
	s_and_saveexec_b64 s[18:19], vcc
	s_cbranch_execz .LBB193_34
; %bb.30:                               ;   in Loop: Header=BB193_7 Depth=1
	v_cmp_eq_u32_e64 s[8:9], 1, v78
	v_cmp_eq_u32_e64 s[10:11], 0, v78
	v_cmp_eq_u32_e32 vcc, 3, v78
	s_waitcnt lgkmcnt(1)
	v_cndmask_b32_e64 v21, v21, v18, s[8:9]
	v_cndmask_b32_e64 v40, v40, v14, s[8:9]
	s_waitcnt lgkmcnt(0)
	v_cndmask_b32_e64 v42, v12, v39, s[8:9]
	s_mul_i32 s8, s63, s21
	s_ashr_i32 s9, s8, 31
	v_cndmask_b32_e64 v35, v35, v18, s[10:11]
	s_lshl_b64 s[8:9], s[8:9], 1
	v_cndmask_b32_e64 v41, v41, v14, s[10:11]
	v_cndmask_b32_e64 v43, v13, v39, s[10:11]
	s_add_u32 s10, s40, s8
	v_cvt_f16_f32_e32 v35, v35
	v_cvt_f16_f32_sdwa v21, v21 dst_sel:WORD_1 dst_unused:UNUSED_PAD src0_sel:DWORD
	s_addc_u32 s11, s41, s9
	s_ashr_i32 s35, s34, 31
	s_lshl_b64 s[8:9], s[34:35], 1
	s_add_u32 s48, s10, s8
	s_addc_u32 s49, s11, s9
	v_or_b32_e32 v21, v21, v35
	v_lshl_add_u64 v[12:13], v[26:27], 1, s[48:49]
	;;#ASMSTART
	global_atomic_pk_add_f16 v[12:13], v21, off
	
	;;#ASMEND
	v_cvt_f16_f32_e32 v21, v41
	v_cvt_f16_f32_sdwa v35, v40 dst_sel:WORD_1 dst_unused:UNUSED_PAD src0_sel:DWORD
	v_cvt_f16_f32_e32 v43, v43
	v_cvt_f16_f32_sdwa v42, v42 dst_sel:WORD_1 dst_unused:UNUSED_PAD src0_sel:DWORD
	v_cmp_eq_u32_e64 s[6:7], 2, v78
	v_lshl_add_u64 v[40:41], v[12:13], 0, 32
	v_or_b32_e32 v21, v35, v21
	v_cmp_gt_u32_e64 s[8:9], 30, v17
	;;#ASMSTART
	global_atomic_pk_add_f16 v[40:41], v21, off
	
	;;#ASMEND
	v_lshl_add_u64 v[40:41], v[12:13], 0, 64
	v_or_b32_e32 v21, v42, v43
	;;#ASMSTART
	global_atomic_pk_add_f16 v[40:41], v21, off
	
	;;#ASMEND
	s_and_b64 exec, exec, s[8:9]
	s_cbranch_execz .LBB193_34
; %bb.31:                               ;   in Loop: Header=BB193_7 Depth=1
	v_cndmask_b32_e32 v22, v22, v18, vcc
	v_cndmask_b32_e64 v18, v23, v18, s[6:7]
	v_cndmask_b32_e32 v19, v19, v14, vcc
	v_cndmask_b32_e64 v14, v37, v14, s[6:7]
	v_cndmask_b32_e32 v23, v15, v39, vcc
	v_cvt_f16_f32_e32 v15, v18
	v_cvt_f16_f32_sdwa v18, v22 dst_sel:WORD_1 dst_unused:UNUSED_PAD src0_sel:DWORD
	v_cvt_f16_f32_e32 v22, v14
	v_cvt_f16_f32_sdwa v19, v19 dst_sel:WORD_1 dst_unused:UNUSED_PAD src0_sel:DWORD
	v_mov_b32_e32 v35, v34
	v_or_b32_e32 v14, v18, v15
	v_mov_b32_e32 v18, v34
	v_or_b32_e32 v22, v19, v22
	v_mov_b32_e32 v19, v34
	v_pk_mul_f32 v[10:11], v[18:19], v[10:11]
	v_pk_mul_f32 v[18:19], v[34:35], v[8:9]
	v_cmp_eq_u32_e32 vcc, 1, v77
	v_cndmask_b32_e64 v37, v38, v39, s[6:7]
	v_cmp_eq_u32_e64 s[6:7], 2, v77
	v_cndmask_b32_e32 v8, v18, v19, vcc
	v_cmp_eq_u32_e64 s[8:9], 3, v77
	v_cndmask_b32_e64 v8, v8, v10, s[6:7]
	v_lshl_add_u64 v[12:13], s[28:29], 2, v[12:13]
	v_cndmask_b32_e64 v8, v8, v11, s[8:9]
	v_mov_b32_e32 v21, v20
	;;#ASMSTART
	global_atomic_pk_add_f16 v[12:13], v14, off
	
	;;#ASMEND
	v_lshl_add_u64 v[14:15], v[12:13], 0, 32
	ds_bpermute_b32 v34, v87, v8
	;;#ASMSTART
	global_atomic_pk_add_f16 v[14:15], v22, off
	
	;;#ASMEND
	v_cvt_f16_f32_sdwa v35, v23 dst_sel:WORD_1 dst_unused:UNUSED_PAD src0_sel:DWORD
	v_lshl_add_u64 v[22:23], v[12:13], 0, 64
	v_mov_b32_e32 v12, v20
	v_mov_b32_e32 v13, v20
	v_pk_mul_f32 v[6:7], v[12:13], v[6:7]
	v_pk_mul_f32 v[12:13], v[20:21], v[4:5]
	v_cmp_eq_u32_e64 s[10:11], 0, v77
	v_cndmask_b32_e32 v4, v12, v13, vcc
	v_cndmask_b32_e64 v4, v4, v6, s[6:7]
	v_cndmask_b32_e64 v4, v4, v7, s[8:9]
	s_waitcnt lgkmcnt(0)
	v_cndmask_b32_e64 v8, v11, v34, s[8:9]
	v_cndmask_b32_e64 v11, v18, v34, s[10:11]
	ds_bpermute_b32 v18, v87, v4
	v_cndmask_b32_e64 v9, v10, v34, s[6:7]
	v_cndmask_b32_e32 v10, v19, v34, vcc
	v_cmp_eq_u32_e64 s[12:13], 1, v78
	v_mov_b32_e32 v17, v16
	v_cmp_eq_u32_e64 s[14:15], 2, v78
	v_cndmask_b32_e64 v14, v11, v10, s[12:13]
	s_waitcnt lgkmcnt(0)
	v_cndmask_b32_e64 v5, v7, v18, s[8:9]
	v_cndmask_b32_e64 v4, v14, v9, s[14:15]
	;; [unrolled: 1-line block ×3, first 2 shown]
	v_cndmask_b32_e32 v13, v13, v18, vcc
	v_cndmask_b32_e64 v14, v12, v18, s[10:11]
	v_mov_b32_e32 v18, v16
	v_mov_b32_e32 v19, v16
	v_pk_mul_f32 v[16:17], v[16:17], v[0:1]
	v_pk_mul_f32 v[18:19], v[18:19], v[2:3]
	v_cndmask_b32_e32 v0, v16, v17, vcc
	v_cndmask_b32_e64 v0, v0, v18, s[6:7]
	v_cndmask_b32_e64 v0, v0, v19, s[8:9]
	ds_bpermute_b32 v1, v87, v0
	v_cndmask_b32_e64 v0, v14, v13, s[12:13]
	v_cmp_eq_u32_e64 s[16:17], 3, v78
	v_cndmask_b32_e64 v0, v0, v6, s[14:15]
	v_cmp_ne_u32_e32 vcc, 0, v77
	v_cndmask_b32_e64 v0, v0, v5, s[16:17]
	ds_bpermute_b32 v7, v87, v0
	s_waitcnt lgkmcnt(1)
	v_cndmask_b32_e64 v2, v19, v1, s[8:9]
	v_cndmask_b32_e64 v3, v18, v1, s[6:7]
	v_cndmask_b32_e32 v0, v17, v1, vcc
	v_cndmask_b32_e64 v1, v16, v1, s[10:11]
	v_cndmask_b32_e64 v12, v1, v0, s[12:13]
	v_cvt_f16_f32_e32 v15, v37
	v_cndmask_b32_e64 v12, v12, v3, s[14:15]
	v_cndmask_b32_e64 v4, v4, v8, s[16:17]
	;; [unrolled: 1-line block ×3, first 2 shown]
	ds_bpermute_b32 v4, v87, v4
	ds_bpermute_b32 v12, v87, v12
	v_or_b32_e32 v15, v35, v15
	;;#ASMSTART
	global_atomic_pk_add_f16 v[22:23], v15, off
	
	;;#ASMEND
	v_add_u32_e32 v15, s65, v82
	v_cmp_gt_u32_e32 vcc, 32, v15
	s_and_b64 exec, exec, vcc
	s_cbranch_execz .LBB193_34
; %bb.32:                               ;   in Loop: Header=BB193_7 Depth=1
	v_cmp_eq_u32_e64 s[8:9], 1, v78
	v_cmp_eq_u32_e64 s[10:11], 0, v78
	v_cmp_eq_u32_e32 vcc, 3, v78
	s_waitcnt lgkmcnt(1)
	v_cndmask_b32_e64 v10, v10, v4, s[8:9]
	v_cndmask_b32_e64 v11, v11, v4, s[10:11]
	;; [unrolled: 1-line block ×4, first 2 shown]
	v_cvt_f16_f32_e32 v11, v11
	v_cvt_f16_f32_sdwa v10, v10 dst_sel:WORD_1 dst_unused:UNUSED_PAD src0_sel:DWORD
	s_waitcnt lgkmcnt(0)
	v_cndmask_b32_e64 v16, v0, v12, s[8:9]
	v_cndmask_b32_e64 v17, v1, v12, s[10:11]
	v_cvt_f16_f32_e32 v14, v14
	v_cvt_f16_f32_sdwa v13, v13 dst_sel:WORD_1 dst_unused:UNUSED_PAD src0_sel:DWORD
	v_cvt_f16_f32_e32 v17, v17
	v_cvt_f16_f32_sdwa v16, v16 dst_sel:WORD_1 dst_unused:UNUSED_PAD src0_sel:DWORD
	v_lshl_add_u64 v[0:1], v[28:29], 1, s[48:49]
	v_or_b32_e32 v10, v10, v11
	v_cmp_eq_u32_e64 s[6:7], 2, v78
	;;#ASMSTART
	global_atomic_pk_add_f16 v[0:1], v10, off
	
	;;#ASMEND
	v_lshl_add_u64 v[10:11], v[0:1], 0, 32
	v_or_b32_e32 v13, v13, v14
	v_cmp_gt_u32_e64 s[8:9], 30, v15
	;;#ASMSTART
	global_atomic_pk_add_f16 v[10:11], v13, off
	
	;;#ASMEND
	v_lshl_add_u64 v[10:11], v[0:1], 0, 64
	v_or_b32_e32 v13, v16, v17
	;;#ASMSTART
	global_atomic_pk_add_f16 v[10:11], v13, off
	
	;;#ASMEND
	s_and_b64 exec, exec, s[8:9]
	s_cbranch_execz .LBB193_34
; %bb.33:                               ;   in Loop: Header=BB193_7 Depth=1
	v_cndmask_b32_e32 v8, v8, v4, vcc
	v_cndmask_b32_e64 v4, v9, v4, s[6:7]
	v_cndmask_b32_e32 v5, v5, v7, vcc
	v_cndmask_b32_e64 v6, v6, v7, s[6:7]
	v_cvt_f16_f32_e32 v4, v4
	v_cvt_f16_f32_sdwa v7, v8 dst_sel:WORD_1 dst_unused:UNUSED_PAD src0_sel:DWORD
	v_cndmask_b32_e32 v8, v2, v12, vcc
	v_cndmask_b32_e64 v9, v3, v12, s[6:7]
	v_cvt_f16_f32_sdwa v5, v5 dst_sel:WORD_1 dst_unused:UNUSED_PAD src0_sel:DWORD
	v_or_b32_e32 v2, v7, v4
	v_cvt_f16_f32_e32 v4, v6
	v_cvt_f16_f32_e32 v6, v9
	v_cvt_f16_f32_sdwa v7, v8 dst_sel:WORD_1 dst_unused:UNUSED_PAD src0_sel:DWORD
	v_lshl_add_u64 v[0:1], s[28:29], 2, v[0:1]
	;;#ASMSTART
	global_atomic_pk_add_f16 v[0:1], v2, off
	
	;;#ASMEND
	v_lshl_add_u64 v[2:3], v[0:1], 0, 32
	v_or_b32_e32 v4, v5, v4
	;;#ASMSTART
	global_atomic_pk_add_f16 v[2:3], v4, off
	
	;;#ASMEND
	v_lshl_add_u64 v[0:1], v[0:1], 0, 64
	v_or_b32_e32 v2, v7, v6
	;;#ASMSTART
	global_atomic_pk_add_f16 v[0:1], v2, off
	
	;;#ASMEND
.LBB193_34:                             ;   in Loop: Header=BB193_7 Depth=1
	s_or_b64 exec, exec, s[18:19]
	v_subrev_u32_e32 v88, s66, v88
.LBB193_35:                             ;   in Loop: Header=BB193_7 Depth=1
	s_or_b64 exec, exec, s[46:47]
.LBB193_36:                             ;   in Loop: Header=BB193_7 Depth=1
	s_andn2_saveexec_b64 s[6:7], s[44:45]
	s_cbranch_execz .LBB193_45
; %bb.37:                               ;   in Loop: Header=BB193_7 Depth=1
	s_mul_i32 s16, s66, 3
	v_cmp_gt_i32_e32 vcc, s16, v88
	s_and_saveexec_b64 s[8:9], vcc
	s_cbranch_execz .LBB193_44
; %bb.38:                               ;   in Loop: Header=BB193_7 Depth=1
	s_mul_i32 s10, s34, s23
	s_ashr_i32 s11, s10, 31
	s_waitcnt lgkmcnt(0)
	s_add_u32 s10, s38, s10
	s_addc_u32 s11, s39, s11
	s_ashr_i32 s12, s64, 31
	s_add_u32 s10, s10, s64
	s_addc_u32 s11, s11, s12
	v_lshl_add_u64 v[0:1], s[10:11], 0, v[32:33]
	v_lshl_add_u64 v[16:17], v[0:1], 0, v[30:31]
	s_mov_b64 s[10:11], 0
	s_branch .LBB193_40
.LBB193_39:                             ;   in Loop: Header=BB193_40 Depth=2
	s_or_b64 exec, exec, s[12:13]
	v_lshl_or_b32 v20, v18, 12, v84
	;;#ASMSTART
	s_waitcnt vmcnt(3)
	;;#ASMEND
	ds_write2_b32 v20, v12, v13 offset1:32
	ds_write2_b32 v20, v14, v15 offset0:64 offset1:96
	v_add_u32_e32 v12, 0x400, v20
	;;#ASMSTART
	s_waitcnt vmcnt(2)
	;;#ASMEND
	ds_write2_b32 v12, v8, v9 offset1:32
	ds_write2_b32 v12, v10, v11 offset0:64 offset1:96
	v_add_u32_e32 v8, 0x800, v20
	;; [unrolled: 6-line block ×3, first 2 shown]
	v_add_u32_e32 v88, s26, v88
	;;#ASMSTART
	s_waitcnt vmcnt(0)
	;;#ASMEND
	ds_write2_b32 v4, v0, v1 offset1:32
	ds_write2_b32 v4, v2, v3 offset0:64 offset1:96
	v_add_u32_e32 v0, 1, v74
	v_add_u32_e32 v36, s26, v18
	v_cmp_le_i32_e32 vcc, s16, v88
	ds_write_b32 v19, v0 offset:24
	v_add_u32_e32 v0, 2, v74
	s_or_b64 s[10:11], vcc, s[10:11]
	v_cmp_lt_i32_e32 vcc, 8, v36
	s_nop 1
	v_cndmask_b32_e32 v74, v74, v0, vcc
	s_andn2_b64 exec, exec, s[10:11]
	s_cbranch_execz .LBB193_43
.LBB193_40:                             ;   Parent Loop BB193_7 Depth=1
                                        ; =>  This Loop Header: Depth=2
                                        ;       Child Loop BB193_42 Depth 3
	v_cmp_gt_i32_e32 vcc, 9, v36
	s_nop 1
	v_cndmask_b32_e64 v0, -9, 0, vcc
	v_add_u32_e32 v18, v0, v36
	v_mul_hi_i32 v0, v88, s62
	v_lshrrev_b32_e32 v1, 31, v0
	v_add_u32_e32 v0, v0, v1
	v_lshl_add_u32 v1, v0, 1, v0
	v_sub_u32_e32 v2, v88, v1
	v_lshlrev_b32_e32 v0, 8, v0
	v_ashrrev_i32_e32 v1, 31, v0
	v_mul_lo_u32 v2, s55, v2
	v_lshl_add_u64 v[0:1], v[16:17], 0, v[0:1]
	v_ashrrev_i32_e32 v3, 31, v2
	v_lshl_add_u64 v[0:1], v[0:1], 0, v[2:3]
	v_lshlrev_b32_e32 v19, 2, v18
	;;#ASMSTART
	global_load_dwordx4 v[12:15], v[0:1], off offset:0    sc0 sc1 nt  
	global_load_dwordx4 v[8:11], v[0:1], off offset:64   sc0 sc1 nt  
	global_load_dwordx4 v[4:7], v[0:1], off offset:128  sc0 sc1 nt  
	global_load_dwordx4 v[0:3], v[0:1], off offset:192  sc0 sc1 nt  
	
	;;#ASMEND
	ds_read_b32 v20, v19 offset:61464
	v_add_u32_e32 v19, 0xf000, v19
	s_waitcnt lgkmcnt(0)
	v_cmp_ne_u32_e32 vcc, v20, v74
	s_and_saveexec_b64 s[12:13], vcc
	s_cbranch_execz .LBB193_39
; %bb.41:                               ;   in Loop: Header=BB193_40 Depth=2
	s_mov_b64 s[14:15], 0
.LBB193_42:                             ;   Parent Loop BB193_7 Depth=1
                                        ;     Parent Loop BB193_40 Depth=2
                                        ; =>    This Inner Loop Header: Depth=3
	;;#ASMSTART
	s_sleep 0
	;;#ASMEND
	ds_read_b32 v20, v19 offset:24
	s_waitcnt lgkmcnt(0)
	v_cmp_eq_u32_e32 vcc, v20, v74
	s_or_b64 s[14:15], vcc, s[14:15]
	s_andn2_b64 exec, exec, s[14:15]
	s_cbranch_execnz .LBB193_42
	s_branch .LBB193_39
.LBB193_43:                             ;   in Loop: Header=BB193_7 Depth=1
	s_or_b64 exec, exec, s[10:11]
.LBB193_44:                             ;   in Loop: Header=BB193_7 Depth=1
	s_or_b64 exec, exec, s[8:9]
	v_subrev_u32_e32 v88, s16, v88
.LBB193_45:                             ;   in Loop: Header=BB193_7 Depth=1
	s_or_b64 exec, exec, s[6:7]
.LBB193_46:                             ;   in Loop: Header=BB193_7 Depth=1
	s_andn2_saveexec_b64 s[6:7], s[30:31]
	s_cbranch_execz .LBB193_6
; %bb.47:                               ;   in Loop: Header=BB193_7 Depth=1
	s_lshl_b32 s16, s66, 1
	v_cmp_gt_i32_e32 vcc, s16, v88
	s_and_saveexec_b64 s[8:9], vcc
	s_cbranch_execz .LBB193_5
; %bb.48:                               ;   in Loop: Header=BB193_7 Depth=1
	s_mul_i32 s63, s63, s22
	s_ashr_i32 s10, s63, 31
	s_waitcnt lgkmcnt(0)
	s_add_u32 s11, s36, s63
	v_add_u32_e32 v2, s65, v83
	s_addc_u32 s12, s37, s10
	s_ashr_i32 s13, s64, 31
	v_cmp_gt_u32_e32 vcc, 32, v2
	s_add_u32 s10, s11, s64
	s_addc_u32 s11, s12, s13
	v_cndmask_b32_e32 v0, 0, v85, vcc
	v_ashrrev_i32_e32 v1, 31, v0
	v_lshl_add_u64 v[0:1], s[10:11], 0, v[0:1]
	v_lshl_add_u64 v[16:17], v[0:1], 0, v[30:31]
	v_sub_u32_e32 v18, 31, v2
	s_mov_b64 s[10:11], 0
	s_branch .LBB193_50
.LBB193_49:                             ;   in Loop: Header=BB193_50 Depth=2
	s_or_b64 exec, exec, s[12:13]
	v_lshl_add_u32 v21, v19, 12, v86
	;;#ASMSTART
	s_waitcnt vmcnt(3)
	;;#ASMEND
	ds_write2_b32 v21, v12, v13 offset1:32
	ds_write2_b32 v21, v14, v15 offset0:64 offset1:96
	v_add_u32_e32 v12, 0x400, v21
	;;#ASMSTART
	s_waitcnt vmcnt(2)
	;;#ASMEND
	ds_write2_b32 v12, v8, v9 offset1:32
	ds_write2_b32 v12, v10, v11 offset0:64 offset1:96
	v_add_u32_e32 v8, 0x800, v21
	;; [unrolled: 6-line block ×3, first 2 shown]
	v_add_u32_e32 v88, s25, v88
	;;#ASMSTART
	s_waitcnt vmcnt(0)
	;;#ASMEND
	ds_write2_b32 v4, v0, v1 offset1:32
	ds_write2_b32 v4, v2, v3 offset0:64 offset1:96
	v_add_u32_e32 v0, 1, v74
	v_add_u32_e32 v36, s25, v19
	v_cmp_le_i32_e32 vcc, s16, v88
	ds_write_b32 v20, v0
	v_add_u32_e32 v0, 2, v74
	s_or_b64 s[10:11], vcc, s[10:11]
	v_cmp_lt_i32_e32 vcc, 5, v36
	s_nop 1
	v_cndmask_b32_e32 v74, v74, v0, vcc
	s_andn2_b64 exec, exec, s[10:11]
	s_cbranch_execz .LBB193_4
.LBB193_50:                             ;   Parent Loop BB193_7 Depth=1
                                        ; =>  This Loop Header: Depth=2
                                        ;       Child Loop BB193_52 Depth 3
	v_cmp_gt_i32_e32 vcc, 6, v36
	s_nop 1
	v_cndmask_b32_e64 v0, -6, 0, vcc
	v_add_u32_e32 v19, v0, v36
	v_lshrrev_b32_e32 v0, 31, v88
	v_add_u32_e32 v0, v88, v0
	v_and_b32_e32 v1, 0xffffffe, v0
	v_sub_u32_e32 v1, v88, v1
	v_lshlrev_b32_e32 v1, 4, v1
	v_cmp_le_i32_e32 vcc, v1, v18
	v_lshlrev_b32_e32 v0, 7, v0
	v_and_b32_e32 v0, 0xffffff00, v0
	v_cndmask_b32_e32 v2, 0, v1, vcc
	v_ashrrev_i32_e32 v1, 31, v0
	v_mul_lo_u32 v2, v2, s22
	v_lshl_add_u64 v[0:1], v[16:17], 0, v[0:1]
	v_ashrrev_i32_e32 v3, 31, v2
	v_lshl_add_u64 v[0:1], v[0:1], 0, v[2:3]
	v_lshlrev_b32_e32 v20, 2, v19
	;;#ASMSTART
	global_load_dwordx4 v[12:15], v[0:1], off offset:0    
	global_load_dwordx4 v[8:11], v[0:1], off offset:64   
	;; [unrolled: 1-line block ×4, first 2 shown]
	
	;;#ASMEND
	ds_read_b32 v21, v20 offset:61440
	v_add_u32_e32 v20, 0xf000, v20
	s_waitcnt lgkmcnt(0)
	v_cmp_ne_u32_e32 vcc, v21, v74
	s_and_saveexec_b64 s[12:13], vcc
	s_cbranch_execz .LBB193_49
; %bb.51:                               ;   in Loop: Header=BB193_50 Depth=2
	s_mov_b64 s[14:15], 0
.LBB193_52:                             ;   Parent Loop BB193_7 Depth=1
                                        ;     Parent Loop BB193_50 Depth=2
                                        ; =>    This Inner Loop Header: Depth=3
	;;#ASMSTART
	s_sleep 0
	;;#ASMEND
	ds_read_b32 v21, v20
	s_waitcnt lgkmcnt(0)
	v_cmp_eq_u32_e32 vcc, v21, v74
	s_or_b64 s[14:15], vcc, s[14:15]
	s_andn2_b64 exec, exec, s[14:15]
	s_cbranch_execnz .LBB193_52
	s_branch .LBB193_49
.LBB193_53:
	s_endpgm
	.section	.rodata,"a",@progbits
	.p2align	6, 0x0
	.amdhsa_kernel _Z19_skinny_gemm_kernelILi2ELi3ELi3ELi16ELi8EEvPKhS1_P6__halfPKfiiiiiiii
		.amdhsa_group_segment_fixed_size 61500
		.amdhsa_private_segment_fixed_size 0
		.amdhsa_kernarg_size 64
		.amdhsa_user_sgpr_count 2
		.amdhsa_user_sgpr_dispatch_ptr 0
		.amdhsa_user_sgpr_queue_ptr 0
		.amdhsa_user_sgpr_kernarg_segment_ptr 1
		.amdhsa_user_sgpr_dispatch_id 0
		.amdhsa_user_sgpr_kernarg_preload_length 0
		.amdhsa_user_sgpr_kernarg_preload_offset 0
		.amdhsa_user_sgpr_private_segment_size 0
		.amdhsa_uses_dynamic_stack 0
		.amdhsa_enable_private_segment 0
		.amdhsa_system_sgpr_workgroup_id_x 1
		.amdhsa_system_sgpr_workgroup_id_y 0
		.amdhsa_system_sgpr_workgroup_id_z 0
		.amdhsa_system_sgpr_workgroup_info 0
		.amdhsa_system_vgpr_workitem_id 0
		.amdhsa_next_free_vgpr 102
		.amdhsa_next_free_sgpr 67
		.amdhsa_accum_offset 104
		.amdhsa_reserve_vcc 1
		.amdhsa_float_round_mode_32 0
		.amdhsa_float_round_mode_16_64 0
		.amdhsa_float_denorm_mode_32 3
		.amdhsa_float_denorm_mode_16_64 3
		.amdhsa_dx10_clamp 1
		.amdhsa_ieee_mode 1
		.amdhsa_fp16_overflow 0
		.amdhsa_tg_split 0
		.amdhsa_exception_fp_ieee_invalid_op 0
		.amdhsa_exception_fp_denorm_src 0
		.amdhsa_exception_fp_ieee_div_zero 0
		.amdhsa_exception_fp_ieee_overflow 0
		.amdhsa_exception_fp_ieee_underflow 0
		.amdhsa_exception_fp_ieee_inexact 0
		.amdhsa_exception_int_div_zero 0
	.end_amdhsa_kernel
	.section	.text._Z19_skinny_gemm_kernelILi2ELi3ELi3ELi16ELi8EEvPKhS1_P6__halfPKfiiiiiiii,"axG",@progbits,_Z19_skinny_gemm_kernelILi2ELi3ELi3ELi16ELi8EEvPKhS1_P6__halfPKfiiiiiiii,comdat
.Lfunc_end193:
	.size	_Z19_skinny_gemm_kernelILi2ELi3ELi3ELi16ELi8EEvPKhS1_P6__halfPKfiiiiiiii, .Lfunc_end193-_Z19_skinny_gemm_kernelILi2ELi3ELi3ELi16ELi8EEvPKhS1_P6__halfPKfiiiiiiii
                                        ; -- End function
	.set _Z19_skinny_gemm_kernelILi2ELi3ELi3ELi16ELi8EEvPKhS1_P6__halfPKfiiiiiiii.num_vgpr, 102
	.set _Z19_skinny_gemm_kernelILi2ELi3ELi3ELi16ELi8EEvPKhS1_P6__halfPKfiiiiiiii.num_agpr, 0
	.set _Z19_skinny_gemm_kernelILi2ELi3ELi3ELi16ELi8EEvPKhS1_P6__halfPKfiiiiiiii.numbered_sgpr, 67
	.set _Z19_skinny_gemm_kernelILi2ELi3ELi3ELi16ELi8EEvPKhS1_P6__halfPKfiiiiiiii.num_named_barrier, 0
	.set _Z19_skinny_gemm_kernelILi2ELi3ELi3ELi16ELi8EEvPKhS1_P6__halfPKfiiiiiiii.private_seg_size, 0
	.set _Z19_skinny_gemm_kernelILi2ELi3ELi3ELi16ELi8EEvPKhS1_P6__halfPKfiiiiiiii.uses_vcc, 1
	.set _Z19_skinny_gemm_kernelILi2ELi3ELi3ELi16ELi8EEvPKhS1_P6__halfPKfiiiiiiii.uses_flat_scratch, 0
	.set _Z19_skinny_gemm_kernelILi2ELi3ELi3ELi16ELi8EEvPKhS1_P6__halfPKfiiiiiiii.has_dyn_sized_stack, 0
	.set _Z19_skinny_gemm_kernelILi2ELi3ELi3ELi16ELi8EEvPKhS1_P6__halfPKfiiiiiiii.has_recursion, 0
	.set _Z19_skinny_gemm_kernelILi2ELi3ELi3ELi16ELi8EEvPKhS1_P6__halfPKfiiiiiiii.has_indirect_call, 0
	.section	.AMDGPU.csdata,"",@progbits
; Kernel info:
; codeLenInByte = 5512
; TotalNumSgprs: 73
; NumVgprs: 102
; NumAgprs: 0
; TotalNumVgprs: 102
; ScratchSize: 0
; MemoryBound: 0
; FloatMode: 240
; IeeeMode: 1
; LDSByteSize: 61500 bytes/workgroup (compile time only)
; SGPRBlocks: 9
; VGPRBlocks: 12
; NumSGPRsForWavesPerEU: 73
; NumVGPRsForWavesPerEU: 102
; AccumOffset: 104
; Occupancy: 4
; WaveLimiterHint : 0
; COMPUTE_PGM_RSRC2:SCRATCH_EN: 0
; COMPUTE_PGM_RSRC2:USER_SGPR: 2
; COMPUTE_PGM_RSRC2:TRAP_HANDLER: 0
; COMPUTE_PGM_RSRC2:TGID_X_EN: 1
; COMPUTE_PGM_RSRC2:TGID_Y_EN: 0
; COMPUTE_PGM_RSRC2:TGID_Z_EN: 0
; COMPUTE_PGM_RSRC2:TIDIG_COMP_CNT: 0
; COMPUTE_PGM_RSRC3_GFX90A:ACCUM_OFFSET: 25
; COMPUTE_PGM_RSRC3_GFX90A:TG_SPLIT: 0
	.section	.text._Z19_skinny_gemm_kernelILi2ELi3ELi3ELi32ELi4EEvPKhS1_P6__halfPKfiiiiiiii,"axG",@progbits,_Z19_skinny_gemm_kernelILi2ELi3ELi3ELi32ELi4EEvPKhS1_P6__halfPKfiiiiiiii,comdat
	.protected	_Z19_skinny_gemm_kernelILi2ELi3ELi3ELi32ELi4EEvPKhS1_P6__halfPKfiiiiiiii ; -- Begin function _Z19_skinny_gemm_kernelILi2ELi3ELi3ELi32ELi4EEvPKhS1_P6__halfPKfiiiiiiii
	.globl	_Z19_skinny_gemm_kernelILi2ELi3ELi3ELi32ELi4EEvPKhS1_P6__halfPKfiiiiiiii
	.p2align	8
	.type	_Z19_skinny_gemm_kernelILi2ELi3ELi3ELi32ELi4EEvPKhS1_P6__halfPKfiiiiiiii,@function
_Z19_skinny_gemm_kernelILi2ELi3ELi3ELi32ELi4EEvPKhS1_P6__halfPKfiiiiiiii: ; @_Z19_skinny_gemm_kernelILi2ELi3ELi3ELi32ELi4EEvPKhS1_P6__halfPKfiiiiiiii
; %bb.0:
	v_cmp_gt_u32_e32 vcc, 15, v0
	s_and_saveexec_b64 s[4:5], vcc
; %bb.1:
	v_lshlrev_b32_e32 v1, 2, v0
	v_mov_b32_e32 v2, 0
	ds_write_b32 v1, v2 offset:30720
; %bb.2:
	s_or_b64 exec, exec, s[4:5]
	s_load_dwordx8 s[92:99], s[0:1], 0x20
	s_waitcnt lgkmcnt(0)
	s_barrier
	s_add_i32 s3, s92, 63
	s_ashr_i32 s5, s3, 31
	s_add_i32 s4, s93, 0x5f
	s_lshr_b32 s5, s5, 26
	s_mul_hi_i32 s4, s4, 0x2aaaaaab
	s_add_i32 s3, s3, s5
	s_ashr_i32 s14, s3, 6
	s_lshr_b32 s3, s4, 31
	s_ashr_i32 s4, s4, 4
	s_add_i32 s15, s4, s3
	s_mul_i32 s3, s15, s14
	s_mul_i32 s3, s3, s96
	s_add_i32 s4, s3, 0x12f
	s_mul_hi_i32 s4, s4, 0x6bca1af3
	s_lshr_b32 s5, s4, 31
	s_ashr_i32 s4, s4, 7
	s_add_i32 s4, s4, s5
	s_add_i32 s5, s2, 1
	s_mul_i32 s5, s4, s5
	v_cvt_f64_i32_e32 v[2:3], s3
	v_cvt_f64_u32_e32 v[4:5], s5
	v_min_f64 v[2:3], v[2:3], v[4:5]
	v_cvt_i32_f64_e32 v62, v[2:3]
	s_mul_i32 s33, s4, s2
	v_cmp_ge_i32_e32 vcc, s33, v62
	s_cbranch_vccnz .LBB194_51
; %bb.3:
	s_load_dwordx8 s[16:23], s[0:1], 0x0
	v_lshrrev_b32_e32 v1, 6, v0
	s_add_i32 s0, s98, s97
	v_cmp_le_i32_e64 s[24:25], s0, v1
	v_mov_b32_e32 v2, s97
	v_cmp_le_i32_e64 s[26:27], s97, v1
	v_mov_b32_e32 v3, s98
	v_cndmask_b32_e64 v3, 0, v3, s[24:25]
	v_cndmask_b32_e64 v2, 0, v2, s[26:27]
	s_abs_i32 s1, s96
	v_add_u32_e32 v2, v2, v3
	v_cvt_f32_u32_e32 v3, s1
	v_sub_u32_e32 v56, v1, v2
	s_ashr_i32 s2, s94, 31
	s_lshr_b32 s2, s2, 26
	v_rcp_iflag_f32_e32 v2, v3
	s_sub_i32 s5, 0, s1
	s_add_i32 s2, s94, s2
	s_ashr_i32 s2, s2, 6
	v_mul_f32_e32 v2, 0x4f7ffffe, v2
	v_cvt_u32_f32_e32 v2, v2
	s_abs_i32 s4, s2
	s_xor_b32 s3, s2, s96
	s_ashr_i32 s3, s3, 31
	v_readfirstlane_b32 s6, v2
	s_mul_i32 s5, s5, s6
	s_mul_hi_u32 s5, s6, s5
	s_add_i32 s6, s6, s5
	s_mul_hi_u32 s5, s4, s6
	s_mul_i32 s6, s5, s1
	s_sub_i32 s4, s4, s6
	s_add_i32 s6, s5, 1
	s_sub_i32 s7, s4, s1
	s_cmp_ge_u32 s4, s1
	s_cselect_b32 s5, s6, s5
	s_cselect_b32 s4, s7, s4
	s_add_i32 s6, s5, 1
	s_cmp_ge_u32 s4, s1
	s_cselect_b32 s1, s6, s5
	s_add_i32 s0, s0, s99
	v_and_b32_e32 v64, 31, v0
	v_lshrrev_b32_e32 v2, 3, v0
	v_cmp_gt_i32_e64 s[34:35], s0, v1
	v_lshlrev_b32_e32 v1, 2, v64
	v_and_b32_e32 v3, 4, v2
	v_lshlrev_b32_e32 v2, 6, v3
	v_or_b32_e32 v4, 0x4800, v1
	v_and_b32_e32 v5, 1, v0
	s_add_i32 s29, s96, -1
	v_or_b32_e32 v65, v4, v2
	v_or_b32_e32 v66, v1, v2
	v_lshlrev_b32_e32 v2, 1, v5
	v_lshrrev_b32_e32 v7, 1, v0
	s_abs_i32 s96, s14
	v_sub_u32_e32 v2, v0, v2
	v_and_b32_e32 v50, 16, v7
	v_cvt_f32_u32_e32 v7, s96
	v_add_u32_e32 v2, 1, v2
	v_and_b32_e32 v6, 63, v2
	v_bitop3_b32 v67, v0, 1, v0 bitop3:0xc
	v_bitop3_b32 v68, v0, 3, 1 bitop3:0x6c
	;; [unrolled: 1-line block ×8, first 2 shown]
	v_and_b32_e32 v2, 30, v0
	v_lshlrev_b32_e32 v0, 4, v0
                                        ; implicit-def: $vgpr92 : SGPR spill to VGPR lane
	v_and_b32_e32 v0, 0x200, v0
	v_writelane_b32 v92, s14, 0
	v_or_b32_e32 v77, v1, v0
	v_rcp_iflag_f32_e32 v1, v7
	v_writelane_b32 v92, s15, 1
	s_waitcnt lgkmcnt(0)
	v_writelane_b32 v92, s16, 2
	s_abs_i32 s90, s15
	v_or_b32_e32 v79, v4, v0
	v_writelane_b32 v92, s17, 3
	v_writelane_b32 v92, s18, 4
	v_mul_f32_e32 v0, 0x4f7ffffe, v1
	v_cvt_f32_u32_e32 v1, s90
	v_writelane_b32 v92, s19, 5
	v_writelane_b32 v92, s20, 6
	;; [unrolled: 1-line block ×4, first 2 shown]
	v_cvt_u32_f32_e32 v0, v0
	v_rcp_iflag_f32_e32 v1, v1
	v_writelane_b32 v92, s23, 9
	v_cndmask_b32_e64 v63, 0, 1, s[24:25]
	s_xor_b32 s1, s1, s3
	v_writelane_b32 v92, s24, 10
	s_sub_i32 s28, s1, s3
	s_mul_i32 s1, s28, s29
	v_writelane_b32 v92, s25, 11
	v_writelane_b32 v92, s26, 12
	s_sub_i32 s30, s2, s1
	v_readfirstlane_b32 s1, v0
	v_mul_f32_e32 v0, 0x4f7ffffe, v1
	v_writelane_b32 v92, s27, 13
	v_cvt_u32_f32_e32 v0, v0
	v_writelane_b32 v92, s28, 14
	s_sub_i32 s0, 0, s96
	v_writelane_b32 v92, s29, 15
	s_mul_i32 s0, s0, s1
	v_writelane_b32 v92, s30, 16
	s_mul_hi_u32 s0, s1, s0
	v_writelane_b32 v92, s34, 17
	s_ashr_i32 s31, s14, 31
	s_add_i32 s36, s1, s0
	s_sub_i32 s0, 0, s90
	v_readfirstlane_b32 s1, v0
	v_mbcnt_lo_u32_b32 v0, -1, 0
	v_writelane_b32 v92, s35, 18
	s_mul_i32 s0, s0, s1
	v_mbcnt_hi_u32_b32 v0, -1, v0
	v_writelane_b32 v92, s31, 19
	v_mov_b32_e32 v49, 0
	v_mul_lo_u32 v52, s95, v64
	v_or_b32_e32 v80, v5, v3
	s_ashr_i32 s37, s15, 31
	s_mul_hi_u32 s0, s1, s0
	v_and_or_b32 v0, v0, 64, v6
	v_writelane_b32 v92, s36, 20
	v_or_b32_e32 v75, 32, v64
	v_or_b32_e32 v76, 64, v64
	v_ashrrev_i32_e32 v53, 31, v52
	v_mov_b32_e32 v51, v49
	s_lshl_b32 s91, s95, 5
	v_mul_lo_u32 v78, s94, v64
	v_or_b32_e32 v81, 2, v80
	s_add_i32 s38, s1, s0
	v_lshlrev_b32_e32 v48, 1, v2
	v_lshlrev_b32_e32 v82, 2, v0
	v_mov_b32_e32 v83, v56
	v_writelane_b32 v92, s37, 21
	v_writelane_b32 v92, s38, 22
	s_branch .LBB194_7
.LBB194_4:                              ;   in Loop: Header=BB194_7 Depth=1
	s_or_b64 exec, exec, s[4:5]
.LBB194_5:                              ;   in Loop: Header=BB194_7 Depth=1
	s_or_b64 exec, exec, s[2:3]
	v_subrev_u32_e32 v83, s10, v83
.LBB194_6:                              ;   in Loop: Header=BB194_7 Depth=1
	s_or_b64 exec, exec, s[0:1]
	s_add_i32 s33, s33, 1
	v_cmp_ge_i32_e32 vcc, s33, v62
	s_cbranch_vccnz .LBB194_51
.LBB194_7:                              ; =>This Loop Header: Depth=1
                                        ;     Child Loop BB194_13 Depth 2
                                        ;       Child Loop BB194_15 Depth 3
                                        ;       Child Loop BB194_18 Depth 3
	;; [unrolled: 1-line block ×4, first 2 shown]
                                        ;     Child Loop BB194_29 Depth 2
                                        ;     Child Loop BB194_38 Depth 2
                                        ;       Child Loop BB194_40 Depth 3
                                        ;     Child Loop BB194_48 Depth 2
                                        ;       Child Loop BB194_50 Depth 3
	s_abs_i32 s1, s33
	s_mul_hi_u32 s2, s1, s36
	s_mul_i32 s3, s2, s96
	s_ashr_i32 s0, s33, 31
	s_sub_i32 s1, s1, s3
	s_xor_b32 s0, s0, s31
	s_add_i32 s3, s2, 1
	s_sub_i32 s4, s1, s96
	s_cmp_ge_u32 s1, s96
	s_cselect_b32 s2, s3, s2
	s_cselect_b32 s1, s4, s1
	s_add_i32 s3, s2, 1
	s_cmp_ge_u32 s1, s96
	s_cselect_b32 s1, s3, s2
	s_xor_b32 s1, s1, s0
	s_sub_i32 s0, s1, s0
	s_abs_i32 s2, s0
	s_mul_i32 s1, s0, s14
	s_mul_hi_u32 s3, s2, s38
	s_sub_i32 s1, s33, s1
	s_mul_i32 s4, s3, s90
	s_lshl_b32 s39, s1, 6
	s_ashr_i32 s1, s0, 31
	s_sub_i32 s2, s2, s4
	s_xor_b32 s1, s1, s37
	s_add_i32 s4, s3, 1
	s_sub_i32 s5, s2, s90
	s_cmp_ge_u32 s2, s90
	s_cselect_b32 s3, s4, s3
	s_cselect_b32 s2, s5, s2
	s_add_i32 s4, s3, 1
	s_cmp_ge_u32 s2, s90
	s_cselect_b32 s2, s4, s3
	s_xor_b32 s2, s2, s1
	s_sub_i32 s1, s2, s1
	s_mul_i32 s2, s1, s28
	s_lshl_b32 s13, s2, 6
	s_cmp_eq_u32 s1, s29
	s_cselect_b32 s4, s30, s28
	s_sub_i32 s2, s39, s92
	s_add_i32 s2, s2, 64
	s_max_i32 s5, s2, 0
	s_and_saveexec_b64 s[2:3], s[26:27]
	s_xor_b64 s[2:3], exec, s[2:3]
	v_writelane_b32 v92, s2, 23
	s_nop 1
	v_writelane_b32 v92, s3, 24
	s_cbranch_execz .LBB194_44
; %bb.8:                                ;   in Loop: Header=BB194_7 Depth=1
	s_mul_i32 s1, s1, s15
	s_sub_i32 s0, s0, s1
	s_mulk_i32 s0, 0x60
	s_sub_i32 s70, s0, s93
	s_addk_i32 s70, 0x60
	s_max_i32 s1, s70, 0
	s_sub_i32 s0, s0, s1
	v_writelane_b32 v92, s13, 25
	s_and_saveexec_b64 s[2:3], s[24:25]
	s_xor_b64 s[2:3], exec, s[2:3]
	s_cbranch_execz .LBB194_34
; %bb.9:                                ;   in Loop: Header=BB194_7 Depth=1
	s_mov_b64 s[6:7], exec
	v_writelane_b32 v92, s6, 26
	s_nop 1
	v_writelane_b32 v92, s7, 27
	s_and_b64 s[6:7], s[6:7], s[34:35]
	s_mov_b64 exec, s[6:7]
	s_cbranch_execz .LBB194_33
; %bb.10:                               ;   in Loop: Header=BB194_7 Depth=1
	global_load_dword v84, v49, s[22:23]
	v_mov_b32_e32 v47, 0
	v_cmp_gt_i32_e32 vcc, s4, v83
	v_mov_b32_e32 v46, v47
	v_mov_b32_e32 v45, v47
	;; [unrolled: 1-line block ×47, first 2 shown]
	s_and_saveexec_b64 s[6:7], vcc
	s_cbranch_execz .LBB194_26
; %bb.11:                               ;   in Loop: Header=BB194_7 Depth=1
	v_mov_b32_e32 v0, 0
	s_mov_b64 s[8:9], 0
	v_mov_b32_e32 v1, v0
	v_mov_b32_e32 v2, v0
	v_mov_b32_e32 v3, v0
	v_mov_b32_e32 v4, v0
	v_mov_b32_e32 v5, v0
	v_mov_b32_e32 v6, v0
	v_mov_b32_e32 v7, v0
	v_mov_b32_e32 v8, v0
	v_mov_b32_e32 v9, v0
	v_mov_b32_e32 v10, v0
	v_mov_b32_e32 v11, v0
	v_mov_b32_e32 v12, v0
	v_mov_b32_e32 v13, v0
	v_mov_b32_e32 v14, v0
	v_mov_b32_e32 v15, v0
	v_mov_b32_e32 v16, v0
	v_mov_b32_e32 v17, v0
	v_mov_b32_e32 v18, v0
	v_mov_b32_e32 v19, v0
	v_mov_b32_e32 v20, v0
	v_mov_b32_e32 v21, v0
	v_mov_b32_e32 v22, v0
	v_mov_b32_e32 v23, v0
	v_mov_b32_e32 v24, v0
	v_mov_b32_e32 v25, v0
	v_mov_b32_e32 v26, v0
	v_mov_b32_e32 v27, v0
	v_mov_b32_e32 v28, v0
	v_mov_b32_e32 v29, v0
	v_mov_b32_e32 v30, v0
	v_mov_b32_e32 v31, v0
	v_mov_b32_e32 v32, v0
	v_mov_b32_e32 v33, v0
	v_mov_b32_e32 v34, v0
	v_mov_b32_e32 v35, v0
	v_mov_b32_e32 v36, v0
	v_mov_b32_e32 v37, v0
	v_mov_b32_e32 v38, v0
	v_mov_b32_e32 v39, v0
	v_mov_b32_e32 v40, v0
	v_mov_b32_e32 v41, v0
	v_mov_b32_e32 v42, v0
	v_mov_b32_e32 v43, v0
	v_mov_b32_e32 v44, v0
	v_mov_b32_e32 v45, v0
	v_mov_b32_e32 v46, v0
	v_mov_b32_e32 v47, v0
	s_branch .LBB194_13
.LBB194_12:                             ;   in Loop: Header=BB194_13 Depth=2
	s_or_b64 exec, exec, s[10:11]
	v_add_u32_e32 v89, 0x1000, v88
	ds_read2_b32 v[90:91], v89 offset1:32
	v_add_u32_e32 v83, s99, v83
	s_waitcnt lgkmcnt(0)
	v_mfma_f32_32x32x16_fp8_fp8 v[0:15], v[60:61], v[90:91], v[0:15]
	ds_read2_b32 v[60:61], v89 offset0:128 offset1:160
	s_waitcnt lgkmcnt(0)
	v_mfma_f32_32x32x16_fp8_fp8 v[0:15], v[58:59], v[60:61], v[0:15]
	v_add_u32_e32 v60, 0x1400, v88
	ds_read2_b32 v[58:59], v60 offset1:32
	ds_read2_b32 v[60:61], v60 offset0:128 offset1:160
	ds_write_b32 v86, v87 offset:30740
	s_waitcnt lgkmcnt(2)
	v_mfma_f32_32x32x16_fp8_fp8 v[0:15], v[56:57], v[58:59], v[0:15]
	v_add_u32_e32 v56, s99, v85
	v_add_u32_e32 v57, 2, v63
	v_cmp_lt_i32_e32 vcc, 2, v56
	s_nop 1
	v_cndmask_b32_e32 v63, v63, v57, vcc
	v_cmp_le_i32_e32 vcc, s4, v83
	s_waitcnt lgkmcnt(1)
	v_mfma_f32_32x32x16_fp8_fp8 v[0:15], v[54:55], v[60:61], v[0:15]
	s_or_b64 s[8:9], vcc, s[8:9]
	s_andn2_b64 exec, exec, s[8:9]
	s_cbranch_execz .LBB194_25
.LBB194_13:                             ;   Parent Loop BB194_7 Depth=1
                                        ; =>  This Loop Header: Depth=2
                                        ;       Child Loop BB194_15 Depth 3
                                        ;       Child Loop BB194_18 Depth 3
	;; [unrolled: 1-line block ×4, first 2 shown]
	v_cmp_gt_i32_e32 vcc, 3, v56
	s_nop 1
	v_cndmask_b32_e64 v54, -3, 0, vcc
	v_add_u32_e32 v85, v54, v56
	v_mul_lo_u32 v86, v85, 24
	ds_read_b32 v54, v86 offset:30720
	s_waitcnt lgkmcnt(0)
	v_cmp_ne_u32_e32 vcc, v54, v63
	s_and_saveexec_b64 s[10:11], vcc
	s_cbranch_execz .LBB194_16
; %bb.14:                               ;   in Loop: Header=BB194_13 Depth=2
	s_mov_b64 s[12:13], 0
.LBB194_15:                             ;   Parent Loop BB194_7 Depth=1
                                        ;     Parent Loop BB194_13 Depth=2
                                        ; =>    This Inner Loop Header: Depth=3
	;;#ASMSTART
	s_sleep 0
	;;#ASMEND
	ds_read_b32 v54, v86 offset:30720
	s_waitcnt lgkmcnt(0)
	v_cmp_eq_u32_e32 vcc, v54, v63
	s_or_b64 s[12:13], vcc, s[12:13]
	s_andn2_b64 exec, exec, s[12:13]
	s_cbranch_execnz .LBB194_15
.LBB194_16:                             ;   in Loop: Header=BB194_13 Depth=2
	s_or_b64 exec, exec, s[10:11]
	v_lshl_add_u32 v54, v85, 11, v65
	ds_read2_b32 v[60:61], v54 offset1:32
	ds_read2_b32 v[58:59], v54 offset0:128 offset1:160
	v_add_u32_e32 v54, 0x400, v54
	ds_read2_b32 v[56:57], v54 offset1:32
	ds_read_b32 v88, v86 offset:30724
	ds_read2_b32 v[54:55], v54 offset0:128 offset1:160
	v_add_u32_e32 v87, 1, v63
	ds_write_b32 v86, v87 offset:30720
	s_waitcnt lgkmcnt(2)
	v_cmp_ne_u32_e32 vcc, v88, v63
	s_and_saveexec_b64 s[10:11], vcc
	s_cbranch_execz .LBB194_19
; %bb.17:                               ;   in Loop: Header=BB194_13 Depth=2
	s_mov_b64 s[12:13], 0
.LBB194_18:                             ;   Parent Loop BB194_7 Depth=1
                                        ;     Parent Loop BB194_13 Depth=2
                                        ; =>    This Inner Loop Header: Depth=3
	;;#ASMSTART
	s_sleep 0
	;;#ASMEND
	ds_read_b32 v88, v86 offset:30724
	s_waitcnt lgkmcnt(0)
	v_cmp_eq_u32_e32 vcc, v88, v63
	s_or_b64 s[12:13], vcc, s[12:13]
	s_andn2_b64 exec, exec, s[12:13]
	s_cbranch_execnz .LBB194_18
.LBB194_19:                             ;   in Loop: Header=BB194_13 Depth=2
	s_or_b64 exec, exec, s[10:11]
	s_movk_i32 s1, 0x1800
	v_mul_lo_u32 v88, v85, s1
	v_or_b32_e32 v89, v66, v88
	ds_read2_b32 v[90:91], v89 offset1:32
	ds_write_b32 v86, v87 offset:30724
	s_waitcnt lgkmcnt(1)
	v_mfma_f32_32x32x16_fp8_fp8 v[32:47], v[60:61], v[90:91], v[32:47]
	ds_read2_b32 v[90:91], v89 offset0:128 offset1:160
	v_add_u32_e32 v89, 0x400, v89
	s_waitcnt lgkmcnt(0)
	v_mfma_f32_32x32x16_fp8_fp8 v[32:47], v[58:59], v[90:91], v[32:47]
	ds_read2_b32 v[90:91], v89 offset1:32
	s_waitcnt lgkmcnt(0)
	v_mfma_f32_32x32x16_fp8_fp8 v[32:47], v[56:57], v[90:91], v[32:47]
	ds_read2_b32 v[90:91], v89 offset0:128 offset1:160
	ds_read_b32 v89, v86 offset:30732
	s_waitcnt lgkmcnt(0)
	v_cmp_ne_u32_e32 vcc, v89, v63
	v_mfma_f32_32x32x16_fp8_fp8 v[32:47], v[54:55], v[90:91], v[32:47]
	s_and_saveexec_b64 s[10:11], vcc
	s_cbranch_execz .LBB194_22
; %bb.20:                               ;   in Loop: Header=BB194_13 Depth=2
	s_mov_b64 s[12:13], 0
.LBB194_21:                             ;   Parent Loop BB194_7 Depth=1
                                        ;     Parent Loop BB194_13 Depth=2
                                        ; =>    This Inner Loop Header: Depth=3
	;;#ASMSTART
	s_sleep 0
	;;#ASMEND
	ds_read_b32 v89, v86 offset:30732
	s_waitcnt lgkmcnt(0)
	v_cmp_eq_u32_e32 vcc, v89, v63
	s_or_b64 s[12:13], vcc, s[12:13]
	s_andn2_b64 exec, exec, s[12:13]
	s_cbranch_execnz .LBB194_21
.LBB194_22:                             ;   in Loop: Header=BB194_13 Depth=2
	s_or_b64 exec, exec, s[10:11]
	v_add_u32_e32 v88, v66, v88
	v_add_u32_e32 v89, 0x800, v88
	ds_read2_b32 v[90:91], v89 offset1:32
	ds_write_b32 v86, v87 offset:30732
	s_waitcnt lgkmcnt(1)
	v_mfma_f32_32x32x16_fp8_fp8 v[16:31], v[60:61], v[90:91], v[16:31]
	ds_read2_b32 v[90:91], v89 offset0:128 offset1:160
	v_add_u32_e32 v89, 0xc00, v88
	s_waitcnt lgkmcnt(0)
	v_mfma_f32_32x32x16_fp8_fp8 v[16:31], v[58:59], v[90:91], v[16:31]
	ds_read2_b32 v[90:91], v89 offset1:32
	s_waitcnt lgkmcnt(0)
	v_mfma_f32_32x32x16_fp8_fp8 v[16:31], v[56:57], v[90:91], v[16:31]
	ds_read2_b32 v[90:91], v89 offset0:128 offset1:160
	ds_read_b32 v89, v86 offset:30740
	s_waitcnt lgkmcnt(0)
	v_cmp_ne_u32_e32 vcc, v89, v63
	v_mfma_f32_32x32x16_fp8_fp8 v[16:31], v[54:55], v[90:91], v[16:31]
	s_and_saveexec_b64 s[10:11], vcc
	s_cbranch_execz .LBB194_12
; %bb.23:                               ;   in Loop: Header=BB194_13 Depth=2
	s_mov_b64 s[12:13], 0
.LBB194_24:                             ;   Parent Loop BB194_7 Depth=1
                                        ;     Parent Loop BB194_13 Depth=2
                                        ; =>    This Inner Loop Header: Depth=3
	;;#ASMSTART
	s_sleep 0
	;;#ASMEND
	ds_read_b32 v89, v86 offset:30740
	s_waitcnt lgkmcnt(0)
	v_cmp_eq_u32_e32 vcc, v89, v63
	s_or_b64 s[12:13], vcc, s[12:13]
	s_andn2_b64 exec, exec, s[12:13]
	s_cbranch_execnz .LBB194_24
	s_branch .LBB194_12
.LBB194_25:                             ;   in Loop: Header=BB194_7 Depth=1
	s_or_b64 exec, exec, s[8:9]
.LBB194_26:                             ;   in Loop: Header=BB194_7 Depth=1
	s_or_b64 exec, exec, s[6:7]
	v_cmp_le_i32_e32 vcc, s70, v64
	v_cmp_eq_u32_e64 s[60:61], 1, v67
	v_cmp_eq_u32_e64 s[26:27], 2, v67
	s_waitcnt vmcnt(0)
	v_cndmask_b32_e32 v54, 0, v84, vcc
	v_pk_mul_f32 v[32:33], v[54:55], v[32:33] op_sel_hi:[0,1]
	v_pk_mul_f32 v[46:47], v[54:55], v[46:47] op_sel_hi:[0,1]
	;; [unrolled: 1-line block ×8, first 2 shown]
	v_cndmask_b32_e64 v54, v32, v33, s[60:61]
	v_cndmask_b32_e64 v54, v54, v34, s[26:27]
	v_cmp_eq_u32_e64 s[40:41], 3, v67
	v_cmp_eq_u32_e64 s[42:43], 4, v67
	v_cmp_eq_u32_e64 s[44:45], 5, v67
	v_cndmask_b32_e64 v54, v54, v35, s[40:41]
	v_cndmask_b32_e64 v54, v54, v36, s[42:43]
	v_cndmask_b32_e64 v54, v54, v37, s[44:45]
	v_cmp_eq_u32_e64 s[46:47], 6, v67
	v_cmp_eq_u32_e64 s[48:49], 7, v67
	v_cmp_eq_u32_e64 s[50:51], 8, v67
	v_cndmask_b32_e64 v54, v54, v38, s[46:47]
	v_cndmask_b32_e64 v54, v54, v39, s[48:49]
	v_cndmask_b32_e64 v54, v54, v40, s[50:51]
	v_cmp_eq_u32_e64 s[52:53], 9, v67
	v_cmp_eq_u32_e64 s[54:55], 10, v67
	v_cmp_eq_u32_e64 s[56:57], 11, v67
	v_cndmask_b32_e64 v54, v54, v41, s[52:53]
	v_cndmask_b32_e64 v54, v54, v42, s[54:55]
	v_cndmask_b32_e64 v54, v54, v43, s[56:57]
	v_cmp_eq_u32_e64 s[58:59], 12, v67
	v_cmp_eq_u32_e64 s[62:63], 13, v67
	v_cmp_eq_u32_e64 s[64:65], 14, v67
	v_cndmask_b32_e64 v54, v54, v44, s[58:59]
	v_cndmask_b32_e64 v54, v54, v45, s[62:63]
	v_cndmask_b32_e64 v54, v54, v46, s[64:65]
	v_cmp_eq_u32_e64 s[66:67], 15, v67
	s_mul_i32 s6, s39, s93
	s_ashr_i32 s7, s6, 31
	v_cndmask_b32_e64 v54, v54, v47, s[66:67]
	ds_bpermute_b32 v54, v82, v54
	s_lshl_b64 s[6:7], s[6:7], 1
	v_cmp_eq_u32_e64 s[36:37], 0, v67
	s_add_u32 s71, s20, s6
	v_cmp_eq_u32_e32 vcc, 1, v68
	s_waitcnt lgkmcnt(0)
	v_cndmask_b32_e64 v47, v47, v54, s[66:67]
	v_cndmask_b32_e64 v46, v46, v54, s[64:65]
	;; [unrolled: 1-line block ×16, first 2 shown]
	s_addc_u32 s72, s21, s7
	v_cndmask_b32_e32 v32, v54, v86, vcc
	v_cmp_eq_u32_e64 s[6:7], 2, v68
	v_cmp_eq_u32_e64 s[8:9], 3, v68
	v_cmp_eq_u32_e64 s[10:11], 4, v68
	v_cndmask_b32_e64 v32, v32, v85, s[6:7]
	v_cndmask_b32_e64 v32, v32, v61, s[8:9]
	v_cndmask_b32_e64 v32, v32, v60, s[10:11]
	v_cmp_eq_u32_e64 s[12:13], 5, v68
	v_cmp_eq_u32_e64 s[14:15], 6, v68
	v_cmp_eq_u32_e64 s[16:17], 7, v68
	v_cndmask_b32_e64 v32, v32, v59, s[12:13]
	v_cndmask_b32_e64 v32, v32, v58, s[14:15]
	v_cndmask_b32_e64 v32, v32, v57, s[16:17]
	;; [unrolled: 6-line block ×4, first 2 shown]
	v_cmp_eq_u32_e64 s[34:35], 14, v68
	v_writelane_b32 v92, s39, 28
	v_cmp_eq_u32_e64 s[38:39], 15, v68
	v_cndmask_b32_e64 v32, v32, v46, s[34:35]
	s_ashr_i32 s1, s0, 31
	v_cndmask_b32_e64 v32, v32, v47, s[38:39]
	ds_bpermute_b32 v55, v82, v32
	s_lshl_b64 s[68:69], s[0:1], 1
	s_add_u32 s68, s71, s68
	s_addc_u32 s69, s72, s69
	v_writelane_b32 v92, s68, 29
	s_waitcnt lgkmcnt(0)
	v_cndmask_b32_e64 v33, v47, v55, s[38:39]
	v_cndmask_b32_e64 v38, v42, v55, s[22:23]
	v_writelane_b32 v92, s69, 30
	v_cmp_le_i32_e64 s[68:69], s70, v75
	v_cmp_le_i32_e64 s[70:71], s70, v76
	v_cndmask_b32_e64 v42, v58, v55, s[14:15]
	v_cndmask_b32_e64 v32, 0, v84, s[68:69]
	;; [unrolled: 1-line block ×3, first 2 shown]
	v_pk_mul_f32 v[16:17], v[32:33], v[16:17] op_sel_hi:[0,1]
	v_pk_mul_f32 v[0:1], v[58:59], v[0:1] op_sel_hi:[0,1]
	v_cndmask_b32_e64 v35, v45, v55, s[30:31]
	v_cndmask_b32_e64 v36, v44, v55, s[28:29]
	;; [unrolled: 1-line block ×4, first 2 shown]
	v_pk_mul_f32 v[30:31], v[32:33], v[30:31] op_sel_hi:[0,1]
	v_pk_mul_f32 v[28:29], v[32:33], v[28:29] op_sel_hi:[0,1]
	v_pk_mul_f32 v[26:27], v[32:33], v[26:27] op_sel_hi:[0,1]
	v_pk_mul_f32 v[24:25], v[32:33], v[24:25] op_sel_hi:[0,1]
	v_pk_mul_f32 v[22:23], v[32:33], v[22:23] op_sel_hi:[0,1]
	v_pk_mul_f32 v[20:21], v[32:33], v[20:21] op_sel_hi:[0,1]
	v_pk_mul_f32 v[18:19], v[32:33], v[18:19] op_sel_hi:[0,1]
	v_cndmask_b32_e64 v32, v16, v17, s[60:61]
	v_pk_mul_f32 v[60:61], v[58:59], v[4:5] op_sel_hi:[0,1]
	v_pk_mul_f32 v[2:3], v[58:59], v[2:3] op_sel_hi:[0,1]
	v_cndmask_b32_e64 v4, v0, v1, s[60:61]
	v_cndmask_b32_e64 v32, v32, v18, s[26:27]
	;; [unrolled: 1-line block ×8, first 2 shown]
	v_pk_mul_f32 v[6:7], v[58:59], v[6:7] op_sel_hi:[0,1]
	v_cndmask_b32_e64 v4, v4, v61, s[44:45]
	v_cndmask_b32_e64 v32, v32, v22, s[46:47]
	v_cndmask_b32_e64 v4, v4, v6, s[46:47]
	v_cndmask_b32_e64 v32, v32, v23, s[48:49]
	v_pk_mul_f32 v[8:9], v[58:59], v[8:9] op_sel_hi:[0,1]
	v_cndmask_b32_e64 v4, v4, v7, s[48:49]
	v_cndmask_b32_e64 v32, v32, v24, s[50:51]
	v_cndmask_b32_e64 v4, v4, v8, s[50:51]
	v_cndmask_b32_e64 v32, v32, v25, s[52:53]
	v_pk_mul_f32 v[10:11], v[58:59], v[10:11] op_sel_hi:[0,1]
	v_cndmask_b32_e64 v4, v4, v9, s[52:53]
	v_cndmask_b32_e64 v32, v32, v26, s[54:55]
	v_cndmask_b32_e64 v4, v4, v10, s[54:55]
	v_cndmask_b32_e64 v32, v32, v27, s[56:57]
	v_pk_mul_f32 v[12:13], v[58:59], v[12:13] op_sel_hi:[0,1]
	v_cndmask_b32_e64 v4, v4, v11, s[56:57]
	v_cndmask_b32_e64 v32, v32, v28, s[58:59]
	v_cndmask_b32_e64 v4, v4, v12, s[58:59]
	v_cndmask_b32_e64 v32, v32, v29, s[62:63]
	v_pk_mul_f32 v[14:15], v[58:59], v[14:15] op_sel_hi:[0,1]
	v_cndmask_b32_e64 v4, v4, v13, s[62:63]
	v_cndmask_b32_e64 v32, v32, v30, s[64:65]
	v_cndmask_b32_e64 v4, v4, v14, s[64:65]
	v_cndmask_b32_e64 v32, v32, v31, s[66:67]
	v_cndmask_b32_e64 v4, v4, v15, s[66:67]
	ds_bpermute_b32 v32, v82, v32
	ds_bpermute_b32 v5, v82, v4
	v_cmp_eq_u32_e64 s[68:69], 0, v68
	v_cndmask_b32_e32 v47, v86, v55, vcc
	v_cmp_eq_u32_e64 s[70:71], 1, v69
	v_cndmask_b32_e64 v54, v54, v55, s[68:69]
	v_cndmask_b32_e64 v34, v46, v55, s[34:35]
	;; [unrolled: 1-line block ×9, first 2 shown]
	s_waitcnt lgkmcnt(1)
	v_cndmask_b32_e64 v4, v17, v32, s[60:61]
	v_cmp_eq_u32_e64 s[60:61], 2, v69
	v_cndmask_b32_e64 v18, v18, v32, s[26:27]
	s_waitcnt lgkmcnt(0)
	v_cndmask_b32_e64 v2, v2, v5, s[26:27]
	v_cmp_ne_u32_e64 s[26:27], 0, v67
	v_cndmask_b32_e64 v17, v55, v46, s[60:61]
	v_cndmask_b32_e64 v31, v31, v32, s[66:67]
	;; [unrolled: 1-line block ×3, first 2 shown]
	v_cmp_eq_u32_e64 s[66:67], 3, v69
	v_cndmask_b32_e64 v1, v1, v5, s[26:27]
	v_cndmask_b32_e64 v16, v16, v32, s[36:37]
	;; [unrolled: 1-line block ×6, first 2 shown]
	v_cmp_eq_u32_e64 s[64:65], 4, v69
	v_cndmask_b32_e64 v29, v29, v32, s[62:63]
	v_cndmask_b32_e64 v13, v13, v5, s[62:63]
	;; [unrolled: 1-line block ×22, first 2 shown]
	v_cndmask_b32_e32 v32, v16, v4, vcc
	v_cndmask_b32_e32 v5, v0, v1, vcc
	v_cndmask_b32_e64 v17, v17, v44, s[64:65]
	v_cmp_eq_u32_e64 s[62:63], 5, v69
	v_cndmask_b32_e64 v32, v32, v18, s[6:7]
	v_cndmask_b32_e64 v5, v5, v2, s[6:7]
	v_cndmask_b32_e64 v17, v17, v43, s[62:63]
	v_cmp_eq_u32_e64 s[58:59], 6, v69
	v_cndmask_b32_e64 v32, v32, v19, s[8:9]
	v_cndmask_b32_e64 v5, v5, v3, s[8:9]
	;; [unrolled: 4-line block ×11, first 2 shown]
	v_cndmask_b32_e64 v17, v17, v33, s[82:83]
	v_cndmask_b32_e64 v32, v32, v29, s[30:31]
	;; [unrolled: 1-line block ×3, first 2 shown]
	ds_bpermute_b32 v17, v82, v17
	v_cndmask_b32_e64 v32, v32, v30, s[34:35]
	v_cndmask_b32_e64 v5, v5, v14, s[34:35]
	;; [unrolled: 1-line block ×4, first 2 shown]
	ds_bpermute_b32 v32, v82, v32
	ds_bpermute_b32 v5, v82, v5
	v_cmp_eq_u32_e64 s[42:43], 0, v69
	s_waitcnt lgkmcnt(2)
	v_cndmask_b32_e64 v33, v33, v17, s[82:83]
	v_cndmask_b32_e64 v34, v34, v17, s[76:77]
	;; [unrolled: 1-line block ×16, first 2 shown]
	v_cmp_eq_u32_e64 s[26:27], 1, v70
	v_cmp_eq_u32_e64 s[36:37], 2, v70
	s_waitcnt lgkmcnt(1)
	v_cndmask_b32_e64 v30, v30, v32, s[34:35]
	v_cndmask_b32_e64 v54, v17, v47, s[26:27]
	;; [unrolled: 1-line block ×3, first 2 shown]
	s_waitcnt lgkmcnt(0)
	v_cndmask_b32_e64 v14, v14, v5, s[34:35]
	v_cmp_eq_u32_e64 s[34:35], 3, v70
	v_cndmask_b32_e32 v4, v4, v32, vcc
	v_cndmask_b32_e32 v1, v1, v5, vcc
	v_cndmask_b32_e64 v16, v16, v32, s[68:69]
	v_cndmask_b32_e64 v0, v0, v5, s[68:69]
	;; [unrolled: 1-line block ×7, first 2 shown]
	v_cmp_eq_u32_e64 s[30:31], 4, v70
	v_cndmask_b32_e64 v28, v28, v32, s[28:29]
	v_cndmask_b32_e64 v12, v12, v5, s[28:29]
	;; [unrolled: 1-line block ×25, first 2 shown]
	v_cmp_eq_u32_e64 s[38:39], 5, v70
	v_cndmask_b32_e64 v32, v32, v18, s[60:61]
	v_cndmask_b32_e64 v5, v5, v2, s[60:61]
	v_cndmask_b32_e64 v54, v54, v43, s[38:39]
	v_cmp_eq_u32_e64 s[24:25], 6, v70
	v_cndmask_b32_e64 v32, v32, v19, s[66:67]
	v_cndmask_b32_e64 v5, v5, v3, s[66:67]
	v_cndmask_b32_e64 v54, v54, v42, s[24:25]
	;; [unrolled: 4-line block ×11, first 2 shown]
	v_cndmask_b32_e64 v32, v32, v29, s[44:45]
	v_cndmask_b32_e64 v5, v5, v13, s[44:45]
	ds_bpermute_b32 v54, v82, v54
	v_cndmask_b32_e64 v32, v32, v30, s[76:77]
	v_cndmask_b32_e64 v5, v5, v14, s[76:77]
	;; [unrolled: 1-line block ×4, first 2 shown]
	ds_bpermute_b32 v32, v82, v32
	ds_bpermute_b32 v5, v82, v5
	v_cmp_eq_u32_e64 s[16:17], 0, v70
	s_waitcnt lgkmcnt(2)
	v_cndmask_b32_e64 v47, v47, v54, s[26:27]
	v_cmp_eq_u32_e64 s[8:9], 1, v71
	v_cndmask_b32_e64 v17, v17, v54, s[16:17]
	v_cndmask_b32_e64 v33, v33, v54, s[86:87]
	;; [unrolled: 1-line block ×16, first 2 shown]
	v_cmp_eq_u32_e64 s[14:15], 2, v71
	v_cmp_eq_u32_e64 s[18:19], 3, v71
	s_waitcnt lgkmcnt(1)
	v_cndmask_b32_e64 v4, v4, v32, s[70:71]
	v_cndmask_b32_e64 v54, v54, v46, s[14:15]
	s_waitcnt lgkmcnt(0)
	v_cndmask_b32_e64 v1, v1, v5, s[70:71]
	v_cndmask_b32_e64 v16, v16, v32, s[42:43]
	v_cndmask_b32_e64 v0, v0, v5, s[42:43]
	v_cndmask_b32_e64 v31, v31, v32, s[82:83]
	v_cndmask_b32_e64 v15, v15, v5, s[82:83]
	v_cndmask_b32_e64 v30, v30, v32, s[76:77]
	v_cndmask_b32_e64 v14, v14, v5, s[76:77]
	v_cndmask_b32_e64 v54, v54, v45, s[18:19]
	v_cndmask_b32_e64 v29, v29, v32, s[44:45]
	v_cndmask_b32_e64 v13, v13, v5, s[44:45]
	v_cmp_eq_u32_e64 s[28:29], 4, v71
	v_cndmask_b32_e64 v28, v28, v32, s[46:47]
	v_cndmask_b32_e64 v12, v12, v5, s[46:47]
	;; [unrolled: 1-line block ×25, first 2 shown]
	v_cmp_eq_u32_e64 s[40:41], 5, v71
	v_cndmask_b32_e64 v32, v32, v18, s[36:37]
	v_cndmask_b32_e64 v5, v5, v2, s[36:37]
	v_cndmask_b32_e64 v54, v54, v43, s[40:41]
	v_cmp_eq_u32_e64 s[48:49], 6, v71
	v_cndmask_b32_e64 v32, v32, v19, s[34:35]
	v_cndmask_b32_e64 v5, v5, v3, s[34:35]
	v_cndmask_b32_e64 v54, v54, v42, s[48:49]
	v_cmp_eq_u32_e64 s[46:47], 7, v71
	v_cndmask_b32_e64 v32, v32, v20, s[30:31]
	v_cndmask_b32_e64 v5, v5, v57, s[30:31]
	v_cndmask_b32_e64 v54, v54, v41, s[46:47]
	v_cmp_eq_u32_e64 s[44:45], 8, v71
	v_cndmask_b32_e64 v32, v32, v21, s[38:39]
	v_cndmask_b32_e64 v5, v5, v55, s[38:39]
	v_cndmask_b32_e64 v54, v54, v40, s[44:45]
	v_cmp_eq_u32_e64 s[68:69], 9, v71
	v_cndmask_b32_e64 v32, v32, v22, s[24:25]
	v_cndmask_b32_e64 v5, v5, v6, s[24:25]
	v_cndmask_b32_e64 v54, v54, v39, s[68:69]
	v_cmp_eq_u32_e64 s[76:77], 10, v71
	v_cndmask_b32_e64 v32, v32, v23, s[22:23]
	v_cndmask_b32_e64 v5, v5, v7, s[22:23]
	v_cndmask_b32_e64 v54, v54, v38, s[76:77]
	v_cmp_eq_u32_e64 s[58:59], 11, v71
	v_cndmask_b32_e64 v32, v32, v24, s[20:21]
	v_cndmask_b32_e64 v5, v5, v8, s[20:21]
	v_cndmask_b32_e64 v54, v54, v37, s[58:59]
	v_cmp_eq_u32_e64 s[82:83], 12, v71
	v_cndmask_b32_e64 v32, v32, v25, s[72:73]
	v_cndmask_b32_e64 v5, v5, v9, s[72:73]
	v_cndmask_b32_e64 v54, v54, v36, s[82:83]
	v_cmp_eq_u32_e64 s[64:65], 13, v71
	v_cndmask_b32_e64 v32, v32, v26, s[74:75]
	v_cndmask_b32_e64 v5, v5, v10, s[74:75]
	v_cndmask_b32_e64 v54, v54, v35, s[64:65]
	v_cmp_eq_u32_e64 s[84:85], 14, v71
	v_cndmask_b32_e64 v32, v32, v27, s[78:79]
	v_cndmask_b32_e64 v5, v5, v11, s[78:79]
	v_cndmask_b32_e64 v54, v54, v34, s[84:85]
	v_cmp_eq_u32_e64 s[88:89], 15, v71
	v_cndmask_b32_e64 v32, v32, v28, s[80:81]
	v_cndmask_b32_e64 v5, v5, v12, s[80:81]
	v_cndmask_b32_e64 v54, v54, v33, s[88:89]
	v_cndmask_b32_e64 v32, v32, v29, s[12:13]
	v_cndmask_b32_e64 v5, v5, v13, s[12:13]
	ds_bpermute_b32 v54, v82, v54
	v_cndmask_b32_e64 v32, v32, v30, s[10:11]
	v_cndmask_b32_e64 v5, v5, v14, s[10:11]
	;; [unrolled: 1-line block ×4, first 2 shown]
	ds_bpermute_b32 v32, v82, v32
	ds_bpermute_b32 v5, v82, v5
	v_cmp_eq_u32_e64 s[60:61], 0, v71
	s_waitcnt lgkmcnt(2)
	v_cndmask_b32_e64 v47, v47, v54, s[8:9]
	v_cmp_eq_u32_e32 vcc, 1, v72
	v_cndmask_b32_e64 v17, v17, v54, s[60:61]
	v_cndmask_b32_e64 v33, v33, v54, s[88:89]
	;; [unrolled: 1-line block ×15, first 2 shown]
	v_cndmask_b32_e32 v54, v17, v47, vcc
	v_cmp_eq_u32_e64 s[6:7], 2, v72
	s_waitcnt lgkmcnt(1)
	v_cndmask_b32_e64 v30, v30, v32, s[10:11]
	s_waitcnt lgkmcnt(0)
	v_cndmask_b32_e64 v14, v14, v5, s[10:11]
	v_cndmask_b32_e64 v54, v54, v46, s[6:7]
	v_cmp_eq_u32_e64 s[10:11], 3, v72
	v_cndmask_b32_e64 v29, v29, v32, s[12:13]
	v_cndmask_b32_e64 v13, v13, v5, s[12:13]
	;; [unrolled: 1-line block ×3, first 2 shown]
	v_cmp_eq_u32_e64 s[12:13], 4, v72
	v_cmp_eq_u32_e64 s[42:43], 5, v72
	;; [unrolled: 1-line block ×3, first 2 shown]
	v_cndmask_b32_e64 v54, v54, v44, s[12:13]
	v_cndmask_b32_e64 v54, v54, v43, s[42:43]
	;; [unrolled: 1-line block ×7, first 2 shown]
	v_cmp_eq_u32_e64 s[52:53], 7, v72
	v_cndmask_b32_e64 v9, v9, v5, s[72:73]
	v_cndmask_b32_e64 v8, v8, v5, s[20:21]
	;; [unrolled: 1-line block ×11, first 2 shown]
	v_cmp_eq_u32_e64 s[54:55], 8, v72
	v_cndmask_b32_e64 v0, v5, v58, s[8:9]
	v_cndmask_b32_e64 v31, v31, v32, s[86:87]
	;; [unrolled: 1-line block ×8, first 2 shown]
	v_cmp_eq_u32_e64 s[56:57], 9, v72
	v_cndmask_b32_e64 v23, v23, v32, s[22:23]
	v_cndmask_b32_e64 v22, v22, v32, s[24:25]
	;; [unrolled: 1-line block ×10, first 2 shown]
	v_cmp_eq_u32_e64 s[62:63], 10, v72
	v_cndmask_b32_e64 v1, v32, v4, s[8:9]
	v_cndmask_b32_e64 v0, v0, v3, s[18:19]
	v_cndmask_b32_e64 v54, v54, v38, s[62:63]
	v_cmp_eq_u32_e64 s[66:67], 11, v72
	v_cndmask_b32_e64 v1, v1, v18, s[14:15]
	v_cndmask_b32_e64 v0, v0, v57, s[28:29]
	v_cndmask_b32_e64 v54, v54, v37, s[66:67]
	v_cmp_eq_u32_e64 s[70:71], 12, v72
	v_cndmask_b32_e64 v1, v1, v19, s[18:19]
	v_cndmask_b32_e64 v0, v0, v55, s[40:41]
	v_cndmask_b32_e64 v54, v54, v36, s[70:71]
	v_cmp_eq_u32_e64 s[72:73], 13, v72
	v_cndmask_b32_e64 v1, v1, v20, s[28:29]
	v_cndmask_b32_e64 v0, v0, v6, s[48:49]
	v_cndmask_b32_e64 v54, v54, v35, s[72:73]
	v_cmp_eq_u32_e64 s[74:75], 14, v72
	v_cndmask_b32_e64 v1, v1, v21, s[40:41]
	v_cndmask_b32_e64 v0, v0, v7, s[46:47]
	v_cndmask_b32_e64 v54, v54, v34, s[74:75]
	v_cmp_eq_u32_e64 s[78:79], 15, v72
	v_cndmask_b32_e64 v1, v1, v22, s[48:49]
	v_cndmask_b32_e64 v0, v0, v8, s[44:45]
	v_cndmask_b32_e64 v54, v54, v33, s[78:79]
	v_cndmask_b32_e64 v1, v1, v23, s[46:47]
	v_cndmask_b32_e64 v0, v0, v9, s[68:69]
	ds_bpermute_b32 v54, v82, v54
	v_cndmask_b32_e64 v1, v1, v24, s[44:45]
	v_cndmask_b32_e64 v0, v0, v10, s[76:77]
	;; [unrolled: 1-line block ×10, first 2 shown]
	v_cmp_eq_u32_e64 s[34:35], 0, v72
	s_waitcnt lgkmcnt(0)
	v_cndmask_b32_e32 v47, v47, v54, vcc
	v_cndmask_b32_e64 v1, v1, v29, s[64:65]
	v_cndmask_b32_e64 v0, v0, v15, s[88:89]
	;; [unrolled: 1-line block ×3, first 2 shown]
	v_cmp_eq_u32_e64 s[16:17], 1, v73
	v_cndmask_b32_e64 v46, v46, v54, s[6:7]
	v_cndmask_b32_e64 v1, v1, v30, s[84:85]
	ds_bpermute_b32 v60, v82, v0
	v_cndmask_b32_e64 v0, v17, v47, s[16:17]
	v_cmp_eq_u32_e64 s[20:21], 2, v73
	v_cndmask_b32_e64 v45, v45, v54, s[10:11]
	v_cndmask_b32_e64 v1, v1, v31, s[88:89]
	;; [unrolled: 1-line block ×3, first 2 shown]
	v_cmp_eq_u32_e64 s[22:23], 3, v73
	v_cndmask_b32_e64 v44, v44, v54, s[12:13]
	ds_bpermute_b32 v59, v82, v1
	v_cndmask_b32_e64 v0, v0, v45, s[22:23]
	v_cmp_eq_u32_e64 s[24:25], 4, v73
	v_cndmask_b32_e64 v43, v43, v54, s[42:43]
	v_cmp_eq_u32_e64 s[26:27], 5, v73
	v_cndmask_b32_e64 v0, v0, v44, s[24:25]
	v_cndmask_b32_e64 v42, v42, v54, s[50:51]
	;; [unrolled: 1-line block ×3, first 2 shown]
	v_cmp_eq_u32_e64 s[30:31], 6, v73
	v_cndmask_b32_e64 v41, v41, v54, s[52:53]
	v_cmp_eq_u32_e64 s[36:37], 7, v73
	v_cndmask_b32_e64 v0, v0, v42, s[30:31]
	v_cndmask_b32_e64 v40, v40, v54, s[54:55]
	;; [unrolled: 1-line block ×3, first 2 shown]
	v_cmp_eq_u32_e64 s[38:39], 8, v73
	v_cndmask_b32_e64 v39, v39, v54, s[56:57]
	s_waitcnt lgkmcnt(0)
	v_cndmask_b32_e64 v24, v24, v59, s[44:45]
	v_cndmask_b32_e64 v0, v0, v40, s[38:39]
	v_cndmask_b32_e64 v8, v8, v60, s[44:45]
	v_cmp_eq_u32_e64 s[44:45], 9, v73
	v_cndmask_b32_e64 v38, v38, v54, s[62:63]
	v_cndmask_b32_e64 v23, v23, v59, s[46:47]
	v_cndmask_b32_e64 v0, v0, v39, s[44:45]
	v_cndmask_b32_e64 v7, v7, v60, s[46:47]
	v_cmp_eq_u32_e64 s[46:47], 10, v73
	v_cndmask_b32_e64 v37, v37, v54, s[66:67]
	;; [unrolled: 5-line block ×3, first 2 shown]
	v_cndmask_b32_e64 v34, v34, v54, s[74:75]
	v_cndmask_b32_e64 v35, v35, v54, s[72:73]
	;; [unrolled: 1-line block ×6, first 2 shown]
	v_cmp_eq_u32_e64 s[40:41], 12, v73
	v_cndmask_b32_e64 v20, v20, v59, s[28:29]
	v_cndmask_b32_e64 v55, v57, v60, s[28:29]
	v_cndmask_b32_e64 v0, v0, v36, s[40:41]
	v_cmp_eq_u32_e64 s[28:29], 13, v73
	v_cndmask_b32_e64 v27, v27, v59, s[58:59]
	v_cndmask_b32_e64 v11, v11, v60, s[58:59]
	v_cndmask_b32_e64 v0, v0, v35, s[28:29]
	;; [unrolled: 4-line block ×4, first 2 shown]
	ds_bpermute_b32 v57, v82, v0
	v_cndmask_b32_e64 v32, v32, v59, s[60:61]
	v_cndmask_b32_e64 v18, v18, v59, s[14:15]
	;; [unrolled: 1-line block ×4, first 2 shown]
	s_waitcnt lgkmcnt(0)
	v_cndmask_b32_e64 v1, v43, v57, s[26:27]
	v_cndmask_b32_e64 v3, v45, v57, s[22:23]
	;; [unrolled: 1-line block ×5, first 2 shown]
	v_cndmask_b32_e32 v44, v32, v4, vcc
	v_cndmask_b32_e32 v5, v45, v43, vcc
	v_cndmask_b32_e64 v44, v44, v18, s[6:7]
	v_cndmask_b32_e64 v5, v5, v84, s[6:7]
	;; [unrolled: 1-line block ×38, first 2 shown]
	v_cmp_eq_u32_e64 s[76:77], 0, v73
	v_cndmask_b32_e64 v16, v46, v57, s[20:21]
	v_cndmask_b32_e64 v0, v47, v57, s[16:17]
	ds_bpermute_b32 v44, v82, v44
	ds_bpermute_b32 v46, v82, v5
	v_cndmask_b32_e64 v47, v17, v57, s[76:77]
	v_cmp_eq_u32_e64 s[8:9], 1, v74
	v_cmp_eq_u32_e64 s[14:15], 2, v74
	;; [unrolled: 1-line block ×3, first 2 shown]
	v_cndmask_b32_e64 v5, v47, v0, s[8:9]
	v_cndmask_b32_e64 v5, v5, v16, s[14:15]
	;; [unrolled: 1-line block ×3, first 2 shown]
	v_cmp_eq_u32_e64 s[60:61], 4, v74
	v_cmp_eq_u32_e64 s[68:69], 5, v74
	v_cndmask_b32_e64 v42, v42, v57, s[30:31]
	v_cndmask_b32_e64 v5, v5, v2, s[60:61]
	;; [unrolled: 1-line block ×3, first 2 shown]
	s_waitcnt lgkmcnt(1)
	v_cndmask_b32_e64 v27, v27, v44, s[66:67]
	s_waitcnt lgkmcnt(0)
	v_cndmask_b32_e64 v60, v11, v46, s[66:67]
	v_cmp_eq_u32_e64 s[66:67], 6, v74
	v_cndmask_b32_e32 v91, v4, v44, vcc
	v_cndmask_b32_e64 v32, v32, v44, s[34:35]
	v_cndmask_b32_e64 v41, v41, v57, s[36:37]
	v_cndmask_b32_e64 v5, v5, v42, s[66:67]
	v_cndmask_b32_e64 v26, v26, v44, s[62:63]
	v_cndmask_b32_e64 v85, v10, v46, s[62:63]
	v_cmp_eq_u32_e64 s[62:63], 7, v74
	v_cndmask_b32_e64 v18, v18, v44, s[6:7]
	v_cndmask_b32_e64 v4, v32, v91, s[16:17]
	v_cndmask_b32_e64 v40, v40, v57, s[38:39]
	v_cndmask_b32_e64 v5, v5, v41, s[62:63]
	v_cndmask_b32_e64 v25, v25, v44, s[56:57]
	v_cndmask_b32_e64 v86, v9, v46, s[56:57]
	v_cmp_eq_u32_e64 s[56:57], 8, v74
	v_cndmask_b32_e64 v19, v19, v44, s[10:11]
	;; [unrolled: 7-line block ×5, first 2 shown]
	v_cndmask_b32_e64 v36, v36, v57, s[40:41]
	v_cndmask_b32_e64 v5, v5, v37, s[50:51]
	v_cndmask_b32_e64 v54, v54, v46, s[42:43]
	v_cmp_eq_u32_e64 s[42:43], 12, v74
	v_cndmask_b32_e64 v4, v4, v22, s[30:31]
	v_cndmask_b32_e64 v35, v35, v57, s[28:29]
	v_cndmask_b32_e64 v5, v5, v36, s[42:43]
	v_cndmask_b32_e64 v55, v55, v46, s[12:13]
	v_cmp_eq_u32_e64 s[12:13], 13, v74
	v_cndmask_b32_e64 v4, v4, v23, s[36:37]
	;; [unrolled: 5-line block ×4, first 2 shown]
	v_cndmask_b32_e64 v4, v4, v26, s[46:47]
	v_cndmask_b32_e64 v5, v5, v33, s[6:7]
	;; [unrolled: 1-line block ×3, first 2 shown]
	ds_bpermute_b32 v90, v82, v5
	v_cndmask_b32_e64 v4, v4, v27, s[48:49]
	v_cndmask_b32_e64 v29, v29, v44, s[72:73]
	;; [unrolled: 1-line block ×9, first 2 shown]
	s_waitcnt lgkmcnt(0)
	v_cndmask_b32_e64 v15, v33, v90, s[6:7]
	ds_bpermute_b32 v33, v82, v4
	v_cndmask_b32_e64 v57, v14, v46, s[74:75]
	v_cndmask_b32_e64 v14, v34, v90, s[10:11]
	;; [unrolled: 1-line block ×4, first 2 shown]
	s_waitcnt lgkmcnt(0)
	v_cndmask_b32_e64 v34, v91, v33, s[16:17]
	v_cndmask_b32_e64 v32, v32, v33, s[76:77]
	;; [unrolled: 1-line block ×32, first 2 shown]
	ds_bpermute_b32 v33, v82, v1
	v_cndmask_b32_e64 v58, v13, v46, s[72:73]
	v_cndmask_b32_e32 v43, v43, v46, vcc
	v_cndmask_b32_e64 v13, v35, v90, s[12:13]
	v_cndmask_b32_e64 v35, v45, v46, s[34:35]
	s_waitcnt lgkmcnt(0)
	v_cndmask_b32_e64 v31, v16, v33, s[6:7]
	v_cndmask_b32_e64 v16, v35, v43, s[16:17]
	;; [unrolled: 1-line block ×17, first 2 shown]
	ds_bpermute_b32 v16, v82, v16
	v_cndmask_b32_e64 v11, v37, v90, s[50:51]
	v_cndmask_b32_e64 v7, v41, v90, s[62:63]
	;; [unrolled: 1-line block ×4, first 2 shown]
	s_waitcnt lgkmcnt(0)
	v_cndmask_b32_e64 v37, v57, v16, s[58:59]
	v_cndmask_b32_e64 v41, v85, v16, s[46:47]
	;; [unrolled: 1-line block ×33, first 2 shown]
	ds_bpermute_b32 v87, v82, v16
	v_cmp_eq_u32_e32 vcc, 0, v74
	v_cndmask_b32_e64 v1, v0, v90, s[8:9]
	v_readlane_b32 s24, v92, 10
	v_cndmask_b32_e32 v0, v47, v90, vcc
	s_waitcnt lgkmcnt(0)
	v_cndmask_b32_e64 v47, v36, v87, s[6:7]
	v_readlane_b32 s6, v92, 29
	v_readlane_b32 s7, v92, 30
	v_readlane_b32 s26, v92, 12
	v_readlane_b32 s34, v92, 17
	v_subrev_u32_e32 v83, s4, v83
	s_mov_b32 s1, 0
	v_cndmask_b32_e64 v6, v42, v90, s[66:67]
	v_cndmask_b32_e64 v3, v3, v90, s[18:19]
	;; [unrolled: 1-line block ×16, first 2 shown]
	v_cndmask_b32_e32 v16, v32, v33, vcc
	v_cndmask_b32_e64 v46, v37, v87, s[10:11]
	v_cndmask_b32_e64 v45, v38, v87, s[12:13]
	;; [unrolled: 1-line block ×14, first 2 shown]
	v_cndmask_b32_e32 v32, v86, v87, vcc
	v_lshl_add_u64 v[54:55], s[6:7], 0, v[48:49]
	s_mov_b64 s[6:7], 0
	s_mov_b32 s16, 0
	v_readlane_b32 s25, v92, 11
	v_readlane_b32 s27, v92, 13
	;; [unrolled: 1-line block ×10, first 2 shown]
	s_mov_b64 s[20:21], 0x80
                                        ; implicit-def: $sgpr8_sgpr9
	s_branch .LBB194_29
.LBB194_27:                             ;   in Loop: Header=BB194_29 Depth=2
	s_or_b64 exec, exec, s[12:13]
	s_andn2_b64 s[8:9], s[8:9], exec
	s_and_b64 s[12:13], s[14:15], exec
	s_or_b64 s[8:9], s[8:9], s[12:13]
.LBB194_28:                             ;   in Loop: Header=BB194_29 Depth=2
	s_or_b64 exec, exec, s[10:11]
	s_and_b64 s[10:11], exec, s[8:9]
	s_or_b64 s[6:7], s[10:11], s[6:7]
	s_andn2_b64 exec, exec, s[6:7]
	s_cbranch_execz .LBB194_32
.LBB194_29:                             ;   Parent Loop BB194_7 Depth=1
                                        ; =>  This Inner Loop Header: Depth=2
	s_and_b32 s12, s1, 24
	v_or_b32_e32 v57, s12, v80
	v_add_u32_e32 v58, s5, v57
	v_cmp_gt_u32_e32 vcc, 32, v58
	s_or_b64 s[8:9], s[8:9], exec
	s_and_saveexec_b64 s[10:11], vcc
	s_cbranch_execz .LBB194_28
; %bb.30:                               ;   in Loop: Header=BB194_29 Depth=2
	s_add_i32 s13, s16, 1
	s_set_gpr_idx_on s16, gpr_idx(SRC0)
	v_mov_b32_e32 v58, v0
	s_set_gpr_idx_off
	v_cvt_f16_f32_e32 v60, v58
	s_set_gpr_idx_on s13, gpr_idx(SRC0)
	v_mov_b32_e32 v58, v0
	s_set_gpr_idx_off
	v_cvt_f16_f32_sdwa v61, v58 dst_sel:WORD_1 dst_unused:UNUSED_PAD src0_sel:DWORD
	v_mul_lo_u32 v58, v57, s93
	v_ashrrev_i32_e32 v59, 31, v58
	v_lshl_add_u64 v[58:59], v[58:59], 1, v[54:55]
	v_or_b32_e32 v57, v61, v60
	;;#ASMSTART
	global_atomic_pk_add_f16 v[58:59], v57, off
	
	;;#ASMEND
	s_set_gpr_idx_on s16, gpr_idx(SRC0)
	v_mov_b32_e32 v57, v16
	s_set_gpr_idx_off
	v_cvt_f16_f32_e32 v57, v57
	s_set_gpr_idx_on s13, gpr_idx(SRC0)
	v_mov_b32_e32 v60, v16
	s_set_gpr_idx_off
	v_cvt_f16_f32_sdwa v84, v60 dst_sel:WORD_1 dst_unused:UNUSED_PAD src0_sel:DWORD
	v_lshl_add_u64 v[60:61], v[58:59], 0, 64
	v_lshl_add_u64 v[58:59], v[58:59], 0, s[20:21]
	s_mov_b64 s[14:15], -1
	v_or_b32_e32 v57, v84, v57
	;;#ASMSTART
	global_atomic_pk_add_f16 v[60:61], v57, off
	
	;;#ASMEND
	s_set_gpr_idx_on s16, gpr_idx(SRC0)
	v_mov_b32_e32 v57, v32
	s_set_gpr_idx_off
	v_cvt_f16_f32_e32 v57, v57
	s_set_gpr_idx_on s13, gpr_idx(SRC0)
	v_mov_b32_e32 v60, v32
	s_set_gpr_idx_off
	v_cvt_f16_f32_sdwa v60, v60 dst_sel:WORD_1 dst_unused:UNUSED_PAD src0_sel:DWORD
	s_nop 0
	v_or_b32_e32 v57, v60, v57
	;;#ASMSTART
	global_atomic_pk_add_f16 v[58:59], v57, off
	
	;;#ASMEND
	v_or_b32_e32 v57, s12, v81
	v_add_u32_e32 v58, s5, v57
	v_cmp_gt_u32_e32 vcc, 32, v58
	s_and_saveexec_b64 s[12:13], vcc
	s_cbranch_execz .LBB194_27
; %bb.31:                               ;   in Loop: Header=BB194_29 Depth=2
	s_add_i32 s14, s16, 2
	s_add_i32 s15, s16, 3
	s_set_gpr_idx_on s14, gpr_idx(SRC0)
	v_mov_b32_e32 v58, v0
	s_set_gpr_idx_off
	v_cvt_f16_f32_e32 v60, v58
	s_set_gpr_idx_on s15, gpr_idx(SRC0)
	v_mov_b32_e32 v58, v0
	s_set_gpr_idx_off
	v_cvt_f16_f32_sdwa v61, v58 dst_sel:WORD_1 dst_unused:UNUSED_PAD src0_sel:DWORD
	v_mul_lo_u32 v58, v57, s93
	v_ashrrev_i32_e32 v59, 31, v58
	v_lshl_add_u64 v[58:59], v[58:59], 1, v[54:55]
	v_or_b32_e32 v57, v61, v60
	;;#ASMSTART
	global_atomic_pk_add_f16 v[58:59], v57, off
	
	;;#ASMEND
	s_set_gpr_idx_on s14, gpr_idx(SRC0)
	v_mov_b32_e32 v57, v16
	s_set_gpr_idx_off
	v_cvt_f16_f32_e32 v57, v57
	s_set_gpr_idx_on s15, gpr_idx(SRC0)
	v_mov_b32_e32 v60, v16
	s_set_gpr_idx_off
	v_cvt_f16_f32_sdwa v84, v60 dst_sel:WORD_1 dst_unused:UNUSED_PAD src0_sel:DWORD
	v_lshl_add_u64 v[60:61], v[58:59], 0, 64
	s_add_i32 s16, s16, 4
	s_add_i32 s1, s1, 8
	v_or_b32_e32 v57, v84, v57
	;;#ASMSTART
	global_atomic_pk_add_f16 v[60:61], v57, off
	
	;;#ASMEND
	s_set_gpr_idx_on s14, gpr_idx(SRC0)
	v_mov_b32_e32 v57, v32
	s_set_gpr_idx_off
	v_cvt_f16_f32_e32 v57, v57
	s_set_gpr_idx_on s15, gpr_idx(SRC0)
	v_mov_b32_e32 v60, v32
	s_set_gpr_idx_off
	v_cvt_f16_f32_sdwa v60, v60 dst_sel:WORD_1 dst_unused:UNUSED_PAD src0_sel:DWORD
	s_cmp_eq_u32 s16, 16
	s_cselect_b64 s[14:15], -1, 0
	s_orn2_b64 s[14:15], s[14:15], exec
	v_lshl_add_u64 v[58:59], v[58:59], 0, s[20:21]
	v_or_b32_e32 v57, v60, v57
	;;#ASMSTART
	global_atomic_pk_add_f16 v[58:59], v57, off
	
	;;#ASMEND
	s_branch .LBB194_27
.LBB194_32:                             ;   in Loop: Header=BB194_7 Depth=1
	s_or_b64 exec, exec, s[6:7]
	v_readlane_b32 s16, v92, 2
	v_readlane_b32 s14, v92, 0
	;; [unrolled: 1-line block ×11, first 2 shown]
.LBB194_33:                             ;   in Loop: Header=BB194_7 Depth=1
	v_readlane_b32 s6, v92, 26
	v_readlane_b32 s7, v92, 27
	s_or_b64 exec, exec, s[6:7]
.LBB194_34:                             ;   in Loop: Header=BB194_7 Depth=1
	s_or_saveexec_b64 s[2:3], s[2:3]
	v_readlane_b32 s13, v92, 25
	s_xor_b64 exec, exec, s[2:3]
	s_cbranch_execz .LBB194_43
; %bb.35:                               ;   in Loop: Header=BB194_7 Depth=1
	s_mul_i32 s12, s4, 3
	v_cmp_gt_i32_e32 vcc, s12, v83
	s_and_saveexec_b64 s[6:7], vcc
	s_cbranch_execz .LBB194_42
; %bb.36:                               ;   in Loop: Header=BB194_7 Depth=1
	s_mul_i32 s0, s0, s95
	s_ashr_i32 s1, s0, 31
	s_add_u32 s0, s18, s0
	s_addc_u32 s1, s19, s1
	s_ashr_i32 s8, s13, 31
	s_add_u32 s0, s0, s13
	s_addc_u32 s1, s1, s8
	v_lshl_add_u64 v[0:1], s[0:1], 0, v[52:53]
	v_lshl_add_u64 v[8:9], v[0:1], 0, v[50:51]
	s_mov_b64 s[0:1], 0
	s_branch .LBB194_38
.LBB194_37:                             ;   in Loop: Header=BB194_38 Depth=2
	s_or_b64 exec, exec, s[8:9]
	v_lshl_or_b32 v12, v10, 11, v77
	;;#ASMSTART
	s_waitcnt vmcnt(1)
	;;#ASMEND
	ds_write2_b32 v12, v4, v5 offset1:32
	ds_write2_b32 v12, v6, v7 offset0:64 offset1:96
	v_add_u32_e32 v4, 0x400, v12
	v_add_u32_e32 v83, s98, v83
	;;#ASMSTART
	s_waitcnt vmcnt(0)
	;;#ASMEND
	ds_write2_b32 v4, v0, v1 offset1:32
	ds_write2_b32 v4, v2, v3 offset0:64 offset1:96
	v_add_u32_e32 v0, 1, v63
	v_add_u32_e32 v56, s98, v10
	v_cmp_le_i32_e32 vcc, s12, v83
	ds_write_b32 v11, v0 offset:24
	v_add_u32_e32 v0, 2, v63
	s_or_b64 s[0:1], vcc, s[0:1]
	v_cmp_lt_i32_e32 vcc, 8, v56
	s_nop 1
	v_cndmask_b32_e32 v63, v63, v0, vcc
	s_andn2_b64 exec, exec, s[0:1]
	s_cbranch_execz .LBB194_41
.LBB194_38:                             ;   Parent Loop BB194_7 Depth=1
                                        ; =>  This Loop Header: Depth=2
                                        ;       Child Loop BB194_40 Depth 3
	v_cmp_gt_i32_e32 vcc, 9, v56
	s_mov_b32 s8, 0x55555556
	s_nop 0
	v_cndmask_b32_e64 v0, -9, 0, vcc
	v_add_u32_e32 v10, v0, v56
	v_mul_hi_i32 v0, v83, s8
	v_lshrrev_b32_e32 v1, 31, v0
	v_add_u32_e32 v0, v0, v1
	v_lshl_add_u32 v1, v0, 1, v0
	v_sub_u32_e32 v2, v83, v1
	v_lshlrev_b32_e32 v0, 6, v0
	v_ashrrev_i32_e32 v1, 31, v0
	v_mul_lo_u32 v2, s91, v2
	v_lshl_add_u64 v[0:1], v[8:9], 0, v[0:1]
	v_ashrrev_i32_e32 v3, 31, v2
	v_lshl_add_u64 v[0:1], v[0:1], 0, v[2:3]
	v_lshlrev_b32_e32 v11, 2, v10
	;;#ASMSTART
	global_load_dwordx4 v[4:7], v[0:1], off offset:0   sc0 sc1 nt  
	global_load_dwordx4 v[0:3], v[0:1], off offset:32  sc0 sc1 nt  
	
	;;#ASMEND
	ds_read_b32 v12, v11 offset:30744
	v_add_u32_e32 v11, 0x7800, v11
	s_waitcnt lgkmcnt(0)
	v_cmp_ne_u32_e32 vcc, v12, v63
	s_and_saveexec_b64 s[8:9], vcc
	s_cbranch_execz .LBB194_37
; %bb.39:                               ;   in Loop: Header=BB194_38 Depth=2
	s_mov_b64 s[10:11], 0
.LBB194_40:                             ;   Parent Loop BB194_7 Depth=1
                                        ;     Parent Loop BB194_38 Depth=2
                                        ; =>    This Inner Loop Header: Depth=3
	;;#ASMSTART
	s_sleep 0
	;;#ASMEND
	ds_read_b32 v12, v11 offset:24
	s_waitcnt lgkmcnt(0)
	v_cmp_eq_u32_e32 vcc, v12, v63
	s_or_b64 s[10:11], vcc, s[10:11]
	s_andn2_b64 exec, exec, s[10:11]
	s_cbranch_execnz .LBB194_40
	s_branch .LBB194_37
.LBB194_41:                             ;   in Loop: Header=BB194_7 Depth=1
	s_or_b64 exec, exec, s[0:1]
.LBB194_42:                             ;   in Loop: Header=BB194_7 Depth=1
	s_or_b64 exec, exec, s[6:7]
	v_subrev_u32_e32 v83, s12, v83
.LBB194_43:                             ;   in Loop: Header=BB194_7 Depth=1
	s_or_b64 exec, exec, s[2:3]
.LBB194_44:                             ;   in Loop: Header=BB194_7 Depth=1
	v_readlane_b32 s0, v92, 23
	v_readlane_b32 s1, v92, 24
	s_andn2_saveexec_b64 s[0:1], s[0:1]
	s_cbranch_execz .LBB194_6
; %bb.45:                               ;   in Loop: Header=BB194_7 Depth=1
	s_lshl_b32 s10, s4, 1
	v_cmp_gt_i32_e32 vcc, s10, v83
	s_and_saveexec_b64 s[2:3], vcc
	s_cbranch_execz .LBB194_5
; %bb.46:                               ;   in Loop: Header=BB194_7 Depth=1
	s_mul_i32 s4, s39, s94
	s_ashr_i32 s6, s4, 31
	s_add_u32 s4, s16, s4
	v_add_u32_e32 v2, s5, v64
	s_addc_u32 s7, s17, s6
	s_ashr_i32 s8, s13, 31
	v_cmp_gt_u32_e32 vcc, 64, v2
	s_add_u32 s6, s4, s13
	s_addc_u32 s7, s7, s8
	v_cndmask_b32_e32 v0, 0, v78, vcc
	v_ashrrev_i32_e32 v1, 31, v0
	v_lshl_add_u64 v[0:1], s[6:7], 0, v[0:1]
	v_lshl_add_u64 v[8:9], v[0:1], 0, v[50:51]
	v_sub_u32_e32 v10, 63, v2
	s_mov_b64 s[4:5], 0
	s_branch .LBB194_48
.LBB194_47:                             ;   in Loop: Header=BB194_48 Depth=2
	s_or_b64 exec, exec, s[6:7]
	v_lshl_add_u32 v13, v11, 11, v79
	;;#ASMSTART
	s_waitcnt vmcnt(1)
	;;#ASMEND
	ds_write2_b32 v13, v4, v5 offset1:32
	ds_write2_b32 v13, v6, v7 offset0:64 offset1:96
	v_add_u32_e32 v4, 0x400, v13
	v_add_u32_e32 v83, s97, v83
	;;#ASMSTART
	s_waitcnt vmcnt(0)
	;;#ASMEND
	ds_write2_b32 v4, v0, v1 offset1:32
	ds_write2_b32 v4, v2, v3 offset0:64 offset1:96
	v_add_u32_e32 v0, 1, v63
	v_add_u32_e32 v56, s97, v11
	v_cmp_le_i32_e32 vcc, s10, v83
	ds_write_b32 v12, v0
	v_add_u32_e32 v0, 2, v63
	s_or_b64 s[4:5], vcc, s[4:5]
	v_cmp_lt_i32_e32 vcc, 5, v56
	s_nop 1
	v_cndmask_b32_e32 v63, v63, v0, vcc
	s_andn2_b64 exec, exec, s[4:5]
	s_cbranch_execz .LBB194_4
.LBB194_48:                             ;   Parent Loop BB194_7 Depth=1
                                        ; =>  This Loop Header: Depth=2
                                        ;       Child Loop BB194_50 Depth 3
	v_cmp_gt_i32_e32 vcc, 6, v56
	s_nop 1
	v_cndmask_b32_e64 v0, -6, 0, vcc
	v_add_u32_e32 v11, v0, v56
	v_lshrrev_b32_e32 v0, 31, v83
	v_add_u32_e32 v0, v83, v0
	v_and_b32_e32 v1, 0x7fffffe, v0
	v_sub_u32_e32 v1, v83, v1
	v_lshlrev_b32_e32 v1, 5, v1
	v_cmp_le_i32_e32 vcc, v1, v10
	v_lshlrev_b32_e32 v0, 5, v0
	v_and_b32_e32 v0, 0xffffffc0, v0
	v_cndmask_b32_e32 v2, 0, v1, vcc
	v_ashrrev_i32_e32 v1, 31, v0
	v_mul_lo_u32 v2, v2, s94
	v_lshl_add_u64 v[0:1], v[8:9], 0, v[0:1]
	v_ashrrev_i32_e32 v3, 31, v2
	v_lshl_add_u64 v[0:1], v[0:1], 0, v[2:3]
	v_lshlrev_b32_e32 v12, 2, v11
	;;#ASMSTART
	global_load_dwordx4 v[4:7], v[0:1], off offset:0   
	global_load_dwordx4 v[0:3], v[0:1], off offset:32  
	
	;;#ASMEND
	ds_read_b32 v13, v12 offset:30720
	v_add_u32_e32 v12, 0x7800, v12
	s_waitcnt lgkmcnt(0)
	v_cmp_ne_u32_e32 vcc, v13, v63
	s_and_saveexec_b64 s[6:7], vcc
	s_cbranch_execz .LBB194_47
; %bb.49:                               ;   in Loop: Header=BB194_48 Depth=2
	s_mov_b64 s[8:9], 0
.LBB194_50:                             ;   Parent Loop BB194_7 Depth=1
                                        ;     Parent Loop BB194_48 Depth=2
                                        ; =>    This Inner Loop Header: Depth=3
	;;#ASMSTART
	s_sleep 0
	;;#ASMEND
	ds_read_b32 v13, v12
	s_waitcnt lgkmcnt(0)
	v_cmp_eq_u32_e32 vcc, v13, v63
	s_or_b64 s[8:9], vcc, s[8:9]
	s_andn2_b64 exec, exec, s[8:9]
	s_cbranch_execnz .LBB194_50
	s_branch .LBB194_47
.LBB194_51:
	s_endpgm
	.section	.rodata,"a",@progbits
	.p2align	6, 0x0
	.amdhsa_kernel _Z19_skinny_gemm_kernelILi2ELi3ELi3ELi32ELi4EEvPKhS1_P6__halfPKfiiiiiiii
		.amdhsa_group_segment_fixed_size 30780
		.amdhsa_private_segment_fixed_size 0
		.amdhsa_kernarg_size 64
		.amdhsa_user_sgpr_count 2
		.amdhsa_user_sgpr_dispatch_ptr 0
		.amdhsa_user_sgpr_queue_ptr 0
		.amdhsa_user_sgpr_kernarg_segment_ptr 1
		.amdhsa_user_sgpr_dispatch_id 0
		.amdhsa_user_sgpr_kernarg_preload_length 0
		.amdhsa_user_sgpr_kernarg_preload_offset 0
		.amdhsa_user_sgpr_private_segment_size 0
		.amdhsa_uses_dynamic_stack 0
		.amdhsa_enable_private_segment 0
		.amdhsa_system_sgpr_workgroup_id_x 1
		.amdhsa_system_sgpr_workgroup_id_y 0
		.amdhsa_system_sgpr_workgroup_id_z 0
		.amdhsa_system_sgpr_workgroup_info 0
		.amdhsa_system_vgpr_workitem_id 0
		.amdhsa_next_free_vgpr 93
		.amdhsa_next_free_sgpr 100
		.amdhsa_accum_offset 96
		.amdhsa_reserve_vcc 1
		.amdhsa_float_round_mode_32 0
		.amdhsa_float_round_mode_16_64 0
		.amdhsa_float_denorm_mode_32 3
		.amdhsa_float_denorm_mode_16_64 3
		.amdhsa_dx10_clamp 1
		.amdhsa_ieee_mode 1
		.amdhsa_fp16_overflow 0
		.amdhsa_tg_split 0
		.amdhsa_exception_fp_ieee_invalid_op 0
		.amdhsa_exception_fp_denorm_src 0
		.amdhsa_exception_fp_ieee_div_zero 0
		.amdhsa_exception_fp_ieee_overflow 0
		.amdhsa_exception_fp_ieee_underflow 0
		.amdhsa_exception_fp_ieee_inexact 0
		.amdhsa_exception_int_div_zero 0
	.end_amdhsa_kernel
	.section	.text._Z19_skinny_gemm_kernelILi2ELi3ELi3ELi32ELi4EEvPKhS1_P6__halfPKfiiiiiiii,"axG",@progbits,_Z19_skinny_gemm_kernelILi2ELi3ELi3ELi32ELi4EEvPKhS1_P6__halfPKfiiiiiiii,comdat
.Lfunc_end194:
	.size	_Z19_skinny_gemm_kernelILi2ELi3ELi3ELi32ELi4EEvPKhS1_P6__halfPKfiiiiiiii, .Lfunc_end194-_Z19_skinny_gemm_kernelILi2ELi3ELi3ELi32ELi4EEvPKhS1_P6__halfPKfiiiiiiii
                                        ; -- End function
	.set _Z19_skinny_gemm_kernelILi2ELi3ELi3ELi32ELi4EEvPKhS1_P6__halfPKfiiiiiiii.num_vgpr, 93
	.set _Z19_skinny_gemm_kernelILi2ELi3ELi3ELi32ELi4EEvPKhS1_P6__halfPKfiiiiiiii.num_agpr, 0
	.set _Z19_skinny_gemm_kernelILi2ELi3ELi3ELi32ELi4EEvPKhS1_P6__halfPKfiiiiiiii.numbered_sgpr, 100
	.set _Z19_skinny_gemm_kernelILi2ELi3ELi3ELi32ELi4EEvPKhS1_P6__halfPKfiiiiiiii.num_named_barrier, 0
	.set _Z19_skinny_gemm_kernelILi2ELi3ELi3ELi32ELi4EEvPKhS1_P6__halfPKfiiiiiiii.private_seg_size, 0
	.set _Z19_skinny_gemm_kernelILi2ELi3ELi3ELi32ELi4EEvPKhS1_P6__halfPKfiiiiiiii.uses_vcc, 1
	.set _Z19_skinny_gemm_kernelILi2ELi3ELi3ELi32ELi4EEvPKhS1_P6__halfPKfiiiiiiii.uses_flat_scratch, 0
	.set _Z19_skinny_gemm_kernelILi2ELi3ELi3ELi32ELi4EEvPKhS1_P6__halfPKfiiiiiiii.has_dyn_sized_stack, 0
	.set _Z19_skinny_gemm_kernelILi2ELi3ELi3ELi32ELi4EEvPKhS1_P6__halfPKfiiiiiiii.has_recursion, 0
	.set _Z19_skinny_gemm_kernelILi2ELi3ELi3ELi32ELi4EEvPKhS1_P6__halfPKfiiiiiiii.has_indirect_call, 0
	.section	.AMDGPU.csdata,"",@progbits
; Kernel info:
; codeLenInByte = 11612
; TotalNumSgprs: 106
; NumVgprs: 93
; NumAgprs: 0
; TotalNumVgprs: 93
; ScratchSize: 0
; MemoryBound: 0
; FloatMode: 240
; IeeeMode: 1
; LDSByteSize: 30780 bytes/workgroup (compile time only)
; SGPRBlocks: 13
; VGPRBlocks: 11
; NumSGPRsForWavesPerEU: 106
; NumVGPRsForWavesPerEU: 93
; AccumOffset: 96
; Occupancy: 5
; WaveLimiterHint : 0
; COMPUTE_PGM_RSRC2:SCRATCH_EN: 0
; COMPUTE_PGM_RSRC2:USER_SGPR: 2
; COMPUTE_PGM_RSRC2:TRAP_HANDLER: 0
; COMPUTE_PGM_RSRC2:TGID_X_EN: 1
; COMPUTE_PGM_RSRC2:TGID_Y_EN: 0
; COMPUTE_PGM_RSRC2:TGID_Z_EN: 0
; COMPUTE_PGM_RSRC2:TIDIG_COMP_CNT: 0
; COMPUTE_PGM_RSRC3_GFX90A:ACCUM_OFFSET: 23
; COMPUTE_PGM_RSRC3_GFX90A:TG_SPLIT: 0
	.section	.text._Z19_skinny_gemm_kernelILi2ELi3ELi3ELi32ELi8EEvPKhS1_P6__halfPKfiiiiiiii,"axG",@progbits,_Z19_skinny_gemm_kernelILi2ELi3ELi3ELi32ELi8EEvPKhS1_P6__halfPKfiiiiiiii,comdat
	.protected	_Z19_skinny_gemm_kernelILi2ELi3ELi3ELi32ELi8EEvPKhS1_P6__halfPKfiiiiiiii ; -- Begin function _Z19_skinny_gemm_kernelILi2ELi3ELi3ELi32ELi8EEvPKhS1_P6__halfPKfiiiiiiii
	.globl	_Z19_skinny_gemm_kernelILi2ELi3ELi3ELi32ELi8EEvPKhS1_P6__halfPKfiiiiiiii
	.p2align	8
	.type	_Z19_skinny_gemm_kernelILi2ELi3ELi3ELi32ELi8EEvPKhS1_P6__halfPKfiiiiiiii,@function
_Z19_skinny_gemm_kernelILi2ELi3ELi3ELi32ELi8EEvPKhS1_P6__halfPKfiiiiiiii: ; @_Z19_skinny_gemm_kernelILi2ELi3ELi3ELi32ELi8EEvPKhS1_P6__halfPKfiiiiiiii
; %bb.0:
	v_cmp_gt_u32_e32 vcc, 15, v0
	s_and_saveexec_b64 s[4:5], vcc
; %bb.1:
	v_lshlrev_b32_e32 v1, 2, v0
	v_mov_b32_e32 v2, 0
	ds_write_b32 v1, v2 offset:61440
; %bb.2:
	s_or_b64 exec, exec, s[4:5]
	s_load_dwordx8 s[92:99], s[0:1], 0x20
	s_waitcnt lgkmcnt(0)
	s_barrier
	s_add_i32 s3, s92, 63
	s_ashr_i32 s5, s3, 31
	s_add_i32 s4, s93, 0x5f
	s_lshr_b32 s5, s5, 26
	s_mul_hi_i32 s4, s4, 0x2aaaaaab
	s_add_i32 s3, s3, s5
	s_ashr_i32 s14, s3, 6
	s_lshr_b32 s3, s4, 31
	s_ashr_i32 s4, s4, 4
	s_add_i32 s15, s4, s3
	s_mul_i32 s3, s15, s14
	s_mul_i32 s3, s3, s96
	s_add_i32 s4, s3, 0x12f
	s_mul_hi_i32 s4, s4, 0x6bca1af3
	s_lshr_b32 s5, s4, 31
	s_ashr_i32 s4, s4, 7
	s_add_i32 s4, s4, s5
	s_add_i32 s5, s2, 1
	s_mul_i32 s5, s4, s5
	v_cvt_f64_i32_e32 v[2:3], s3
	v_cvt_f64_u32_e32 v[4:5], s5
	v_min_f64 v[2:3], v[2:3], v[4:5]
	v_cvt_i32_f64_e32 v70, v[2:3]
	s_mul_i32 s33, s4, s2
	v_cmp_ge_i32_e32 vcc, s33, v70
	s_cbranch_vccnz .LBB195_51
; %bb.3:
	s_load_dwordx8 s[16:23], s[0:1], 0x0
	v_lshrrev_b32_e32 v1, 6, v0
	s_add_i32 s0, s98, s97
	v_cmp_le_i32_e64 s[24:25], s0, v1
	v_mov_b32_e32 v2, s97
	v_cmp_le_i32_e64 s[26:27], s97, v1
	v_mov_b32_e32 v3, s98
	v_cndmask_b32_e64 v3, 0, v3, s[24:25]
	v_cndmask_b32_e64 v2, 0, v2, s[26:27]
	s_abs_i32 s1, s96
	v_add_u32_e32 v2, v2, v3
	v_cvt_f32_u32_e32 v3, s1
	v_sub_u32_e32 v56, v1, v2
	s_ashr_i32 s2, s94, 31
	s_lshr_b32 s2, s2, 25
	v_rcp_iflag_f32_e32 v2, v3
	s_sub_i32 s5, 0, s1
	s_add_i32 s2, s94, s2
	s_ashr_i32 s2, s2, 7
	v_mul_f32_e32 v2, 0x4f7ffffe, v2
	v_cvt_u32_f32_e32 v2, v2
	s_abs_i32 s4, s2
	s_xor_b32 s3, s2, s96
	s_ashr_i32 s3, s3, 31
	v_readfirstlane_b32 s6, v2
	s_mul_i32 s5, s5, s6
	s_mul_hi_u32 s5, s6, s5
	s_add_i32 s6, s6, s5
	s_mul_hi_u32 s5, s4, s6
	s_mul_i32 s6, s5, s1
	s_sub_i32 s4, s4, s6
	s_add_i32 s6, s5, 1
	s_sub_i32 s7, s4, s1
	s_cmp_ge_u32 s4, s1
	s_cselect_b32 s5, s6, s5
	s_cselect_b32 s4, s7, s4
	s_add_i32 s6, s5, 1
	s_cmp_ge_u32 s4, s1
	s_cselect_b32 s1, s6, s5
	s_add_i32 s0, s0, s99
	v_and_b32_e32 v72, 31, v0
	v_lshrrev_b32_e32 v2, 3, v0
	v_cmp_gt_i32_e64 s[34:35], s0, v1
	v_lshlrev_b32_e32 v1, 2, v72
	v_and_b32_e32 v3, 4, v2
	v_lshlrev_b32_e32 v2, 6, v3
	v_or_b32_e32 v4, 0x9000, v1
	v_and_b32_e32 v5, 1, v0
	s_add_i32 s29, s96, -1
	v_or_b32_e32 v73, v4, v2
	v_or_b32_e32 v74, v1, v2
	v_lshlrev_b32_e32 v2, 1, v5
	v_lshrrev_b32_e32 v7, 1, v0
	s_abs_i32 s96, s14
	v_sub_u32_e32 v2, v0, v2
	v_and_b32_e32 v50, 16, v7
	v_cvt_f32_u32_e32 v7, s96
	v_add_u32_e32 v2, 1, v2
	v_and_b32_e32 v6, 63, v2
	v_bitop3_b32 v75, v0, 1, v0 bitop3:0xc
	v_bitop3_b32 v76, v0, 3, 1 bitop3:0x6c
	;; [unrolled: 1-line block ×8, first 2 shown]
	v_and_b32_e32 v2, 30, v0
	v_lshlrev_b32_e32 v0, 4, v0
                                        ; implicit-def: $vgpr101 : SGPR spill to VGPR lane
	v_and_b32_e32 v0, 0x200, v0
	v_writelane_b32 v101, s14, 0
	v_or_b32_e32 v85, v1, v0
	v_rcp_iflag_f32_e32 v1, v7
	v_writelane_b32 v101, s15, 1
	s_waitcnt lgkmcnt(0)
	v_writelane_b32 v101, s16, 2
	s_abs_i32 s90, s15
	v_or_b32_e32 v87, v4, v0
	v_writelane_b32 v101, s17, 3
	v_writelane_b32 v101, s18, 4
	v_mul_f32_e32 v0, 0x4f7ffffe, v1
	v_cvt_f32_u32_e32 v1, s90
	v_writelane_b32 v101, s19, 5
	v_writelane_b32 v101, s20, 6
	;; [unrolled: 1-line block ×4, first 2 shown]
	v_cvt_u32_f32_e32 v0, v0
	v_rcp_iflag_f32_e32 v1, v1
	v_writelane_b32 v101, s23, 9
	v_cndmask_b32_e64 v71, 0, 1, s[24:25]
	s_xor_b32 s1, s1, s3
	v_writelane_b32 v101, s24, 10
	s_sub_i32 s28, s1, s3
	s_mul_i32 s1, s28, s29
	v_writelane_b32 v101, s25, 11
	v_writelane_b32 v101, s26, 12
	s_sub_i32 s30, s2, s1
	v_readfirstlane_b32 s1, v0
	v_mul_f32_e32 v0, 0x4f7ffffe, v1
	v_writelane_b32 v101, s27, 13
	v_cvt_u32_f32_e32 v0, v0
	v_writelane_b32 v101, s28, 14
	s_sub_i32 s0, 0, s96
	v_writelane_b32 v101, s29, 15
	s_mul_i32 s0, s0, s1
	v_writelane_b32 v101, s30, 16
	s_mul_hi_u32 s0, s1, s0
	v_writelane_b32 v101, s34, 17
	s_ashr_i32 s31, s14, 31
	s_add_i32 s36, s1, s0
	s_sub_i32 s0, 0, s90
	v_readfirstlane_b32 s1, v0
	v_mbcnt_lo_u32_b32 v0, -1, 0
	v_writelane_b32 v101, s35, 18
	s_mul_i32 s0, s0, s1
	v_mbcnt_hi_u32_b32 v0, -1, v0
	v_writelane_b32 v101, s31, 19
	v_mov_b32_e32 v49, 0
	v_mul_lo_u32 v52, s95, v72
	v_or_b32_e32 v88, v5, v3
	s_ashr_i32 s37, s15, 31
	s_mul_hi_u32 s0, s1, s0
	v_and_or_b32 v0, v0, 64, v6
	v_writelane_b32 v101, s36, 20
	v_or_b32_e32 v83, 32, v72
	v_or_b32_e32 v84, 64, v72
	v_ashrrev_i32_e32 v53, 31, v52
	v_mov_b32_e32 v51, v49
	s_lshl_b32 s91, s95, 5
	v_mul_lo_u32 v86, s94, v72
	v_or_b32_e32 v89, 2, v88
	s_add_i32 s38, s1, s0
	v_lshlrev_b32_e32 v48, 1, v2
	v_lshlrev_b32_e32 v90, 2, v0
	v_mov_b32_e32 v91, v56
	v_writelane_b32 v101, s37, 21
	v_writelane_b32 v101, s38, 22
	s_branch .LBB195_7
.LBB195_4:                              ;   in Loop: Header=BB195_7 Depth=1
	s_or_b64 exec, exec, s[4:5]
.LBB195_5:                              ;   in Loop: Header=BB195_7 Depth=1
	s_or_b64 exec, exec, s[2:3]
	v_subrev_u32_e32 v91, s10, v91
.LBB195_6:                              ;   in Loop: Header=BB195_7 Depth=1
	s_or_b64 exec, exec, s[0:1]
	s_add_i32 s33, s33, 1
	v_cmp_ge_i32_e32 vcc, s33, v70
	s_cbranch_vccnz .LBB195_51
.LBB195_7:                              ; =>This Loop Header: Depth=1
                                        ;     Child Loop BB195_13 Depth 2
                                        ;       Child Loop BB195_15 Depth 3
                                        ;       Child Loop BB195_18 Depth 3
	;; [unrolled: 1-line block ×4, first 2 shown]
                                        ;     Child Loop BB195_29 Depth 2
                                        ;     Child Loop BB195_38 Depth 2
                                        ;       Child Loop BB195_40 Depth 3
                                        ;     Child Loop BB195_48 Depth 2
                                        ;       Child Loop BB195_50 Depth 3
	s_abs_i32 s1, s33
	s_mul_hi_u32 s2, s1, s36
	s_mul_i32 s3, s2, s96
	s_ashr_i32 s0, s33, 31
	s_sub_i32 s1, s1, s3
	s_xor_b32 s0, s0, s31
	s_add_i32 s3, s2, 1
	s_sub_i32 s4, s1, s96
	s_cmp_ge_u32 s1, s96
	s_cselect_b32 s2, s3, s2
	s_cselect_b32 s1, s4, s1
	s_add_i32 s3, s2, 1
	s_cmp_ge_u32 s1, s96
	s_cselect_b32 s1, s3, s2
	s_xor_b32 s1, s1, s0
	s_sub_i32 s0, s1, s0
	s_abs_i32 s2, s0
	s_mul_i32 s1, s0, s14
	s_mul_hi_u32 s3, s2, s38
	s_sub_i32 s1, s33, s1
	s_mul_i32 s4, s3, s90
	s_lshl_b32 s39, s1, 6
	s_ashr_i32 s1, s0, 31
	s_sub_i32 s2, s2, s4
	s_xor_b32 s1, s1, s37
	s_add_i32 s4, s3, 1
	s_sub_i32 s5, s2, s90
	s_cmp_ge_u32 s2, s90
	s_cselect_b32 s3, s4, s3
	s_cselect_b32 s2, s5, s2
	s_add_i32 s4, s3, 1
	s_cmp_ge_u32 s2, s90
	s_cselect_b32 s2, s4, s3
	s_xor_b32 s2, s2, s1
	s_sub_i32 s1, s2, s1
	s_mul_i32 s2, s1, s28
	s_lshl_b32 s13, s2, 7
	s_cmp_eq_u32 s1, s29
	s_cselect_b32 s4, s30, s28
	s_sub_i32 s2, s39, s92
	s_add_i32 s2, s2, 64
	s_max_i32 s5, s2, 0
	s_and_saveexec_b64 s[2:3], s[26:27]
	s_xor_b64 s[2:3], exec, s[2:3]
	v_writelane_b32 v101, s2, 23
	s_nop 1
	v_writelane_b32 v101, s3, 24
	s_cbranch_execz .LBB195_44
; %bb.8:                                ;   in Loop: Header=BB195_7 Depth=1
	s_mul_i32 s1, s1, s15
	s_sub_i32 s0, s0, s1
	s_mulk_i32 s0, 0x60
	s_sub_i32 s70, s0, s93
	s_addk_i32 s70, 0x60
	s_max_i32 s1, s70, 0
	s_sub_i32 s0, s0, s1
	v_writelane_b32 v101, s13, 25
	s_and_saveexec_b64 s[2:3], s[24:25]
	s_xor_b64 s[2:3], exec, s[2:3]
	s_cbranch_execz .LBB195_34
; %bb.9:                                ;   in Loop: Header=BB195_7 Depth=1
	s_mov_b64 s[6:7], exec
	v_writelane_b32 v101, s6, 26
	s_nop 1
	v_writelane_b32 v101, s7, 27
	s_and_b64 s[6:7], s[6:7], s[34:35]
	s_mov_b64 exec, s[6:7]
	s_cbranch_execz .LBB195_33
; %bb.10:                               ;   in Loop: Header=BB195_7 Depth=1
	global_load_dword v92, v49, s[22:23]
	v_mov_b32_e32 v47, 0
	v_cmp_gt_i32_e32 vcc, s4, v91
	v_mov_b32_e32 v46, v47
	v_mov_b32_e32 v45, v47
	;; [unrolled: 1-line block ×47, first 2 shown]
	s_and_saveexec_b64 s[6:7], vcc
	s_cbranch_execz .LBB195_26
; %bb.11:                               ;   in Loop: Header=BB195_7 Depth=1
	v_mov_b32_e32 v0, 0
	s_mov_b64 s[8:9], 0
	v_mov_b32_e32 v1, v0
	v_mov_b32_e32 v2, v0
	;; [unrolled: 1-line block ×47, first 2 shown]
	s_branch .LBB195_13
.LBB195_12:                             ;   in Loop: Header=BB195_13 Depth=2
	s_or_b64 exec, exec, s[10:11]
	v_add_u32_e32 v97, 0x2000, v96
	ds_read2_b32 v[98:99], v97 offset1:32
	v_add_u32_e32 v91, s99, v91
	s_waitcnt lgkmcnt(0)
	v_mfma_f32_32x32x16_fp8_fp8 v[0:15], v[68:69], v[98:99], v[0:15]
	ds_read2_b32 v[68:69], v97 offset0:128 offset1:160
	s_waitcnt lgkmcnt(0)
	v_mfma_f32_32x32x16_fp8_fp8 v[0:15], v[66:67], v[68:69], v[0:15]
	v_add_u32_e32 v68, 0x2400, v96
	ds_read2_b32 v[66:67], v68 offset1:32
	s_waitcnt lgkmcnt(0)
	v_mfma_f32_32x32x16_fp8_fp8 v[0:15], v[64:65], v[66:67], v[0:15]
	ds_read2_b32 v[64:65], v68 offset0:128 offset1:160
	s_waitcnt lgkmcnt(0)
	v_mfma_f32_32x32x16_fp8_fp8 v[0:15], v[62:63], v[64:65], v[0:15]
	v_add_u32_e32 v64, 0x2800, v96
	ds_read2_b32 v[62:63], v64 offset1:32
	;; [unrolled: 7-line block ×3, first 2 shown]
	ds_read2_b32 v[60:61], v60 offset0:128 offset1:160
	ds_write_b32 v94, v95 offset:61460
	s_waitcnt lgkmcnt(2)
	v_mfma_f32_32x32x16_fp8_fp8 v[0:15], v[56:57], v[58:59], v[0:15]
	v_add_u32_e32 v56, s99, v93
	v_add_u32_e32 v57, 2, v71
	v_cmp_lt_i32_e32 vcc, 2, v56
	s_nop 1
	v_cndmask_b32_e32 v71, v71, v57, vcc
	v_cmp_le_i32_e32 vcc, s4, v91
	s_waitcnt lgkmcnt(1)
	v_mfma_f32_32x32x16_fp8_fp8 v[0:15], v[54:55], v[60:61], v[0:15]
	s_or_b64 s[8:9], vcc, s[8:9]
	s_andn2_b64 exec, exec, s[8:9]
	s_cbranch_execz .LBB195_25
.LBB195_13:                             ;   Parent Loop BB195_7 Depth=1
                                        ; =>  This Loop Header: Depth=2
                                        ;       Child Loop BB195_15 Depth 3
                                        ;       Child Loop BB195_18 Depth 3
	;; [unrolled: 1-line block ×4, first 2 shown]
	v_cmp_gt_i32_e32 vcc, 3, v56
	s_nop 1
	v_cndmask_b32_e64 v54, -3, 0, vcc
	v_add_u32_e32 v93, v54, v56
	v_mul_lo_u32 v94, v93, 24
	ds_read_b32 v54, v94 offset:61440
	s_waitcnt lgkmcnt(0)
	v_cmp_ne_u32_e32 vcc, v54, v71
	s_and_saveexec_b64 s[10:11], vcc
	s_cbranch_execz .LBB195_16
; %bb.14:                               ;   in Loop: Header=BB195_13 Depth=2
	s_mov_b64 s[12:13], 0
.LBB195_15:                             ;   Parent Loop BB195_7 Depth=1
                                        ;     Parent Loop BB195_13 Depth=2
                                        ; =>    This Inner Loop Header: Depth=3
	;;#ASMSTART
	s_sleep 0
	;;#ASMEND
	ds_read_b32 v54, v94 offset:61440
	s_waitcnt lgkmcnt(0)
	v_cmp_eq_u32_e32 vcc, v54, v71
	s_or_b64 s[12:13], vcc, s[12:13]
	s_andn2_b64 exec, exec, s[12:13]
	s_cbranch_execnz .LBB195_15
.LBB195_16:                             ;   in Loop: Header=BB195_13 Depth=2
	s_or_b64 exec, exec, s[10:11]
	v_lshl_add_u32 v54, v93, 12, v73
	v_add_u32_e32 v55, 0x400, v54
	ds_read2_b32 v[68:69], v54 offset1:32
	ds_read2_b32 v[66:67], v54 offset0:128 offset1:160
	ds_read2_b32 v[64:65], v55 offset1:32
	ds_read2_b32 v[62:63], v55 offset0:128 offset1:160
	v_add_u32_e32 v55, 0x800, v54
	v_add_u32_e32 v54, 0xc00, v54
	ds_read2_b32 v[60:61], v55 offset1:32
	ds_read2_b32 v[58:59], v55 offset0:128 offset1:160
	ds_read2_b32 v[56:57], v54 offset1:32
	ds_read_b32 v96, v94 offset:61444
	ds_read2_b32 v[54:55], v54 offset0:128 offset1:160
	v_add_u32_e32 v95, 1, v71
	ds_write_b32 v94, v95 offset:61440
	s_waitcnt lgkmcnt(2)
	v_cmp_ne_u32_e32 vcc, v96, v71
	s_and_saveexec_b64 s[10:11], vcc
	s_cbranch_execz .LBB195_19
; %bb.17:                               ;   in Loop: Header=BB195_13 Depth=2
	s_mov_b64 s[12:13], 0
.LBB195_18:                             ;   Parent Loop BB195_7 Depth=1
                                        ;     Parent Loop BB195_13 Depth=2
                                        ; =>    This Inner Loop Header: Depth=3
	;;#ASMSTART
	s_sleep 0
	;;#ASMEND
	ds_read_b32 v96, v94 offset:61444
	s_waitcnt lgkmcnt(0)
	v_cmp_eq_u32_e32 vcc, v96, v71
	s_or_b64 s[12:13], vcc, s[12:13]
	s_andn2_b64 exec, exec, s[12:13]
	s_cbranch_execnz .LBB195_18
.LBB195_19:                             ;   in Loop: Header=BB195_13 Depth=2
	s_or_b64 exec, exec, s[10:11]
	s_movk_i32 s1, 0x3000
	v_mul_lo_u32 v96, v93, s1
	v_or_b32_e32 v97, v74, v96
	ds_read2_b32 v[98:99], v97 offset1:32
	v_add_u32_e32 v100, 0x400, v97
	ds_write_b32 v94, v95 offset:61444
	s_waitcnt lgkmcnt(1)
	v_mfma_f32_32x32x16_fp8_fp8 v[32:47], v[68:69], v[98:99], v[32:47]
	ds_read2_b32 v[98:99], v97 offset0:128 offset1:160
	s_waitcnt lgkmcnt(0)
	v_mfma_f32_32x32x16_fp8_fp8 v[32:47], v[66:67], v[98:99], v[32:47]
	ds_read2_b32 v[98:99], v100 offset1:32
	s_waitcnt lgkmcnt(0)
	v_mfma_f32_32x32x16_fp8_fp8 v[32:47], v[64:65], v[98:99], v[32:47]
	ds_read2_b32 v[98:99], v100 offset0:128 offset1:160
	v_add_u32_e32 v100, 0x800, v97
	v_add_u32_e32 v97, 0xc00, v97
	s_waitcnt lgkmcnt(0)
	v_mfma_f32_32x32x16_fp8_fp8 v[32:47], v[62:63], v[98:99], v[32:47]
	ds_read2_b32 v[98:99], v100 offset1:32
	s_waitcnt lgkmcnt(0)
	v_mfma_f32_32x32x16_fp8_fp8 v[32:47], v[60:61], v[98:99], v[32:47]
	ds_read2_b32 v[98:99], v100 offset0:128 offset1:160
	s_waitcnt lgkmcnt(0)
	v_mfma_f32_32x32x16_fp8_fp8 v[32:47], v[58:59], v[98:99], v[32:47]
	ds_read2_b32 v[98:99], v97 offset1:32
	s_waitcnt lgkmcnt(0)
	v_mfma_f32_32x32x16_fp8_fp8 v[32:47], v[56:57], v[98:99], v[32:47]
	ds_read2_b32 v[98:99], v97 offset0:128 offset1:160
	ds_read_b32 v97, v94 offset:61452
	s_waitcnt lgkmcnt(0)
	v_cmp_ne_u32_e32 vcc, v97, v71
	v_mfma_f32_32x32x16_fp8_fp8 v[32:47], v[54:55], v[98:99], v[32:47]
	s_and_saveexec_b64 s[10:11], vcc
	s_cbranch_execz .LBB195_22
; %bb.20:                               ;   in Loop: Header=BB195_13 Depth=2
	s_mov_b64 s[12:13], 0
.LBB195_21:                             ;   Parent Loop BB195_7 Depth=1
                                        ;     Parent Loop BB195_13 Depth=2
                                        ; =>    This Inner Loop Header: Depth=3
	;;#ASMSTART
	s_sleep 0
	;;#ASMEND
	ds_read_b32 v97, v94 offset:61452
	s_waitcnt lgkmcnt(0)
	v_cmp_eq_u32_e32 vcc, v97, v71
	s_or_b64 s[12:13], vcc, s[12:13]
	s_andn2_b64 exec, exec, s[12:13]
	s_cbranch_execnz .LBB195_21
.LBB195_22:                             ;   in Loop: Header=BB195_13 Depth=2
	s_or_b64 exec, exec, s[10:11]
	v_add_u32_e32 v96, v74, v96
	v_add_u32_e32 v97, 0x1000, v96
	ds_read2_b32 v[98:99], v97 offset1:32
	ds_write_b32 v94, v95 offset:61452
	s_waitcnt lgkmcnt(1)
	v_mfma_f32_32x32x16_fp8_fp8 v[16:31], v[68:69], v[98:99], v[16:31]
	ds_read2_b32 v[98:99], v97 offset0:128 offset1:160
	v_add_u32_e32 v97, 0x1400, v96
	s_waitcnt lgkmcnt(0)
	v_mfma_f32_32x32x16_fp8_fp8 v[16:31], v[66:67], v[98:99], v[16:31]
	ds_read2_b32 v[98:99], v97 offset1:32
	s_waitcnt lgkmcnt(0)
	v_mfma_f32_32x32x16_fp8_fp8 v[16:31], v[64:65], v[98:99], v[16:31]
	ds_read2_b32 v[98:99], v97 offset0:128 offset1:160
	v_add_u32_e32 v97, 0x1800, v96
	s_waitcnt lgkmcnt(0)
	v_mfma_f32_32x32x16_fp8_fp8 v[16:31], v[62:63], v[98:99], v[16:31]
	ds_read2_b32 v[98:99], v97 offset1:32
	;; [unrolled: 7-line block ×3, first 2 shown]
	s_waitcnt lgkmcnt(0)
	v_mfma_f32_32x32x16_fp8_fp8 v[16:31], v[56:57], v[98:99], v[16:31]
	ds_read2_b32 v[98:99], v97 offset0:128 offset1:160
	ds_read_b32 v97, v94 offset:61460
	s_waitcnt lgkmcnt(0)
	v_cmp_ne_u32_e32 vcc, v97, v71
	v_mfma_f32_32x32x16_fp8_fp8 v[16:31], v[54:55], v[98:99], v[16:31]
	s_and_saveexec_b64 s[10:11], vcc
	s_cbranch_execz .LBB195_12
; %bb.23:                               ;   in Loop: Header=BB195_13 Depth=2
	s_mov_b64 s[12:13], 0
.LBB195_24:                             ;   Parent Loop BB195_7 Depth=1
                                        ;     Parent Loop BB195_13 Depth=2
                                        ; =>    This Inner Loop Header: Depth=3
	;;#ASMSTART
	s_sleep 0
	;;#ASMEND
	ds_read_b32 v97, v94 offset:61460
	s_waitcnt lgkmcnt(0)
	v_cmp_eq_u32_e32 vcc, v97, v71
	s_or_b64 s[12:13], vcc, s[12:13]
	s_andn2_b64 exec, exec, s[12:13]
	s_cbranch_execnz .LBB195_24
	s_branch .LBB195_12
.LBB195_25:                             ;   in Loop: Header=BB195_7 Depth=1
	s_or_b64 exec, exec, s[8:9]
.LBB195_26:                             ;   in Loop: Header=BB195_7 Depth=1
	s_or_b64 exec, exec, s[6:7]
	v_cmp_le_i32_e32 vcc, s70, v72
	v_cmp_eq_u32_e64 s[60:61], 1, v75
	v_cmp_eq_u32_e64 s[26:27], 2, v75
	s_waitcnt vmcnt(0)
	v_cndmask_b32_e32 v54, 0, v92, vcc
	v_pk_mul_f32 v[32:33], v[54:55], v[32:33] op_sel_hi:[0,1]
	v_pk_mul_f32 v[46:47], v[54:55], v[46:47] op_sel_hi:[0,1]
	;; [unrolled: 1-line block ×8, first 2 shown]
	v_cndmask_b32_e64 v54, v32, v33, s[60:61]
	v_cndmask_b32_e64 v54, v54, v34, s[26:27]
	v_cmp_eq_u32_e64 s[40:41], 3, v75
	v_cmp_eq_u32_e64 s[42:43], 4, v75
	v_cmp_eq_u32_e64 s[44:45], 5, v75
	v_cndmask_b32_e64 v54, v54, v35, s[40:41]
	v_cndmask_b32_e64 v54, v54, v36, s[42:43]
	v_cndmask_b32_e64 v54, v54, v37, s[44:45]
	v_cmp_eq_u32_e64 s[46:47], 6, v75
	v_cmp_eq_u32_e64 s[48:49], 7, v75
	v_cmp_eq_u32_e64 s[50:51], 8, v75
	v_cndmask_b32_e64 v54, v54, v38, s[46:47]
	;; [unrolled: 6-line block ×4, first 2 shown]
	v_cndmask_b32_e64 v54, v54, v45, s[62:63]
	v_cndmask_b32_e64 v54, v54, v46, s[64:65]
	v_cmp_eq_u32_e64 s[66:67], 15, v75
	s_mul_i32 s6, s39, s93
	s_ashr_i32 s7, s6, 31
	v_cndmask_b32_e64 v54, v54, v47, s[66:67]
	ds_bpermute_b32 v54, v90, v54
	s_lshl_b64 s[6:7], s[6:7], 1
	v_cmp_eq_u32_e64 s[36:37], 0, v75
	s_add_u32 s71, s20, s6
	v_cmp_eq_u32_e32 vcc, 1, v76
	s_waitcnt lgkmcnt(0)
	v_cndmask_b32_e64 v47, v47, v54, s[66:67]
	v_cndmask_b32_e64 v46, v46, v54, s[64:65]
	;; [unrolled: 1-line block ×16, first 2 shown]
	s_addc_u32 s72, s21, s7
	v_cndmask_b32_e32 v32, v54, v63, vcc
	v_cmp_eq_u32_e64 s[6:7], 2, v76
	v_cmp_eq_u32_e64 s[8:9], 3, v76
	v_cmp_eq_u32_e64 s[10:11], 4, v76
	v_cndmask_b32_e64 v32, v32, v62, s[6:7]
	v_cndmask_b32_e64 v32, v32, v61, s[8:9]
	v_cndmask_b32_e64 v32, v32, v60, s[10:11]
	v_cmp_eq_u32_e64 s[12:13], 5, v76
	v_cmp_eq_u32_e64 s[14:15], 6, v76
	v_cmp_eq_u32_e64 s[16:17], 7, v76
	v_cndmask_b32_e64 v32, v32, v59, s[12:13]
	v_cndmask_b32_e64 v32, v32, v58, s[14:15]
	v_cndmask_b32_e64 v32, v32, v57, s[16:17]
	;; [unrolled: 6-line block ×4, first 2 shown]
	v_cmp_eq_u32_e64 s[34:35], 14, v76
	v_writelane_b32 v101, s39, 28
	v_cmp_eq_u32_e64 s[38:39], 15, v76
	v_cndmask_b32_e64 v32, v32, v46, s[34:35]
	s_ashr_i32 s1, s0, 31
	v_cndmask_b32_e64 v32, v32, v47, s[38:39]
	ds_bpermute_b32 v55, v90, v32
	s_lshl_b64 s[68:69], s[0:1], 1
	s_add_u32 s68, s71, s68
	s_addc_u32 s69, s72, s69
	v_writelane_b32 v101, s68, 29
	s_waitcnt lgkmcnt(0)
	v_cndmask_b32_e64 v33, v47, v55, s[38:39]
	v_cndmask_b32_e64 v38, v42, v55, s[22:23]
	v_writelane_b32 v101, s69, 30
	v_cmp_le_i32_e64 s[68:69], s70, v83
	v_cmp_le_i32_e64 s[70:71], s70, v84
	v_cndmask_b32_e64 v42, v58, v55, s[14:15]
	v_cndmask_b32_e64 v32, 0, v92, s[68:69]
	;; [unrolled: 1-line block ×3, first 2 shown]
	v_pk_mul_f32 v[16:17], v[32:33], v[16:17] op_sel_hi:[0,1]
	v_pk_mul_f32 v[0:1], v[58:59], v[0:1] op_sel_hi:[0,1]
	v_cndmask_b32_e64 v35, v45, v55, s[30:31]
	v_cndmask_b32_e64 v36, v44, v55, s[28:29]
	;; [unrolled: 1-line block ×4, first 2 shown]
	v_pk_mul_f32 v[30:31], v[32:33], v[30:31] op_sel_hi:[0,1]
	v_pk_mul_f32 v[28:29], v[32:33], v[28:29] op_sel_hi:[0,1]
	;; [unrolled: 1-line block ×7, first 2 shown]
	v_cndmask_b32_e64 v32, v16, v17, s[60:61]
	v_pk_mul_f32 v[60:61], v[58:59], v[4:5] op_sel_hi:[0,1]
	v_pk_mul_f32 v[2:3], v[58:59], v[2:3] op_sel_hi:[0,1]
	v_cndmask_b32_e64 v4, v0, v1, s[60:61]
	v_cndmask_b32_e64 v32, v32, v18, s[26:27]
	;; [unrolled: 1-line block ×8, first 2 shown]
	v_pk_mul_f32 v[6:7], v[58:59], v[6:7] op_sel_hi:[0,1]
	v_cndmask_b32_e64 v4, v4, v61, s[44:45]
	v_cndmask_b32_e64 v32, v32, v22, s[46:47]
	v_cndmask_b32_e64 v4, v4, v6, s[46:47]
	v_cndmask_b32_e64 v32, v32, v23, s[48:49]
	v_pk_mul_f32 v[8:9], v[58:59], v[8:9] op_sel_hi:[0,1]
	v_cndmask_b32_e64 v4, v4, v7, s[48:49]
	v_cndmask_b32_e64 v32, v32, v24, s[50:51]
	v_cndmask_b32_e64 v4, v4, v8, s[50:51]
	v_cndmask_b32_e64 v32, v32, v25, s[52:53]
	;; [unrolled: 5-line block ×5, first 2 shown]
	v_cndmask_b32_e64 v4, v4, v15, s[66:67]
	ds_bpermute_b32 v32, v90, v32
	ds_bpermute_b32 v5, v90, v4
	v_cmp_eq_u32_e64 s[68:69], 0, v76
	v_cndmask_b32_e32 v47, v63, v55, vcc
	v_cmp_eq_u32_e64 s[70:71], 1, v77
	v_cndmask_b32_e64 v54, v54, v55, s[68:69]
	s_waitcnt lgkmcnt(1)
	v_cndmask_b32_e64 v18, v18, v32, s[26:27]
	s_waitcnt lgkmcnt(0)
	v_cndmask_b32_e64 v2, v2, v5, s[26:27]
	v_cmp_ne_u32_e64 s[26:27], 0, v75
	v_cndmask_b32_e64 v34, v46, v55, s[34:35]
	v_cndmask_b32_e64 v37, v43, v55, s[24:25]
	v_cndmask_b32_e64 v39, v41, v55, s[20:21]
	v_cndmask_b32_e64 v40, v40, v55, s[18:19]
	v_cndmask_b32_e64 v41, v57, v55, s[16:17]
	v_cndmask_b32_e64 v43, v59, v55, s[12:13]
	v_cndmask_b32_e64 v46, v62, v55, s[6:7]
	v_cndmask_b32_e64 v55, v54, v47, s[70:71]
	v_cndmask_b32_e64 v4, v17, v32, s[60:61]
	v_cmp_eq_u32_e64 s[60:61], 2, v77
	v_cndmask_b32_e64 v1, v1, v5, s[26:27]
	v_cndmask_b32_e64 v16, v16, v32, s[36:37]
	;; [unrolled: 1-line block ×6, first 2 shown]
	v_cmp_eq_u32_e64 s[66:67], 3, v77
	v_cndmask_b32_e64 v30, v30, v32, s[64:65]
	v_cndmask_b32_e64 v14, v14, v5, s[64:65]
	;; [unrolled: 1-line block ×24, first 2 shown]
	v_cndmask_b32_e32 v32, v16, v4, vcc
	v_cndmask_b32_e32 v5, v0, v1, vcc
	v_cndmask_b32_e64 v17, v17, v45, s[66:67]
	v_cmp_eq_u32_e64 s[64:65], 4, v77
	v_cndmask_b32_e64 v32, v32, v18, s[6:7]
	v_cndmask_b32_e64 v5, v5, v2, s[6:7]
	v_cndmask_b32_e64 v17, v17, v44, s[64:65]
	v_cmp_eq_u32_e64 s[62:63], 5, v77
	v_cndmask_b32_e64 v32, v32, v19, s[8:9]
	v_cndmask_b32_e64 v5, v5, v3, s[8:9]
	;; [unrolled: 4-line block ×12, first 2 shown]
	v_cndmask_b32_e64 v17, v17, v33, s[82:83]
	v_cndmask_b32_e64 v32, v32, v30, s[34:35]
	;; [unrolled: 1-line block ×3, first 2 shown]
	ds_bpermute_b32 v17, v90, v17
	v_cndmask_b32_e64 v32, v32, v31, s[38:39]
	v_cndmask_b32_e64 v5, v5, v15, s[38:39]
	ds_bpermute_b32 v32, v90, v32
	ds_bpermute_b32 v5, v90, v5
	v_cmp_eq_u32_e64 s[40:41], 0, v77
	s_waitcnt lgkmcnt(2)
	v_cndmask_b32_e64 v33, v33, v17, s[82:83]
	v_cndmask_b32_e64 v34, v34, v17, s[78:79]
	v_cndmask_b32_e64 v35, v35, v17, s[44:45]
	v_cndmask_b32_e64 v36, v36, v17, s[52:53]
	v_cndmask_b32_e64 v37, v37, v17, s[48:49]
	v_cndmask_b32_e64 v38, v38, v17, s[50:51]
	v_cndmask_b32_e64 v39, v39, v17, s[72:73]
	v_cndmask_b32_e64 v40, v40, v17, s[54:55]
	v_cndmask_b32_e64 v41, v41, v17, s[56:57]
	v_cndmask_b32_e64 v42, v42, v17, s[58:59]
	v_cndmask_b32_e64 v43, v43, v17, s[62:63]
	v_cndmask_b32_e64 v44, v44, v17, s[64:65]
	v_cndmask_b32_e64 v45, v45, v17, s[66:67]
	v_cndmask_b32_e64 v46, v46, v17, s[60:61]
	v_cndmask_b32_e64 v47, v47, v17, s[70:71]
	v_cndmask_b32_e64 v17, v54, v17, s[40:41]
	v_cmp_eq_u32_e64 s[26:27], 1, v78
	v_cmp_eq_u32_e64 s[36:37], 2, v78
	s_waitcnt lgkmcnt(1)
	v_cndmask_b32_e32 v4, v4, v32, vcc
	v_cndmask_b32_e64 v54, v17, v47, s[26:27]
	s_waitcnt lgkmcnt(0)
	v_cndmask_b32_e32 v1, v1, v5, vcc
	v_cndmask_b32_e64 v16, v16, v32, s[68:69]
	v_cndmask_b32_e64 v0, v0, v5, s[68:69]
	;; [unrolled: 1-line block ×7, first 2 shown]
	v_cmp_eq_u32_e64 s[34:35], 3, v78
	v_cndmask_b32_e64 v29, v29, v32, s[30:31]
	v_cndmask_b32_e64 v13, v13, v5, s[30:31]
	;; [unrolled: 1-line block ×27, first 2 shown]
	v_cmp_eq_u32_e64 s[30:31], 4, v78
	v_cndmask_b32_e64 v32, v32, v18, s[60:61]
	v_cndmask_b32_e64 v5, v5, v2, s[60:61]
	v_cndmask_b32_e64 v54, v54, v44, s[30:31]
	v_cmp_eq_u32_e64 s[28:29], 5, v78
	v_cndmask_b32_e64 v32, v32, v19, s[66:67]
	v_cndmask_b32_e64 v5, v5, v3, s[66:67]
	v_cndmask_b32_e64 v54, v54, v43, s[28:29]
	v_cmp_eq_u32_e64 s[42:43], 6, v78
	v_cndmask_b32_e64 v32, v32, v20, s[64:65]
	v_cndmask_b32_e64 v5, v5, v57, s[64:65]
	v_cndmask_b32_e64 v54, v54, v42, s[42:43]
	v_cmp_eq_u32_e64 s[22:23], 7, v78
	v_cndmask_b32_e64 v32, v32, v21, s[62:63]
	v_cndmask_b32_e64 v5, v5, v55, s[62:63]
	v_cndmask_b32_e64 v54, v54, v41, s[22:23]
	v_cmp_eq_u32_e64 s[20:21], 8, v78
	v_cndmask_b32_e64 v32, v32, v22, s[58:59]
	v_cndmask_b32_e64 v5, v5, v6, s[58:59]
	v_cndmask_b32_e64 v54, v54, v40, s[20:21]
	v_cmp_eq_u32_e64 s[74:75], 9, v78
	v_cndmask_b32_e64 v32, v32, v23, s[56:57]
	v_cndmask_b32_e64 v5, v5, v7, s[56:57]
	v_cndmask_b32_e64 v54, v54, v39, s[74:75]
	v_cmp_eq_u32_e64 s[76:77], 10, v78
	v_cndmask_b32_e64 v32, v32, v24, s[54:55]
	v_cndmask_b32_e64 v5, v5, v8, s[54:55]
	v_cndmask_b32_e64 v54, v54, v38, s[76:77]
	v_cmp_eq_u32_e64 s[46:47], 11, v78
	v_cndmask_b32_e64 v32, v32, v25, s[72:73]
	v_cndmask_b32_e64 v5, v5, v9, s[72:73]
	v_cndmask_b32_e64 v54, v54, v37, s[46:47]
	v_cmp_eq_u32_e64 s[80:81], 12, v78
	v_cndmask_b32_e64 v32, v32, v26, s[50:51]
	v_cndmask_b32_e64 v5, v5, v10, s[50:51]
	v_cndmask_b32_e64 v54, v54, v36, s[80:81]
	v_cmp_eq_u32_e64 s[12:13], 13, v78
	v_cndmask_b32_e64 v32, v32, v27, s[48:49]
	v_cndmask_b32_e64 v5, v5, v11, s[48:49]
	v_cndmask_b32_e64 v54, v54, v35, s[12:13]
	v_cmp_eq_u32_e64 s[10:11], 14, v78
	v_cndmask_b32_e64 v32, v32, v28, s[52:53]
	v_cndmask_b32_e64 v5, v5, v12, s[52:53]
	v_cndmask_b32_e64 v54, v54, v34, s[10:11]
	v_cmp_eq_u32_e64 s[8:9], 15, v78
	v_cndmask_b32_e64 v32, v32, v29, s[44:45]
	v_cndmask_b32_e64 v5, v5, v13, s[44:45]
	v_cndmask_b32_e64 v54, v54, v33, s[8:9]
	v_cndmask_b32_e64 v32, v32, v30, s[78:79]
	v_cndmask_b32_e64 v5, v5, v14, s[78:79]
	ds_bpermute_b32 v54, v90, v54
	v_cndmask_b32_e64 v32, v32, v31, s[82:83]
	v_cndmask_b32_e64 v5, v5, v15, s[82:83]
	ds_bpermute_b32 v32, v90, v32
	ds_bpermute_b32 v5, v90, v5
	v_cmp_eq_u32_e64 s[16:17], 0, v78
	s_waitcnt lgkmcnt(2)
	v_cndmask_b32_e64 v47, v47, v54, s[26:27]
	v_cmp_eq_u32_e64 s[6:7], 1, v79
	v_cndmask_b32_e64 v17, v17, v54, s[16:17]
	v_cndmask_b32_e64 v33, v33, v54, s[8:9]
	;; [unrolled: 1-line block ×16, first 2 shown]
	v_cmp_eq_u32_e64 s[14:15], 2, v79
	s_waitcnt lgkmcnt(1)
	v_cndmask_b32_e64 v4, v4, v32, s[70:71]
	s_waitcnt lgkmcnt(0)
	v_cndmask_b32_e64 v1, v1, v5, s[70:71]
	v_cndmask_b32_e64 v16, v16, v32, s[40:41]
	;; [unrolled: 1-line block ×8, first 2 shown]
	v_cmp_eq_u32_e64 s[18:19], 3, v79
	v_cndmask_b32_e64 v29, v29, v32, s[44:45]
	v_cndmask_b32_e64 v13, v13, v5, s[44:45]
	;; [unrolled: 1-line block ×27, first 2 shown]
	v_cmp_eq_u32_e64 s[24:25], 4, v79
	v_cndmask_b32_e64 v32, v32, v18, s[36:37]
	v_cndmask_b32_e64 v5, v5, v2, s[36:37]
	v_cndmask_b32_e64 v54, v54, v44, s[24:25]
	v_cmp_eq_u32_e64 s[38:39], 5, v79
	v_cndmask_b32_e64 v32, v32, v19, s[34:35]
	v_cndmask_b32_e64 v5, v5, v3, s[34:35]
	v_cndmask_b32_e64 v54, v54, v43, s[38:39]
	;; [unrolled: 4-line block ×12, first 2 shown]
	v_cndmask_b32_e64 v32, v32, v30, s[10:11]
	v_cndmask_b32_e64 v5, v5, v14, s[10:11]
	ds_bpermute_b32 v54, v90, v54
	v_cndmask_b32_e64 v32, v32, v31, s[8:9]
	v_cndmask_b32_e64 v5, v5, v15, s[8:9]
	ds_bpermute_b32 v32, v90, v32
	ds_bpermute_b32 v5, v90, v5
	v_cmp_eq_u32_e64 s[50:51], 0, v79
	s_waitcnt lgkmcnt(2)
	v_cndmask_b32_e64 v47, v47, v54, s[6:7]
	v_cmp_eq_u32_e32 vcc, 1, v80
	v_cndmask_b32_e64 v17, v17, v54, s[50:51]
	v_cndmask_b32_e64 v33, v33, v54, s[88:89]
	;; [unrolled: 1-line block ×15, first 2 shown]
	v_cndmask_b32_e32 v54, v17, v47, vcc
	s_waitcnt lgkmcnt(1)
	v_cndmask_b32_e64 v31, v31, v32, s[8:9]
	s_waitcnt lgkmcnt(0)
	v_cndmask_b32_e64 v15, v15, v5, s[8:9]
	v_cmp_eq_u32_e64 s[8:9], 2, v80
	v_cndmask_b32_e64 v30, v30, v32, s[10:11]
	v_cndmask_b32_e64 v14, v14, v5, s[10:11]
	;; [unrolled: 1-line block ×3, first 2 shown]
	v_cmp_eq_u32_e64 s[10:11], 3, v80
	v_cndmask_b32_e64 v29, v29, v32, s[12:13]
	v_cndmask_b32_e64 v13, v13, v5, s[12:13]
	;; [unrolled: 1-line block ×3, first 2 shown]
	v_cmp_eq_u32_e64 s[12:13], 4, v80
	v_cmp_eq_u32_e64 s[40:41], 5, v80
	v_cndmask_b32_e64 v27, v27, v32, s[46:47]
	v_cndmask_b32_e64 v54, v54, v44, s[12:13]
	;; [unrolled: 1-line block ×4, first 2 shown]
	v_cmp_eq_u32_e64 s[46:47], 6, v80
	v_cmp_eq_u32_e64 s[54:55], 7, v80
	v_cndmask_b32_e64 v59, v1, v5, s[26:27]
	v_cndmask_b32_e64 v54, v54, v42, s[46:47]
	;; [unrolled: 1-line block ×4, first 2 shown]
	v_cmp_eq_u32_e64 s[56:57], 8, v80
	v_cndmask_b32_e64 v2, v2, v5, s[36:37]
	v_cndmask_b32_e64 v0, v61, v59, s[6:7]
	;; [unrolled: 1-line block ×7, first 2 shown]
	v_cmp_eq_u32_e64 s[58:59], 9, v80
	v_cndmask_b32_e64 v23, v23, v32, s[22:23]
	v_cndmask_b32_e64 v22, v22, v32, s[42:43]
	;; [unrolled: 1-line block ×11, first 2 shown]
	v_cmp_eq_u32_e64 s[60:61], 10, v80
	v_cndmask_b32_e64 v57, v57, v5, s[30:31]
	v_cndmask_b32_e64 v1, v32, v58, s[6:7]
	;; [unrolled: 1-line block ×4, first 2 shown]
	v_cmp_eq_u32_e64 s[62:63], 11, v80
	v_cndmask_b32_e64 v55, v55, v5, s[28:29]
	v_cndmask_b32_e64 v1, v1, v18, s[14:15]
	;; [unrolled: 1-line block ×5, first 2 shown]
	v_cmp_eq_u32_e64 s[64:65], 12, v80
	v_cndmask_b32_e64 v1, v1, v19, s[18:19]
	v_cndmask_b32_e64 v0, v0, v55, s[38:39]
	v_cndmask_b32_e64 v7, v7, v5, s[22:23]
	v_cndmask_b32_e64 v54, v54, v36, s[64:65]
	v_cmp_eq_u32_e64 s[66:67], 13, v80
	v_cndmask_b32_e64 v1, v1, v20, s[24:25]
	v_cndmask_b32_e64 v0, v0, v6, s[44:45]
	v_cndmask_b32_e64 v8, v8, v5, s[20:21]
	v_cndmask_b32_e64 v54, v54, v35, s[66:67]
	v_cmp_eq_u32_e64 s[70:71], 14, v80
	v_cndmask_b32_e64 v1, v1, v21, s[38:39]
	v_cndmask_b32_e64 v0, v0, v7, s[52:53]
	v_cndmask_b32_e64 v9, v9, v5, s[74:75]
	v_cndmask_b32_e64 v54, v54, v34, s[70:71]
	v_cmp_eq_u32_e64 s[74:75], 15, v80
	v_cndmask_b32_e64 v1, v1, v22, s[44:45]
	v_cndmask_b32_e64 v0, v0, v8, s[48:49]
	v_cndmask_b32_e64 v10, v10, v5, s[76:77]
	v_cndmask_b32_e64 v54, v54, v33, s[74:75]
	v_cndmask_b32_e64 v1, v1, v23, s[52:53]
	v_cndmask_b32_e64 v0, v0, v9, s[68:69]
	ds_bpermute_b32 v54, v90, v54
	v_cndmask_b32_e64 v1, v1, v24, s[48:49]
	v_cndmask_b32_e64 v0, v0, v10, s[72:73]
	;; [unrolled: 1-line block ×9, first 2 shown]
	v_cmp_eq_u32_e64 s[20:21], 0, v80
	v_cndmask_b32_e64 v1, v1, v28, s[82:83]
	v_cndmask_b32_e64 v0, v0, v14, s[86:87]
	s_waitcnt lgkmcnt(0)
	v_cndmask_b32_e32 v47, v47, v54, vcc
	v_cndmask_b32_e64 v1, v1, v29, s[84:85]
	v_cndmask_b32_e64 v0, v0, v15, s[88:89]
	;; [unrolled: 1-line block ×3, first 2 shown]
	v_cmp_eq_u32_e64 s[16:17], 1, v81
	v_cndmask_b32_e64 v46, v46, v54, s[8:9]
	v_cndmask_b32_e64 v1, v1, v30, s[86:87]
	ds_bpermute_b32 v62, v90, v0
	v_cndmask_b32_e64 v0, v17, v47, s[16:17]
	v_cmp_eq_u32_e64 s[22:23], 2, v81
	v_cndmask_b32_e64 v45, v45, v54, s[10:11]
	v_cndmask_b32_e64 v1, v1, v31, s[88:89]
	;; [unrolled: 1-line block ×3, first 2 shown]
	v_cmp_eq_u32_e64 s[26:27], 3, v81
	v_cndmask_b32_e64 v44, v44, v54, s[12:13]
	ds_bpermute_b32 v60, v90, v1
	v_cndmask_b32_e64 v0, v0, v45, s[26:27]
	v_cmp_eq_u32_e64 s[28:29], 4, v81
	v_cndmask_b32_e64 v43, v43, v54, s[40:41]
	v_cmp_eq_u32_e64 s[30:31], 5, v81
	v_cndmask_b32_e64 v0, v0, v44, s[28:29]
	v_cndmask_b32_e64 v42, v42, v54, s[46:47]
	v_cndmask_b32_e64 v0, v0, v43, s[30:31]
	v_cmp_eq_u32_e64 s[34:35], 6, v81
	v_cndmask_b32_e64 v41, v41, v54, s[54:55]
	v_cmp_eq_u32_e64 s[36:37], 7, v81
	v_cndmask_b32_e64 v0, v0, v42, s[34:35]
	v_cndmask_b32_e64 v40, v40, v54, s[56:57]
	;; [unrolled: 1-line block ×3, first 2 shown]
	v_cmp_eq_u32_e64 s[42:43], 8, v81
	v_cndmask_b32_e64 v39, v39, v54, s[58:59]
	s_waitcnt lgkmcnt(0)
	v_cndmask_b32_e64 v24, v24, v60, s[48:49]
	v_cndmask_b32_e64 v0, v0, v40, s[42:43]
	;; [unrolled: 1-line block ×3, first 2 shown]
	v_cmp_eq_u32_e64 s[48:49], 9, v81
	v_cndmask_b32_e64 v38, v38, v54, s[60:61]
	v_cndmask_b32_e64 v23, v23, v60, s[52:53]
	;; [unrolled: 1-line block ×4, first 2 shown]
	v_cmp_eq_u32_e64 s[52:53], 10, v81
	v_cndmask_b32_e64 v33, v33, v54, s[74:75]
	v_cndmask_b32_e64 v34, v34, v54, s[70:71]
	v_cndmask_b32_e64 v35, v35, v54, s[66:67]
	v_cndmask_b32_e64 v36, v36, v54, s[64:65]
	v_cndmask_b32_e64 v37, v37, v54, s[62:63]
	v_cndmask_b32_e64 v0, v0, v38, s[52:53]
	v_cndmask_b32_e64 v22, v22, v60, s[44:45]
	v_cndmask_b32_e64 v54, v6, v62, s[44:45]
	v_cmp_eq_u32_e64 s[44:45], 11, v81
	v_cndmask_b32_e64 v21, v21, v60, s[38:39]
	v_cndmask_b32_e64 v55, v55, v62, s[38:39]
	v_cndmask_b32_e64 v0, v0, v37, s[44:45]
	v_cmp_eq_u32_e64 s[38:39], 12, v81
	v_cndmask_b32_e64 v20, v20, v60, s[24:25]
	v_cndmask_b32_e64 v57, v57, v62, s[24:25]
	v_cndmask_b32_e64 v0, v0, v36, s[38:39]
	;; [unrolled: 4-line block ×5, first 2 shown]
	ds_bpermute_b32 v18, v90, v0
	v_cndmask_b32_e64 v9, v9, v62, s[68:69]
	v_cndmask_b32_e64 v26, v26, v60, s[72:73]
	;; [unrolled: 1-line block ×4, first 2 shown]
	s_waitcnt lgkmcnt(0)
	v_cndmask_b32_e64 v1, v43, v18, s[30:31]
	v_cndmask_b32_e64 v2, v44, v18, s[28:29]
	;; [unrolled: 1-line block ×8, first 2 shown]
	v_cndmask_b32_e32 v45, v32, v43, vcc
	v_cndmask_b32_e32 v47, v46, v44, vcc
	v_cndmask_b32_e64 v45, v45, v5, s[8:9]
	v_cndmask_b32_e64 v47, v47, v6, s[8:9]
	;; [unrolled: 1-line block ×37, first 2 shown]
	ds_bpermute_b32 v45, v90, v45
	ds_bpermute_b32 v47, v90, v47
	v_cmp_eq_u32_e64 s[6:7], 0, v81
	v_cndmask_b32_e64 v33, v33, v18, s[14:15]
	v_cndmask_b32_e64 v34, v34, v18, s[18:19]
	;; [unrolled: 1-line block ×11, first 2 shown]
	v_cmp_eq_u32_e64 s[50:51], 1, v82
	v_cmp_eq_u32_e64 s[68:69], 2, v82
	s_waitcnt lgkmcnt(0)
	v_cndmask_b32_e64 v17, v15, v47, s[74:75]
	v_cndmask_b32_e64 v58, v18, v0, s[50:51]
	;; [unrolled: 1-line block ×5, first 2 shown]
	v_cmp_eq_u32_e64 s[70:71], 3, v82
	v_cndmask_b32_e64 v29, v29, v45, s[66:67]
	v_cndmask_b32_e64 v59, v13, v47, s[66:67]
	v_cndmask_b32_e64 v14, v15, v3, s[70:71]
	v_cmp_eq_u32_e64 s[66:67], 4, v82
	v_cndmask_b32_e64 v28, v28, v45, s[64:65]
	v_cndmask_b32_e64 v60, v12, v47, s[64:65]
	v_cndmask_b32_e64 v13, v14, v2, s[66:67]
	;; [unrolled: 4-line block ×12, first 2 shown]
	v_cmp_eq_u32_e64 s[8:9], 15, v82
	v_cndmask_b32_e32 v43, v43, v45, vcc
	v_cndmask_b32_e64 v32, v32, v45, s[20:21]
	v_cndmask_b32_e64 v4, v4, v33, s[8:9]
	ds_bpermute_b32 v69, v90, v4
	v_cndmask_b32_e64 v4, v32, v43, s[16:17]
	v_cndmask_b32_e64 v4, v4, v67, s[22:23]
	;; [unrolled: 1-line block ×16, first 2 shown]
	s_waitcnt lgkmcnt(0)
	v_cndmask_b32_e64 v15, v33, v69, s[8:9]
	ds_bpermute_b32 v33, v90, v4
	v_cndmask_b32_e64 v13, v35, v69, s[12:13]
	v_cndmask_b32_e64 v14, v34, v69, s[10:11]
	;; [unrolled: 1-line block ×4, first 2 shown]
	s_waitcnt lgkmcnt(0)
	v_cndmask_b32_e64 v35, v43, v33, s[16:17]
	v_cndmask_b32_e64 v32, v32, v33, s[6:7]
	;; [unrolled: 1-line block ×32, first 2 shown]
	ds_bpermute_b32 v33, v90, v1
	v_cndmask_b32_e32 v44, v44, v47, vcc
	v_cndmask_b32_e64 v12, v36, v69, s[40:41]
	v_cndmask_b32_e64 v36, v46, v47, s[20:21]
	;; [unrolled: 1-line block ×3, first 2 shown]
	s_waitcnt lgkmcnt(0)
	v_cndmask_b32_e64 v31, v16, v33, s[8:9]
	v_cndmask_b32_e64 v16, v36, v44, s[16:17]
	;; [unrolled: 1-line block ×16, first 2 shown]
	ds_bpermute_b32 v16, v90, v16
	v_cndmask_b32_e64 v9, v39, v69, s[56:57]
	v_cndmask_b32_e64 v11, v37, v69, s[46:47]
	v_cndmask_b32_e64 v8, v40, v69, s[58:59]
	v_cndmask_b32_e64 v7, v41, v69, s[60:61]
	s_waitcnt lgkmcnt(0)
	v_cndmask_b32_e64 v38, v58, v16, s[18:19]
	v_cndmask_b32_e64 v39, v59, v16, s[24:25]
	;; [unrolled: 1-line block ×32, first 2 shown]
	ds_bpermute_b32 v65, v90, v16
	v_readlane_b32 s6, v101, 29
	v_cmp_eq_u32_e32 vcc, 0, v82
	v_readlane_b32 s7, v101, 30
	v_readlane_b32 s24, v101, 10
	;; [unrolled: 1-line block ×4, first 2 shown]
	v_subrev_u32_e32 v91, s4, v91
	s_mov_b32 s1, 0
	v_cndmask_b32_e64 v3, v3, v69, s[70:71]
	v_cndmask_b32_e64 v1, v0, v69, s[50:51]
	v_cndmask_b32_e32 v0, v18, v69, vcc
	v_cndmask_b32_e64 v30, v30, v33, s[10:11]
	v_cndmask_b32_e64 v29, v29, v33, s[12:13]
	;; [unrolled: 1-line block ×14, first 2 shown]
	v_cndmask_b32_e32 v16, v32, v33, vcc
	s_waitcnt lgkmcnt(0)
	v_cndmask_b32_e64 v47, v37, v65, s[8:9]
	v_cndmask_b32_e64 v46, v38, v65, s[10:11]
	;; [unrolled: 1-line block ×15, first 2 shown]
	v_cndmask_b32_e32 v32, v64, v65, vcc
	v_lshl_add_u64 v[54:55], s[6:7], 0, v[48:49]
	s_mov_b64 s[6:7], 0
	s_mov_b32 s16, 0
	v_readlane_b32 s25, v101, 11
	v_readlane_b32 s27, v101, 13
	;; [unrolled: 1-line block ×10, first 2 shown]
	s_mov_b64 s[20:21], 0x80
                                        ; implicit-def: $sgpr8_sgpr9
	s_branch .LBB195_29
.LBB195_27:                             ;   in Loop: Header=BB195_29 Depth=2
	s_or_b64 exec, exec, s[12:13]
	s_andn2_b64 s[8:9], s[8:9], exec
	s_and_b64 s[12:13], s[14:15], exec
	s_or_b64 s[8:9], s[8:9], s[12:13]
.LBB195_28:                             ;   in Loop: Header=BB195_29 Depth=2
	s_or_b64 exec, exec, s[10:11]
	s_and_b64 s[10:11], exec, s[8:9]
	s_or_b64 s[6:7], s[10:11], s[6:7]
	s_andn2_b64 exec, exec, s[6:7]
	s_cbranch_execz .LBB195_32
.LBB195_29:                             ;   Parent Loop BB195_7 Depth=1
                                        ; =>  This Inner Loop Header: Depth=2
	s_and_b32 s12, s1, 24
	v_or_b32_e32 v57, s12, v88
	v_add_u32_e32 v58, s5, v57
	v_cmp_gt_u32_e32 vcc, 32, v58
	s_or_b64 s[8:9], s[8:9], exec
	s_and_saveexec_b64 s[10:11], vcc
	s_cbranch_execz .LBB195_28
; %bb.30:                               ;   in Loop: Header=BB195_29 Depth=2
	s_add_i32 s13, s16, 1
	s_set_gpr_idx_on s16, gpr_idx(SRC0)
	v_mov_b32_e32 v58, v0
	s_set_gpr_idx_off
	v_cvt_f16_f32_e32 v60, v58
	s_set_gpr_idx_on s13, gpr_idx(SRC0)
	v_mov_b32_e32 v58, v0
	s_set_gpr_idx_off
	v_cvt_f16_f32_sdwa v61, v58 dst_sel:WORD_1 dst_unused:UNUSED_PAD src0_sel:DWORD
	v_mul_lo_u32 v58, v57, s93
	v_ashrrev_i32_e32 v59, 31, v58
	v_lshl_add_u64 v[58:59], v[58:59], 1, v[54:55]
	v_or_b32_e32 v57, v61, v60
	;;#ASMSTART
	global_atomic_pk_add_f16 v[58:59], v57, off
	
	;;#ASMEND
	s_set_gpr_idx_on s16, gpr_idx(SRC0)
	v_mov_b32_e32 v57, v16
	s_set_gpr_idx_off
	v_cvt_f16_f32_e32 v57, v57
	s_set_gpr_idx_on s13, gpr_idx(SRC0)
	v_mov_b32_e32 v60, v16
	s_set_gpr_idx_off
	v_cvt_f16_f32_sdwa v62, v60 dst_sel:WORD_1 dst_unused:UNUSED_PAD src0_sel:DWORD
	v_lshl_add_u64 v[60:61], v[58:59], 0, 64
	v_lshl_add_u64 v[58:59], v[58:59], 0, s[20:21]
	s_mov_b64 s[14:15], -1
	v_or_b32_e32 v57, v62, v57
	;;#ASMSTART
	global_atomic_pk_add_f16 v[60:61], v57, off
	
	;;#ASMEND
	s_set_gpr_idx_on s16, gpr_idx(SRC0)
	v_mov_b32_e32 v57, v32
	s_set_gpr_idx_off
	v_cvt_f16_f32_e32 v57, v57
	s_set_gpr_idx_on s13, gpr_idx(SRC0)
	v_mov_b32_e32 v60, v32
	s_set_gpr_idx_off
	v_cvt_f16_f32_sdwa v60, v60 dst_sel:WORD_1 dst_unused:UNUSED_PAD src0_sel:DWORD
	s_nop 0
	v_or_b32_e32 v57, v60, v57
	;;#ASMSTART
	global_atomic_pk_add_f16 v[58:59], v57, off
	
	;;#ASMEND
	v_or_b32_e32 v57, s12, v89
	v_add_u32_e32 v58, s5, v57
	v_cmp_gt_u32_e32 vcc, 32, v58
	s_and_saveexec_b64 s[12:13], vcc
	s_cbranch_execz .LBB195_27
; %bb.31:                               ;   in Loop: Header=BB195_29 Depth=2
	s_add_i32 s14, s16, 2
	s_add_i32 s15, s16, 3
	s_set_gpr_idx_on s14, gpr_idx(SRC0)
	v_mov_b32_e32 v58, v0
	s_set_gpr_idx_off
	v_cvt_f16_f32_e32 v60, v58
	s_set_gpr_idx_on s15, gpr_idx(SRC0)
	v_mov_b32_e32 v58, v0
	s_set_gpr_idx_off
	v_cvt_f16_f32_sdwa v61, v58 dst_sel:WORD_1 dst_unused:UNUSED_PAD src0_sel:DWORD
	v_mul_lo_u32 v58, v57, s93
	v_ashrrev_i32_e32 v59, 31, v58
	v_lshl_add_u64 v[58:59], v[58:59], 1, v[54:55]
	v_or_b32_e32 v57, v61, v60
	;;#ASMSTART
	global_atomic_pk_add_f16 v[58:59], v57, off
	
	;;#ASMEND
	s_set_gpr_idx_on s14, gpr_idx(SRC0)
	v_mov_b32_e32 v57, v16
	s_set_gpr_idx_off
	v_cvt_f16_f32_e32 v57, v57
	s_set_gpr_idx_on s15, gpr_idx(SRC0)
	v_mov_b32_e32 v60, v16
	s_set_gpr_idx_off
	v_cvt_f16_f32_sdwa v62, v60 dst_sel:WORD_1 dst_unused:UNUSED_PAD src0_sel:DWORD
	v_lshl_add_u64 v[60:61], v[58:59], 0, 64
	s_add_i32 s16, s16, 4
	s_add_i32 s1, s1, 8
	v_or_b32_e32 v57, v62, v57
	;;#ASMSTART
	global_atomic_pk_add_f16 v[60:61], v57, off
	
	;;#ASMEND
	s_set_gpr_idx_on s14, gpr_idx(SRC0)
	v_mov_b32_e32 v57, v32
	s_set_gpr_idx_off
	v_cvt_f16_f32_e32 v57, v57
	s_set_gpr_idx_on s15, gpr_idx(SRC0)
	v_mov_b32_e32 v60, v32
	s_set_gpr_idx_off
	v_cvt_f16_f32_sdwa v60, v60 dst_sel:WORD_1 dst_unused:UNUSED_PAD src0_sel:DWORD
	s_cmp_eq_u32 s16, 16
	s_cselect_b64 s[14:15], -1, 0
	s_orn2_b64 s[14:15], s[14:15], exec
	v_lshl_add_u64 v[58:59], v[58:59], 0, s[20:21]
	v_or_b32_e32 v57, v60, v57
	;;#ASMSTART
	global_atomic_pk_add_f16 v[58:59], v57, off
	
	;;#ASMEND
	s_branch .LBB195_27
.LBB195_32:                             ;   in Loop: Header=BB195_7 Depth=1
	s_or_b64 exec, exec, s[6:7]
	v_readlane_b32 s16, v101, 2
	v_readlane_b32 s14, v101, 0
	;; [unrolled: 1-line block ×11, first 2 shown]
.LBB195_33:                             ;   in Loop: Header=BB195_7 Depth=1
	v_readlane_b32 s6, v101, 26
	v_readlane_b32 s7, v101, 27
	s_or_b64 exec, exec, s[6:7]
.LBB195_34:                             ;   in Loop: Header=BB195_7 Depth=1
	s_or_saveexec_b64 s[2:3], s[2:3]
	v_readlane_b32 s13, v101, 25
	s_xor_b64 exec, exec, s[2:3]
	s_cbranch_execz .LBB195_43
; %bb.35:                               ;   in Loop: Header=BB195_7 Depth=1
	s_mul_i32 s12, s4, 3
	v_cmp_gt_i32_e32 vcc, s12, v91
	s_and_saveexec_b64 s[6:7], vcc
	s_cbranch_execz .LBB195_42
; %bb.36:                               ;   in Loop: Header=BB195_7 Depth=1
	s_mul_i32 s0, s0, s95
	s_ashr_i32 s1, s0, 31
	s_add_u32 s0, s18, s0
	s_addc_u32 s1, s19, s1
	s_ashr_i32 s8, s13, 31
	s_add_u32 s0, s0, s13
	s_addc_u32 s1, s1, s8
	v_lshl_add_u64 v[0:1], s[0:1], 0, v[52:53]
	v_lshl_add_u64 v[16:17], v[0:1], 0, v[50:51]
	s_mov_b64 s[0:1], 0
	s_branch .LBB195_38
.LBB195_37:                             ;   in Loop: Header=BB195_38 Depth=2
	s_or_b64 exec, exec, s[8:9]
	v_lshl_or_b32 v20, v18, 12, v85
	;;#ASMSTART
	s_waitcnt vmcnt(3)
	;;#ASMEND
	ds_write2_b32 v20, v12, v13 offset1:32
	ds_write2_b32 v20, v14, v15 offset0:64 offset1:96
	v_add_u32_e32 v12, 0x400, v20
	;;#ASMSTART
	s_waitcnt vmcnt(2)
	;;#ASMEND
	ds_write2_b32 v12, v8, v9 offset1:32
	ds_write2_b32 v12, v10, v11 offset0:64 offset1:96
	v_add_u32_e32 v8, 0x800, v20
	;; [unrolled: 6-line block ×3, first 2 shown]
	v_add_u32_e32 v91, s98, v91
	;;#ASMSTART
	s_waitcnt vmcnt(0)
	;;#ASMEND
	ds_write2_b32 v4, v0, v1 offset1:32
	ds_write2_b32 v4, v2, v3 offset0:64 offset1:96
	v_add_u32_e32 v0, 1, v71
	v_add_u32_e32 v56, s98, v18
	v_cmp_le_i32_e32 vcc, s12, v91
	ds_write_b32 v19, v0 offset:24
	v_add_u32_e32 v0, 2, v71
	s_or_b64 s[0:1], vcc, s[0:1]
	v_cmp_lt_i32_e32 vcc, 8, v56
	s_nop 1
	v_cndmask_b32_e32 v71, v71, v0, vcc
	s_andn2_b64 exec, exec, s[0:1]
	s_cbranch_execz .LBB195_41
.LBB195_38:                             ;   Parent Loop BB195_7 Depth=1
                                        ; =>  This Loop Header: Depth=2
                                        ;       Child Loop BB195_40 Depth 3
	v_cmp_gt_i32_e32 vcc, 9, v56
	s_mov_b32 s8, 0x55555556
	s_nop 0
	v_cndmask_b32_e64 v0, -9, 0, vcc
	v_add_u32_e32 v18, v0, v56
	v_mul_hi_i32 v0, v91, s8
	v_lshrrev_b32_e32 v1, 31, v0
	v_add_u32_e32 v0, v0, v1
	v_lshl_add_u32 v1, v0, 1, v0
	v_sub_u32_e32 v2, v91, v1
	v_lshlrev_b32_e32 v0, 7, v0
	v_ashrrev_i32_e32 v1, 31, v0
	v_mul_lo_u32 v2, s91, v2
	v_lshl_add_u64 v[0:1], v[16:17], 0, v[0:1]
	v_ashrrev_i32_e32 v3, 31, v2
	v_lshl_add_u64 v[0:1], v[0:1], 0, v[2:3]
	v_lshlrev_b32_e32 v19, 2, v18
	;;#ASMSTART
	global_load_dwordx4 v[12:15], v[0:1], off offset:0   sc0 sc1 nt  
	global_load_dwordx4 v[8:11], v[0:1], off offset:32  sc0 sc1 nt  
	global_load_dwordx4 v[4:7], v[0:1], off offset:64  sc0 sc1 nt  
	global_load_dwordx4 v[0:3], v[0:1], off offset:96  sc0 sc1 nt  
	
	;;#ASMEND
	ds_read_b32 v20, v19 offset:61464
	v_add_u32_e32 v19, 0xf000, v19
	s_waitcnt lgkmcnt(0)
	v_cmp_ne_u32_e32 vcc, v20, v71
	s_and_saveexec_b64 s[8:9], vcc
	s_cbranch_execz .LBB195_37
; %bb.39:                               ;   in Loop: Header=BB195_38 Depth=2
	s_mov_b64 s[10:11], 0
.LBB195_40:                             ;   Parent Loop BB195_7 Depth=1
                                        ;     Parent Loop BB195_38 Depth=2
                                        ; =>    This Inner Loop Header: Depth=3
	;;#ASMSTART
	s_sleep 0
	;;#ASMEND
	ds_read_b32 v20, v19 offset:24
	s_waitcnt lgkmcnt(0)
	v_cmp_eq_u32_e32 vcc, v20, v71
	s_or_b64 s[10:11], vcc, s[10:11]
	s_andn2_b64 exec, exec, s[10:11]
	s_cbranch_execnz .LBB195_40
	s_branch .LBB195_37
.LBB195_41:                             ;   in Loop: Header=BB195_7 Depth=1
	s_or_b64 exec, exec, s[0:1]
.LBB195_42:                             ;   in Loop: Header=BB195_7 Depth=1
	s_or_b64 exec, exec, s[6:7]
	v_subrev_u32_e32 v91, s12, v91
.LBB195_43:                             ;   in Loop: Header=BB195_7 Depth=1
	s_or_b64 exec, exec, s[2:3]
.LBB195_44:                             ;   in Loop: Header=BB195_7 Depth=1
	v_readlane_b32 s0, v101, 23
	v_readlane_b32 s1, v101, 24
	s_andn2_saveexec_b64 s[0:1], s[0:1]
	s_cbranch_execz .LBB195_6
; %bb.45:                               ;   in Loop: Header=BB195_7 Depth=1
	s_lshl_b32 s10, s4, 1
	v_cmp_gt_i32_e32 vcc, s10, v91
	s_and_saveexec_b64 s[2:3], vcc
	s_cbranch_execz .LBB195_5
; %bb.46:                               ;   in Loop: Header=BB195_7 Depth=1
	s_mul_i32 s4, s39, s94
	s_ashr_i32 s6, s4, 31
	s_add_u32 s4, s16, s4
	v_add_u32_e32 v2, s5, v72
	s_addc_u32 s7, s17, s6
	s_ashr_i32 s8, s13, 31
	v_cmp_gt_u32_e32 vcc, 64, v2
	s_add_u32 s6, s4, s13
	s_addc_u32 s7, s7, s8
	v_cndmask_b32_e32 v0, 0, v86, vcc
	v_ashrrev_i32_e32 v1, 31, v0
	v_lshl_add_u64 v[0:1], s[6:7], 0, v[0:1]
	v_lshl_add_u64 v[16:17], v[0:1], 0, v[50:51]
	v_sub_u32_e32 v18, 63, v2
	s_mov_b64 s[4:5], 0
	s_branch .LBB195_48
.LBB195_47:                             ;   in Loop: Header=BB195_48 Depth=2
	s_or_b64 exec, exec, s[6:7]
	v_lshl_add_u32 v21, v19, 12, v87
	;;#ASMSTART
	s_waitcnt vmcnt(3)
	;;#ASMEND
	ds_write2_b32 v21, v12, v13 offset1:32
	ds_write2_b32 v21, v14, v15 offset0:64 offset1:96
	v_add_u32_e32 v12, 0x400, v21
	;;#ASMSTART
	s_waitcnt vmcnt(2)
	;;#ASMEND
	ds_write2_b32 v12, v8, v9 offset1:32
	ds_write2_b32 v12, v10, v11 offset0:64 offset1:96
	v_add_u32_e32 v8, 0x800, v21
	;; [unrolled: 6-line block ×3, first 2 shown]
	v_add_u32_e32 v91, s97, v91
	;;#ASMSTART
	s_waitcnt vmcnt(0)
	;;#ASMEND
	ds_write2_b32 v4, v0, v1 offset1:32
	ds_write2_b32 v4, v2, v3 offset0:64 offset1:96
	v_add_u32_e32 v0, 1, v71
	v_add_u32_e32 v56, s97, v19
	v_cmp_le_i32_e32 vcc, s10, v91
	ds_write_b32 v20, v0
	v_add_u32_e32 v0, 2, v71
	s_or_b64 s[4:5], vcc, s[4:5]
	v_cmp_lt_i32_e32 vcc, 5, v56
	s_nop 1
	v_cndmask_b32_e32 v71, v71, v0, vcc
	s_andn2_b64 exec, exec, s[4:5]
	s_cbranch_execz .LBB195_4
.LBB195_48:                             ;   Parent Loop BB195_7 Depth=1
                                        ; =>  This Loop Header: Depth=2
                                        ;       Child Loop BB195_50 Depth 3
	v_cmp_gt_i32_e32 vcc, 6, v56
	s_nop 1
	v_cndmask_b32_e64 v0, -6, 0, vcc
	v_add_u32_e32 v19, v0, v56
	v_lshrrev_b32_e32 v0, 31, v91
	v_add_u32_e32 v0, v91, v0
	v_and_b32_e32 v1, 0x7fffffe, v0
	v_sub_u32_e32 v1, v91, v1
	v_lshlrev_b32_e32 v1, 5, v1
	v_cmp_le_i32_e32 vcc, v1, v18
	v_lshlrev_b32_e32 v0, 6, v0
	v_and_b32_e32 v0, 0xffffff80, v0
	v_cndmask_b32_e32 v2, 0, v1, vcc
	v_ashrrev_i32_e32 v1, 31, v0
	v_mul_lo_u32 v2, v2, s94
	v_lshl_add_u64 v[0:1], v[16:17], 0, v[0:1]
	v_ashrrev_i32_e32 v3, 31, v2
	v_lshl_add_u64 v[0:1], v[0:1], 0, v[2:3]
	v_lshlrev_b32_e32 v20, 2, v19
	;;#ASMSTART
	global_load_dwordx4 v[12:15], v[0:1], off offset:0   
	global_load_dwordx4 v[8:11], v[0:1], off offset:32  
	;; [unrolled: 1-line block ×4, first 2 shown]
	
	;;#ASMEND
	ds_read_b32 v21, v20 offset:61440
	v_add_u32_e32 v20, 0xf000, v20
	s_waitcnt lgkmcnt(0)
	v_cmp_ne_u32_e32 vcc, v21, v71
	s_and_saveexec_b64 s[6:7], vcc
	s_cbranch_execz .LBB195_47
; %bb.49:                               ;   in Loop: Header=BB195_48 Depth=2
	s_mov_b64 s[8:9], 0
.LBB195_50:                             ;   Parent Loop BB195_7 Depth=1
                                        ;     Parent Loop BB195_48 Depth=2
                                        ; =>    This Inner Loop Header: Depth=3
	;;#ASMSTART
	s_sleep 0
	;;#ASMEND
	ds_read_b32 v21, v20
	s_waitcnt lgkmcnt(0)
	v_cmp_eq_u32_e32 vcc, v21, v71
	s_or_b64 s[8:9], vcc, s[8:9]
	s_andn2_b64 exec, exec, s[8:9]
	s_cbranch_execnz .LBB195_50
	s_branch .LBB195_47
.LBB195_51:
	s_endpgm
	.section	.rodata,"a",@progbits
	.p2align	6, 0x0
	.amdhsa_kernel _Z19_skinny_gemm_kernelILi2ELi3ELi3ELi32ELi8EEvPKhS1_P6__halfPKfiiiiiiii
		.amdhsa_group_segment_fixed_size 61500
		.amdhsa_private_segment_fixed_size 0
		.amdhsa_kernarg_size 64
		.amdhsa_user_sgpr_count 2
		.amdhsa_user_sgpr_dispatch_ptr 0
		.amdhsa_user_sgpr_queue_ptr 0
		.amdhsa_user_sgpr_kernarg_segment_ptr 1
		.amdhsa_user_sgpr_dispatch_id 0
		.amdhsa_user_sgpr_kernarg_preload_length 0
		.amdhsa_user_sgpr_kernarg_preload_offset 0
		.amdhsa_user_sgpr_private_segment_size 0
		.amdhsa_uses_dynamic_stack 0
		.amdhsa_enable_private_segment 0
		.amdhsa_system_sgpr_workgroup_id_x 1
		.amdhsa_system_sgpr_workgroup_id_y 0
		.amdhsa_system_sgpr_workgroup_id_z 0
		.amdhsa_system_sgpr_workgroup_info 0
		.amdhsa_system_vgpr_workitem_id 0
		.amdhsa_next_free_vgpr 102
		.amdhsa_next_free_sgpr 100
		.amdhsa_accum_offset 104
		.amdhsa_reserve_vcc 1
		.amdhsa_float_round_mode_32 0
		.amdhsa_float_round_mode_16_64 0
		.amdhsa_float_denorm_mode_32 3
		.amdhsa_float_denorm_mode_16_64 3
		.amdhsa_dx10_clamp 1
		.amdhsa_ieee_mode 1
		.amdhsa_fp16_overflow 0
		.amdhsa_tg_split 0
		.amdhsa_exception_fp_ieee_invalid_op 0
		.amdhsa_exception_fp_denorm_src 0
		.amdhsa_exception_fp_ieee_div_zero 0
		.amdhsa_exception_fp_ieee_overflow 0
		.amdhsa_exception_fp_ieee_underflow 0
		.amdhsa_exception_fp_ieee_inexact 0
		.amdhsa_exception_int_div_zero 0
	.end_amdhsa_kernel
	.section	.text._Z19_skinny_gemm_kernelILi2ELi3ELi3ELi32ELi8EEvPKhS1_P6__halfPKfiiiiiiii,"axG",@progbits,_Z19_skinny_gemm_kernelILi2ELi3ELi3ELi32ELi8EEvPKhS1_P6__halfPKfiiiiiiii,comdat
.Lfunc_end195:
	.size	_Z19_skinny_gemm_kernelILi2ELi3ELi3ELi32ELi8EEvPKhS1_P6__halfPKfiiiiiiii, .Lfunc_end195-_Z19_skinny_gemm_kernelILi2ELi3ELi3ELi32ELi8EEvPKhS1_P6__halfPKfiiiiiiii
                                        ; -- End function
	.set _Z19_skinny_gemm_kernelILi2ELi3ELi3ELi32ELi8EEvPKhS1_P6__halfPKfiiiiiiii.num_vgpr, 102
	.set _Z19_skinny_gemm_kernelILi2ELi3ELi3ELi32ELi8EEvPKhS1_P6__halfPKfiiiiiiii.num_agpr, 0
	.set _Z19_skinny_gemm_kernelILi2ELi3ELi3ELi32ELi8EEvPKhS1_P6__halfPKfiiiiiiii.numbered_sgpr, 100
	.set _Z19_skinny_gemm_kernelILi2ELi3ELi3ELi32ELi8EEvPKhS1_P6__halfPKfiiiiiiii.num_named_barrier, 0
	.set _Z19_skinny_gemm_kernelILi2ELi3ELi3ELi32ELi8EEvPKhS1_P6__halfPKfiiiiiiii.private_seg_size, 0
	.set _Z19_skinny_gemm_kernelILi2ELi3ELi3ELi32ELi8EEvPKhS1_P6__halfPKfiiiiiiii.uses_vcc, 1
	.set _Z19_skinny_gemm_kernelILi2ELi3ELi3ELi32ELi8EEvPKhS1_P6__halfPKfiiiiiiii.uses_flat_scratch, 0
	.set _Z19_skinny_gemm_kernelILi2ELi3ELi3ELi32ELi8EEvPKhS1_P6__halfPKfiiiiiiii.has_dyn_sized_stack, 0
	.set _Z19_skinny_gemm_kernelILi2ELi3ELi3ELi32ELi8EEvPKhS1_P6__halfPKfiiiiiiii.has_recursion, 0
	.set _Z19_skinny_gemm_kernelILi2ELi3ELi3ELi32ELi8EEvPKhS1_P6__halfPKfiiiiiiii.has_indirect_call, 0
	.section	.AMDGPU.csdata,"",@progbits
; Kernel info:
; codeLenInByte = 12168
; TotalNumSgprs: 106
; NumVgprs: 102
; NumAgprs: 0
; TotalNumVgprs: 102
; ScratchSize: 0
; MemoryBound: 0
; FloatMode: 240
; IeeeMode: 1
; LDSByteSize: 61500 bytes/workgroup (compile time only)
; SGPRBlocks: 13
; VGPRBlocks: 12
; NumSGPRsForWavesPerEU: 106
; NumVGPRsForWavesPerEU: 102
; AccumOffset: 104
; Occupancy: 4
; WaveLimiterHint : 0
; COMPUTE_PGM_RSRC2:SCRATCH_EN: 0
; COMPUTE_PGM_RSRC2:USER_SGPR: 2
; COMPUTE_PGM_RSRC2:TRAP_HANDLER: 0
; COMPUTE_PGM_RSRC2:TGID_X_EN: 1
; COMPUTE_PGM_RSRC2:TGID_Y_EN: 0
; COMPUTE_PGM_RSRC2:TGID_Z_EN: 0
; COMPUTE_PGM_RSRC2:TIDIG_COMP_CNT: 0
; COMPUTE_PGM_RSRC3_GFX90A:ACCUM_OFFSET: 25
; COMPUTE_PGM_RSRC3_GFX90A:TG_SPLIT: 0
	.section	.text._Z19_skinny_gemm_kernelILi2ELi3ELi4ELi16ELi4EEvPKhS1_P6__halfPKfiiiiiiii,"axG",@progbits,_Z19_skinny_gemm_kernelILi2ELi3ELi4ELi16ELi4EEvPKhS1_P6__halfPKfiiiiiiii,comdat
	.protected	_Z19_skinny_gemm_kernelILi2ELi3ELi4ELi16ELi4EEvPKhS1_P6__halfPKfiiiiiiii ; -- Begin function _Z19_skinny_gemm_kernelILi2ELi3ELi4ELi16ELi4EEvPKhS1_P6__halfPKfiiiiiiii
	.globl	_Z19_skinny_gemm_kernelILi2ELi3ELi4ELi16ELi4EEvPKhS1_P6__halfPKfiiiiiiii
	.p2align	8
	.type	_Z19_skinny_gemm_kernelILi2ELi3ELi4ELi16ELi4EEvPKhS1_P6__halfPKfiiiiiiii,@function
_Z19_skinny_gemm_kernelILi2ELi3ELi4ELi16ELi4EEvPKhS1_P6__halfPKfiiiiiiii: ; @_Z19_skinny_gemm_kernelILi2ELi3ELi4ELi16ELi4EEvPKhS1_P6__halfPKfiiiiiiii
; %bb.0:
	v_cmp_gt_u32_e32 vcc, 20, v0
	v_lshlrev_b32_e32 v1, 2, v0
	s_and_saveexec_b64 s[4:5], vcc
; %bb.1:
	v_mov_b32_e32 v2, 0
	ds_write_b32 v1, v2 offset:40960
; %bb.2:
	s_or_b64 exec, exec, s[4:5]
	s_load_dwordx8 s[20:27], s[0:1], 0x20
	s_waitcnt lgkmcnt(0)
	s_barrier
	s_add_i32 s3, s20, 31
	s_ashr_i32 s5, s3, 31
	s_add_i32 s4, s21, 47
	s_lshr_b32 s5, s5, 27
	s_mul_hi_i32 s4, s4, 0x2aaaaaab
	s_add_i32 s3, s3, s5
	s_ashr_i32 s33, s3, 5
	s_lshr_b32 s3, s4, 31
	s_ashr_i32 s50, s4, 3
	s_add_i32 s50, s50, s3
	s_mul_i32 s3, s50, s33
	s_mul_i32 s3, s3, s24
	s_add_i32 s4, s3, 0x12f
	s_mul_hi_i32 s4, s4, 0x6bca1af3
	s_lshr_b32 s5, s4, 31
	s_ashr_i32 s4, s4, 7
	s_add_i32 s4, s4, s5
	s_add_i32 s5, s2, 1
	s_mul_i32 s5, s4, s5
	v_cvt_f64_i32_e32 v[2:3], s3
	v_cvt_f64_u32_e32 v[4:5], s5
	v_min_f64 v[2:3], v[2:3], v[4:5]
	v_cvt_i32_f64_e32 v25, v[2:3]
	s_mul_i32 s51, s4, s2
	v_cmp_ge_i32_e32 vcc, s51, v25
	s_cbranch_vccnz .LBB196_53
; %bb.3:
	v_lshrrev_b32_e32 v2, 6, v0
	s_add_i32 s4, s26, s25
	s_load_dwordx8 s[36:43], s[0:1], 0x0
	v_cmp_le_i32_e64 s[0:1], s4, v2
	v_mov_b32_e32 v3, s25
	v_cmp_le_i32_e64 s[2:3], s25, v2
	v_mov_b32_e32 v4, s26
	v_cndmask_b32_e64 v4, 0, v4, s[0:1]
	v_cndmask_b32_e64 v3, 0, v3, s[2:3]
	s_abs_i32 s5, s24
	v_add_u32_e32 v3, v3, v4
	v_cvt_f32_u32_e32 v4, s5
	v_sub_u32_e32 v36, v2, v3
	s_ashr_i32 s6, s22, 31
	s_lshr_b32 s6, s6, 25
	v_rcp_iflag_f32_e32 v3, v4
	s_sub_i32 s9, 0, s5
	s_add_i32 s6, s22, s6
	s_ashr_i32 s6, s6, 7
	v_mul_f32_e32 v3, 0x4f7ffffe, v3
	v_cvt_u32_f32_e32 v3, v3
	s_abs_i32 s8, s6
	s_xor_b32 s7, s6, s24
	s_ashr_i32 s7, s7, 31
	v_readfirstlane_b32 s10, v3
	s_mul_i32 s9, s9, s10
	s_mul_hi_u32 s9, s10, s9
	s_add_i32 s10, s10, s9
	s_mul_hi_u32 s9, s8, s10
	s_mul_i32 s10, s9, s5
	s_sub_i32 s8, s8, s10
	s_add_i32 s10, s9, 1
	s_sub_i32 s11, s8, s5
	s_cmp_ge_u32 s8, s5
	s_cselect_b32 s9, s10, s9
	s_cselect_b32 s8, s11, s8
	s_add_i32 s10, s9, 1
	s_cmp_ge_u32 s8, s5
	s_cselect_b32 s5, s10, s9
	s_xor_b32 s5, s5, s7
	s_sub_i32 s52, s5, s7
	s_add_i32 s24, s24, -1
	s_mul_i32 s5, s52, s24
	s_add_i32 s4, s4, s27
	s_sub_i32 s53, s6, s5
	v_cmp_gt_i32_e64 s[4:5], s4, v2
	v_lshlrev_b32_e32 v2, 1, v0
	v_lshlrev_b32_e32 v3, 4, v0
	v_and_b32_e32 v1, 60, v1
	v_and_b32_e32 v2, 64, v2
	v_and_b32_e32 v4, 0x100, v3
	v_or3_b32 v57, v1, v2, v4
	v_and_b32_e32 v1, 1, v0
	v_lshrrev_b32_e32 v4, 2, v0
	s_abs_i32 s54, s33
	v_and_or_b32 v63, v4, 12, v1
	v_cvt_f32_u32_e32 v4, s54
	v_lshlrev_b32_e32 v2, 1, v1
	v_and_b32_e32 v24, 14, v0
	v_sub_u32_e32 v2, v0, v2
	v_bitop3_b32 v59, v0, 1, v0 bitop3:0xc
	v_bitop3_b32 v60, v0, 3, 1 bitop3:0x6c
	v_and_b32_e32 v30, 48, v3
	v_bfe_u32 v65, v0, 2, 4
	v_and_b32_e32 v1, 60, v0
	v_lshlrev_b32_e32 v3, 8, v0
	v_lshlrev_b32_e32 v0, 6, v0
	v_and_b32_e32 v3, 0x200, v3
	v_and_b32_e32 v0, 64, v0
	v_or3_b32 v66, v1, v3, v0
	v_rcp_iflag_f32_e32 v0, v4
	s_abs_i32 s56, s50
	v_cvt_f32_u32_e32 v1, s56
	v_mad_u64_u32 v[26:27], s[6:7], s21, v63, v[24:25]
	v_mul_f32_e32 v0, 0x4f7ffffe, v0
	v_cvt_u32_f32_e32 v0, v0
	v_rcp_iflag_f32_e32 v1, v1
	s_sub_i32 s6, 0, s54
	v_add_u32_e32 v2, 1, v2
	v_readfirstlane_b32 s7, v0
	v_mul_f32_e32 v0, 0x4f7ffffe, v1
	v_cvt_u32_f32_e32 v0, v0
	s_mul_i32 s6, s6, s7
	s_mul_hi_u32 s6, s7, s6
	s_add_i32 s58, s7, s6
	s_sub_i32 s6, 0, s56
	v_readfirstlane_b32 s7, v0
	v_mbcnt_lo_u32_b32 v0, -1, 0
	v_and_b32_e32 v2, 63, v2
	s_mul_i32 s6, s6, s7
	v_mbcnt_hi_u32_b32 v0, -1, v0
	v_lshl_add_u32 v28, s21, 4, v26
	v_mul_lo_u32 v32, s23, v65
	s_mul_hi_u32 s6, s7, s6
	v_and_or_b32 v0, v0, 64, v2
	v_cndmask_b32_e64 v56, 0, 1, s[0:1]
	v_or_b32_e32 v58, 0x6000, v57
	s_ashr_i32 s29, s21, 31
	s_mov_b32 s28, s21
	v_or_b32_e32 v61, 16, v24
	v_or_b32_e32 v62, 32, v24
	v_ashrrev_i32_e32 v27, 31, v26
	v_or_b32_e32 v64, 16, v63
	v_ashrrev_i32_e32 v29, 31, v28
	v_ashrrev_i32_e32 v33, 31, v32
	v_mov_b32_e32 v31, 0
	s_lshl_b32 s55, s23, 4
	v_mul_lo_u32 v67, s22, v65
	v_or_b32_e32 v68, 0x6000, v66
	s_ashr_i32 s57, s33, 31
	s_ashr_i32 s59, s50, 31
	s_add_i32 s60, s7, s6
	s_movk_i32 s61, 0x1800
	s_mov_b32 s62, 0x55555556
	v_lshlrev_b32_e32 v69, 2, v0
	v_mov_b32_e32 v70, v36
	s_branch .LBB196_7
.LBB196_4:                              ;   in Loop: Header=BB196_7 Depth=1
	s_or_b64 exec, exec, s[10:11]
.LBB196_5:                              ;   in Loop: Header=BB196_7 Depth=1
	s_or_b64 exec, exec, s[8:9]
	v_subrev_u32_e32 v70, s16, v70
.LBB196_6:                              ;   in Loop: Header=BB196_7 Depth=1
	s_or_b64 exec, exec, s[6:7]
	s_add_i32 s51, s51, 1
	v_cmp_ge_i32_e32 vcc, s51, v25
	s_cbranch_vccnz .LBB196_53
.LBB196_7:                              ; =>This Loop Header: Depth=1
                                        ;     Child Loop BB196_13 Depth 2
                                        ;       Child Loop BB196_15 Depth 3
                                        ;       Child Loop BB196_18 Depth 3
	;; [unrolled: 1-line block ×5, first 2 shown]
                                        ;     Child Loop BB196_40 Depth 2
                                        ;       Child Loop BB196_42 Depth 3
                                        ;     Child Loop BB196_50 Depth 2
                                        ;       Child Loop BB196_52 Depth 3
	s_abs_i32 s7, s51
	s_mul_hi_u32 s8, s7, s58
	s_mul_i32 s9, s8, s54
	s_ashr_i32 s6, s51, 31
	s_sub_i32 s7, s7, s9
	s_xor_b32 s6, s6, s57
	s_add_i32 s9, s8, 1
	s_sub_i32 s10, s7, s54
	s_cmp_ge_u32 s7, s54
	s_cselect_b32 s8, s9, s8
	s_cselect_b32 s7, s10, s7
	s_add_i32 s9, s8, 1
	s_cmp_ge_u32 s7, s54
	s_cselect_b32 s7, s9, s8
	s_xor_b32 s7, s7, s6
	s_sub_i32 s6, s7, s6
	s_abs_i32 s8, s6
	s_mul_i32 s7, s6, s33
	s_mul_hi_u32 s9, s8, s60
	s_sub_i32 s7, s51, s7
	s_mul_i32 s10, s9, s56
	s_lshl_b32 s63, s7, 5
	s_ashr_i32 s7, s6, 31
	s_sub_i32 s8, s8, s10
	s_xor_b32 s7, s7, s59
	s_add_i32 s10, s9, 1
	s_sub_i32 s11, s8, s56
	s_cmp_ge_u32 s8, s56
	s_cselect_b32 s9, s10, s9
	s_cselect_b32 s8, s11, s8
	s_add_i32 s10, s9, 1
	s_cmp_ge_u32 s8, s56
	s_cselect_b32 s8, s10, s9
	s_xor_b32 s8, s8, s7
	s_sub_i32 s7, s8, s7
	s_mul_i32 s8, s7, s52
	s_lshl_b32 s64, s8, 7
	s_cmp_eq_u32 s7, s24
	s_cselect_b32 s66, s53, s52
	s_sub_i32 s8, s63, s20
	s_add_i32 s8, s8, 32
	s_max_i32 s65, s8, 0
	s_and_saveexec_b64 s[8:9], s[2:3]
	s_xor_b64 s[30:31], exec, s[8:9]
	s_cbranch_execz .LBB196_46
; %bb.8:                                ;   in Loop: Header=BB196_7 Depth=1
	s_mul_i32 s7, s7, s50
	s_sub_i32 s6, s6, s7
	s_mul_i32 s6, s6, 48
	s_sub_i32 s18, s6, s21
	s_add_i32 s18, s18, 48
	s_max_i32 s7, s18, 0
	s_sub_i32 s34, s6, s7
	s_and_saveexec_b64 s[6:7], s[0:1]
	s_xor_b64 s[44:45], exec, s[6:7]
	s_cbranch_execz .LBB196_36
; %bb.9:                                ;   in Loop: Header=BB196_7 Depth=1
	s_and_saveexec_b64 s[46:47], s[4:5]
	s_cbranch_execz .LBB196_35
; %bb.10:                               ;   in Loop: Header=BB196_7 Depth=1
	s_waitcnt lgkmcnt(0)
	global_load_dword v71, v31, s[42:43]
	v_mov_b32_e32 v23, 0
	v_cmp_gt_i32_e32 vcc, s66, v70
	v_mov_b32_e32 v22, v23
	v_mov_b32_e32 v21, v23
	;; [unrolled: 1-line block ×23, first 2 shown]
	s_and_saveexec_b64 s[6:7], vcc
	s_cbranch_execz .LBB196_29
; %bb.11:                               ;   in Loop: Header=BB196_7 Depth=1
	v_mov_b32_e32 v0, 0
	s_mov_b64 s[8:9], 0
	v_mov_b32_e32 v1, v0
	v_mov_b32_e32 v2, v0
	;; [unrolled: 1-line block ×23, first 2 shown]
	s_branch .LBB196_13
.LBB196_12:                             ;   in Loop: Header=BB196_13 Depth=2
	s_or_b64 exec, exec, s[10:11]
	v_add_u32_e32 v51, 0x1000, v50
	ds_read2_b32 v[52:53], v51 offset1:32
	v_add_u32_e32 v54, 0x1400, v50
	v_add_u32_e32 v70, s27, v70
	s_waitcnt lgkmcnt(0)
	v_mfma_f32_16x16x32_fp8_fp8 v[12:15], v[34:35], v[52:53], v[12:15]
	ds_read2_b32 v[34:35], v51 offset0:128 offset1:160
	ds_read2_b32 v[50:51], v54 offset1:32
	v_mfma_f32_16x16x32_fp8_fp8 v[0:3], v[44:45], v[52:53], v[0:3]
	s_waitcnt lgkmcnt(1)
	v_mfma_f32_16x16x32_fp8_fp8 v[12:15], v[36:37], v[34:35], v[12:15]
	v_add_u32_e32 v36, s27, v72
	v_cmp_lt_i32_e32 vcc, 3, v36
	v_mfma_f32_16x16x32_fp8_fp8 v[0:3], v[46:47], v[34:35], v[0:3]
	v_add_u32_e32 v34, 2, v56
	v_cndmask_b32_e32 v56, v56, v34, vcc
	v_cmp_le_i32_e32 vcc, s66, v70
	s_waitcnt lgkmcnt(0)
	v_mfma_f32_16x16x32_fp8_fp8 v[12:15], v[38:39], v[50:51], v[12:15]
	ds_read2_b32 v[38:39], v54 offset0:128 offset1:160
	s_or_b64 s[8:9], vcc, s[8:9]
	;;#ASMSTART
	s_waitcnt lgkmcnt(0)
	;;#ASMEND
	v_mfma_f32_16x16x32_fp8_fp8 v[0:3], v[48:49], v[50:51], v[0:3]
	ds_write_b32 v73, v74 offset:41000
	s_waitcnt lgkmcnt(1)
	v_mfma_f32_16x16x32_fp8_fp8 v[12:15], v[40:41], v[38:39], v[12:15]
	v_mfma_f32_16x16x32_fp8_fp8 v[0:3], v[42:43], v[38:39], v[0:3]
	s_andn2_b64 exec, exec, s[8:9]
	s_cbranch_execz .LBB196_28
.LBB196_13:                             ;   Parent Loop BB196_7 Depth=1
                                        ; =>  This Loop Header: Depth=2
                                        ;       Child Loop BB196_15 Depth 3
                                        ;       Child Loop BB196_18 Depth 3
	;; [unrolled: 1-line block ×5, first 2 shown]
	v_cmp_gt_i32_e32 vcc, 4, v36
	s_nop 1
	v_cndmask_b32_e64 v34, -4, 0, vcc
	v_add_u32_e32 v72, v34, v36
	v_mul_lo_u32 v73, v72, 12
	ds_read_b32 v34, v73 offset:40992
	s_waitcnt lgkmcnt(0)
	v_cmp_ne_u32_e32 vcc, v34, v56
	s_and_saveexec_b64 s[10:11], vcc
	s_cbranch_execz .LBB196_16
; %bb.14:                               ;   in Loop: Header=BB196_13 Depth=2
	s_mov_b64 s[12:13], 0
.LBB196_15:                             ;   Parent Loop BB196_7 Depth=1
                                        ;     Parent Loop BB196_13 Depth=2
                                        ; =>    This Inner Loop Header: Depth=3
	;;#ASMSTART
	s_sleep 0
	;;#ASMEND
	ds_read_b32 v34, v73 offset:40992
	s_waitcnt lgkmcnt(0)
	v_cmp_eq_u32_e32 vcc, v34, v56
	s_or_b64 s[12:13], vcc, s[12:13]
	s_andn2_b64 exec, exec, s[12:13]
	s_cbranch_execnz .LBB196_15
.LBB196_16:                             ;   in Loop: Header=BB196_13 Depth=2
	s_or_b64 exec, exec, s[10:11]
	v_mul_lo_u32 v75, v72, s61
	v_or_b32_e32 v34, v57, v75
	ds_read2_b32 v[42:43], v34 offset1:32
	ds_read2_b32 v[50:51], v34 offset0:128 offset1:160
	v_add_u32_e32 v34, 0x400, v34
	v_add_u32_e32 v74, 1, v56
	ds_read2_b32 v[54:55], v34 offset1:32
	ds_read2_b32 v[52:53], v34 offset0:128 offset1:160
	;;#ASMSTART
	s_waitcnt lgkmcnt(0)
	;;#ASMEND
	ds_write_b32 v73, v74 offset:40992
	v_lshlrev_b32_e32 v76, 3, v72
	ds_read_b32 v34, v76 offset:40960
	s_waitcnt lgkmcnt(0)
	v_cmp_ne_u32_e32 vcc, v34, v56
	s_and_saveexec_b64 s[10:11], vcc
	s_cbranch_execz .LBB196_19
; %bb.17:                               ;   in Loop: Header=BB196_13 Depth=2
	s_mov_b64 s[12:13], 0
.LBB196_18:                             ;   Parent Loop BB196_7 Depth=1
                                        ;     Parent Loop BB196_13 Depth=2
                                        ; =>    This Inner Loop Header: Depth=3
	;;#ASMSTART
	s_sleep 0
	;;#ASMEND
	ds_read_b32 v34, v76 offset:40960
	s_waitcnt lgkmcnt(0)
	v_cmp_eq_u32_e32 vcc, v34, v56
	s_or_b64 s[12:13], vcc, s[12:13]
	s_andn2_b64 exec, exec, s[12:13]
	s_cbranch_execnz .LBB196_18
.LBB196_19:                             ;   in Loop: Header=BB196_13 Depth=2
	s_or_b64 exec, exec, s[10:11]
	v_lshlrev_b32_e32 v34, 12, v72
	v_add_u32_e32 v48, v58, v34
	ds_read2_b32 v[34:35], v48 offset1:32
	ds_read2_b32 v[36:37], v48 offset0:128 offset1:160
	v_add_u32_e32 v40, 0x400, v48
	ds_read2_b32 v[38:39], v40 offset1:32
	ds_read2_b32 v[40:41], v40 offset0:128 offset1:160
	ds_read_b32 v44, v76 offset:40964
	ds_write_b32 v76, v74 offset:40960
	s_waitcnt lgkmcnt(5)
	v_mfma_f32_16x16x32_fp8_fp8 v[20:23], v[34:35], v[42:43], v[20:23]
	s_waitcnt lgkmcnt(1)
	v_cmp_ne_u32_e32 vcc, v44, v56
	v_mfma_f32_16x16x32_fp8_fp8 v[20:23], v[36:37], v[50:51], v[20:23]
	v_mfma_f32_16x16x32_fp8_fp8 v[20:23], v[38:39], v[54:55], v[20:23]
	;; [unrolled: 1-line block ×3, first 2 shown]
	s_and_saveexec_b64 s[10:11], vcc
	s_cbranch_execz .LBB196_22
; %bb.20:                               ;   in Loop: Header=BB196_13 Depth=2
	s_mov_b64 s[12:13], 0
.LBB196_21:                             ;   Parent Loop BB196_7 Depth=1
                                        ;     Parent Loop BB196_13 Depth=2
                                        ; =>    This Inner Loop Header: Depth=3
	;;#ASMSTART
	s_sleep 0
	;;#ASMEND
	ds_read_b32 v44, v76 offset:40964
	s_waitcnt lgkmcnt(0)
	v_cmp_eq_u32_e32 vcc, v44, v56
	s_or_b64 s[12:13], vcc, s[12:13]
	s_andn2_b64 exec, exec, s[12:13]
	s_cbranch_execnz .LBB196_21
.LBB196_22:                             ;   in Loop: Header=BB196_13 Depth=2
	s_or_b64 exec, exec, s[10:11]
	v_add_u32_e32 v46, 0x800, v48
	ds_read2_b32 v[44:45], v46 offset1:32
	ds_read2_b32 v[46:47], v46 offset0:128 offset1:160
	v_add_u32_e32 v77, 0xc00, v48
	ds_read2_b32 v[48:49], v77 offset1:32
	ds_write_b32 v76, v74 offset:40964
	s_waitcnt lgkmcnt(3)
	v_mfma_f32_16x16x32_fp8_fp8 v[8:11], v[44:45], v[42:43], v[8:11]
	ds_read2_b32 v[42:43], v77 offset0:128 offset1:160
	s_waitcnt lgkmcnt(3)
	v_mfma_f32_16x16x32_fp8_fp8 v[8:11], v[46:47], v[50:51], v[8:11]
	ds_read_b32 v50, v73 offset:40996
	s_waitcnt lgkmcnt(0)
	v_cmp_ne_u32_e32 vcc, v50, v56
	v_mfma_f32_16x16x32_fp8_fp8 v[8:11], v[48:49], v[54:55], v[8:11]
	v_mfma_f32_16x16x32_fp8_fp8 v[8:11], v[42:43], v[52:53], v[8:11]
	s_and_saveexec_b64 s[10:11], vcc
	s_cbranch_execz .LBB196_25
; %bb.23:                               ;   in Loop: Header=BB196_13 Depth=2
	s_mov_b64 s[12:13], 0
.LBB196_24:                             ;   Parent Loop BB196_7 Depth=1
                                        ;     Parent Loop BB196_13 Depth=2
                                        ; =>    This Inner Loop Header: Depth=3
	;;#ASMSTART
	s_sleep 0
	;;#ASMEND
	ds_read_b32 v50, v73 offset:40996
	s_waitcnt lgkmcnt(0)
	v_cmp_eq_u32_e32 vcc, v50, v56
	s_or_b64 s[12:13], vcc, s[12:13]
	s_andn2_b64 exec, exec, s[12:13]
	s_cbranch_execnz .LBB196_24
.LBB196_25:                             ;   in Loop: Header=BB196_13 Depth=2
	s_or_b64 exec, exec, s[10:11]
	v_add_u32_e32 v50, v57, v75
	v_add_u32_e32 v51, 0x800, v50
	ds_read2_b32 v[52:53], v51 offset1:32
	s_waitcnt lgkmcnt(0)
	v_mfma_f32_16x16x32_fp8_fp8 v[16:19], v[34:35], v[52:53], v[16:19]
	v_mfma_f32_16x16x32_fp8_fp8 v[4:7], v[44:45], v[52:53], v[4:7]
	ds_read2_b32 v[52:53], v51 offset0:128 offset1:160
	v_add_u32_e32 v51, 0xc00, v50
	ds_read2_b32 v[54:55], v51 offset1:32
	s_waitcnt lgkmcnt(1)
	v_mfma_f32_16x16x32_fp8_fp8 v[16:19], v[36:37], v[52:53], v[16:19]
	ds_read2_b32 v[76:77], v51 offset0:128 offset1:160
	;;#ASMSTART
	s_waitcnt lgkmcnt(0)
	;;#ASMEND
	ds_read_b32 v51, v73 offset:41000
	v_mfma_f32_16x16x32_fp8_fp8 v[4:7], v[46:47], v[52:53], v[4:7]
	ds_write_b32 v73, v74 offset:40996
	s_waitcnt lgkmcnt(1)
	v_cmp_ne_u32_e32 vcc, v51, v56
	v_mfma_f32_16x16x32_fp8_fp8 v[16:19], v[38:39], v[54:55], v[16:19]
	v_mfma_f32_16x16x32_fp8_fp8 v[4:7], v[48:49], v[54:55], v[4:7]
	;; [unrolled: 1-line block ×4, first 2 shown]
	s_and_saveexec_b64 s[10:11], vcc
	s_cbranch_execz .LBB196_12
; %bb.26:                               ;   in Loop: Header=BB196_13 Depth=2
	s_mov_b64 s[12:13], 0
.LBB196_27:                             ;   Parent Loop BB196_7 Depth=1
                                        ;     Parent Loop BB196_13 Depth=2
                                        ; =>    This Inner Loop Header: Depth=3
	;;#ASMSTART
	s_sleep 0
	;;#ASMEND
	ds_read_b32 v51, v73 offset:41000
	s_waitcnt lgkmcnt(0)
	v_cmp_eq_u32_e32 vcc, v51, v56
	s_or_b64 s[12:13], vcc, s[12:13]
	s_andn2_b64 exec, exec, s[12:13]
	s_cbranch_execnz .LBB196_27
	s_branch .LBB196_12
.LBB196_28:                             ;   in Loop: Header=BB196_7 Depth=1
	s_or_b64 exec, exec, s[8:9]
.LBB196_29:                             ;   in Loop: Header=BB196_7 Depth=1
	s_or_b64 exec, exec, s[6:7]
	v_cmp_le_i32_e32 vcc, s18, v24
	v_cmp_eq_u32_e64 s[6:7], 2, v59
	v_cmp_eq_u32_e64 s[8:9], 3, v59
	s_waitcnt vmcnt(0)
	v_cndmask_b32_e32 v34, 0, v71, vcc
	v_pk_mul_f32 v[20:21], v[34:35], v[20:21] op_sel_hi:[0,1]
	v_cmp_eq_u32_e32 vcc, 1, v59
	v_pk_mul_f32 v[38:39], v[34:35], v[22:23] op_sel_hi:[0,1]
	v_cmp_eq_u32_e64 s[10:11], 0, v59
	v_cndmask_b32_e32 v22, v20, v21, vcc
	v_cndmask_b32_e64 v22, v22, v38, s[6:7]
	v_cndmask_b32_e64 v22, v22, v39, s[8:9]
	ds_bpermute_b32 v35, v69, v22
	v_cmp_le_i32_e64 s[14:15], s18, v61
	v_cmp_eq_u32_e64 s[12:13], 1, v60
	v_cmp_le_i32_e64 s[18:19], s18, v62
	v_cmp_eq_u32_e64 s[16:17], 3, v60
	s_waitcnt lgkmcnt(0)
	v_cndmask_b32_e64 v22, v39, v35, s[8:9]
	v_cndmask_b32_e64 v23, v38, v35, s[6:7]
	v_cndmask_b32_e32 v21, v21, v35, vcc
	v_cndmask_b32_e64 v35, v20, v35, s[10:11]
	v_cndmask_b32_e64 v20, 0, v71, s[14:15]
	v_pk_mul_f32 v[16:17], v[20:21], v[16:17] op_sel_hi:[0,1]
	v_pk_mul_f32 v[38:39], v[20:21], v[18:19] op_sel_hi:[0,1]
	v_cndmask_b32_e32 v18, v16, v17, vcc
	v_cndmask_b32_e64 v18, v18, v38, s[6:7]
	v_cndmask_b32_e64 v18, v18, v39, s[8:9]
	ds_bpermute_b32 v41, v69, v18
	v_cndmask_b32_e64 v37, v35, v21, s[12:13]
	v_cmp_eq_u32_e64 s[14:15], 2, v60
	s_waitcnt lgkmcnt(0)
	v_cndmask_b32_e64 v19, v39, v41, s[8:9]
	v_cndmask_b32_e64 v18, v37, v23, s[14:15]
	;; [unrolled: 1-line block ×3, first 2 shown]
	v_cndmask_b32_e32 v40, v17, v41, vcc
	v_cndmask_b32_e64 v41, v16, v41, s[10:11]
	v_cndmask_b32_e64 v16, 0, v71, s[18:19]
	v_pk_mul_f32 v[42:43], v[16:17], v[12:13] op_sel_hi:[0,1]
	v_pk_mul_f32 v[38:39], v[16:17], v[14:15] op_sel_hi:[0,1]
	v_cndmask_b32_e32 v12, v42, v43, vcc
	v_cndmask_b32_e64 v12, v12, v38, s[6:7]
	v_cndmask_b32_e64 v12, v12, v39, s[8:9]
	ds_bpermute_b32 v13, v69, v12
	v_cndmask_b32_e64 v12, v41, v40, s[12:13]
	v_cndmask_b32_e64 v12, v12, v37, s[14:15]
	;; [unrolled: 1-line block ×3, first 2 shown]
	v_cmp_ne_u32_e32 vcc, 0, v59
	ds_bpermute_b32 v14, v69, v12
	s_waitcnt lgkmcnt(1)
	v_cndmask_b32_e64 v15, v39, v13, s[8:9]
	v_cndmask_b32_e64 v38, v38, v13, s[6:7]
	v_cndmask_b32_e32 v12, v43, v13, vcc
	v_cndmask_b32_e64 v13, v42, v13, s[10:11]
	v_cndmask_b32_e64 v17, v13, v12, s[12:13]
	;; [unrolled: 1-line block ×5, first 2 shown]
	ds_bpermute_b32 v18, v69, v18
	ds_bpermute_b32 v39, v69, v17
	v_add_u32_e32 v17, s65, v63
	v_cmp_gt_u32_e32 vcc, 32, v17
	s_and_saveexec_b64 s[18:19], vcc
	s_cbranch_execz .LBB196_34
; %bb.30:                               ;   in Loop: Header=BB196_7 Depth=1
	v_cmp_eq_u32_e64 s[8:9], 1, v60
	v_cmp_eq_u32_e64 s[10:11], 0, v60
	v_cmp_eq_u32_e32 vcc, 3, v60
	s_waitcnt lgkmcnt(1)
	v_cndmask_b32_e64 v21, v21, v18, s[8:9]
	v_cndmask_b32_e64 v40, v40, v14, s[8:9]
	s_waitcnt lgkmcnt(0)
	v_cndmask_b32_e64 v42, v12, v39, s[8:9]
	s_mul_i32 s8, s63, s21
	s_ashr_i32 s9, s8, 31
	v_cndmask_b32_e64 v35, v35, v18, s[10:11]
	s_lshl_b64 s[8:9], s[8:9], 1
	v_cndmask_b32_e64 v41, v41, v14, s[10:11]
	v_cndmask_b32_e64 v43, v13, v39, s[10:11]
	s_add_u32 s10, s40, s8
	v_cvt_f16_f32_e32 v35, v35
	v_cvt_f16_f32_sdwa v21, v21 dst_sel:WORD_1 dst_unused:UNUSED_PAD src0_sel:DWORD
	s_addc_u32 s11, s41, s9
	s_ashr_i32 s35, s34, 31
	s_lshl_b64 s[8:9], s[34:35], 1
	s_add_u32 s48, s10, s8
	s_addc_u32 s49, s11, s9
	v_or_b32_e32 v21, v21, v35
	v_lshl_add_u64 v[12:13], v[26:27], 1, s[48:49]
	;;#ASMSTART
	global_atomic_pk_add_f16 v[12:13], v21, off
	
	;;#ASMEND
	v_cvt_f16_f32_e32 v21, v41
	v_cvt_f16_f32_sdwa v35, v40 dst_sel:WORD_1 dst_unused:UNUSED_PAD src0_sel:DWORD
	v_cvt_f16_f32_e32 v43, v43
	v_cvt_f16_f32_sdwa v42, v42 dst_sel:WORD_1 dst_unused:UNUSED_PAD src0_sel:DWORD
	v_cmp_eq_u32_e64 s[6:7], 2, v60
	v_lshl_add_u64 v[40:41], v[12:13], 0, 32
	v_or_b32_e32 v21, v35, v21
	v_cmp_gt_u32_e64 s[8:9], 30, v17
	;;#ASMSTART
	global_atomic_pk_add_f16 v[40:41], v21, off
	
	;;#ASMEND
	v_lshl_add_u64 v[40:41], v[12:13], 0, 64
	v_or_b32_e32 v21, v42, v43
	;;#ASMSTART
	global_atomic_pk_add_f16 v[40:41], v21, off
	
	;;#ASMEND
	s_and_b64 exec, exec, s[8:9]
	s_cbranch_execz .LBB196_34
; %bb.31:                               ;   in Loop: Header=BB196_7 Depth=1
	v_cndmask_b32_e32 v22, v22, v18, vcc
	v_cndmask_b32_e64 v18, v23, v18, s[6:7]
	v_cndmask_b32_e32 v19, v19, v14, vcc
	v_cndmask_b32_e64 v14, v37, v14, s[6:7]
	v_cndmask_b32_e32 v23, v15, v39, vcc
	v_cvt_f16_f32_e32 v15, v18
	v_cvt_f16_f32_sdwa v18, v22 dst_sel:WORD_1 dst_unused:UNUSED_PAD src0_sel:DWORD
	v_cvt_f16_f32_e32 v22, v14
	v_cvt_f16_f32_sdwa v19, v19 dst_sel:WORD_1 dst_unused:UNUSED_PAD src0_sel:DWORD
	v_mov_b32_e32 v35, v34
	v_or_b32_e32 v14, v18, v15
	v_mov_b32_e32 v18, v34
	v_or_b32_e32 v22, v19, v22
	v_mov_b32_e32 v19, v34
	v_pk_mul_f32 v[10:11], v[18:19], v[10:11]
	v_pk_mul_f32 v[18:19], v[34:35], v[8:9]
	v_cmp_eq_u32_e32 vcc, 1, v59
	v_cndmask_b32_e64 v37, v38, v39, s[6:7]
	v_cmp_eq_u32_e64 s[6:7], 2, v59
	v_cndmask_b32_e32 v8, v18, v19, vcc
	v_cmp_eq_u32_e64 s[8:9], 3, v59
	v_cndmask_b32_e64 v8, v8, v10, s[6:7]
	v_lshl_add_u64 v[12:13], s[28:29], 2, v[12:13]
	v_cndmask_b32_e64 v8, v8, v11, s[8:9]
	v_mov_b32_e32 v21, v20
	;;#ASMSTART
	global_atomic_pk_add_f16 v[12:13], v14, off
	
	;;#ASMEND
	v_lshl_add_u64 v[14:15], v[12:13], 0, 32
	ds_bpermute_b32 v34, v69, v8
	;;#ASMSTART
	global_atomic_pk_add_f16 v[14:15], v22, off
	
	;;#ASMEND
	v_cvt_f16_f32_sdwa v35, v23 dst_sel:WORD_1 dst_unused:UNUSED_PAD src0_sel:DWORD
	v_lshl_add_u64 v[22:23], v[12:13], 0, 64
	v_mov_b32_e32 v12, v20
	v_mov_b32_e32 v13, v20
	v_pk_mul_f32 v[6:7], v[12:13], v[6:7]
	v_pk_mul_f32 v[12:13], v[20:21], v[4:5]
	v_cmp_eq_u32_e64 s[10:11], 0, v59
	v_cndmask_b32_e32 v4, v12, v13, vcc
	v_cndmask_b32_e64 v4, v4, v6, s[6:7]
	v_cndmask_b32_e64 v4, v4, v7, s[8:9]
	s_waitcnt lgkmcnt(0)
	v_cndmask_b32_e64 v8, v11, v34, s[8:9]
	v_cndmask_b32_e64 v11, v18, v34, s[10:11]
	ds_bpermute_b32 v18, v69, v4
	v_cndmask_b32_e64 v9, v10, v34, s[6:7]
	v_cndmask_b32_e32 v10, v19, v34, vcc
	v_cmp_eq_u32_e64 s[12:13], 1, v60
	v_mov_b32_e32 v17, v16
	v_cmp_eq_u32_e64 s[14:15], 2, v60
	v_cndmask_b32_e64 v14, v11, v10, s[12:13]
	s_waitcnt lgkmcnt(0)
	v_cndmask_b32_e64 v5, v7, v18, s[8:9]
	v_cndmask_b32_e64 v4, v14, v9, s[14:15]
	;; [unrolled: 1-line block ×3, first 2 shown]
	v_cndmask_b32_e32 v13, v13, v18, vcc
	v_cndmask_b32_e64 v14, v12, v18, s[10:11]
	v_mov_b32_e32 v18, v16
	v_mov_b32_e32 v19, v16
	v_pk_mul_f32 v[16:17], v[16:17], v[0:1]
	v_pk_mul_f32 v[18:19], v[18:19], v[2:3]
	v_cndmask_b32_e32 v0, v16, v17, vcc
	v_cndmask_b32_e64 v0, v0, v18, s[6:7]
	v_cndmask_b32_e64 v0, v0, v19, s[8:9]
	ds_bpermute_b32 v1, v69, v0
	v_cndmask_b32_e64 v0, v14, v13, s[12:13]
	v_cmp_eq_u32_e64 s[16:17], 3, v60
	v_cndmask_b32_e64 v0, v0, v6, s[14:15]
	v_cmp_ne_u32_e32 vcc, 0, v59
	v_cndmask_b32_e64 v0, v0, v5, s[16:17]
	ds_bpermute_b32 v7, v69, v0
	s_waitcnt lgkmcnt(1)
	v_cndmask_b32_e64 v2, v19, v1, s[8:9]
	v_cndmask_b32_e64 v3, v18, v1, s[6:7]
	v_cndmask_b32_e32 v0, v17, v1, vcc
	v_cndmask_b32_e64 v1, v16, v1, s[10:11]
	v_cndmask_b32_e64 v12, v1, v0, s[12:13]
	v_cvt_f16_f32_e32 v15, v37
	v_cndmask_b32_e64 v12, v12, v3, s[14:15]
	v_cndmask_b32_e64 v4, v4, v8, s[16:17]
	;; [unrolled: 1-line block ×3, first 2 shown]
	ds_bpermute_b32 v4, v69, v4
	ds_bpermute_b32 v12, v69, v12
	v_or_b32_e32 v15, v35, v15
	;;#ASMSTART
	global_atomic_pk_add_f16 v[22:23], v15, off
	
	;;#ASMEND
	v_add_u32_e32 v15, s65, v64
	v_cmp_gt_u32_e32 vcc, 32, v15
	s_and_b64 exec, exec, vcc
	s_cbranch_execz .LBB196_34
; %bb.32:                               ;   in Loop: Header=BB196_7 Depth=1
	v_cmp_eq_u32_e64 s[8:9], 1, v60
	v_cmp_eq_u32_e64 s[10:11], 0, v60
	v_cmp_eq_u32_e32 vcc, 3, v60
	s_waitcnt lgkmcnt(1)
	v_cndmask_b32_e64 v10, v10, v4, s[8:9]
	v_cndmask_b32_e64 v11, v11, v4, s[10:11]
	;; [unrolled: 1-line block ×4, first 2 shown]
	v_cvt_f16_f32_e32 v11, v11
	v_cvt_f16_f32_sdwa v10, v10 dst_sel:WORD_1 dst_unused:UNUSED_PAD src0_sel:DWORD
	s_waitcnt lgkmcnt(0)
	v_cndmask_b32_e64 v16, v0, v12, s[8:9]
	v_cndmask_b32_e64 v17, v1, v12, s[10:11]
	v_cvt_f16_f32_e32 v14, v14
	v_cvt_f16_f32_sdwa v13, v13 dst_sel:WORD_1 dst_unused:UNUSED_PAD src0_sel:DWORD
	v_cvt_f16_f32_e32 v17, v17
	v_cvt_f16_f32_sdwa v16, v16 dst_sel:WORD_1 dst_unused:UNUSED_PAD src0_sel:DWORD
	v_lshl_add_u64 v[0:1], v[28:29], 1, s[48:49]
	v_or_b32_e32 v10, v10, v11
	v_cmp_eq_u32_e64 s[6:7], 2, v60
	;;#ASMSTART
	global_atomic_pk_add_f16 v[0:1], v10, off
	
	;;#ASMEND
	v_lshl_add_u64 v[10:11], v[0:1], 0, 32
	v_or_b32_e32 v13, v13, v14
	v_cmp_gt_u32_e64 s[8:9], 30, v15
	;;#ASMSTART
	global_atomic_pk_add_f16 v[10:11], v13, off
	
	;;#ASMEND
	v_lshl_add_u64 v[10:11], v[0:1], 0, 64
	v_or_b32_e32 v13, v16, v17
	;;#ASMSTART
	global_atomic_pk_add_f16 v[10:11], v13, off
	
	;;#ASMEND
	s_and_b64 exec, exec, s[8:9]
	s_cbranch_execz .LBB196_34
; %bb.33:                               ;   in Loop: Header=BB196_7 Depth=1
	v_cndmask_b32_e32 v8, v8, v4, vcc
	v_cndmask_b32_e64 v4, v9, v4, s[6:7]
	v_cndmask_b32_e32 v5, v5, v7, vcc
	v_cndmask_b32_e64 v6, v6, v7, s[6:7]
	v_cvt_f16_f32_e32 v4, v4
	v_cvt_f16_f32_sdwa v7, v8 dst_sel:WORD_1 dst_unused:UNUSED_PAD src0_sel:DWORD
	v_cndmask_b32_e32 v8, v2, v12, vcc
	v_cndmask_b32_e64 v9, v3, v12, s[6:7]
	v_cvt_f16_f32_sdwa v5, v5 dst_sel:WORD_1 dst_unused:UNUSED_PAD src0_sel:DWORD
	v_or_b32_e32 v2, v7, v4
	v_cvt_f16_f32_e32 v4, v6
	v_cvt_f16_f32_e32 v6, v9
	v_cvt_f16_f32_sdwa v7, v8 dst_sel:WORD_1 dst_unused:UNUSED_PAD src0_sel:DWORD
	v_lshl_add_u64 v[0:1], s[28:29], 2, v[0:1]
	;;#ASMSTART
	global_atomic_pk_add_f16 v[0:1], v2, off
	
	;;#ASMEND
	v_lshl_add_u64 v[2:3], v[0:1], 0, 32
	v_or_b32_e32 v4, v5, v4
	;;#ASMSTART
	global_atomic_pk_add_f16 v[2:3], v4, off
	
	;;#ASMEND
	v_lshl_add_u64 v[0:1], v[0:1], 0, 64
	v_or_b32_e32 v2, v7, v6
	;;#ASMSTART
	global_atomic_pk_add_f16 v[0:1], v2, off
	
	;;#ASMEND
.LBB196_34:                             ;   in Loop: Header=BB196_7 Depth=1
	s_or_b64 exec, exec, s[18:19]
	v_subrev_u32_e32 v70, s66, v70
.LBB196_35:                             ;   in Loop: Header=BB196_7 Depth=1
	s_or_b64 exec, exec, s[46:47]
.LBB196_36:                             ;   in Loop: Header=BB196_7 Depth=1
	s_andn2_saveexec_b64 s[6:7], s[44:45]
	s_cbranch_execz .LBB196_45
; %bb.37:                               ;   in Loop: Header=BB196_7 Depth=1
	s_mul_i32 s16, s66, 3
	v_cmp_gt_i32_e32 vcc, s16, v70
	s_and_saveexec_b64 s[8:9], vcc
	s_cbranch_execz .LBB196_44
; %bb.38:                               ;   in Loop: Header=BB196_7 Depth=1
	s_mul_i32 s10, s34, s23
	s_ashr_i32 s11, s10, 31
	s_waitcnt lgkmcnt(0)
	s_add_u32 s10, s38, s10
	s_addc_u32 s11, s39, s11
	s_ashr_i32 s12, s64, 31
	s_add_u32 s10, s10, s64
	s_addc_u32 s11, s11, s12
	v_lshl_add_u64 v[0:1], s[10:11], 0, v[32:33]
	v_lshl_add_u64 v[8:9], v[0:1], 0, v[30:31]
	s_mov_b64 s[10:11], 0
	s_branch .LBB196_40
.LBB196_39:                             ;   in Loop: Header=BB196_40 Depth=2
	s_or_b64 exec, exec, s[12:13]
	v_lshl_or_b32 v12, v10, 11, v66
	;;#ASMSTART
	s_waitcnt vmcnt(1)
	;;#ASMEND
	ds_write2_b32 v12, v4, v5 offset1:32
	ds_write2_b32 v12, v6, v7 offset0:64 offset1:96
	v_add_u32_e32 v4, 0x400, v12
	v_add_u32_e32 v70, s26, v70
	;;#ASMSTART
	s_waitcnt vmcnt(0)
	;;#ASMEND
	ds_write2_b32 v4, v0, v1 offset1:32
	ds_write2_b32 v4, v2, v3 offset0:64 offset1:96
	v_add_u32_e32 v0, 1, v56
	v_add_u32_e32 v36, s26, v10
	v_cmp_le_i32_e32 vcc, s16, v70
	ds_write_b32 v11, v0 offset:32
	v_add_u32_e32 v0, 2, v56
	s_or_b64 s[10:11], vcc, s[10:11]
	v_cmp_lt_i32_e32 vcc, 11, v36
	s_nop 1
	v_cndmask_b32_e32 v56, v56, v0, vcc
	s_andn2_b64 exec, exec, s[10:11]
	s_cbranch_execz .LBB196_43
.LBB196_40:                             ;   Parent Loop BB196_7 Depth=1
                                        ; =>  This Loop Header: Depth=2
                                        ;       Child Loop BB196_42 Depth 3
	v_cmp_gt_i32_e32 vcc, 12, v36
	s_nop 1
	v_cndmask_b32_e64 v0, -12, 0, vcc
	v_add_u32_e32 v10, v0, v36
	v_mul_hi_i32 v0, v70, s62
	v_lshrrev_b32_e32 v1, 31, v0
	v_add_u32_e32 v0, v0, v1
	v_lshl_add_u32 v1, v0, 1, v0
	v_sub_u32_e32 v2, v70, v1
	v_lshlrev_b32_e32 v0, 7, v0
	v_ashrrev_i32_e32 v1, 31, v0
	v_mul_lo_u32 v2, s55, v2
	v_lshl_add_u64 v[0:1], v[8:9], 0, v[0:1]
	v_ashrrev_i32_e32 v3, 31, v2
	v_lshl_add_u64 v[0:1], v[0:1], 0, v[2:3]
	v_lshlrev_b32_e32 v11, 2, v10
	;;#ASMSTART
	global_load_dwordx4 v[4:7], v[0:1], off offset:0   sc0 sc1 nt  
	global_load_dwordx4 v[0:3], v[0:1], off offset:64  sc0 sc1 nt  
	
	;;#ASMEND
	ds_read_b32 v12, v11 offset:40992
	v_add_u32_e32 v11, 0xa000, v11
	s_waitcnt lgkmcnt(0)
	v_cmp_ne_u32_e32 vcc, v12, v56
	s_and_saveexec_b64 s[12:13], vcc
	s_cbranch_execz .LBB196_39
; %bb.41:                               ;   in Loop: Header=BB196_40 Depth=2
	s_mov_b64 s[14:15], 0
.LBB196_42:                             ;   Parent Loop BB196_7 Depth=1
                                        ;     Parent Loop BB196_40 Depth=2
                                        ; =>    This Inner Loop Header: Depth=3
	;;#ASMSTART
	s_sleep 0
	;;#ASMEND
	ds_read_b32 v12, v11 offset:32
	s_waitcnt lgkmcnt(0)
	v_cmp_eq_u32_e32 vcc, v12, v56
	s_or_b64 s[14:15], vcc, s[14:15]
	s_andn2_b64 exec, exec, s[14:15]
	s_cbranch_execnz .LBB196_42
	s_branch .LBB196_39
.LBB196_43:                             ;   in Loop: Header=BB196_7 Depth=1
	s_or_b64 exec, exec, s[10:11]
.LBB196_44:                             ;   in Loop: Header=BB196_7 Depth=1
	s_or_b64 exec, exec, s[8:9]
	v_subrev_u32_e32 v70, s16, v70
.LBB196_45:                             ;   in Loop: Header=BB196_7 Depth=1
	s_or_b64 exec, exec, s[6:7]
.LBB196_46:                             ;   in Loop: Header=BB196_7 Depth=1
	s_andn2_saveexec_b64 s[6:7], s[30:31]
	s_cbranch_execz .LBB196_6
; %bb.47:                               ;   in Loop: Header=BB196_7 Depth=1
	s_lshl_b32 s16, s66, 1
	v_cmp_gt_i32_e32 vcc, s16, v70
	s_and_saveexec_b64 s[8:9], vcc
	s_cbranch_execz .LBB196_5
; %bb.48:                               ;   in Loop: Header=BB196_7 Depth=1
	s_mul_i32 s63, s63, s22
	s_ashr_i32 s10, s63, 31
	s_waitcnt lgkmcnt(0)
	s_add_u32 s11, s36, s63
	v_add_u32_e32 v2, s65, v65
	s_addc_u32 s12, s37, s10
	s_ashr_i32 s13, s64, 31
	v_cmp_gt_u32_e32 vcc, 32, v2
	s_add_u32 s10, s11, s64
	s_addc_u32 s11, s12, s13
	v_cndmask_b32_e32 v0, 0, v67, vcc
	v_ashrrev_i32_e32 v1, 31, v0
	v_lshl_add_u64 v[0:1], s[10:11], 0, v[0:1]
	v_lshl_add_u64 v[8:9], v[0:1], 0, v[30:31]
	v_sub_u32_e32 v10, 31, v2
	s_mov_b64 s[10:11], 0
	s_branch .LBB196_50
.LBB196_49:                             ;   in Loop: Header=BB196_50 Depth=2
	s_or_b64 exec, exec, s[12:13]
	v_lshl_add_u32 v13, v11, 11, v68
	;;#ASMSTART
	s_waitcnt vmcnt(1)
	;;#ASMEND
	ds_write2_b32 v13, v4, v5 offset1:32
	ds_write2_b32 v13, v6, v7 offset0:64 offset1:96
	v_add_u32_e32 v4, 0x400, v13
	v_add_u32_e32 v70, s25, v70
	;;#ASMSTART
	s_waitcnt vmcnt(0)
	;;#ASMEND
	ds_write2_b32 v4, v0, v1 offset1:32
	ds_write2_b32 v4, v2, v3 offset0:64 offset1:96
	v_add_u32_e32 v0, 1, v56
	v_add_u32_e32 v36, s25, v11
	v_cmp_le_i32_e32 vcc, s16, v70
	ds_write_b32 v12, v0
	v_add_u32_e32 v0, 2, v56
	s_or_b64 s[10:11], vcc, s[10:11]
	v_cmp_lt_i32_e32 vcc, 7, v36
	s_nop 1
	v_cndmask_b32_e32 v56, v56, v0, vcc
	s_andn2_b64 exec, exec, s[10:11]
	s_cbranch_execz .LBB196_4
.LBB196_50:                             ;   Parent Loop BB196_7 Depth=1
                                        ; =>  This Loop Header: Depth=2
                                        ;       Child Loop BB196_52 Depth 3
	v_cmp_gt_i32_e32 vcc, 8, v36
	s_nop 1
	v_cndmask_b32_e64 v0, -8, 0, vcc
	v_add_u32_e32 v11, v0, v36
	v_lshrrev_b32_e32 v0, 31, v70
	v_add_u32_e32 v0, v70, v0
	v_and_b32_e32 v1, 0xffffffe, v0
	v_sub_u32_e32 v1, v70, v1
	v_lshlrev_b32_e32 v1, 4, v1
	v_cmp_le_i32_e32 vcc, v1, v10
	v_lshlrev_b32_e32 v0, 6, v0
	v_and_b32_e32 v0, 0xffffff80, v0
	v_cndmask_b32_e32 v2, 0, v1, vcc
	v_ashrrev_i32_e32 v1, 31, v0
	v_mul_lo_u32 v2, v2, s22
	v_lshl_add_u64 v[0:1], v[8:9], 0, v[0:1]
	v_ashrrev_i32_e32 v3, 31, v2
	v_lshl_add_u64 v[0:1], v[0:1], 0, v[2:3]
	v_lshlrev_b32_e32 v12, 2, v11
	;;#ASMSTART
	global_load_dwordx4 v[4:7], v[0:1], off offset:0   
	global_load_dwordx4 v[0:3], v[0:1], off offset:64  
	
	;;#ASMEND
	ds_read_b32 v13, v12 offset:40960
	v_add_u32_e32 v12, 0xa000, v12
	s_waitcnt lgkmcnt(0)
	v_cmp_ne_u32_e32 vcc, v13, v56
	s_and_saveexec_b64 s[12:13], vcc
	s_cbranch_execz .LBB196_49
; %bb.51:                               ;   in Loop: Header=BB196_50 Depth=2
	s_mov_b64 s[14:15], 0
.LBB196_52:                             ;   Parent Loop BB196_7 Depth=1
                                        ;     Parent Loop BB196_50 Depth=2
                                        ; =>    This Inner Loop Header: Depth=3
	;;#ASMSTART
	s_sleep 0
	;;#ASMEND
	ds_read_b32 v13, v12
	s_waitcnt lgkmcnt(0)
	v_cmp_eq_u32_e32 vcc, v13, v56
	s_or_b64 s[14:15], vcc, s[14:15]
	s_andn2_b64 exec, exec, s[14:15]
	s_cbranch_execnz .LBB196_52
	s_branch .LBB196_49
.LBB196_53:
	s_endpgm
	.section	.rodata,"a",@progbits
	.p2align	6, 0x0
	.amdhsa_kernel _Z19_skinny_gemm_kernelILi2ELi3ELi4ELi16ELi4EEvPKhS1_P6__halfPKfiiiiiiii
		.amdhsa_group_segment_fixed_size 41040
		.amdhsa_private_segment_fixed_size 0
		.amdhsa_kernarg_size 64
		.amdhsa_user_sgpr_count 2
		.amdhsa_user_sgpr_dispatch_ptr 0
		.amdhsa_user_sgpr_queue_ptr 0
		.amdhsa_user_sgpr_kernarg_segment_ptr 1
		.amdhsa_user_sgpr_dispatch_id 0
		.amdhsa_user_sgpr_kernarg_preload_length 0
		.amdhsa_user_sgpr_kernarg_preload_offset 0
		.amdhsa_user_sgpr_private_segment_size 0
		.amdhsa_uses_dynamic_stack 0
		.amdhsa_enable_private_segment 0
		.amdhsa_system_sgpr_workgroup_id_x 1
		.amdhsa_system_sgpr_workgroup_id_y 0
		.amdhsa_system_sgpr_workgroup_id_z 0
		.amdhsa_system_sgpr_workgroup_info 0
		.amdhsa_system_vgpr_workitem_id 0
		.amdhsa_next_free_vgpr 78
		.amdhsa_next_free_sgpr 67
		.amdhsa_accum_offset 80
		.amdhsa_reserve_vcc 1
		.amdhsa_float_round_mode_32 0
		.amdhsa_float_round_mode_16_64 0
		.amdhsa_float_denorm_mode_32 3
		.amdhsa_float_denorm_mode_16_64 3
		.amdhsa_dx10_clamp 1
		.amdhsa_ieee_mode 1
		.amdhsa_fp16_overflow 0
		.amdhsa_tg_split 0
		.amdhsa_exception_fp_ieee_invalid_op 0
		.amdhsa_exception_fp_denorm_src 0
		.amdhsa_exception_fp_ieee_div_zero 0
		.amdhsa_exception_fp_ieee_overflow 0
		.amdhsa_exception_fp_ieee_underflow 0
		.amdhsa_exception_fp_ieee_inexact 0
		.amdhsa_exception_int_div_zero 0
	.end_amdhsa_kernel
	.section	.text._Z19_skinny_gemm_kernelILi2ELi3ELi4ELi16ELi4EEvPKhS1_P6__halfPKfiiiiiiii,"axG",@progbits,_Z19_skinny_gemm_kernelILi2ELi3ELi4ELi16ELi4EEvPKhS1_P6__halfPKfiiiiiiii,comdat
.Lfunc_end196:
	.size	_Z19_skinny_gemm_kernelILi2ELi3ELi4ELi16ELi4EEvPKhS1_P6__halfPKfiiiiiiii, .Lfunc_end196-_Z19_skinny_gemm_kernelILi2ELi3ELi4ELi16ELi4EEvPKhS1_P6__halfPKfiiiiiiii
                                        ; -- End function
	.set _Z19_skinny_gemm_kernelILi2ELi3ELi4ELi16ELi4EEvPKhS1_P6__halfPKfiiiiiiii.num_vgpr, 78
	.set _Z19_skinny_gemm_kernelILi2ELi3ELi4ELi16ELi4EEvPKhS1_P6__halfPKfiiiiiiii.num_agpr, 0
	.set _Z19_skinny_gemm_kernelILi2ELi3ELi4ELi16ELi4EEvPKhS1_P6__halfPKfiiiiiiii.numbered_sgpr, 67
	.set _Z19_skinny_gemm_kernelILi2ELi3ELi4ELi16ELi4EEvPKhS1_P6__halfPKfiiiiiiii.num_named_barrier, 0
	.set _Z19_skinny_gemm_kernelILi2ELi3ELi4ELi16ELi4EEvPKhS1_P6__halfPKfiiiiiiii.private_seg_size, 0
	.set _Z19_skinny_gemm_kernelILi2ELi3ELi4ELi16ELi4EEvPKhS1_P6__halfPKfiiiiiiii.uses_vcc, 1
	.set _Z19_skinny_gemm_kernelILi2ELi3ELi4ELi16ELi4EEvPKhS1_P6__halfPKfiiiiiiii.uses_flat_scratch, 0
	.set _Z19_skinny_gemm_kernelILi2ELi3ELi4ELi16ELi4EEvPKhS1_P6__halfPKfiiiiiiii.has_dyn_sized_stack, 0
	.set _Z19_skinny_gemm_kernelILi2ELi3ELi4ELi16ELi4EEvPKhS1_P6__halfPKfiiiiiiii.has_recursion, 0
	.set _Z19_skinny_gemm_kernelILi2ELi3ELi4ELi16ELi4EEvPKhS1_P6__halfPKfiiiiiiii.has_indirect_call, 0
	.section	.AMDGPU.csdata,"",@progbits
; Kernel info:
; codeLenInByte = 4816
; TotalNumSgprs: 73
; NumVgprs: 78
; NumAgprs: 0
; TotalNumVgprs: 78
; ScratchSize: 0
; MemoryBound: 0
; FloatMode: 240
; IeeeMode: 1
; LDSByteSize: 41040 bytes/workgroup (compile time only)
; SGPRBlocks: 9
; VGPRBlocks: 9
; NumSGPRsForWavesPerEU: 73
; NumVGPRsForWavesPerEU: 78
; AccumOffset: 80
; Occupancy: 6
; WaveLimiterHint : 0
; COMPUTE_PGM_RSRC2:SCRATCH_EN: 0
; COMPUTE_PGM_RSRC2:USER_SGPR: 2
; COMPUTE_PGM_RSRC2:TRAP_HANDLER: 0
; COMPUTE_PGM_RSRC2:TGID_X_EN: 1
; COMPUTE_PGM_RSRC2:TGID_Y_EN: 0
; COMPUTE_PGM_RSRC2:TGID_Z_EN: 0
; COMPUTE_PGM_RSRC2:TIDIG_COMP_CNT: 0
; COMPUTE_PGM_RSRC3_GFX90A:ACCUM_OFFSET: 19
; COMPUTE_PGM_RSRC3_GFX90A:TG_SPLIT: 0
	.section	.text._Z19_skinny_gemm_kernelILi2ELi3ELi4ELi32ELi4EEvPKhS1_P6__halfPKfiiiiiiii,"axG",@progbits,_Z19_skinny_gemm_kernelILi2ELi3ELi4ELi32ELi4EEvPKhS1_P6__halfPKfiiiiiiii,comdat
	.protected	_Z19_skinny_gemm_kernelILi2ELi3ELi4ELi32ELi4EEvPKhS1_P6__halfPKfiiiiiiii ; -- Begin function _Z19_skinny_gemm_kernelILi2ELi3ELi4ELi32ELi4EEvPKhS1_P6__halfPKfiiiiiiii
	.globl	_Z19_skinny_gemm_kernelILi2ELi3ELi4ELi32ELi4EEvPKhS1_P6__halfPKfiiiiiiii
	.p2align	8
	.type	_Z19_skinny_gemm_kernelILi2ELi3ELi4ELi32ELi4EEvPKhS1_P6__halfPKfiiiiiiii,@function
_Z19_skinny_gemm_kernelILi2ELi3ELi4ELi32ELi4EEvPKhS1_P6__halfPKfiiiiiiii: ; @_Z19_skinny_gemm_kernelILi2ELi3ELi4ELi32ELi4EEvPKhS1_P6__halfPKfiiiiiiii
; %bb.0:
	v_cmp_gt_u32_e32 vcc, 20, v0
	s_and_saveexec_b64 s[4:5], vcc
; %bb.1:
	v_lshlrev_b32_e32 v1, 2, v0
	v_mov_b32_e32 v2, 0
	ds_write_b32 v1, v2 offset:40960
; %bb.2:
	s_or_b64 exec, exec, s[4:5]
	s_load_dwordx8 s[92:99], s[0:1], 0x20
	s_waitcnt lgkmcnt(0)
	s_barrier
	s_add_i32 s3, s92, 63
	s_ashr_i32 s5, s3, 31
	s_add_i32 s4, s93, 0x5f
	s_lshr_b32 s5, s5, 26
	s_mul_hi_i32 s4, s4, 0x2aaaaaab
	s_add_i32 s3, s3, s5
	s_ashr_i32 s14, s3, 6
	s_lshr_b32 s3, s4, 31
	s_ashr_i32 s4, s4, 4
	s_add_i32 s15, s4, s3
	s_mul_i32 s3, s15, s14
	s_mul_i32 s3, s3, s96
	s_add_i32 s4, s3, 0x12f
	s_mul_hi_i32 s4, s4, 0x6bca1af3
	s_lshr_b32 s5, s4, 31
	s_ashr_i32 s4, s4, 7
	s_add_i32 s4, s4, s5
	s_add_i32 s5, s2, 1
	s_mul_i32 s5, s4, s5
	v_cvt_f64_i32_e32 v[2:3], s3
	v_cvt_f64_u32_e32 v[4:5], s5
	v_min_f64 v[2:3], v[2:3], v[4:5]
	v_cvt_i32_f64_e32 v62, v[2:3]
	s_mul_i32 s33, s4, s2
	v_cmp_ge_i32_e32 vcc, s33, v62
	s_cbranch_vccnz .LBB197_51
; %bb.3:
	s_load_dwordx8 s[16:23], s[0:1], 0x0
	v_lshrrev_b32_e32 v1, 6, v0
	s_add_i32 s0, s98, s97
	v_cmp_le_i32_e64 s[24:25], s0, v1
	v_mov_b32_e32 v2, s97
	v_cmp_le_i32_e64 s[26:27], s97, v1
	v_mov_b32_e32 v3, s98
	v_cndmask_b32_e64 v3, 0, v3, s[24:25]
	v_cndmask_b32_e64 v2, 0, v2, s[26:27]
	s_abs_i32 s1, s96
	v_add_u32_e32 v2, v2, v3
	v_cvt_f32_u32_e32 v3, s1
	v_sub_u32_e32 v56, v1, v2
	s_ashr_i32 s2, s94, 31
	s_lshr_b32 s2, s2, 26
	v_rcp_iflag_f32_e32 v2, v3
	s_sub_i32 s5, 0, s1
	s_add_i32 s2, s94, s2
	s_ashr_i32 s2, s2, 6
	v_mul_f32_e32 v2, 0x4f7ffffe, v2
	v_cvt_u32_f32_e32 v2, v2
	s_abs_i32 s4, s2
	s_xor_b32 s3, s2, s96
	s_ashr_i32 s3, s3, 31
	v_readfirstlane_b32 s6, v2
	s_mul_i32 s5, s5, s6
	s_mul_hi_u32 s5, s6, s5
	s_add_i32 s6, s6, s5
	s_mul_hi_u32 s5, s4, s6
	s_mul_i32 s6, s5, s1
	s_sub_i32 s4, s4, s6
	s_add_i32 s6, s5, 1
	s_sub_i32 s7, s4, s1
	s_cmp_ge_u32 s4, s1
	s_cselect_b32 s5, s6, s5
	s_cselect_b32 s4, s7, s4
	s_add_i32 s6, s5, 1
	s_cmp_ge_u32 s4, s1
	s_cselect_b32 s1, s6, s5
	s_add_i32 s0, s0, s99
	v_and_b32_e32 v64, 31, v0
	v_lshrrev_b32_e32 v2, 3, v0
	v_cmp_gt_i32_e64 s[34:35], s0, v1
	v_lshlrev_b32_e32 v1, 2, v64
	v_and_b32_e32 v3, 4, v2
	v_lshlrev_b32_e32 v2, 6, v3
	v_or_b32_e32 v4, 0x6000, v1
	v_and_b32_e32 v5, 1, v0
	s_add_i32 s29, s96, -1
	v_or_b32_e32 v65, v4, v2
	v_or_b32_e32 v66, v1, v2
	v_lshlrev_b32_e32 v2, 1, v5
	v_lshrrev_b32_e32 v7, 1, v0
	s_abs_i32 s96, s14
	v_sub_u32_e32 v2, v0, v2
	v_and_b32_e32 v50, 16, v7
	v_cvt_f32_u32_e32 v7, s96
	v_add_u32_e32 v2, 1, v2
	v_and_b32_e32 v6, 63, v2
	v_bitop3_b32 v67, v0, 1, v0 bitop3:0xc
	v_bitop3_b32 v68, v0, 3, 1 bitop3:0x6c
	;; [unrolled: 1-line block ×8, first 2 shown]
	v_and_b32_e32 v2, 30, v0
	v_lshlrev_b32_e32 v0, 4, v0
                                        ; implicit-def: $vgpr92 : SGPR spill to VGPR lane
	v_and_b32_e32 v0, 0x200, v0
	v_writelane_b32 v92, s14, 0
	v_or_b32_e32 v77, v1, v0
	v_rcp_iflag_f32_e32 v1, v7
	v_writelane_b32 v92, s15, 1
	s_waitcnt lgkmcnt(0)
	v_writelane_b32 v92, s16, 2
	s_abs_i32 s90, s15
	v_or_b32_e32 v79, v4, v0
	v_writelane_b32 v92, s17, 3
	v_writelane_b32 v92, s18, 4
	v_mul_f32_e32 v0, 0x4f7ffffe, v1
	v_cvt_f32_u32_e32 v1, s90
	v_writelane_b32 v92, s19, 5
	v_writelane_b32 v92, s20, 6
	v_writelane_b32 v92, s21, 7
	v_writelane_b32 v92, s22, 8
	v_cvt_u32_f32_e32 v0, v0
	v_rcp_iflag_f32_e32 v1, v1
	v_writelane_b32 v92, s23, 9
	v_cndmask_b32_e64 v63, 0, 1, s[24:25]
	s_xor_b32 s1, s1, s3
	v_writelane_b32 v92, s24, 10
	s_sub_i32 s28, s1, s3
	s_mul_i32 s1, s28, s29
	v_writelane_b32 v92, s25, 11
	v_writelane_b32 v92, s26, 12
	s_sub_i32 s30, s2, s1
	v_readfirstlane_b32 s1, v0
	v_mul_f32_e32 v0, 0x4f7ffffe, v1
	v_writelane_b32 v92, s27, 13
	v_cvt_u32_f32_e32 v0, v0
	v_writelane_b32 v92, s28, 14
	s_sub_i32 s0, 0, s96
	v_writelane_b32 v92, s29, 15
	s_mul_i32 s0, s0, s1
	v_writelane_b32 v92, s30, 16
	s_mul_hi_u32 s0, s1, s0
	v_writelane_b32 v92, s34, 17
	s_ashr_i32 s31, s14, 31
	s_add_i32 s36, s1, s0
	s_sub_i32 s0, 0, s90
	v_readfirstlane_b32 s1, v0
	v_mbcnt_lo_u32_b32 v0, -1, 0
	v_writelane_b32 v92, s35, 18
	s_mul_i32 s0, s0, s1
	v_mbcnt_hi_u32_b32 v0, -1, v0
	v_writelane_b32 v92, s31, 19
	v_mov_b32_e32 v49, 0
	v_mul_lo_u32 v52, s95, v64
	v_or_b32_e32 v80, v5, v3
	s_ashr_i32 s37, s15, 31
	s_mul_hi_u32 s0, s1, s0
	v_and_or_b32 v0, v0, 64, v6
	v_writelane_b32 v92, s36, 20
	v_or_b32_e32 v75, 32, v64
	v_or_b32_e32 v76, 64, v64
	v_ashrrev_i32_e32 v53, 31, v52
	v_mov_b32_e32 v51, v49
	s_lshl_b32 s91, s95, 5
	v_mul_lo_u32 v78, s94, v64
	v_or_b32_e32 v81, 2, v80
	s_add_i32 s38, s1, s0
	v_lshlrev_b32_e32 v48, 1, v2
	v_lshlrev_b32_e32 v82, 2, v0
	v_mov_b32_e32 v83, v56
	v_writelane_b32 v92, s37, 21
	v_writelane_b32 v92, s38, 22
	s_branch .LBB197_7
.LBB197_4:                              ;   in Loop: Header=BB197_7 Depth=1
	s_or_b64 exec, exec, s[4:5]
.LBB197_5:                              ;   in Loop: Header=BB197_7 Depth=1
	s_or_b64 exec, exec, s[2:3]
	v_subrev_u32_e32 v83, s10, v83
.LBB197_6:                              ;   in Loop: Header=BB197_7 Depth=1
	s_or_b64 exec, exec, s[0:1]
	s_add_i32 s33, s33, 1
	v_cmp_ge_i32_e32 vcc, s33, v62
	s_cbranch_vccnz .LBB197_51
.LBB197_7:                              ; =>This Loop Header: Depth=1
                                        ;     Child Loop BB197_13 Depth 2
                                        ;       Child Loop BB197_15 Depth 3
                                        ;       Child Loop BB197_18 Depth 3
	;; [unrolled: 1-line block ×4, first 2 shown]
                                        ;     Child Loop BB197_29 Depth 2
                                        ;     Child Loop BB197_38 Depth 2
                                        ;       Child Loop BB197_40 Depth 3
                                        ;     Child Loop BB197_48 Depth 2
                                        ;       Child Loop BB197_50 Depth 3
	s_abs_i32 s1, s33
	s_mul_hi_u32 s2, s1, s36
	s_mul_i32 s3, s2, s96
	s_ashr_i32 s0, s33, 31
	s_sub_i32 s1, s1, s3
	s_xor_b32 s0, s0, s31
	s_add_i32 s3, s2, 1
	s_sub_i32 s4, s1, s96
	s_cmp_ge_u32 s1, s96
	s_cselect_b32 s2, s3, s2
	s_cselect_b32 s1, s4, s1
	s_add_i32 s3, s2, 1
	s_cmp_ge_u32 s1, s96
	s_cselect_b32 s1, s3, s2
	s_xor_b32 s1, s1, s0
	s_sub_i32 s0, s1, s0
	s_abs_i32 s2, s0
	s_mul_i32 s1, s0, s14
	s_mul_hi_u32 s3, s2, s38
	s_sub_i32 s1, s33, s1
	s_mul_i32 s4, s3, s90
	s_lshl_b32 s39, s1, 6
	s_ashr_i32 s1, s0, 31
	s_sub_i32 s2, s2, s4
	s_xor_b32 s1, s1, s37
	s_add_i32 s4, s3, 1
	s_sub_i32 s5, s2, s90
	s_cmp_ge_u32 s2, s90
	s_cselect_b32 s3, s4, s3
	s_cselect_b32 s2, s5, s2
	s_add_i32 s4, s3, 1
	s_cmp_ge_u32 s2, s90
	s_cselect_b32 s2, s4, s3
	s_xor_b32 s2, s2, s1
	s_sub_i32 s1, s2, s1
	s_mul_i32 s2, s1, s28
	s_lshl_b32 s13, s2, 6
	s_cmp_eq_u32 s1, s29
	s_cselect_b32 s4, s30, s28
	s_sub_i32 s2, s39, s92
	s_add_i32 s2, s2, 64
	s_max_i32 s5, s2, 0
	s_and_saveexec_b64 s[2:3], s[26:27]
	s_xor_b64 s[2:3], exec, s[2:3]
	v_writelane_b32 v92, s2, 23
	s_nop 1
	v_writelane_b32 v92, s3, 24
	s_cbranch_execz .LBB197_44
; %bb.8:                                ;   in Loop: Header=BB197_7 Depth=1
	s_mul_i32 s1, s1, s15
	s_sub_i32 s0, s0, s1
	s_mulk_i32 s0, 0x60
	s_sub_i32 s70, s0, s93
	s_addk_i32 s70, 0x60
	s_max_i32 s1, s70, 0
	s_sub_i32 s0, s0, s1
	v_writelane_b32 v92, s13, 25
	s_and_saveexec_b64 s[2:3], s[24:25]
	s_xor_b64 s[2:3], exec, s[2:3]
	s_cbranch_execz .LBB197_34
; %bb.9:                                ;   in Loop: Header=BB197_7 Depth=1
	s_mov_b64 s[6:7], exec
	v_writelane_b32 v92, s6, 26
	s_nop 1
	v_writelane_b32 v92, s7, 27
	s_and_b64 s[6:7], s[6:7], s[34:35]
	s_mov_b64 exec, s[6:7]
	s_cbranch_execz .LBB197_33
; %bb.10:                               ;   in Loop: Header=BB197_7 Depth=1
	global_load_dword v84, v49, s[22:23]
	v_mov_b32_e32 v47, 0
	v_cmp_gt_i32_e32 vcc, s4, v83
	v_mov_b32_e32 v46, v47
	v_mov_b32_e32 v45, v47
	;; [unrolled: 1-line block ×47, first 2 shown]
	s_and_saveexec_b64 s[6:7], vcc
	s_cbranch_execz .LBB197_26
; %bb.11:                               ;   in Loop: Header=BB197_7 Depth=1
	v_mov_b32_e32 v0, 0
	s_mov_b64 s[8:9], 0
	v_mov_b32_e32 v1, v0
	v_mov_b32_e32 v2, v0
	;; [unrolled: 1-line block ×47, first 2 shown]
	s_branch .LBB197_13
.LBB197_12:                             ;   in Loop: Header=BB197_13 Depth=2
	s_or_b64 exec, exec, s[10:11]
	v_add_u32_e32 v89, 0x1000, v88
	ds_read2_b32 v[90:91], v89 offset1:32
	v_add_u32_e32 v83, s99, v83
	s_waitcnt lgkmcnt(0)
	v_mfma_f32_32x32x16_fp8_fp8 v[0:15], v[60:61], v[90:91], v[0:15]
	ds_read2_b32 v[60:61], v89 offset0:128 offset1:160
	s_waitcnt lgkmcnt(0)
	v_mfma_f32_32x32x16_fp8_fp8 v[0:15], v[58:59], v[60:61], v[0:15]
	v_add_u32_e32 v60, 0x1400, v88
	ds_read2_b32 v[58:59], v60 offset1:32
	ds_read2_b32 v[60:61], v60 offset0:128 offset1:160
	ds_write_b32 v86, v87 offset:40980
	s_waitcnt lgkmcnt(2)
	v_mfma_f32_32x32x16_fp8_fp8 v[0:15], v[56:57], v[58:59], v[0:15]
	v_add_u32_e32 v56, s99, v85
	v_add_u32_e32 v57, 2, v63
	v_cmp_lt_i32_e32 vcc, 3, v56
	s_nop 1
	v_cndmask_b32_e32 v63, v63, v57, vcc
	v_cmp_le_i32_e32 vcc, s4, v83
	s_waitcnt lgkmcnt(1)
	v_mfma_f32_32x32x16_fp8_fp8 v[0:15], v[54:55], v[60:61], v[0:15]
	s_or_b64 s[8:9], vcc, s[8:9]
	s_andn2_b64 exec, exec, s[8:9]
	s_cbranch_execz .LBB197_25
.LBB197_13:                             ;   Parent Loop BB197_7 Depth=1
                                        ; =>  This Loop Header: Depth=2
                                        ;       Child Loop BB197_15 Depth 3
                                        ;       Child Loop BB197_18 Depth 3
	;; [unrolled: 1-line block ×4, first 2 shown]
	v_cmp_gt_i32_e32 vcc, 4, v56
	s_nop 1
	v_cndmask_b32_e64 v54, -4, 0, vcc
	v_add_u32_e32 v85, v54, v56
	v_mul_lo_u32 v86, v85, 24
	ds_read_b32 v54, v86 offset:40960
	s_waitcnt lgkmcnt(0)
	v_cmp_ne_u32_e32 vcc, v54, v63
	s_and_saveexec_b64 s[10:11], vcc
	s_cbranch_execz .LBB197_16
; %bb.14:                               ;   in Loop: Header=BB197_13 Depth=2
	s_mov_b64 s[12:13], 0
.LBB197_15:                             ;   Parent Loop BB197_7 Depth=1
                                        ;     Parent Loop BB197_13 Depth=2
                                        ; =>    This Inner Loop Header: Depth=3
	;;#ASMSTART
	s_sleep 0
	;;#ASMEND
	ds_read_b32 v54, v86 offset:40960
	s_waitcnt lgkmcnt(0)
	v_cmp_eq_u32_e32 vcc, v54, v63
	s_or_b64 s[12:13], vcc, s[12:13]
	s_andn2_b64 exec, exec, s[12:13]
	s_cbranch_execnz .LBB197_15
.LBB197_16:                             ;   in Loop: Header=BB197_13 Depth=2
	s_or_b64 exec, exec, s[10:11]
	v_lshl_add_u32 v54, v85, 11, v65
	ds_read2_b32 v[60:61], v54 offset1:32
	ds_read2_b32 v[58:59], v54 offset0:128 offset1:160
	v_add_u32_e32 v54, 0x400, v54
	ds_read2_b32 v[56:57], v54 offset1:32
	ds_read_b32 v88, v86 offset:40964
	ds_read2_b32 v[54:55], v54 offset0:128 offset1:160
	v_add_u32_e32 v87, 1, v63
	ds_write_b32 v86, v87 offset:40960
	s_waitcnt lgkmcnt(2)
	v_cmp_ne_u32_e32 vcc, v88, v63
	s_and_saveexec_b64 s[10:11], vcc
	s_cbranch_execz .LBB197_19
; %bb.17:                               ;   in Loop: Header=BB197_13 Depth=2
	s_mov_b64 s[12:13], 0
.LBB197_18:                             ;   Parent Loop BB197_7 Depth=1
                                        ;     Parent Loop BB197_13 Depth=2
                                        ; =>    This Inner Loop Header: Depth=3
	;;#ASMSTART
	s_sleep 0
	;;#ASMEND
	ds_read_b32 v88, v86 offset:40964
	s_waitcnt lgkmcnt(0)
	v_cmp_eq_u32_e32 vcc, v88, v63
	s_or_b64 s[12:13], vcc, s[12:13]
	s_andn2_b64 exec, exec, s[12:13]
	s_cbranch_execnz .LBB197_18
.LBB197_19:                             ;   in Loop: Header=BB197_13 Depth=2
	s_or_b64 exec, exec, s[10:11]
	s_movk_i32 s1, 0x1800
	v_mul_lo_u32 v88, v85, s1
	v_or_b32_e32 v89, v66, v88
	ds_read2_b32 v[90:91], v89 offset1:32
	ds_write_b32 v86, v87 offset:40964
	s_waitcnt lgkmcnt(1)
	v_mfma_f32_32x32x16_fp8_fp8 v[32:47], v[60:61], v[90:91], v[32:47]
	ds_read2_b32 v[90:91], v89 offset0:128 offset1:160
	v_add_u32_e32 v89, 0x400, v89
	s_waitcnt lgkmcnt(0)
	v_mfma_f32_32x32x16_fp8_fp8 v[32:47], v[58:59], v[90:91], v[32:47]
	ds_read2_b32 v[90:91], v89 offset1:32
	s_waitcnt lgkmcnt(0)
	v_mfma_f32_32x32x16_fp8_fp8 v[32:47], v[56:57], v[90:91], v[32:47]
	ds_read2_b32 v[90:91], v89 offset0:128 offset1:160
	ds_read_b32 v89, v86 offset:40972
	s_waitcnt lgkmcnt(0)
	v_cmp_ne_u32_e32 vcc, v89, v63
	v_mfma_f32_32x32x16_fp8_fp8 v[32:47], v[54:55], v[90:91], v[32:47]
	s_and_saveexec_b64 s[10:11], vcc
	s_cbranch_execz .LBB197_22
; %bb.20:                               ;   in Loop: Header=BB197_13 Depth=2
	s_mov_b64 s[12:13], 0
.LBB197_21:                             ;   Parent Loop BB197_7 Depth=1
                                        ;     Parent Loop BB197_13 Depth=2
                                        ; =>    This Inner Loop Header: Depth=3
	;;#ASMSTART
	s_sleep 0
	;;#ASMEND
	ds_read_b32 v89, v86 offset:40972
	s_waitcnt lgkmcnt(0)
	v_cmp_eq_u32_e32 vcc, v89, v63
	s_or_b64 s[12:13], vcc, s[12:13]
	s_andn2_b64 exec, exec, s[12:13]
	s_cbranch_execnz .LBB197_21
.LBB197_22:                             ;   in Loop: Header=BB197_13 Depth=2
	s_or_b64 exec, exec, s[10:11]
	v_add_u32_e32 v88, v66, v88
	v_add_u32_e32 v89, 0x800, v88
	ds_read2_b32 v[90:91], v89 offset1:32
	ds_write_b32 v86, v87 offset:40972
	s_waitcnt lgkmcnt(1)
	v_mfma_f32_32x32x16_fp8_fp8 v[16:31], v[60:61], v[90:91], v[16:31]
	ds_read2_b32 v[90:91], v89 offset0:128 offset1:160
	v_add_u32_e32 v89, 0xc00, v88
	s_waitcnt lgkmcnt(0)
	v_mfma_f32_32x32x16_fp8_fp8 v[16:31], v[58:59], v[90:91], v[16:31]
	ds_read2_b32 v[90:91], v89 offset1:32
	s_waitcnt lgkmcnt(0)
	v_mfma_f32_32x32x16_fp8_fp8 v[16:31], v[56:57], v[90:91], v[16:31]
	ds_read2_b32 v[90:91], v89 offset0:128 offset1:160
	ds_read_b32 v89, v86 offset:40980
	s_waitcnt lgkmcnt(0)
	v_cmp_ne_u32_e32 vcc, v89, v63
	v_mfma_f32_32x32x16_fp8_fp8 v[16:31], v[54:55], v[90:91], v[16:31]
	s_and_saveexec_b64 s[10:11], vcc
	s_cbranch_execz .LBB197_12
; %bb.23:                               ;   in Loop: Header=BB197_13 Depth=2
	s_mov_b64 s[12:13], 0
.LBB197_24:                             ;   Parent Loop BB197_7 Depth=1
                                        ;     Parent Loop BB197_13 Depth=2
                                        ; =>    This Inner Loop Header: Depth=3
	;;#ASMSTART
	s_sleep 0
	;;#ASMEND
	ds_read_b32 v89, v86 offset:40980
	s_waitcnt lgkmcnt(0)
	v_cmp_eq_u32_e32 vcc, v89, v63
	s_or_b64 s[12:13], vcc, s[12:13]
	s_andn2_b64 exec, exec, s[12:13]
	s_cbranch_execnz .LBB197_24
	s_branch .LBB197_12
.LBB197_25:                             ;   in Loop: Header=BB197_7 Depth=1
	s_or_b64 exec, exec, s[8:9]
.LBB197_26:                             ;   in Loop: Header=BB197_7 Depth=1
	s_or_b64 exec, exec, s[6:7]
	v_cmp_le_i32_e32 vcc, s70, v64
	v_cmp_eq_u32_e64 s[60:61], 1, v67
	v_cmp_eq_u32_e64 s[26:27], 2, v67
	s_waitcnt vmcnt(0)
	v_cndmask_b32_e32 v54, 0, v84, vcc
	v_pk_mul_f32 v[32:33], v[54:55], v[32:33] op_sel_hi:[0,1]
	v_pk_mul_f32 v[46:47], v[54:55], v[46:47] op_sel_hi:[0,1]
	;; [unrolled: 1-line block ×8, first 2 shown]
	v_cndmask_b32_e64 v54, v32, v33, s[60:61]
	v_cndmask_b32_e64 v54, v54, v34, s[26:27]
	v_cmp_eq_u32_e64 s[40:41], 3, v67
	v_cmp_eq_u32_e64 s[42:43], 4, v67
	v_cmp_eq_u32_e64 s[44:45], 5, v67
	v_cndmask_b32_e64 v54, v54, v35, s[40:41]
	v_cndmask_b32_e64 v54, v54, v36, s[42:43]
	v_cndmask_b32_e64 v54, v54, v37, s[44:45]
	v_cmp_eq_u32_e64 s[46:47], 6, v67
	v_cmp_eq_u32_e64 s[48:49], 7, v67
	v_cmp_eq_u32_e64 s[50:51], 8, v67
	v_cndmask_b32_e64 v54, v54, v38, s[46:47]
	;; [unrolled: 6-line block ×4, first 2 shown]
	v_cndmask_b32_e64 v54, v54, v45, s[62:63]
	v_cndmask_b32_e64 v54, v54, v46, s[64:65]
	v_cmp_eq_u32_e64 s[66:67], 15, v67
	s_mul_i32 s6, s39, s93
	s_ashr_i32 s7, s6, 31
	v_cndmask_b32_e64 v54, v54, v47, s[66:67]
	ds_bpermute_b32 v54, v82, v54
	s_lshl_b64 s[6:7], s[6:7], 1
	v_cmp_eq_u32_e64 s[36:37], 0, v67
	s_add_u32 s71, s20, s6
	v_cmp_eq_u32_e32 vcc, 1, v68
	s_waitcnt lgkmcnt(0)
	v_cndmask_b32_e64 v47, v47, v54, s[66:67]
	v_cndmask_b32_e64 v46, v46, v54, s[64:65]
	v_cndmask_b32_e64 v45, v45, v54, s[62:63]
	v_cndmask_b32_e64 v44, v44, v54, s[58:59]
	v_cndmask_b32_e64 v43, v43, v54, s[56:57]
	v_cndmask_b32_e64 v42, v42, v54, s[54:55]
	v_cndmask_b32_e64 v41, v41, v54, s[52:53]
	v_cndmask_b32_e64 v40, v40, v54, s[50:51]
	v_cndmask_b32_e64 v57, v39, v54, s[48:49]
	v_cndmask_b32_e64 v58, v38, v54, s[46:47]
	v_cndmask_b32_e64 v59, v37, v54, s[44:45]
	v_cndmask_b32_e64 v60, v36, v54, s[42:43]
	v_cndmask_b32_e64 v61, v35, v54, s[40:41]
	v_cndmask_b32_e64 v85, v34, v54, s[26:27]
	v_cndmask_b32_e64 v86, v33, v54, s[60:61]
	v_cndmask_b32_e64 v54, v32, v54, s[36:37]
	s_addc_u32 s72, s21, s7
	v_cndmask_b32_e32 v32, v54, v86, vcc
	v_cmp_eq_u32_e64 s[6:7], 2, v68
	v_cmp_eq_u32_e64 s[8:9], 3, v68
	v_cmp_eq_u32_e64 s[10:11], 4, v68
	v_cndmask_b32_e64 v32, v32, v85, s[6:7]
	v_cndmask_b32_e64 v32, v32, v61, s[8:9]
	v_cndmask_b32_e64 v32, v32, v60, s[10:11]
	v_cmp_eq_u32_e64 s[12:13], 5, v68
	v_cmp_eq_u32_e64 s[14:15], 6, v68
	v_cmp_eq_u32_e64 s[16:17], 7, v68
	v_cndmask_b32_e64 v32, v32, v59, s[12:13]
	v_cndmask_b32_e64 v32, v32, v58, s[14:15]
	v_cndmask_b32_e64 v32, v32, v57, s[16:17]
	;; [unrolled: 6-line block ×4, first 2 shown]
	v_cmp_eq_u32_e64 s[34:35], 14, v68
	v_writelane_b32 v92, s39, 28
	v_cmp_eq_u32_e64 s[38:39], 15, v68
	v_cndmask_b32_e64 v32, v32, v46, s[34:35]
	s_ashr_i32 s1, s0, 31
	v_cndmask_b32_e64 v32, v32, v47, s[38:39]
	ds_bpermute_b32 v55, v82, v32
	s_lshl_b64 s[68:69], s[0:1], 1
	s_add_u32 s68, s71, s68
	s_addc_u32 s69, s72, s69
	v_writelane_b32 v92, s68, 29
	s_waitcnt lgkmcnt(0)
	v_cndmask_b32_e64 v33, v47, v55, s[38:39]
	v_cndmask_b32_e64 v38, v42, v55, s[22:23]
	v_writelane_b32 v92, s69, 30
	v_cmp_le_i32_e64 s[68:69], s70, v75
	v_cmp_le_i32_e64 s[70:71], s70, v76
	v_cndmask_b32_e64 v42, v58, v55, s[14:15]
	v_cndmask_b32_e64 v32, 0, v84, s[68:69]
	;; [unrolled: 1-line block ×3, first 2 shown]
	v_pk_mul_f32 v[16:17], v[32:33], v[16:17] op_sel_hi:[0,1]
	v_pk_mul_f32 v[0:1], v[58:59], v[0:1] op_sel_hi:[0,1]
	v_cndmask_b32_e64 v35, v45, v55, s[30:31]
	v_cndmask_b32_e64 v36, v44, v55, s[28:29]
	;; [unrolled: 1-line block ×4, first 2 shown]
	v_pk_mul_f32 v[30:31], v[32:33], v[30:31] op_sel_hi:[0,1]
	v_pk_mul_f32 v[28:29], v[32:33], v[28:29] op_sel_hi:[0,1]
	v_pk_mul_f32 v[26:27], v[32:33], v[26:27] op_sel_hi:[0,1]
	v_pk_mul_f32 v[24:25], v[32:33], v[24:25] op_sel_hi:[0,1]
	v_pk_mul_f32 v[22:23], v[32:33], v[22:23] op_sel_hi:[0,1]
	v_pk_mul_f32 v[20:21], v[32:33], v[20:21] op_sel_hi:[0,1]
	v_pk_mul_f32 v[18:19], v[32:33], v[18:19] op_sel_hi:[0,1]
	v_cndmask_b32_e64 v32, v16, v17, s[60:61]
	v_pk_mul_f32 v[60:61], v[58:59], v[4:5] op_sel_hi:[0,1]
	v_pk_mul_f32 v[2:3], v[58:59], v[2:3] op_sel_hi:[0,1]
	v_cndmask_b32_e64 v4, v0, v1, s[60:61]
	v_cndmask_b32_e64 v32, v32, v18, s[26:27]
	;; [unrolled: 1-line block ×8, first 2 shown]
	v_pk_mul_f32 v[6:7], v[58:59], v[6:7] op_sel_hi:[0,1]
	v_cndmask_b32_e64 v4, v4, v61, s[44:45]
	v_cndmask_b32_e64 v32, v32, v22, s[46:47]
	v_cndmask_b32_e64 v4, v4, v6, s[46:47]
	v_cndmask_b32_e64 v32, v32, v23, s[48:49]
	v_pk_mul_f32 v[8:9], v[58:59], v[8:9] op_sel_hi:[0,1]
	v_cndmask_b32_e64 v4, v4, v7, s[48:49]
	v_cndmask_b32_e64 v32, v32, v24, s[50:51]
	v_cndmask_b32_e64 v4, v4, v8, s[50:51]
	v_cndmask_b32_e64 v32, v32, v25, s[52:53]
	;; [unrolled: 5-line block ×5, first 2 shown]
	v_cndmask_b32_e64 v4, v4, v15, s[66:67]
	ds_bpermute_b32 v32, v82, v32
	ds_bpermute_b32 v5, v82, v4
	v_cmp_eq_u32_e64 s[68:69], 0, v68
	v_cndmask_b32_e32 v47, v86, v55, vcc
	v_cmp_eq_u32_e64 s[70:71], 1, v69
	v_cndmask_b32_e64 v54, v54, v55, s[68:69]
	v_cndmask_b32_e64 v34, v46, v55, s[34:35]
	;; [unrolled: 1-line block ×9, first 2 shown]
	s_waitcnt lgkmcnt(1)
	v_cndmask_b32_e64 v4, v17, v32, s[60:61]
	v_cmp_eq_u32_e64 s[60:61], 2, v69
	v_cndmask_b32_e64 v18, v18, v32, s[26:27]
	s_waitcnt lgkmcnt(0)
	v_cndmask_b32_e64 v2, v2, v5, s[26:27]
	v_cmp_ne_u32_e64 s[26:27], 0, v67
	v_cndmask_b32_e64 v17, v55, v46, s[60:61]
	v_cndmask_b32_e64 v31, v31, v32, s[66:67]
	;; [unrolled: 1-line block ×3, first 2 shown]
	v_cmp_eq_u32_e64 s[66:67], 3, v69
	v_cndmask_b32_e64 v1, v1, v5, s[26:27]
	v_cndmask_b32_e64 v16, v16, v32, s[36:37]
	;; [unrolled: 1-line block ×6, first 2 shown]
	v_cmp_eq_u32_e64 s[64:65], 4, v69
	v_cndmask_b32_e64 v29, v29, v32, s[62:63]
	v_cndmask_b32_e64 v13, v13, v5, s[62:63]
	;; [unrolled: 1-line block ×22, first 2 shown]
	v_cndmask_b32_e32 v32, v16, v4, vcc
	v_cndmask_b32_e32 v5, v0, v1, vcc
	v_cndmask_b32_e64 v17, v17, v44, s[64:65]
	v_cmp_eq_u32_e64 s[62:63], 5, v69
	v_cndmask_b32_e64 v32, v32, v18, s[6:7]
	v_cndmask_b32_e64 v5, v5, v2, s[6:7]
	v_cndmask_b32_e64 v17, v17, v43, s[62:63]
	v_cmp_eq_u32_e64 s[58:59], 6, v69
	v_cndmask_b32_e64 v32, v32, v19, s[8:9]
	v_cndmask_b32_e64 v5, v5, v3, s[8:9]
	;; [unrolled: 4-line block ×11, first 2 shown]
	v_cndmask_b32_e64 v17, v17, v33, s[82:83]
	v_cndmask_b32_e64 v32, v32, v29, s[30:31]
	;; [unrolled: 1-line block ×3, first 2 shown]
	ds_bpermute_b32 v17, v82, v17
	v_cndmask_b32_e64 v32, v32, v30, s[34:35]
	v_cndmask_b32_e64 v5, v5, v14, s[34:35]
	;; [unrolled: 1-line block ×4, first 2 shown]
	ds_bpermute_b32 v32, v82, v32
	ds_bpermute_b32 v5, v82, v5
	v_cmp_eq_u32_e64 s[42:43], 0, v69
	s_waitcnt lgkmcnt(2)
	v_cndmask_b32_e64 v33, v33, v17, s[82:83]
	v_cndmask_b32_e64 v34, v34, v17, s[76:77]
	;; [unrolled: 1-line block ×16, first 2 shown]
	v_cmp_eq_u32_e64 s[26:27], 1, v70
	v_cmp_eq_u32_e64 s[36:37], 2, v70
	s_waitcnt lgkmcnt(1)
	v_cndmask_b32_e64 v30, v30, v32, s[34:35]
	v_cndmask_b32_e64 v54, v17, v47, s[26:27]
	v_cndmask_b32_e64 v54, v54, v46, s[36:37]
	s_waitcnt lgkmcnt(0)
	v_cndmask_b32_e64 v14, v14, v5, s[34:35]
	v_cmp_eq_u32_e64 s[34:35], 3, v70
	v_cndmask_b32_e32 v4, v4, v32, vcc
	v_cndmask_b32_e32 v1, v1, v5, vcc
	v_cndmask_b32_e64 v16, v16, v32, s[68:69]
	v_cndmask_b32_e64 v0, v0, v5, s[68:69]
	;; [unrolled: 1-line block ×7, first 2 shown]
	v_cmp_eq_u32_e64 s[30:31], 4, v70
	v_cndmask_b32_e64 v28, v28, v32, s[28:29]
	v_cndmask_b32_e64 v12, v12, v5, s[28:29]
	;; [unrolled: 1-line block ×25, first 2 shown]
	v_cmp_eq_u32_e64 s[38:39], 5, v70
	v_cndmask_b32_e64 v32, v32, v18, s[60:61]
	v_cndmask_b32_e64 v5, v5, v2, s[60:61]
	v_cndmask_b32_e64 v54, v54, v43, s[38:39]
	v_cmp_eq_u32_e64 s[24:25], 6, v70
	v_cndmask_b32_e64 v32, v32, v19, s[66:67]
	v_cndmask_b32_e64 v5, v5, v3, s[66:67]
	v_cndmask_b32_e64 v54, v54, v42, s[24:25]
	;; [unrolled: 4-line block ×11, first 2 shown]
	v_cndmask_b32_e64 v32, v32, v29, s[44:45]
	v_cndmask_b32_e64 v5, v5, v13, s[44:45]
	ds_bpermute_b32 v54, v82, v54
	v_cndmask_b32_e64 v32, v32, v30, s[76:77]
	v_cndmask_b32_e64 v5, v5, v14, s[76:77]
	;; [unrolled: 1-line block ×4, first 2 shown]
	ds_bpermute_b32 v32, v82, v32
	ds_bpermute_b32 v5, v82, v5
	v_cmp_eq_u32_e64 s[16:17], 0, v70
	s_waitcnt lgkmcnt(2)
	v_cndmask_b32_e64 v47, v47, v54, s[26:27]
	v_cmp_eq_u32_e64 s[8:9], 1, v71
	v_cndmask_b32_e64 v17, v17, v54, s[16:17]
	v_cndmask_b32_e64 v33, v33, v54, s[86:87]
	;; [unrolled: 1-line block ×16, first 2 shown]
	v_cmp_eq_u32_e64 s[14:15], 2, v71
	v_cmp_eq_u32_e64 s[18:19], 3, v71
	s_waitcnt lgkmcnt(1)
	v_cndmask_b32_e64 v4, v4, v32, s[70:71]
	v_cndmask_b32_e64 v54, v54, v46, s[14:15]
	s_waitcnt lgkmcnt(0)
	v_cndmask_b32_e64 v1, v1, v5, s[70:71]
	v_cndmask_b32_e64 v16, v16, v32, s[42:43]
	;; [unrolled: 1-line block ×10, first 2 shown]
	v_cmp_eq_u32_e64 s[28:29], 4, v71
	v_cndmask_b32_e64 v28, v28, v32, s[46:47]
	v_cndmask_b32_e64 v12, v12, v5, s[46:47]
	;; [unrolled: 1-line block ×25, first 2 shown]
	v_cmp_eq_u32_e64 s[40:41], 5, v71
	v_cndmask_b32_e64 v32, v32, v18, s[36:37]
	v_cndmask_b32_e64 v5, v5, v2, s[36:37]
	v_cndmask_b32_e64 v54, v54, v43, s[40:41]
	v_cmp_eq_u32_e64 s[48:49], 6, v71
	v_cndmask_b32_e64 v32, v32, v19, s[34:35]
	v_cndmask_b32_e64 v5, v5, v3, s[34:35]
	v_cndmask_b32_e64 v54, v54, v42, s[48:49]
	;; [unrolled: 4-line block ×11, first 2 shown]
	v_cndmask_b32_e64 v32, v32, v29, s[12:13]
	v_cndmask_b32_e64 v5, v5, v13, s[12:13]
	ds_bpermute_b32 v54, v82, v54
	v_cndmask_b32_e64 v32, v32, v30, s[10:11]
	v_cndmask_b32_e64 v5, v5, v14, s[10:11]
	;; [unrolled: 1-line block ×4, first 2 shown]
	ds_bpermute_b32 v32, v82, v32
	ds_bpermute_b32 v5, v82, v5
	v_cmp_eq_u32_e64 s[60:61], 0, v71
	s_waitcnt lgkmcnt(2)
	v_cndmask_b32_e64 v47, v47, v54, s[8:9]
	v_cmp_eq_u32_e32 vcc, 1, v72
	v_cndmask_b32_e64 v17, v17, v54, s[60:61]
	v_cndmask_b32_e64 v33, v33, v54, s[88:89]
	;; [unrolled: 1-line block ×15, first 2 shown]
	v_cndmask_b32_e32 v54, v17, v47, vcc
	v_cmp_eq_u32_e64 s[6:7], 2, v72
	s_waitcnt lgkmcnt(1)
	v_cndmask_b32_e64 v30, v30, v32, s[10:11]
	s_waitcnt lgkmcnt(0)
	v_cndmask_b32_e64 v14, v14, v5, s[10:11]
	v_cndmask_b32_e64 v54, v54, v46, s[6:7]
	v_cmp_eq_u32_e64 s[10:11], 3, v72
	v_cndmask_b32_e64 v29, v29, v32, s[12:13]
	v_cndmask_b32_e64 v13, v13, v5, s[12:13]
	;; [unrolled: 1-line block ×3, first 2 shown]
	v_cmp_eq_u32_e64 s[12:13], 4, v72
	v_cmp_eq_u32_e64 s[42:43], 5, v72
	;; [unrolled: 1-line block ×3, first 2 shown]
	v_cndmask_b32_e64 v54, v54, v44, s[12:13]
	v_cndmask_b32_e64 v54, v54, v43, s[42:43]
	;; [unrolled: 1-line block ×7, first 2 shown]
	v_cmp_eq_u32_e64 s[52:53], 7, v72
	v_cndmask_b32_e64 v9, v9, v5, s[72:73]
	v_cndmask_b32_e64 v8, v8, v5, s[20:21]
	;; [unrolled: 1-line block ×11, first 2 shown]
	v_cmp_eq_u32_e64 s[54:55], 8, v72
	v_cndmask_b32_e64 v0, v5, v58, s[8:9]
	v_cndmask_b32_e64 v31, v31, v32, s[86:87]
	;; [unrolled: 1-line block ×8, first 2 shown]
	v_cmp_eq_u32_e64 s[56:57], 9, v72
	v_cndmask_b32_e64 v23, v23, v32, s[22:23]
	v_cndmask_b32_e64 v22, v22, v32, s[24:25]
	;; [unrolled: 1-line block ×10, first 2 shown]
	v_cmp_eq_u32_e64 s[62:63], 10, v72
	v_cndmask_b32_e64 v1, v32, v4, s[8:9]
	v_cndmask_b32_e64 v0, v0, v3, s[18:19]
	v_cndmask_b32_e64 v54, v54, v38, s[62:63]
	v_cmp_eq_u32_e64 s[66:67], 11, v72
	v_cndmask_b32_e64 v1, v1, v18, s[14:15]
	v_cndmask_b32_e64 v0, v0, v57, s[28:29]
	v_cndmask_b32_e64 v54, v54, v37, s[66:67]
	;; [unrolled: 4-line block ×6, first 2 shown]
	v_cndmask_b32_e64 v1, v1, v23, s[46:47]
	v_cndmask_b32_e64 v0, v0, v9, s[68:69]
	ds_bpermute_b32 v54, v82, v54
	v_cndmask_b32_e64 v1, v1, v24, s[44:45]
	v_cndmask_b32_e64 v0, v0, v10, s[76:77]
	;; [unrolled: 1-line block ×10, first 2 shown]
	v_cmp_eq_u32_e64 s[34:35], 0, v72
	s_waitcnt lgkmcnt(0)
	v_cndmask_b32_e32 v47, v47, v54, vcc
	v_cndmask_b32_e64 v1, v1, v29, s[64:65]
	v_cndmask_b32_e64 v0, v0, v15, s[88:89]
	;; [unrolled: 1-line block ×3, first 2 shown]
	v_cmp_eq_u32_e64 s[16:17], 1, v73
	v_cndmask_b32_e64 v46, v46, v54, s[6:7]
	v_cndmask_b32_e64 v1, v1, v30, s[84:85]
	ds_bpermute_b32 v60, v82, v0
	v_cndmask_b32_e64 v0, v17, v47, s[16:17]
	v_cmp_eq_u32_e64 s[20:21], 2, v73
	v_cndmask_b32_e64 v45, v45, v54, s[10:11]
	v_cndmask_b32_e64 v1, v1, v31, s[88:89]
	;; [unrolled: 1-line block ×3, first 2 shown]
	v_cmp_eq_u32_e64 s[22:23], 3, v73
	v_cndmask_b32_e64 v44, v44, v54, s[12:13]
	ds_bpermute_b32 v59, v82, v1
	v_cndmask_b32_e64 v0, v0, v45, s[22:23]
	v_cmp_eq_u32_e64 s[24:25], 4, v73
	v_cndmask_b32_e64 v43, v43, v54, s[42:43]
	v_cmp_eq_u32_e64 s[26:27], 5, v73
	v_cndmask_b32_e64 v0, v0, v44, s[24:25]
	v_cndmask_b32_e64 v42, v42, v54, s[50:51]
	;; [unrolled: 1-line block ×3, first 2 shown]
	v_cmp_eq_u32_e64 s[30:31], 6, v73
	v_cndmask_b32_e64 v41, v41, v54, s[52:53]
	v_cmp_eq_u32_e64 s[36:37], 7, v73
	v_cndmask_b32_e64 v0, v0, v42, s[30:31]
	v_cndmask_b32_e64 v40, v40, v54, s[54:55]
	;; [unrolled: 1-line block ×3, first 2 shown]
	v_cmp_eq_u32_e64 s[38:39], 8, v73
	v_cndmask_b32_e64 v39, v39, v54, s[56:57]
	s_waitcnt lgkmcnt(0)
	v_cndmask_b32_e64 v24, v24, v59, s[44:45]
	v_cndmask_b32_e64 v0, v0, v40, s[38:39]
	v_cndmask_b32_e64 v8, v8, v60, s[44:45]
	v_cmp_eq_u32_e64 s[44:45], 9, v73
	v_cndmask_b32_e64 v38, v38, v54, s[62:63]
	v_cndmask_b32_e64 v23, v23, v59, s[46:47]
	v_cndmask_b32_e64 v0, v0, v39, s[44:45]
	v_cndmask_b32_e64 v7, v7, v60, s[46:47]
	v_cmp_eq_u32_e64 s[46:47], 10, v73
	v_cndmask_b32_e64 v37, v37, v54, s[66:67]
	;; [unrolled: 5-line block ×3, first 2 shown]
	v_cndmask_b32_e64 v34, v34, v54, s[74:75]
	v_cndmask_b32_e64 v35, v35, v54, s[72:73]
	v_cndmask_b32_e64 v36, v36, v54, s[70:71]
	v_cndmask_b32_e64 v0, v0, v37, s[48:49]
	v_cndmask_b32_e64 v21, v21, v59, s[40:41]
	v_cndmask_b32_e64 v54, v55, v60, s[40:41]
	v_cmp_eq_u32_e64 s[40:41], 12, v73
	v_cndmask_b32_e64 v20, v20, v59, s[28:29]
	v_cndmask_b32_e64 v55, v57, v60, s[28:29]
	v_cndmask_b32_e64 v0, v0, v36, s[40:41]
	v_cmp_eq_u32_e64 s[28:29], 13, v73
	v_cndmask_b32_e64 v27, v27, v59, s[58:59]
	v_cndmask_b32_e64 v11, v11, v60, s[58:59]
	v_cndmask_b32_e64 v0, v0, v35, s[28:29]
	;; [unrolled: 4-line block ×4, first 2 shown]
	ds_bpermute_b32 v57, v82, v0
	v_cndmask_b32_e64 v32, v32, v59, s[60:61]
	v_cndmask_b32_e64 v18, v18, v59, s[14:15]
	;; [unrolled: 1-line block ×4, first 2 shown]
	s_waitcnt lgkmcnt(0)
	v_cndmask_b32_e64 v1, v43, v57, s[26:27]
	v_cndmask_b32_e64 v3, v45, v57, s[22:23]
	;; [unrolled: 1-line block ×5, first 2 shown]
	v_cndmask_b32_e32 v44, v32, v4, vcc
	v_cndmask_b32_e32 v5, v45, v43, vcc
	v_cndmask_b32_e64 v44, v44, v18, s[6:7]
	v_cndmask_b32_e64 v5, v5, v84, s[6:7]
	;; [unrolled: 1-line block ×38, first 2 shown]
	v_cmp_eq_u32_e64 s[76:77], 0, v73
	v_cndmask_b32_e64 v16, v46, v57, s[20:21]
	v_cndmask_b32_e64 v0, v47, v57, s[16:17]
	ds_bpermute_b32 v44, v82, v44
	ds_bpermute_b32 v46, v82, v5
	v_cndmask_b32_e64 v47, v17, v57, s[76:77]
	v_cmp_eq_u32_e64 s[8:9], 1, v74
	v_cmp_eq_u32_e64 s[14:15], 2, v74
	v_cmp_eq_u32_e64 s[18:19], 3, v74
	v_cndmask_b32_e64 v5, v47, v0, s[8:9]
	v_cndmask_b32_e64 v5, v5, v16, s[14:15]
	;; [unrolled: 1-line block ×3, first 2 shown]
	v_cmp_eq_u32_e64 s[60:61], 4, v74
	v_cmp_eq_u32_e64 s[68:69], 5, v74
	v_cndmask_b32_e64 v42, v42, v57, s[30:31]
	v_cndmask_b32_e64 v5, v5, v2, s[60:61]
	;; [unrolled: 1-line block ×3, first 2 shown]
	s_waitcnt lgkmcnt(1)
	v_cndmask_b32_e64 v27, v27, v44, s[66:67]
	s_waitcnt lgkmcnt(0)
	v_cndmask_b32_e64 v60, v11, v46, s[66:67]
	v_cmp_eq_u32_e64 s[66:67], 6, v74
	v_cndmask_b32_e32 v91, v4, v44, vcc
	v_cndmask_b32_e64 v32, v32, v44, s[34:35]
	v_cndmask_b32_e64 v41, v41, v57, s[36:37]
	v_cndmask_b32_e64 v5, v5, v42, s[66:67]
	v_cndmask_b32_e64 v26, v26, v44, s[62:63]
	v_cndmask_b32_e64 v85, v10, v46, s[62:63]
	v_cmp_eq_u32_e64 s[62:63], 7, v74
	v_cndmask_b32_e64 v18, v18, v44, s[6:7]
	v_cndmask_b32_e64 v4, v32, v91, s[16:17]
	v_cndmask_b32_e64 v40, v40, v57, s[38:39]
	v_cndmask_b32_e64 v5, v5, v41, s[62:63]
	v_cndmask_b32_e64 v25, v25, v44, s[56:57]
	v_cndmask_b32_e64 v86, v9, v46, s[56:57]
	v_cmp_eq_u32_e64 s[56:57], 8, v74
	v_cndmask_b32_e64 v19, v19, v44, s[10:11]
	;; [unrolled: 7-line block ×5, first 2 shown]
	v_cndmask_b32_e64 v36, v36, v57, s[40:41]
	v_cndmask_b32_e64 v5, v5, v37, s[50:51]
	v_cndmask_b32_e64 v54, v54, v46, s[42:43]
	v_cmp_eq_u32_e64 s[42:43], 12, v74
	v_cndmask_b32_e64 v4, v4, v22, s[30:31]
	v_cndmask_b32_e64 v35, v35, v57, s[28:29]
	v_cndmask_b32_e64 v5, v5, v36, s[42:43]
	v_cndmask_b32_e64 v55, v55, v46, s[12:13]
	v_cmp_eq_u32_e64 s[12:13], 13, v74
	v_cndmask_b32_e64 v4, v4, v23, s[36:37]
	;; [unrolled: 5-line block ×4, first 2 shown]
	v_cndmask_b32_e64 v4, v4, v26, s[46:47]
	v_cndmask_b32_e64 v5, v5, v33, s[6:7]
	;; [unrolled: 1-line block ×3, first 2 shown]
	ds_bpermute_b32 v90, v82, v5
	v_cndmask_b32_e64 v4, v4, v27, s[48:49]
	v_cndmask_b32_e64 v29, v29, v44, s[72:73]
	;; [unrolled: 1-line block ×9, first 2 shown]
	s_waitcnt lgkmcnt(0)
	v_cndmask_b32_e64 v15, v33, v90, s[6:7]
	ds_bpermute_b32 v33, v82, v4
	v_cndmask_b32_e64 v57, v14, v46, s[74:75]
	v_cndmask_b32_e64 v14, v34, v90, s[10:11]
	;; [unrolled: 1-line block ×4, first 2 shown]
	s_waitcnt lgkmcnt(0)
	v_cndmask_b32_e64 v34, v91, v33, s[16:17]
	v_cndmask_b32_e64 v32, v32, v33, s[76:77]
	;; [unrolled: 1-line block ×32, first 2 shown]
	ds_bpermute_b32 v33, v82, v1
	v_cndmask_b32_e64 v58, v13, v46, s[72:73]
	v_cndmask_b32_e32 v43, v43, v46, vcc
	v_cndmask_b32_e64 v13, v35, v90, s[12:13]
	v_cndmask_b32_e64 v35, v45, v46, s[34:35]
	s_waitcnt lgkmcnt(0)
	v_cndmask_b32_e64 v31, v16, v33, s[6:7]
	v_cndmask_b32_e64 v16, v35, v43, s[16:17]
	;; [unrolled: 1-line block ×17, first 2 shown]
	ds_bpermute_b32 v16, v82, v16
	v_cndmask_b32_e64 v11, v37, v90, s[50:51]
	v_cndmask_b32_e64 v7, v41, v90, s[62:63]
	;; [unrolled: 1-line block ×4, first 2 shown]
	s_waitcnt lgkmcnt(0)
	v_cndmask_b32_e64 v37, v57, v16, s[58:59]
	v_cndmask_b32_e64 v41, v85, v16, s[46:47]
	;; [unrolled: 1-line block ×33, first 2 shown]
	ds_bpermute_b32 v87, v82, v16
	v_cmp_eq_u32_e32 vcc, 0, v74
	v_cndmask_b32_e64 v1, v0, v90, s[8:9]
	v_readlane_b32 s24, v92, 10
	v_cndmask_b32_e32 v0, v47, v90, vcc
	s_waitcnt lgkmcnt(0)
	v_cndmask_b32_e64 v47, v36, v87, s[6:7]
	v_readlane_b32 s6, v92, 29
	v_readlane_b32 s7, v92, 30
	;; [unrolled: 1-line block ×4, first 2 shown]
	v_subrev_u32_e32 v83, s4, v83
	s_mov_b32 s1, 0
	v_cndmask_b32_e64 v6, v42, v90, s[66:67]
	v_cndmask_b32_e64 v3, v3, v90, s[18:19]
	;; [unrolled: 1-line block ×16, first 2 shown]
	v_cndmask_b32_e32 v16, v32, v33, vcc
	v_cndmask_b32_e64 v46, v37, v87, s[10:11]
	v_cndmask_b32_e64 v45, v38, v87, s[12:13]
	;; [unrolled: 1-line block ×14, first 2 shown]
	v_cndmask_b32_e32 v32, v86, v87, vcc
	v_lshl_add_u64 v[54:55], s[6:7], 0, v[48:49]
	s_mov_b64 s[6:7], 0
	s_mov_b32 s16, 0
	v_readlane_b32 s25, v92, 11
	v_readlane_b32 s27, v92, 13
	;; [unrolled: 1-line block ×10, first 2 shown]
	s_mov_b64 s[20:21], 0x80
                                        ; implicit-def: $sgpr8_sgpr9
	s_branch .LBB197_29
.LBB197_27:                             ;   in Loop: Header=BB197_29 Depth=2
	s_or_b64 exec, exec, s[12:13]
	s_andn2_b64 s[8:9], s[8:9], exec
	s_and_b64 s[12:13], s[14:15], exec
	s_or_b64 s[8:9], s[8:9], s[12:13]
.LBB197_28:                             ;   in Loop: Header=BB197_29 Depth=2
	s_or_b64 exec, exec, s[10:11]
	s_and_b64 s[10:11], exec, s[8:9]
	s_or_b64 s[6:7], s[10:11], s[6:7]
	s_andn2_b64 exec, exec, s[6:7]
	s_cbranch_execz .LBB197_32
.LBB197_29:                             ;   Parent Loop BB197_7 Depth=1
                                        ; =>  This Inner Loop Header: Depth=2
	s_and_b32 s12, s1, 24
	v_or_b32_e32 v57, s12, v80
	v_add_u32_e32 v58, s5, v57
	v_cmp_gt_u32_e32 vcc, 32, v58
	s_or_b64 s[8:9], s[8:9], exec
	s_and_saveexec_b64 s[10:11], vcc
	s_cbranch_execz .LBB197_28
; %bb.30:                               ;   in Loop: Header=BB197_29 Depth=2
	s_add_i32 s13, s16, 1
	s_set_gpr_idx_on s16, gpr_idx(SRC0)
	v_mov_b32_e32 v58, v0
	s_set_gpr_idx_off
	v_cvt_f16_f32_e32 v60, v58
	s_set_gpr_idx_on s13, gpr_idx(SRC0)
	v_mov_b32_e32 v58, v0
	s_set_gpr_idx_off
	v_cvt_f16_f32_sdwa v61, v58 dst_sel:WORD_1 dst_unused:UNUSED_PAD src0_sel:DWORD
	v_mul_lo_u32 v58, v57, s93
	v_ashrrev_i32_e32 v59, 31, v58
	v_lshl_add_u64 v[58:59], v[58:59], 1, v[54:55]
	v_or_b32_e32 v57, v61, v60
	;;#ASMSTART
	global_atomic_pk_add_f16 v[58:59], v57, off
	
	;;#ASMEND
	s_set_gpr_idx_on s16, gpr_idx(SRC0)
	v_mov_b32_e32 v57, v16
	s_set_gpr_idx_off
	v_cvt_f16_f32_e32 v57, v57
	s_set_gpr_idx_on s13, gpr_idx(SRC0)
	v_mov_b32_e32 v60, v16
	s_set_gpr_idx_off
	v_cvt_f16_f32_sdwa v84, v60 dst_sel:WORD_1 dst_unused:UNUSED_PAD src0_sel:DWORD
	v_lshl_add_u64 v[60:61], v[58:59], 0, 64
	v_lshl_add_u64 v[58:59], v[58:59], 0, s[20:21]
	s_mov_b64 s[14:15], -1
	v_or_b32_e32 v57, v84, v57
	;;#ASMSTART
	global_atomic_pk_add_f16 v[60:61], v57, off
	
	;;#ASMEND
	s_set_gpr_idx_on s16, gpr_idx(SRC0)
	v_mov_b32_e32 v57, v32
	s_set_gpr_idx_off
	v_cvt_f16_f32_e32 v57, v57
	s_set_gpr_idx_on s13, gpr_idx(SRC0)
	v_mov_b32_e32 v60, v32
	s_set_gpr_idx_off
	v_cvt_f16_f32_sdwa v60, v60 dst_sel:WORD_1 dst_unused:UNUSED_PAD src0_sel:DWORD
	s_nop 0
	v_or_b32_e32 v57, v60, v57
	;;#ASMSTART
	global_atomic_pk_add_f16 v[58:59], v57, off
	
	;;#ASMEND
	v_or_b32_e32 v57, s12, v81
	v_add_u32_e32 v58, s5, v57
	v_cmp_gt_u32_e32 vcc, 32, v58
	s_and_saveexec_b64 s[12:13], vcc
	s_cbranch_execz .LBB197_27
; %bb.31:                               ;   in Loop: Header=BB197_29 Depth=2
	s_add_i32 s14, s16, 2
	s_add_i32 s15, s16, 3
	s_set_gpr_idx_on s14, gpr_idx(SRC0)
	v_mov_b32_e32 v58, v0
	s_set_gpr_idx_off
	v_cvt_f16_f32_e32 v60, v58
	s_set_gpr_idx_on s15, gpr_idx(SRC0)
	v_mov_b32_e32 v58, v0
	s_set_gpr_idx_off
	v_cvt_f16_f32_sdwa v61, v58 dst_sel:WORD_1 dst_unused:UNUSED_PAD src0_sel:DWORD
	v_mul_lo_u32 v58, v57, s93
	v_ashrrev_i32_e32 v59, 31, v58
	v_lshl_add_u64 v[58:59], v[58:59], 1, v[54:55]
	v_or_b32_e32 v57, v61, v60
	;;#ASMSTART
	global_atomic_pk_add_f16 v[58:59], v57, off
	
	;;#ASMEND
	s_set_gpr_idx_on s14, gpr_idx(SRC0)
	v_mov_b32_e32 v57, v16
	s_set_gpr_idx_off
	v_cvt_f16_f32_e32 v57, v57
	s_set_gpr_idx_on s15, gpr_idx(SRC0)
	v_mov_b32_e32 v60, v16
	s_set_gpr_idx_off
	v_cvt_f16_f32_sdwa v84, v60 dst_sel:WORD_1 dst_unused:UNUSED_PAD src0_sel:DWORD
	v_lshl_add_u64 v[60:61], v[58:59], 0, 64
	s_add_i32 s16, s16, 4
	s_add_i32 s1, s1, 8
	v_or_b32_e32 v57, v84, v57
	;;#ASMSTART
	global_atomic_pk_add_f16 v[60:61], v57, off
	
	;;#ASMEND
	s_set_gpr_idx_on s14, gpr_idx(SRC0)
	v_mov_b32_e32 v57, v32
	s_set_gpr_idx_off
	v_cvt_f16_f32_e32 v57, v57
	s_set_gpr_idx_on s15, gpr_idx(SRC0)
	v_mov_b32_e32 v60, v32
	s_set_gpr_idx_off
	v_cvt_f16_f32_sdwa v60, v60 dst_sel:WORD_1 dst_unused:UNUSED_PAD src0_sel:DWORD
	s_cmp_eq_u32 s16, 16
	s_cselect_b64 s[14:15], -1, 0
	s_orn2_b64 s[14:15], s[14:15], exec
	v_lshl_add_u64 v[58:59], v[58:59], 0, s[20:21]
	v_or_b32_e32 v57, v60, v57
	;;#ASMSTART
	global_atomic_pk_add_f16 v[58:59], v57, off
	
	;;#ASMEND
	s_branch .LBB197_27
.LBB197_32:                             ;   in Loop: Header=BB197_7 Depth=1
	s_or_b64 exec, exec, s[6:7]
	v_readlane_b32 s16, v92, 2
	v_readlane_b32 s14, v92, 0
	;; [unrolled: 1-line block ×11, first 2 shown]
.LBB197_33:                             ;   in Loop: Header=BB197_7 Depth=1
	v_readlane_b32 s6, v92, 26
	v_readlane_b32 s7, v92, 27
	s_or_b64 exec, exec, s[6:7]
.LBB197_34:                             ;   in Loop: Header=BB197_7 Depth=1
	s_or_saveexec_b64 s[2:3], s[2:3]
	v_readlane_b32 s13, v92, 25
	s_xor_b64 exec, exec, s[2:3]
	s_cbranch_execz .LBB197_43
; %bb.35:                               ;   in Loop: Header=BB197_7 Depth=1
	s_mul_i32 s12, s4, 3
	v_cmp_gt_i32_e32 vcc, s12, v83
	s_and_saveexec_b64 s[6:7], vcc
	s_cbranch_execz .LBB197_42
; %bb.36:                               ;   in Loop: Header=BB197_7 Depth=1
	s_mul_i32 s0, s0, s95
	s_ashr_i32 s1, s0, 31
	s_add_u32 s0, s18, s0
	s_addc_u32 s1, s19, s1
	s_ashr_i32 s8, s13, 31
	s_add_u32 s0, s0, s13
	s_addc_u32 s1, s1, s8
	v_lshl_add_u64 v[0:1], s[0:1], 0, v[52:53]
	v_lshl_add_u64 v[8:9], v[0:1], 0, v[50:51]
	s_mov_b64 s[0:1], 0
	s_branch .LBB197_38
.LBB197_37:                             ;   in Loop: Header=BB197_38 Depth=2
	s_or_b64 exec, exec, s[8:9]
	v_lshl_or_b32 v12, v10, 11, v77
	;;#ASMSTART
	s_waitcnt vmcnt(1)
	;;#ASMEND
	ds_write2_b32 v12, v4, v5 offset1:32
	ds_write2_b32 v12, v6, v7 offset0:64 offset1:96
	v_add_u32_e32 v4, 0x400, v12
	v_add_u32_e32 v83, s98, v83
	;;#ASMSTART
	s_waitcnt vmcnt(0)
	;;#ASMEND
	ds_write2_b32 v4, v0, v1 offset1:32
	ds_write2_b32 v4, v2, v3 offset0:64 offset1:96
	v_add_u32_e32 v0, 1, v63
	v_add_u32_e32 v56, s98, v10
	v_cmp_le_i32_e32 vcc, s12, v83
	ds_write_b32 v11, v0 offset:32
	v_add_u32_e32 v0, 2, v63
	s_or_b64 s[0:1], vcc, s[0:1]
	v_cmp_lt_i32_e32 vcc, 11, v56
	s_nop 1
	v_cndmask_b32_e32 v63, v63, v0, vcc
	s_andn2_b64 exec, exec, s[0:1]
	s_cbranch_execz .LBB197_41
.LBB197_38:                             ;   Parent Loop BB197_7 Depth=1
                                        ; =>  This Loop Header: Depth=2
                                        ;       Child Loop BB197_40 Depth 3
	v_cmp_gt_i32_e32 vcc, 12, v56
	s_mov_b32 s8, 0x55555556
	s_nop 0
	v_cndmask_b32_e64 v0, -12, 0, vcc
	v_add_u32_e32 v10, v0, v56
	v_mul_hi_i32 v0, v83, s8
	v_lshrrev_b32_e32 v1, 31, v0
	v_add_u32_e32 v0, v0, v1
	v_lshl_add_u32 v1, v0, 1, v0
	v_sub_u32_e32 v2, v83, v1
	v_lshlrev_b32_e32 v0, 6, v0
	v_ashrrev_i32_e32 v1, 31, v0
	v_mul_lo_u32 v2, s91, v2
	v_lshl_add_u64 v[0:1], v[8:9], 0, v[0:1]
	v_ashrrev_i32_e32 v3, 31, v2
	v_lshl_add_u64 v[0:1], v[0:1], 0, v[2:3]
	v_lshlrev_b32_e32 v11, 2, v10
	;;#ASMSTART
	global_load_dwordx4 v[4:7], v[0:1], off offset:0   sc0 sc1 nt  
	global_load_dwordx4 v[0:3], v[0:1], off offset:32  sc0 sc1 nt  
	
	;;#ASMEND
	ds_read_b32 v12, v11 offset:40992
	v_add_u32_e32 v11, 0xa000, v11
	s_waitcnt lgkmcnt(0)
	v_cmp_ne_u32_e32 vcc, v12, v63
	s_and_saveexec_b64 s[8:9], vcc
	s_cbranch_execz .LBB197_37
; %bb.39:                               ;   in Loop: Header=BB197_38 Depth=2
	s_mov_b64 s[10:11], 0
.LBB197_40:                             ;   Parent Loop BB197_7 Depth=1
                                        ;     Parent Loop BB197_38 Depth=2
                                        ; =>    This Inner Loop Header: Depth=3
	;;#ASMSTART
	s_sleep 0
	;;#ASMEND
	ds_read_b32 v12, v11 offset:32
	s_waitcnt lgkmcnt(0)
	v_cmp_eq_u32_e32 vcc, v12, v63
	s_or_b64 s[10:11], vcc, s[10:11]
	s_andn2_b64 exec, exec, s[10:11]
	s_cbranch_execnz .LBB197_40
	s_branch .LBB197_37
.LBB197_41:                             ;   in Loop: Header=BB197_7 Depth=1
	s_or_b64 exec, exec, s[0:1]
.LBB197_42:                             ;   in Loop: Header=BB197_7 Depth=1
	s_or_b64 exec, exec, s[6:7]
	v_subrev_u32_e32 v83, s12, v83
.LBB197_43:                             ;   in Loop: Header=BB197_7 Depth=1
	s_or_b64 exec, exec, s[2:3]
.LBB197_44:                             ;   in Loop: Header=BB197_7 Depth=1
	v_readlane_b32 s0, v92, 23
	v_readlane_b32 s1, v92, 24
	s_andn2_saveexec_b64 s[0:1], s[0:1]
	s_cbranch_execz .LBB197_6
; %bb.45:                               ;   in Loop: Header=BB197_7 Depth=1
	s_lshl_b32 s10, s4, 1
	v_cmp_gt_i32_e32 vcc, s10, v83
	s_and_saveexec_b64 s[2:3], vcc
	s_cbranch_execz .LBB197_5
; %bb.46:                               ;   in Loop: Header=BB197_7 Depth=1
	s_mul_i32 s4, s39, s94
	s_ashr_i32 s6, s4, 31
	s_add_u32 s4, s16, s4
	v_add_u32_e32 v2, s5, v64
	s_addc_u32 s7, s17, s6
	s_ashr_i32 s8, s13, 31
	v_cmp_gt_u32_e32 vcc, 64, v2
	s_add_u32 s6, s4, s13
	s_addc_u32 s7, s7, s8
	v_cndmask_b32_e32 v0, 0, v78, vcc
	v_ashrrev_i32_e32 v1, 31, v0
	v_lshl_add_u64 v[0:1], s[6:7], 0, v[0:1]
	v_lshl_add_u64 v[8:9], v[0:1], 0, v[50:51]
	v_sub_u32_e32 v10, 63, v2
	s_mov_b64 s[4:5], 0
	s_branch .LBB197_48
.LBB197_47:                             ;   in Loop: Header=BB197_48 Depth=2
	s_or_b64 exec, exec, s[6:7]
	v_lshl_add_u32 v13, v11, 11, v79
	;;#ASMSTART
	s_waitcnt vmcnt(1)
	;;#ASMEND
	ds_write2_b32 v13, v4, v5 offset1:32
	ds_write2_b32 v13, v6, v7 offset0:64 offset1:96
	v_add_u32_e32 v4, 0x400, v13
	v_add_u32_e32 v83, s97, v83
	;;#ASMSTART
	s_waitcnt vmcnt(0)
	;;#ASMEND
	ds_write2_b32 v4, v0, v1 offset1:32
	ds_write2_b32 v4, v2, v3 offset0:64 offset1:96
	v_add_u32_e32 v0, 1, v63
	v_add_u32_e32 v56, s97, v11
	v_cmp_le_i32_e32 vcc, s10, v83
	ds_write_b32 v12, v0
	v_add_u32_e32 v0, 2, v63
	s_or_b64 s[4:5], vcc, s[4:5]
	v_cmp_lt_i32_e32 vcc, 7, v56
	s_nop 1
	v_cndmask_b32_e32 v63, v63, v0, vcc
	s_andn2_b64 exec, exec, s[4:5]
	s_cbranch_execz .LBB197_4
.LBB197_48:                             ;   Parent Loop BB197_7 Depth=1
                                        ; =>  This Loop Header: Depth=2
                                        ;       Child Loop BB197_50 Depth 3
	v_cmp_gt_i32_e32 vcc, 8, v56
	s_nop 1
	v_cndmask_b32_e64 v0, -8, 0, vcc
	v_add_u32_e32 v11, v0, v56
	v_lshrrev_b32_e32 v0, 31, v83
	v_add_u32_e32 v0, v83, v0
	v_and_b32_e32 v1, 0x7fffffe, v0
	v_sub_u32_e32 v1, v83, v1
	v_lshlrev_b32_e32 v1, 5, v1
	v_cmp_le_i32_e32 vcc, v1, v10
	v_lshlrev_b32_e32 v0, 5, v0
	v_and_b32_e32 v0, 0xffffffc0, v0
	v_cndmask_b32_e32 v2, 0, v1, vcc
	v_ashrrev_i32_e32 v1, 31, v0
	v_mul_lo_u32 v2, v2, s94
	v_lshl_add_u64 v[0:1], v[8:9], 0, v[0:1]
	v_ashrrev_i32_e32 v3, 31, v2
	v_lshl_add_u64 v[0:1], v[0:1], 0, v[2:3]
	v_lshlrev_b32_e32 v12, 2, v11
	;;#ASMSTART
	global_load_dwordx4 v[4:7], v[0:1], off offset:0   
	global_load_dwordx4 v[0:3], v[0:1], off offset:32  
	
	;;#ASMEND
	ds_read_b32 v13, v12 offset:40960
	v_add_u32_e32 v12, 0xa000, v12
	s_waitcnt lgkmcnt(0)
	v_cmp_ne_u32_e32 vcc, v13, v63
	s_and_saveexec_b64 s[6:7], vcc
	s_cbranch_execz .LBB197_47
; %bb.49:                               ;   in Loop: Header=BB197_48 Depth=2
	s_mov_b64 s[8:9], 0
.LBB197_50:                             ;   Parent Loop BB197_7 Depth=1
                                        ;     Parent Loop BB197_48 Depth=2
                                        ; =>    This Inner Loop Header: Depth=3
	;;#ASMSTART
	s_sleep 0
	;;#ASMEND
	ds_read_b32 v13, v12
	s_waitcnt lgkmcnt(0)
	v_cmp_eq_u32_e32 vcc, v13, v63
	s_or_b64 s[8:9], vcc, s[8:9]
	s_andn2_b64 exec, exec, s[8:9]
	s_cbranch_execnz .LBB197_50
	s_branch .LBB197_47
.LBB197_51:
	s_endpgm
	.section	.rodata,"a",@progbits
	.p2align	6, 0x0
	.amdhsa_kernel _Z19_skinny_gemm_kernelILi2ELi3ELi4ELi32ELi4EEvPKhS1_P6__halfPKfiiiiiiii
		.amdhsa_group_segment_fixed_size 41040
		.amdhsa_private_segment_fixed_size 0
		.amdhsa_kernarg_size 64
		.amdhsa_user_sgpr_count 2
		.amdhsa_user_sgpr_dispatch_ptr 0
		.amdhsa_user_sgpr_queue_ptr 0
		.amdhsa_user_sgpr_kernarg_segment_ptr 1
		.amdhsa_user_sgpr_dispatch_id 0
		.amdhsa_user_sgpr_kernarg_preload_length 0
		.amdhsa_user_sgpr_kernarg_preload_offset 0
		.amdhsa_user_sgpr_private_segment_size 0
		.amdhsa_uses_dynamic_stack 0
		.amdhsa_enable_private_segment 0
		.amdhsa_system_sgpr_workgroup_id_x 1
		.amdhsa_system_sgpr_workgroup_id_y 0
		.amdhsa_system_sgpr_workgroup_id_z 0
		.amdhsa_system_sgpr_workgroup_info 0
		.amdhsa_system_vgpr_workitem_id 0
		.amdhsa_next_free_vgpr 93
		.amdhsa_next_free_sgpr 100
		.amdhsa_accum_offset 96
		.amdhsa_reserve_vcc 1
		.amdhsa_float_round_mode_32 0
		.amdhsa_float_round_mode_16_64 0
		.amdhsa_float_denorm_mode_32 3
		.amdhsa_float_denorm_mode_16_64 3
		.amdhsa_dx10_clamp 1
		.amdhsa_ieee_mode 1
		.amdhsa_fp16_overflow 0
		.amdhsa_tg_split 0
		.amdhsa_exception_fp_ieee_invalid_op 0
		.amdhsa_exception_fp_denorm_src 0
		.amdhsa_exception_fp_ieee_div_zero 0
		.amdhsa_exception_fp_ieee_overflow 0
		.amdhsa_exception_fp_ieee_underflow 0
		.amdhsa_exception_fp_ieee_inexact 0
		.amdhsa_exception_int_div_zero 0
	.end_amdhsa_kernel
	.section	.text._Z19_skinny_gemm_kernelILi2ELi3ELi4ELi32ELi4EEvPKhS1_P6__halfPKfiiiiiiii,"axG",@progbits,_Z19_skinny_gemm_kernelILi2ELi3ELi4ELi32ELi4EEvPKhS1_P6__halfPKfiiiiiiii,comdat
.Lfunc_end197:
	.size	_Z19_skinny_gemm_kernelILi2ELi3ELi4ELi32ELi4EEvPKhS1_P6__halfPKfiiiiiiii, .Lfunc_end197-_Z19_skinny_gemm_kernelILi2ELi3ELi4ELi32ELi4EEvPKhS1_P6__halfPKfiiiiiiii
                                        ; -- End function
	.set _Z19_skinny_gemm_kernelILi2ELi3ELi4ELi32ELi4EEvPKhS1_P6__halfPKfiiiiiiii.num_vgpr, 93
	.set _Z19_skinny_gemm_kernelILi2ELi3ELi4ELi32ELi4EEvPKhS1_P6__halfPKfiiiiiiii.num_agpr, 0
	.set _Z19_skinny_gemm_kernelILi2ELi3ELi4ELi32ELi4EEvPKhS1_P6__halfPKfiiiiiiii.numbered_sgpr, 100
	.set _Z19_skinny_gemm_kernelILi2ELi3ELi4ELi32ELi4EEvPKhS1_P6__halfPKfiiiiiiii.num_named_barrier, 0
	.set _Z19_skinny_gemm_kernelILi2ELi3ELi4ELi32ELi4EEvPKhS1_P6__halfPKfiiiiiiii.private_seg_size, 0
	.set _Z19_skinny_gemm_kernelILi2ELi3ELi4ELi32ELi4EEvPKhS1_P6__halfPKfiiiiiiii.uses_vcc, 1
	.set _Z19_skinny_gemm_kernelILi2ELi3ELi4ELi32ELi4EEvPKhS1_P6__halfPKfiiiiiiii.uses_flat_scratch, 0
	.set _Z19_skinny_gemm_kernelILi2ELi3ELi4ELi32ELi4EEvPKhS1_P6__halfPKfiiiiiiii.has_dyn_sized_stack, 0
	.set _Z19_skinny_gemm_kernelILi2ELi3ELi4ELi32ELi4EEvPKhS1_P6__halfPKfiiiiiiii.has_recursion, 0
	.set _Z19_skinny_gemm_kernelILi2ELi3ELi4ELi32ELi4EEvPKhS1_P6__halfPKfiiiiiiii.has_indirect_call, 0
	.section	.AMDGPU.csdata,"",@progbits
; Kernel info:
; codeLenInByte = 11612
; TotalNumSgprs: 106
; NumVgprs: 93
; NumAgprs: 0
; TotalNumVgprs: 93
; ScratchSize: 0
; MemoryBound: 0
; FloatMode: 240
; IeeeMode: 1
; LDSByteSize: 41040 bytes/workgroup (compile time only)
; SGPRBlocks: 13
; VGPRBlocks: 11
; NumSGPRsForWavesPerEU: 106
; NumVGPRsForWavesPerEU: 93
; AccumOffset: 96
; Occupancy: 5
; WaveLimiterHint : 0
; COMPUTE_PGM_RSRC2:SCRATCH_EN: 0
; COMPUTE_PGM_RSRC2:USER_SGPR: 2
; COMPUTE_PGM_RSRC2:TRAP_HANDLER: 0
; COMPUTE_PGM_RSRC2:TGID_X_EN: 1
; COMPUTE_PGM_RSRC2:TGID_Y_EN: 0
; COMPUTE_PGM_RSRC2:TGID_Z_EN: 0
; COMPUTE_PGM_RSRC2:TIDIG_COMP_CNT: 0
; COMPUTE_PGM_RSRC3_GFX90A:ACCUM_OFFSET: 23
; COMPUTE_PGM_RSRC3_GFX90A:TG_SPLIT: 0
	.section	.text._Z19_skinny_gemm_kernelILi2ELi3ELi5ELi16ELi4EEvPKhS1_P6__halfPKfiiiiiiii,"axG",@progbits,_Z19_skinny_gemm_kernelILi2ELi3ELi5ELi16ELi4EEvPKhS1_P6__halfPKfiiiiiiii,comdat
	.protected	_Z19_skinny_gemm_kernelILi2ELi3ELi5ELi16ELi4EEvPKhS1_P6__halfPKfiiiiiiii ; -- Begin function _Z19_skinny_gemm_kernelILi2ELi3ELi5ELi16ELi4EEvPKhS1_P6__halfPKfiiiiiiii
	.globl	_Z19_skinny_gemm_kernelILi2ELi3ELi5ELi16ELi4EEvPKhS1_P6__halfPKfiiiiiiii
	.p2align	8
	.type	_Z19_skinny_gemm_kernelILi2ELi3ELi5ELi16ELi4EEvPKhS1_P6__halfPKfiiiiiiii,@function
_Z19_skinny_gemm_kernelILi2ELi3ELi5ELi16ELi4EEvPKhS1_P6__halfPKfiiiiiiii: ; @_Z19_skinny_gemm_kernelILi2ELi3ELi5ELi16ELi4EEvPKhS1_P6__halfPKfiiiiiiii
; %bb.0:
	v_cmp_gt_u32_e32 vcc, 25, v0
	v_lshlrev_b32_e32 v1, 2, v0
	s_and_saveexec_b64 s[4:5], vcc
; %bb.1:
	v_mov_b32_e32 v2, 0
	ds_write_b32 v1, v2 offset:51200
; %bb.2:
	s_or_b64 exec, exec, s[4:5]
	s_load_dwordx8 s[20:27], s[0:1], 0x20
	s_waitcnt lgkmcnt(0)
	s_barrier
	s_add_i32 s3, s20, 31
	s_ashr_i32 s5, s3, 31
	s_add_i32 s4, s21, 47
	s_lshr_b32 s5, s5, 27
	s_mul_hi_i32 s4, s4, 0x2aaaaaab
	s_add_i32 s3, s3, s5
	s_ashr_i32 s33, s3, 5
	s_lshr_b32 s3, s4, 31
	s_ashr_i32 s50, s4, 3
	s_add_i32 s50, s50, s3
	s_mul_i32 s3, s50, s33
	s_mul_i32 s3, s3, s24
	s_add_i32 s4, s3, 0x12f
	s_mul_hi_i32 s4, s4, 0x6bca1af3
	s_lshr_b32 s5, s4, 31
	s_ashr_i32 s4, s4, 7
	s_add_i32 s4, s4, s5
	s_add_i32 s5, s2, 1
	s_mul_i32 s5, s4, s5
	v_cvt_f64_i32_e32 v[2:3], s3
	v_cvt_f64_u32_e32 v[4:5], s5
	v_min_f64 v[2:3], v[2:3], v[4:5]
	v_cvt_i32_f64_e32 v25, v[2:3]
	s_mul_i32 s51, s4, s2
	v_cmp_ge_i32_e32 vcc, s51, v25
	s_cbranch_vccnz .LBB198_53
; %bb.3:
	v_lshrrev_b32_e32 v2, 6, v0
	s_add_i32 s4, s26, s25
	s_load_dwordx8 s[36:43], s[0:1], 0x0
	v_cmp_le_i32_e64 s[0:1], s4, v2
	v_mov_b32_e32 v3, s25
	v_cmp_le_i32_e64 s[2:3], s25, v2
	v_mov_b32_e32 v4, s26
	v_cndmask_b32_e64 v4, 0, v4, s[0:1]
	v_cndmask_b32_e64 v3, 0, v3, s[2:3]
	s_abs_i32 s5, s24
	v_add_u32_e32 v3, v3, v4
	v_cvt_f32_u32_e32 v4, s5
	v_sub_u32_e32 v36, v2, v3
	s_ashr_i32 s6, s22, 31
	s_lshr_b32 s6, s6, 25
	v_rcp_iflag_f32_e32 v3, v4
	s_sub_i32 s9, 0, s5
	s_add_i32 s6, s22, s6
	s_ashr_i32 s6, s6, 7
	v_mul_f32_e32 v3, 0x4f7ffffe, v3
	v_cvt_u32_f32_e32 v3, v3
	s_abs_i32 s8, s6
	s_xor_b32 s7, s6, s24
	s_ashr_i32 s7, s7, 31
	v_readfirstlane_b32 s10, v3
	s_mul_i32 s9, s9, s10
	s_mul_hi_u32 s9, s10, s9
	s_add_i32 s10, s10, s9
	s_mul_hi_u32 s9, s8, s10
	s_mul_i32 s10, s9, s5
	s_sub_i32 s8, s8, s10
	s_add_i32 s10, s9, 1
	s_sub_i32 s11, s8, s5
	s_cmp_ge_u32 s8, s5
	s_cselect_b32 s9, s10, s9
	s_cselect_b32 s8, s11, s8
	s_add_i32 s10, s9, 1
	s_cmp_ge_u32 s8, s5
	s_cselect_b32 s5, s10, s9
	s_xor_b32 s5, s5, s7
	s_sub_i32 s52, s5, s7
	s_add_i32 s24, s24, -1
	s_mul_i32 s5, s52, s24
	s_add_i32 s4, s4, s27
	s_sub_i32 s53, s6, s5
	v_cmp_gt_i32_e64 s[4:5], s4, v2
	v_lshlrev_b32_e32 v2, 1, v0
	v_lshlrev_b32_e32 v3, 4, v0
	v_and_b32_e32 v1, 60, v1
	v_and_b32_e32 v2, 64, v2
	;; [unrolled: 1-line block ×3, first 2 shown]
	v_or3_b32 v57, v1, v2, v4
	v_and_b32_e32 v1, 1, v0
	v_lshrrev_b32_e32 v4, 2, v0
	s_abs_i32 s54, s33
	v_and_or_b32 v63, v4, 12, v1
	v_cvt_f32_u32_e32 v4, s54
	v_lshlrev_b32_e32 v2, 1, v1
	v_and_b32_e32 v24, 14, v0
	v_sub_u32_e32 v2, v0, v2
	v_bitop3_b32 v59, v0, 1, v0 bitop3:0xc
	v_bitop3_b32 v60, v0, 3, 1 bitop3:0x6c
	v_and_b32_e32 v30, 48, v3
	v_bfe_u32 v65, v0, 2, 4
	v_and_b32_e32 v1, 60, v0
	v_lshlrev_b32_e32 v3, 8, v0
	v_lshlrev_b32_e32 v0, 6, v0
	v_and_b32_e32 v3, 0x200, v3
	v_and_b32_e32 v0, 64, v0
	v_or3_b32 v66, v1, v3, v0
	v_rcp_iflag_f32_e32 v0, v4
	s_abs_i32 s56, s50
	v_cvt_f32_u32_e32 v1, s56
	v_mad_u64_u32 v[26:27], s[6:7], s21, v63, v[24:25]
	v_mul_f32_e32 v0, 0x4f7ffffe, v0
	v_cvt_u32_f32_e32 v0, v0
	v_rcp_iflag_f32_e32 v1, v1
	s_sub_i32 s6, 0, s54
	v_add_u32_e32 v2, 1, v2
	v_readfirstlane_b32 s7, v0
	v_mul_f32_e32 v0, 0x4f7ffffe, v1
	v_cvt_u32_f32_e32 v0, v0
	s_mul_i32 s6, s6, s7
	s_mul_hi_u32 s6, s7, s6
	s_add_i32 s58, s7, s6
	s_sub_i32 s6, 0, s56
	v_readfirstlane_b32 s7, v0
	v_mbcnt_lo_u32_b32 v0, -1, 0
	v_and_b32_e32 v2, 63, v2
	s_mul_i32 s6, s6, s7
	v_mbcnt_hi_u32_b32 v0, -1, v0
	v_lshl_add_u32 v28, s21, 4, v26
	v_mul_lo_u32 v32, s23, v65
	s_mul_hi_u32 s6, s7, s6
	v_and_or_b32 v0, v0, 64, v2
	v_cndmask_b32_e64 v56, 0, 1, s[0:1]
	v_or_b32_e32 v58, 0x7800, v57
	s_ashr_i32 s29, s21, 31
	s_mov_b32 s28, s21
	v_or_b32_e32 v61, 16, v24
	v_or_b32_e32 v62, 32, v24
	v_ashrrev_i32_e32 v27, 31, v26
	v_or_b32_e32 v64, 16, v63
	v_ashrrev_i32_e32 v29, 31, v28
	v_ashrrev_i32_e32 v33, 31, v32
	v_mov_b32_e32 v31, 0
	s_lshl_b32 s55, s23, 4
	v_mul_lo_u32 v67, s22, v65
	v_or_b32_e32 v68, 0x7800, v66
	s_ashr_i32 s57, s33, 31
	s_ashr_i32 s59, s50, 31
	s_add_i32 s60, s7, s6
	s_movk_i32 s61, 0x1800
	s_mov_b32 s62, 0x55555556
	v_lshlrev_b32_e32 v69, 2, v0
	v_mov_b32_e32 v70, v36
	s_branch .LBB198_7
.LBB198_4:                              ;   in Loop: Header=BB198_7 Depth=1
	s_or_b64 exec, exec, s[10:11]
.LBB198_5:                              ;   in Loop: Header=BB198_7 Depth=1
	s_or_b64 exec, exec, s[8:9]
	v_subrev_u32_e32 v70, s16, v70
.LBB198_6:                              ;   in Loop: Header=BB198_7 Depth=1
	s_or_b64 exec, exec, s[6:7]
	s_add_i32 s51, s51, 1
	v_cmp_ge_i32_e32 vcc, s51, v25
	s_cbranch_vccnz .LBB198_53
.LBB198_7:                              ; =>This Loop Header: Depth=1
                                        ;     Child Loop BB198_13 Depth 2
                                        ;       Child Loop BB198_15 Depth 3
                                        ;       Child Loop BB198_18 Depth 3
	;; [unrolled: 1-line block ×5, first 2 shown]
                                        ;     Child Loop BB198_40 Depth 2
                                        ;       Child Loop BB198_42 Depth 3
                                        ;     Child Loop BB198_50 Depth 2
                                        ;       Child Loop BB198_52 Depth 3
	s_abs_i32 s7, s51
	s_mul_hi_u32 s8, s7, s58
	s_mul_i32 s9, s8, s54
	s_ashr_i32 s6, s51, 31
	s_sub_i32 s7, s7, s9
	s_xor_b32 s6, s6, s57
	s_add_i32 s9, s8, 1
	s_sub_i32 s10, s7, s54
	s_cmp_ge_u32 s7, s54
	s_cselect_b32 s8, s9, s8
	s_cselect_b32 s7, s10, s7
	s_add_i32 s9, s8, 1
	s_cmp_ge_u32 s7, s54
	s_cselect_b32 s7, s9, s8
	s_xor_b32 s7, s7, s6
	s_sub_i32 s6, s7, s6
	s_abs_i32 s8, s6
	s_mul_i32 s7, s6, s33
	s_mul_hi_u32 s9, s8, s60
	s_sub_i32 s7, s51, s7
	s_mul_i32 s10, s9, s56
	s_lshl_b32 s63, s7, 5
	s_ashr_i32 s7, s6, 31
	s_sub_i32 s8, s8, s10
	s_xor_b32 s7, s7, s59
	s_add_i32 s10, s9, 1
	s_sub_i32 s11, s8, s56
	s_cmp_ge_u32 s8, s56
	s_cselect_b32 s9, s10, s9
	s_cselect_b32 s8, s11, s8
	s_add_i32 s10, s9, 1
	s_cmp_ge_u32 s8, s56
	s_cselect_b32 s8, s10, s9
	s_xor_b32 s8, s8, s7
	s_sub_i32 s7, s8, s7
	s_mul_i32 s8, s7, s52
	s_lshl_b32 s64, s8, 7
	s_cmp_eq_u32 s7, s24
	s_cselect_b32 s66, s53, s52
	s_sub_i32 s8, s63, s20
	s_add_i32 s8, s8, 32
	s_max_i32 s65, s8, 0
	s_and_saveexec_b64 s[8:9], s[2:3]
	s_xor_b64 s[30:31], exec, s[8:9]
	s_cbranch_execz .LBB198_46
; %bb.8:                                ;   in Loop: Header=BB198_7 Depth=1
	s_mul_i32 s7, s7, s50
	s_sub_i32 s6, s6, s7
	s_mul_i32 s6, s6, 48
	s_sub_i32 s18, s6, s21
	s_add_i32 s18, s18, 48
	s_max_i32 s7, s18, 0
	s_sub_i32 s34, s6, s7
	s_and_saveexec_b64 s[6:7], s[0:1]
	s_xor_b64 s[44:45], exec, s[6:7]
	s_cbranch_execz .LBB198_36
; %bb.9:                                ;   in Loop: Header=BB198_7 Depth=1
	s_and_saveexec_b64 s[46:47], s[4:5]
	s_cbranch_execz .LBB198_35
; %bb.10:                               ;   in Loop: Header=BB198_7 Depth=1
	s_waitcnt lgkmcnt(0)
	global_load_dword v71, v31, s[42:43]
	v_mov_b32_e32 v23, 0
	v_cmp_gt_i32_e32 vcc, s66, v70
	v_mov_b32_e32 v22, v23
	v_mov_b32_e32 v21, v23
	;; [unrolled: 1-line block ×23, first 2 shown]
	s_and_saveexec_b64 s[6:7], vcc
	s_cbranch_execz .LBB198_29
; %bb.11:                               ;   in Loop: Header=BB198_7 Depth=1
	v_mov_b32_e32 v0, 0
	s_mov_b64 s[8:9], 0
	v_mov_b32_e32 v1, v0
	v_mov_b32_e32 v2, v0
	;; [unrolled: 1-line block ×23, first 2 shown]
	s_branch .LBB198_13
.LBB198_12:                             ;   in Loop: Header=BB198_13 Depth=2
	s_or_b64 exec, exec, s[10:11]
	v_add_u32_e32 v51, 0x1000, v50
	ds_read2_b32 v[52:53], v51 offset1:32
	v_add_u32_e32 v54, 0x1400, v50
	v_add_u32_e32 v70, s27, v70
	s_waitcnt lgkmcnt(0)
	v_mfma_f32_16x16x32_fp8_fp8 v[12:15], v[34:35], v[52:53], v[12:15]
	ds_read2_b32 v[34:35], v51 offset0:128 offset1:160
	ds_read2_b32 v[50:51], v54 offset1:32
	v_mfma_f32_16x16x32_fp8_fp8 v[0:3], v[44:45], v[52:53], v[0:3]
	s_waitcnt lgkmcnt(1)
	v_mfma_f32_16x16x32_fp8_fp8 v[12:15], v[36:37], v[34:35], v[12:15]
	v_add_u32_e32 v36, s27, v72
	v_cmp_lt_i32_e32 vcc, 4, v36
	v_mfma_f32_16x16x32_fp8_fp8 v[0:3], v[46:47], v[34:35], v[0:3]
	v_add_u32_e32 v34, 2, v56
	v_cndmask_b32_e32 v56, v56, v34, vcc
	v_cmp_le_i32_e32 vcc, s66, v70
	s_waitcnt lgkmcnt(0)
	v_mfma_f32_16x16x32_fp8_fp8 v[12:15], v[38:39], v[50:51], v[12:15]
	ds_read2_b32 v[38:39], v54 offset0:128 offset1:160
	s_or_b64 s[8:9], vcc, s[8:9]
	;;#ASMSTART
	s_waitcnt lgkmcnt(0)
	;;#ASMEND
	v_mfma_f32_16x16x32_fp8_fp8 v[0:3], v[48:49], v[50:51], v[0:3]
	ds_write_b32 v73, v74 offset:51248
	s_waitcnt lgkmcnt(1)
	v_mfma_f32_16x16x32_fp8_fp8 v[12:15], v[40:41], v[38:39], v[12:15]
	v_mfma_f32_16x16x32_fp8_fp8 v[0:3], v[42:43], v[38:39], v[0:3]
	s_andn2_b64 exec, exec, s[8:9]
	s_cbranch_execz .LBB198_28
.LBB198_13:                             ;   Parent Loop BB198_7 Depth=1
                                        ; =>  This Loop Header: Depth=2
                                        ;       Child Loop BB198_15 Depth 3
                                        ;       Child Loop BB198_18 Depth 3
	;; [unrolled: 1-line block ×5, first 2 shown]
	v_cmp_gt_i32_e32 vcc, 5, v36
	s_nop 1
	v_cndmask_b32_e64 v34, -5, 0, vcc
	v_add_u32_e32 v72, v34, v36
	v_mul_lo_u32 v73, v72, 12
	ds_read_b32 v34, v73 offset:51240
	s_waitcnt lgkmcnt(0)
	v_cmp_ne_u32_e32 vcc, v34, v56
	s_and_saveexec_b64 s[10:11], vcc
	s_cbranch_execz .LBB198_16
; %bb.14:                               ;   in Loop: Header=BB198_13 Depth=2
	s_mov_b64 s[12:13], 0
.LBB198_15:                             ;   Parent Loop BB198_7 Depth=1
                                        ;     Parent Loop BB198_13 Depth=2
                                        ; =>    This Inner Loop Header: Depth=3
	;;#ASMSTART
	s_sleep 0
	;;#ASMEND
	ds_read_b32 v34, v73 offset:51240
	s_waitcnt lgkmcnt(0)
	v_cmp_eq_u32_e32 vcc, v34, v56
	s_or_b64 s[12:13], vcc, s[12:13]
	s_andn2_b64 exec, exec, s[12:13]
	s_cbranch_execnz .LBB198_15
.LBB198_16:                             ;   in Loop: Header=BB198_13 Depth=2
	s_or_b64 exec, exec, s[10:11]
	v_mul_lo_u32 v75, v72, s61
	v_or_b32_e32 v34, v57, v75
	ds_read2_b32 v[42:43], v34 offset1:32
	ds_read2_b32 v[50:51], v34 offset0:128 offset1:160
	v_add_u32_e32 v34, 0x400, v34
	v_add_u32_e32 v74, 1, v56
	ds_read2_b32 v[54:55], v34 offset1:32
	ds_read2_b32 v[52:53], v34 offset0:128 offset1:160
	;;#ASMSTART
	s_waitcnt lgkmcnt(0)
	;;#ASMEND
	ds_write_b32 v73, v74 offset:51240
	v_lshlrev_b32_e32 v76, 3, v72
	ds_read_b32 v34, v76 offset:51200
	s_waitcnt lgkmcnt(0)
	v_cmp_ne_u32_e32 vcc, v34, v56
	s_and_saveexec_b64 s[10:11], vcc
	s_cbranch_execz .LBB198_19
; %bb.17:                               ;   in Loop: Header=BB198_13 Depth=2
	s_mov_b64 s[12:13], 0
.LBB198_18:                             ;   Parent Loop BB198_7 Depth=1
                                        ;     Parent Loop BB198_13 Depth=2
                                        ; =>    This Inner Loop Header: Depth=3
	;;#ASMSTART
	s_sleep 0
	;;#ASMEND
	ds_read_b32 v34, v76 offset:51200
	s_waitcnt lgkmcnt(0)
	v_cmp_eq_u32_e32 vcc, v34, v56
	s_or_b64 s[12:13], vcc, s[12:13]
	s_andn2_b64 exec, exec, s[12:13]
	s_cbranch_execnz .LBB198_18
.LBB198_19:                             ;   in Loop: Header=BB198_13 Depth=2
	s_or_b64 exec, exec, s[10:11]
	v_lshlrev_b32_e32 v34, 12, v72
	v_add_u32_e32 v48, v58, v34
	ds_read2_b32 v[34:35], v48 offset1:32
	ds_read2_b32 v[36:37], v48 offset0:128 offset1:160
	v_add_u32_e32 v40, 0x400, v48
	ds_read2_b32 v[38:39], v40 offset1:32
	ds_read2_b32 v[40:41], v40 offset0:128 offset1:160
	ds_read_b32 v44, v76 offset:51204
	ds_write_b32 v76, v74 offset:51200
	s_waitcnt lgkmcnt(5)
	v_mfma_f32_16x16x32_fp8_fp8 v[20:23], v[34:35], v[42:43], v[20:23]
	s_waitcnt lgkmcnt(1)
	v_cmp_ne_u32_e32 vcc, v44, v56
	v_mfma_f32_16x16x32_fp8_fp8 v[20:23], v[36:37], v[50:51], v[20:23]
	v_mfma_f32_16x16x32_fp8_fp8 v[20:23], v[38:39], v[54:55], v[20:23]
	;; [unrolled: 1-line block ×3, first 2 shown]
	s_and_saveexec_b64 s[10:11], vcc
	s_cbranch_execz .LBB198_22
; %bb.20:                               ;   in Loop: Header=BB198_13 Depth=2
	s_mov_b64 s[12:13], 0
.LBB198_21:                             ;   Parent Loop BB198_7 Depth=1
                                        ;     Parent Loop BB198_13 Depth=2
                                        ; =>    This Inner Loop Header: Depth=3
	;;#ASMSTART
	s_sleep 0
	;;#ASMEND
	ds_read_b32 v44, v76 offset:51204
	s_waitcnt lgkmcnt(0)
	v_cmp_eq_u32_e32 vcc, v44, v56
	s_or_b64 s[12:13], vcc, s[12:13]
	s_andn2_b64 exec, exec, s[12:13]
	s_cbranch_execnz .LBB198_21
.LBB198_22:                             ;   in Loop: Header=BB198_13 Depth=2
	s_or_b64 exec, exec, s[10:11]
	v_add_u32_e32 v46, 0x800, v48
	ds_read2_b32 v[44:45], v46 offset1:32
	ds_read2_b32 v[46:47], v46 offset0:128 offset1:160
	v_add_u32_e32 v77, 0xc00, v48
	ds_read2_b32 v[48:49], v77 offset1:32
	ds_write_b32 v76, v74 offset:51204
	s_waitcnt lgkmcnt(3)
	v_mfma_f32_16x16x32_fp8_fp8 v[8:11], v[44:45], v[42:43], v[8:11]
	ds_read2_b32 v[42:43], v77 offset0:128 offset1:160
	s_waitcnt lgkmcnt(3)
	v_mfma_f32_16x16x32_fp8_fp8 v[8:11], v[46:47], v[50:51], v[8:11]
	ds_read_b32 v50, v73 offset:51244
	s_waitcnt lgkmcnt(0)
	v_cmp_ne_u32_e32 vcc, v50, v56
	v_mfma_f32_16x16x32_fp8_fp8 v[8:11], v[48:49], v[54:55], v[8:11]
	v_mfma_f32_16x16x32_fp8_fp8 v[8:11], v[42:43], v[52:53], v[8:11]
	s_and_saveexec_b64 s[10:11], vcc
	s_cbranch_execz .LBB198_25
; %bb.23:                               ;   in Loop: Header=BB198_13 Depth=2
	s_mov_b64 s[12:13], 0
.LBB198_24:                             ;   Parent Loop BB198_7 Depth=1
                                        ;     Parent Loop BB198_13 Depth=2
                                        ; =>    This Inner Loop Header: Depth=3
	;;#ASMSTART
	s_sleep 0
	;;#ASMEND
	ds_read_b32 v50, v73 offset:51244
	s_waitcnt lgkmcnt(0)
	v_cmp_eq_u32_e32 vcc, v50, v56
	s_or_b64 s[12:13], vcc, s[12:13]
	s_andn2_b64 exec, exec, s[12:13]
	s_cbranch_execnz .LBB198_24
.LBB198_25:                             ;   in Loop: Header=BB198_13 Depth=2
	s_or_b64 exec, exec, s[10:11]
	v_add_u32_e32 v50, v57, v75
	v_add_u32_e32 v51, 0x800, v50
	ds_read2_b32 v[52:53], v51 offset1:32
	s_waitcnt lgkmcnt(0)
	v_mfma_f32_16x16x32_fp8_fp8 v[16:19], v[34:35], v[52:53], v[16:19]
	v_mfma_f32_16x16x32_fp8_fp8 v[4:7], v[44:45], v[52:53], v[4:7]
	ds_read2_b32 v[52:53], v51 offset0:128 offset1:160
	v_add_u32_e32 v51, 0xc00, v50
	ds_read2_b32 v[54:55], v51 offset1:32
	s_waitcnt lgkmcnt(1)
	v_mfma_f32_16x16x32_fp8_fp8 v[16:19], v[36:37], v[52:53], v[16:19]
	ds_read2_b32 v[76:77], v51 offset0:128 offset1:160
	;;#ASMSTART
	s_waitcnt lgkmcnt(0)
	;;#ASMEND
	ds_read_b32 v51, v73 offset:51248
	v_mfma_f32_16x16x32_fp8_fp8 v[4:7], v[46:47], v[52:53], v[4:7]
	ds_write_b32 v73, v74 offset:51244
	s_waitcnt lgkmcnt(1)
	v_cmp_ne_u32_e32 vcc, v51, v56
	v_mfma_f32_16x16x32_fp8_fp8 v[16:19], v[38:39], v[54:55], v[16:19]
	v_mfma_f32_16x16x32_fp8_fp8 v[4:7], v[48:49], v[54:55], v[4:7]
	;; [unrolled: 1-line block ×4, first 2 shown]
	s_and_saveexec_b64 s[10:11], vcc
	s_cbranch_execz .LBB198_12
; %bb.26:                               ;   in Loop: Header=BB198_13 Depth=2
	s_mov_b64 s[12:13], 0
.LBB198_27:                             ;   Parent Loop BB198_7 Depth=1
                                        ;     Parent Loop BB198_13 Depth=2
                                        ; =>    This Inner Loop Header: Depth=3
	;;#ASMSTART
	s_sleep 0
	;;#ASMEND
	ds_read_b32 v51, v73 offset:51248
	s_waitcnt lgkmcnt(0)
	v_cmp_eq_u32_e32 vcc, v51, v56
	s_or_b64 s[12:13], vcc, s[12:13]
	s_andn2_b64 exec, exec, s[12:13]
	s_cbranch_execnz .LBB198_27
	s_branch .LBB198_12
.LBB198_28:                             ;   in Loop: Header=BB198_7 Depth=1
	s_or_b64 exec, exec, s[8:9]
.LBB198_29:                             ;   in Loop: Header=BB198_7 Depth=1
	s_or_b64 exec, exec, s[6:7]
	v_cmp_le_i32_e32 vcc, s18, v24
	v_cmp_eq_u32_e64 s[6:7], 2, v59
	v_cmp_eq_u32_e64 s[8:9], 3, v59
	s_waitcnt vmcnt(0)
	v_cndmask_b32_e32 v34, 0, v71, vcc
	v_pk_mul_f32 v[20:21], v[34:35], v[20:21] op_sel_hi:[0,1]
	v_cmp_eq_u32_e32 vcc, 1, v59
	v_pk_mul_f32 v[38:39], v[34:35], v[22:23] op_sel_hi:[0,1]
	v_cmp_eq_u32_e64 s[10:11], 0, v59
	v_cndmask_b32_e32 v22, v20, v21, vcc
	v_cndmask_b32_e64 v22, v22, v38, s[6:7]
	v_cndmask_b32_e64 v22, v22, v39, s[8:9]
	ds_bpermute_b32 v35, v69, v22
	v_cmp_le_i32_e64 s[14:15], s18, v61
	v_cmp_eq_u32_e64 s[12:13], 1, v60
	v_cmp_le_i32_e64 s[18:19], s18, v62
	v_cmp_eq_u32_e64 s[16:17], 3, v60
	s_waitcnt lgkmcnt(0)
	v_cndmask_b32_e64 v22, v39, v35, s[8:9]
	v_cndmask_b32_e64 v23, v38, v35, s[6:7]
	v_cndmask_b32_e32 v21, v21, v35, vcc
	v_cndmask_b32_e64 v35, v20, v35, s[10:11]
	v_cndmask_b32_e64 v20, 0, v71, s[14:15]
	v_pk_mul_f32 v[16:17], v[20:21], v[16:17] op_sel_hi:[0,1]
	v_pk_mul_f32 v[38:39], v[20:21], v[18:19] op_sel_hi:[0,1]
	v_cndmask_b32_e32 v18, v16, v17, vcc
	v_cndmask_b32_e64 v18, v18, v38, s[6:7]
	v_cndmask_b32_e64 v18, v18, v39, s[8:9]
	ds_bpermute_b32 v41, v69, v18
	v_cndmask_b32_e64 v37, v35, v21, s[12:13]
	v_cmp_eq_u32_e64 s[14:15], 2, v60
	s_waitcnt lgkmcnt(0)
	v_cndmask_b32_e64 v19, v39, v41, s[8:9]
	v_cndmask_b32_e64 v18, v37, v23, s[14:15]
	;; [unrolled: 1-line block ×3, first 2 shown]
	v_cndmask_b32_e32 v40, v17, v41, vcc
	v_cndmask_b32_e64 v41, v16, v41, s[10:11]
	v_cndmask_b32_e64 v16, 0, v71, s[18:19]
	v_pk_mul_f32 v[42:43], v[16:17], v[12:13] op_sel_hi:[0,1]
	v_pk_mul_f32 v[38:39], v[16:17], v[14:15] op_sel_hi:[0,1]
	v_cndmask_b32_e32 v12, v42, v43, vcc
	v_cndmask_b32_e64 v12, v12, v38, s[6:7]
	v_cndmask_b32_e64 v12, v12, v39, s[8:9]
	ds_bpermute_b32 v13, v69, v12
	v_cndmask_b32_e64 v12, v41, v40, s[12:13]
	v_cndmask_b32_e64 v12, v12, v37, s[14:15]
	;; [unrolled: 1-line block ×3, first 2 shown]
	v_cmp_ne_u32_e32 vcc, 0, v59
	ds_bpermute_b32 v14, v69, v12
	s_waitcnt lgkmcnt(1)
	v_cndmask_b32_e64 v15, v39, v13, s[8:9]
	v_cndmask_b32_e64 v38, v38, v13, s[6:7]
	v_cndmask_b32_e32 v12, v43, v13, vcc
	v_cndmask_b32_e64 v13, v42, v13, s[10:11]
	v_cndmask_b32_e64 v17, v13, v12, s[12:13]
	;; [unrolled: 1-line block ×5, first 2 shown]
	ds_bpermute_b32 v18, v69, v18
	ds_bpermute_b32 v39, v69, v17
	v_add_u32_e32 v17, s65, v63
	v_cmp_gt_u32_e32 vcc, 32, v17
	s_and_saveexec_b64 s[18:19], vcc
	s_cbranch_execz .LBB198_34
; %bb.30:                               ;   in Loop: Header=BB198_7 Depth=1
	v_cmp_eq_u32_e64 s[8:9], 1, v60
	v_cmp_eq_u32_e64 s[10:11], 0, v60
	v_cmp_eq_u32_e32 vcc, 3, v60
	s_waitcnt lgkmcnt(1)
	v_cndmask_b32_e64 v21, v21, v18, s[8:9]
	v_cndmask_b32_e64 v40, v40, v14, s[8:9]
	s_waitcnt lgkmcnt(0)
	v_cndmask_b32_e64 v42, v12, v39, s[8:9]
	s_mul_i32 s8, s63, s21
	s_ashr_i32 s9, s8, 31
	v_cndmask_b32_e64 v35, v35, v18, s[10:11]
	s_lshl_b64 s[8:9], s[8:9], 1
	v_cndmask_b32_e64 v41, v41, v14, s[10:11]
	v_cndmask_b32_e64 v43, v13, v39, s[10:11]
	s_add_u32 s10, s40, s8
	v_cvt_f16_f32_e32 v35, v35
	v_cvt_f16_f32_sdwa v21, v21 dst_sel:WORD_1 dst_unused:UNUSED_PAD src0_sel:DWORD
	s_addc_u32 s11, s41, s9
	s_ashr_i32 s35, s34, 31
	s_lshl_b64 s[8:9], s[34:35], 1
	s_add_u32 s48, s10, s8
	s_addc_u32 s49, s11, s9
	v_or_b32_e32 v21, v21, v35
	v_lshl_add_u64 v[12:13], v[26:27], 1, s[48:49]
	;;#ASMSTART
	global_atomic_pk_add_f16 v[12:13], v21, off
	
	;;#ASMEND
	v_cvt_f16_f32_e32 v21, v41
	v_cvt_f16_f32_sdwa v35, v40 dst_sel:WORD_1 dst_unused:UNUSED_PAD src0_sel:DWORD
	v_cvt_f16_f32_e32 v43, v43
	v_cvt_f16_f32_sdwa v42, v42 dst_sel:WORD_1 dst_unused:UNUSED_PAD src0_sel:DWORD
	v_cmp_eq_u32_e64 s[6:7], 2, v60
	v_lshl_add_u64 v[40:41], v[12:13], 0, 32
	v_or_b32_e32 v21, v35, v21
	v_cmp_gt_u32_e64 s[8:9], 30, v17
	;;#ASMSTART
	global_atomic_pk_add_f16 v[40:41], v21, off
	
	;;#ASMEND
	v_lshl_add_u64 v[40:41], v[12:13], 0, 64
	v_or_b32_e32 v21, v42, v43
	;;#ASMSTART
	global_atomic_pk_add_f16 v[40:41], v21, off
	
	;;#ASMEND
	s_and_b64 exec, exec, s[8:9]
	s_cbranch_execz .LBB198_34
; %bb.31:                               ;   in Loop: Header=BB198_7 Depth=1
	v_cndmask_b32_e32 v22, v22, v18, vcc
	v_cndmask_b32_e64 v18, v23, v18, s[6:7]
	v_cndmask_b32_e32 v19, v19, v14, vcc
	v_cndmask_b32_e64 v14, v37, v14, s[6:7]
	v_cndmask_b32_e32 v23, v15, v39, vcc
	v_cvt_f16_f32_e32 v15, v18
	v_cvt_f16_f32_sdwa v18, v22 dst_sel:WORD_1 dst_unused:UNUSED_PAD src0_sel:DWORD
	v_cvt_f16_f32_e32 v22, v14
	v_cvt_f16_f32_sdwa v19, v19 dst_sel:WORD_1 dst_unused:UNUSED_PAD src0_sel:DWORD
	v_mov_b32_e32 v35, v34
	v_or_b32_e32 v14, v18, v15
	v_mov_b32_e32 v18, v34
	v_or_b32_e32 v22, v19, v22
	v_mov_b32_e32 v19, v34
	v_pk_mul_f32 v[10:11], v[18:19], v[10:11]
	v_pk_mul_f32 v[18:19], v[34:35], v[8:9]
	v_cmp_eq_u32_e32 vcc, 1, v59
	v_cndmask_b32_e64 v37, v38, v39, s[6:7]
	v_cmp_eq_u32_e64 s[6:7], 2, v59
	v_cndmask_b32_e32 v8, v18, v19, vcc
	v_cmp_eq_u32_e64 s[8:9], 3, v59
	v_cndmask_b32_e64 v8, v8, v10, s[6:7]
	v_lshl_add_u64 v[12:13], s[28:29], 2, v[12:13]
	v_cndmask_b32_e64 v8, v8, v11, s[8:9]
	v_mov_b32_e32 v21, v20
	;;#ASMSTART
	global_atomic_pk_add_f16 v[12:13], v14, off
	
	;;#ASMEND
	v_lshl_add_u64 v[14:15], v[12:13], 0, 32
	ds_bpermute_b32 v34, v69, v8
	;;#ASMSTART
	global_atomic_pk_add_f16 v[14:15], v22, off
	
	;;#ASMEND
	v_cvt_f16_f32_sdwa v35, v23 dst_sel:WORD_1 dst_unused:UNUSED_PAD src0_sel:DWORD
	v_lshl_add_u64 v[22:23], v[12:13], 0, 64
	v_mov_b32_e32 v12, v20
	v_mov_b32_e32 v13, v20
	v_pk_mul_f32 v[6:7], v[12:13], v[6:7]
	v_pk_mul_f32 v[12:13], v[20:21], v[4:5]
	v_cmp_eq_u32_e64 s[10:11], 0, v59
	v_cndmask_b32_e32 v4, v12, v13, vcc
	v_cndmask_b32_e64 v4, v4, v6, s[6:7]
	v_cndmask_b32_e64 v4, v4, v7, s[8:9]
	s_waitcnt lgkmcnt(0)
	v_cndmask_b32_e64 v8, v11, v34, s[8:9]
	v_cndmask_b32_e64 v11, v18, v34, s[10:11]
	ds_bpermute_b32 v18, v69, v4
	v_cndmask_b32_e64 v9, v10, v34, s[6:7]
	v_cndmask_b32_e32 v10, v19, v34, vcc
	v_cmp_eq_u32_e64 s[12:13], 1, v60
	v_mov_b32_e32 v17, v16
	v_cmp_eq_u32_e64 s[14:15], 2, v60
	v_cndmask_b32_e64 v14, v11, v10, s[12:13]
	s_waitcnt lgkmcnt(0)
	v_cndmask_b32_e64 v5, v7, v18, s[8:9]
	v_cndmask_b32_e64 v4, v14, v9, s[14:15]
	;; [unrolled: 1-line block ×3, first 2 shown]
	v_cndmask_b32_e32 v13, v13, v18, vcc
	v_cndmask_b32_e64 v14, v12, v18, s[10:11]
	v_mov_b32_e32 v18, v16
	v_mov_b32_e32 v19, v16
	v_pk_mul_f32 v[16:17], v[16:17], v[0:1]
	v_pk_mul_f32 v[18:19], v[18:19], v[2:3]
	v_cndmask_b32_e32 v0, v16, v17, vcc
	v_cndmask_b32_e64 v0, v0, v18, s[6:7]
	v_cndmask_b32_e64 v0, v0, v19, s[8:9]
	ds_bpermute_b32 v1, v69, v0
	v_cndmask_b32_e64 v0, v14, v13, s[12:13]
	v_cmp_eq_u32_e64 s[16:17], 3, v60
	v_cndmask_b32_e64 v0, v0, v6, s[14:15]
	v_cmp_ne_u32_e32 vcc, 0, v59
	v_cndmask_b32_e64 v0, v0, v5, s[16:17]
	ds_bpermute_b32 v7, v69, v0
	s_waitcnt lgkmcnt(1)
	v_cndmask_b32_e64 v2, v19, v1, s[8:9]
	v_cndmask_b32_e64 v3, v18, v1, s[6:7]
	v_cndmask_b32_e32 v0, v17, v1, vcc
	v_cndmask_b32_e64 v1, v16, v1, s[10:11]
	v_cndmask_b32_e64 v12, v1, v0, s[12:13]
	v_cvt_f16_f32_e32 v15, v37
	v_cndmask_b32_e64 v12, v12, v3, s[14:15]
	v_cndmask_b32_e64 v4, v4, v8, s[16:17]
	;; [unrolled: 1-line block ×3, first 2 shown]
	ds_bpermute_b32 v4, v69, v4
	ds_bpermute_b32 v12, v69, v12
	v_or_b32_e32 v15, v35, v15
	;;#ASMSTART
	global_atomic_pk_add_f16 v[22:23], v15, off
	
	;;#ASMEND
	v_add_u32_e32 v15, s65, v64
	v_cmp_gt_u32_e32 vcc, 32, v15
	s_and_b64 exec, exec, vcc
	s_cbranch_execz .LBB198_34
; %bb.32:                               ;   in Loop: Header=BB198_7 Depth=1
	v_cmp_eq_u32_e64 s[8:9], 1, v60
	v_cmp_eq_u32_e64 s[10:11], 0, v60
	v_cmp_eq_u32_e32 vcc, 3, v60
	s_waitcnt lgkmcnt(1)
	v_cndmask_b32_e64 v10, v10, v4, s[8:9]
	v_cndmask_b32_e64 v11, v11, v4, s[10:11]
	;; [unrolled: 1-line block ×4, first 2 shown]
	v_cvt_f16_f32_e32 v11, v11
	v_cvt_f16_f32_sdwa v10, v10 dst_sel:WORD_1 dst_unused:UNUSED_PAD src0_sel:DWORD
	s_waitcnt lgkmcnt(0)
	v_cndmask_b32_e64 v16, v0, v12, s[8:9]
	v_cndmask_b32_e64 v17, v1, v12, s[10:11]
	v_cvt_f16_f32_e32 v14, v14
	v_cvt_f16_f32_sdwa v13, v13 dst_sel:WORD_1 dst_unused:UNUSED_PAD src0_sel:DWORD
	v_cvt_f16_f32_e32 v17, v17
	v_cvt_f16_f32_sdwa v16, v16 dst_sel:WORD_1 dst_unused:UNUSED_PAD src0_sel:DWORD
	v_lshl_add_u64 v[0:1], v[28:29], 1, s[48:49]
	v_or_b32_e32 v10, v10, v11
	v_cmp_eq_u32_e64 s[6:7], 2, v60
	;;#ASMSTART
	global_atomic_pk_add_f16 v[0:1], v10, off
	
	;;#ASMEND
	v_lshl_add_u64 v[10:11], v[0:1], 0, 32
	v_or_b32_e32 v13, v13, v14
	v_cmp_gt_u32_e64 s[8:9], 30, v15
	;;#ASMSTART
	global_atomic_pk_add_f16 v[10:11], v13, off
	
	;;#ASMEND
	v_lshl_add_u64 v[10:11], v[0:1], 0, 64
	v_or_b32_e32 v13, v16, v17
	;;#ASMSTART
	global_atomic_pk_add_f16 v[10:11], v13, off
	
	;;#ASMEND
	s_and_b64 exec, exec, s[8:9]
	s_cbranch_execz .LBB198_34
; %bb.33:                               ;   in Loop: Header=BB198_7 Depth=1
	v_cndmask_b32_e32 v8, v8, v4, vcc
	v_cndmask_b32_e64 v4, v9, v4, s[6:7]
	v_cndmask_b32_e32 v5, v5, v7, vcc
	v_cndmask_b32_e64 v6, v6, v7, s[6:7]
	v_cvt_f16_f32_e32 v4, v4
	v_cvt_f16_f32_sdwa v7, v8 dst_sel:WORD_1 dst_unused:UNUSED_PAD src0_sel:DWORD
	v_cndmask_b32_e32 v8, v2, v12, vcc
	v_cndmask_b32_e64 v9, v3, v12, s[6:7]
	v_cvt_f16_f32_sdwa v5, v5 dst_sel:WORD_1 dst_unused:UNUSED_PAD src0_sel:DWORD
	v_or_b32_e32 v2, v7, v4
	v_cvt_f16_f32_e32 v4, v6
	v_cvt_f16_f32_e32 v6, v9
	v_cvt_f16_f32_sdwa v7, v8 dst_sel:WORD_1 dst_unused:UNUSED_PAD src0_sel:DWORD
	v_lshl_add_u64 v[0:1], s[28:29], 2, v[0:1]
	;;#ASMSTART
	global_atomic_pk_add_f16 v[0:1], v2, off
	
	;;#ASMEND
	v_lshl_add_u64 v[2:3], v[0:1], 0, 32
	v_or_b32_e32 v4, v5, v4
	;;#ASMSTART
	global_atomic_pk_add_f16 v[2:3], v4, off
	
	;;#ASMEND
	v_lshl_add_u64 v[0:1], v[0:1], 0, 64
	v_or_b32_e32 v2, v7, v6
	;;#ASMSTART
	global_atomic_pk_add_f16 v[0:1], v2, off
	
	;;#ASMEND
.LBB198_34:                             ;   in Loop: Header=BB198_7 Depth=1
	s_or_b64 exec, exec, s[18:19]
	v_subrev_u32_e32 v70, s66, v70
.LBB198_35:                             ;   in Loop: Header=BB198_7 Depth=1
	s_or_b64 exec, exec, s[46:47]
.LBB198_36:                             ;   in Loop: Header=BB198_7 Depth=1
	s_andn2_saveexec_b64 s[6:7], s[44:45]
	s_cbranch_execz .LBB198_45
; %bb.37:                               ;   in Loop: Header=BB198_7 Depth=1
	s_mul_i32 s16, s66, 3
	v_cmp_gt_i32_e32 vcc, s16, v70
	s_and_saveexec_b64 s[8:9], vcc
	s_cbranch_execz .LBB198_44
; %bb.38:                               ;   in Loop: Header=BB198_7 Depth=1
	s_mul_i32 s10, s34, s23
	s_ashr_i32 s11, s10, 31
	s_waitcnt lgkmcnt(0)
	s_add_u32 s10, s38, s10
	s_addc_u32 s11, s39, s11
	s_ashr_i32 s12, s64, 31
	s_add_u32 s10, s10, s64
	s_addc_u32 s11, s11, s12
	v_lshl_add_u64 v[0:1], s[10:11], 0, v[32:33]
	v_lshl_add_u64 v[8:9], v[0:1], 0, v[30:31]
	s_mov_b64 s[10:11], 0
	s_branch .LBB198_40
.LBB198_39:                             ;   in Loop: Header=BB198_40 Depth=2
	s_or_b64 exec, exec, s[12:13]
	v_lshl_or_b32 v12, v10, 11, v66
	;;#ASMSTART
	s_waitcnt vmcnt(1)
	;;#ASMEND
	ds_write2_b32 v12, v4, v5 offset1:32
	ds_write2_b32 v12, v6, v7 offset0:64 offset1:96
	v_add_u32_e32 v4, 0x400, v12
	v_add_u32_e32 v70, s26, v70
	;;#ASMSTART
	s_waitcnt vmcnt(0)
	;;#ASMEND
	ds_write2_b32 v4, v0, v1 offset1:32
	ds_write2_b32 v4, v2, v3 offset0:64 offset1:96
	v_add_u32_e32 v0, 1, v56
	v_add_u32_e32 v36, s26, v10
	v_cmp_le_i32_e32 vcc, s16, v70
	ds_write_b32 v11, v0 offset:40
	v_add_u32_e32 v0, 2, v56
	s_or_b64 s[10:11], vcc, s[10:11]
	v_cmp_lt_i32_e32 vcc, 14, v36
	s_nop 1
	v_cndmask_b32_e32 v56, v56, v0, vcc
	s_andn2_b64 exec, exec, s[10:11]
	s_cbranch_execz .LBB198_43
.LBB198_40:                             ;   Parent Loop BB198_7 Depth=1
                                        ; =>  This Loop Header: Depth=2
                                        ;       Child Loop BB198_42 Depth 3
	v_cmp_gt_i32_e32 vcc, 15, v36
	s_nop 1
	v_cndmask_b32_e64 v0, -15, 0, vcc
	v_add_u32_e32 v10, v0, v36
	v_mul_hi_i32 v0, v70, s62
	v_lshrrev_b32_e32 v1, 31, v0
	v_add_u32_e32 v0, v0, v1
	v_lshl_add_u32 v1, v0, 1, v0
	v_sub_u32_e32 v2, v70, v1
	v_lshlrev_b32_e32 v0, 7, v0
	v_ashrrev_i32_e32 v1, 31, v0
	v_mul_lo_u32 v2, s55, v2
	v_lshl_add_u64 v[0:1], v[8:9], 0, v[0:1]
	v_ashrrev_i32_e32 v3, 31, v2
	v_lshl_add_u64 v[0:1], v[0:1], 0, v[2:3]
	v_lshlrev_b32_e32 v11, 2, v10
	;;#ASMSTART
	global_load_dwordx4 v[4:7], v[0:1], off offset:0   sc0 sc1 nt  
	global_load_dwordx4 v[0:3], v[0:1], off offset:64  sc0 sc1 nt  
	
	;;#ASMEND
	ds_read_b32 v12, v11 offset:51240
	v_add_u32_e32 v11, 0xc800, v11
	s_waitcnt lgkmcnt(0)
	v_cmp_ne_u32_e32 vcc, v12, v56
	s_and_saveexec_b64 s[12:13], vcc
	s_cbranch_execz .LBB198_39
; %bb.41:                               ;   in Loop: Header=BB198_40 Depth=2
	s_mov_b64 s[14:15], 0
.LBB198_42:                             ;   Parent Loop BB198_7 Depth=1
                                        ;     Parent Loop BB198_40 Depth=2
                                        ; =>    This Inner Loop Header: Depth=3
	;;#ASMSTART
	s_sleep 0
	;;#ASMEND
	ds_read_b32 v12, v11 offset:40
	s_waitcnt lgkmcnt(0)
	v_cmp_eq_u32_e32 vcc, v12, v56
	s_or_b64 s[14:15], vcc, s[14:15]
	s_andn2_b64 exec, exec, s[14:15]
	s_cbranch_execnz .LBB198_42
	s_branch .LBB198_39
.LBB198_43:                             ;   in Loop: Header=BB198_7 Depth=1
	s_or_b64 exec, exec, s[10:11]
.LBB198_44:                             ;   in Loop: Header=BB198_7 Depth=1
	s_or_b64 exec, exec, s[8:9]
	v_subrev_u32_e32 v70, s16, v70
.LBB198_45:                             ;   in Loop: Header=BB198_7 Depth=1
	s_or_b64 exec, exec, s[6:7]
.LBB198_46:                             ;   in Loop: Header=BB198_7 Depth=1
	s_andn2_saveexec_b64 s[6:7], s[30:31]
	s_cbranch_execz .LBB198_6
; %bb.47:                               ;   in Loop: Header=BB198_7 Depth=1
	s_lshl_b32 s16, s66, 1
	v_cmp_gt_i32_e32 vcc, s16, v70
	s_and_saveexec_b64 s[8:9], vcc
	s_cbranch_execz .LBB198_5
; %bb.48:                               ;   in Loop: Header=BB198_7 Depth=1
	s_mul_i32 s63, s63, s22
	s_ashr_i32 s10, s63, 31
	s_waitcnt lgkmcnt(0)
	s_add_u32 s11, s36, s63
	v_add_u32_e32 v2, s65, v65
	s_addc_u32 s12, s37, s10
	s_ashr_i32 s13, s64, 31
	v_cmp_gt_u32_e32 vcc, 32, v2
	s_add_u32 s10, s11, s64
	s_addc_u32 s11, s12, s13
	v_cndmask_b32_e32 v0, 0, v67, vcc
	v_ashrrev_i32_e32 v1, 31, v0
	v_lshl_add_u64 v[0:1], s[10:11], 0, v[0:1]
	v_lshl_add_u64 v[8:9], v[0:1], 0, v[30:31]
	v_sub_u32_e32 v10, 31, v2
	s_mov_b64 s[10:11], 0
	s_branch .LBB198_50
.LBB198_49:                             ;   in Loop: Header=BB198_50 Depth=2
	s_or_b64 exec, exec, s[12:13]
	v_lshl_add_u32 v13, v11, 11, v68
	;;#ASMSTART
	s_waitcnt vmcnt(1)
	;;#ASMEND
	ds_write2_b32 v13, v4, v5 offset1:32
	ds_write2_b32 v13, v6, v7 offset0:64 offset1:96
	v_add_u32_e32 v4, 0x400, v13
	v_add_u32_e32 v70, s25, v70
	;;#ASMSTART
	s_waitcnt vmcnt(0)
	;;#ASMEND
	ds_write2_b32 v4, v0, v1 offset1:32
	ds_write2_b32 v4, v2, v3 offset0:64 offset1:96
	v_add_u32_e32 v0, 1, v56
	v_add_u32_e32 v36, s25, v11
	v_cmp_le_i32_e32 vcc, s16, v70
	ds_write_b32 v12, v0
	v_add_u32_e32 v0, 2, v56
	s_or_b64 s[10:11], vcc, s[10:11]
	v_cmp_lt_i32_e32 vcc, 9, v36
	s_nop 1
	v_cndmask_b32_e32 v56, v56, v0, vcc
	s_andn2_b64 exec, exec, s[10:11]
	s_cbranch_execz .LBB198_4
.LBB198_50:                             ;   Parent Loop BB198_7 Depth=1
                                        ; =>  This Loop Header: Depth=2
                                        ;       Child Loop BB198_52 Depth 3
	v_cmp_gt_i32_e32 vcc, 10, v36
	s_nop 1
	v_cndmask_b32_e64 v0, -10, 0, vcc
	v_add_u32_e32 v11, v0, v36
	v_lshrrev_b32_e32 v0, 31, v70
	v_add_u32_e32 v0, v70, v0
	v_and_b32_e32 v1, 0xffffffe, v0
	v_sub_u32_e32 v1, v70, v1
	v_lshlrev_b32_e32 v1, 4, v1
	v_cmp_le_i32_e32 vcc, v1, v10
	v_lshlrev_b32_e32 v0, 6, v0
	v_and_b32_e32 v0, 0xffffff80, v0
	v_cndmask_b32_e32 v2, 0, v1, vcc
	v_ashrrev_i32_e32 v1, 31, v0
	v_mul_lo_u32 v2, v2, s22
	v_lshl_add_u64 v[0:1], v[8:9], 0, v[0:1]
	v_ashrrev_i32_e32 v3, 31, v2
	v_lshl_add_u64 v[0:1], v[0:1], 0, v[2:3]
	v_lshlrev_b32_e32 v12, 2, v11
	;;#ASMSTART
	global_load_dwordx4 v[4:7], v[0:1], off offset:0   
	global_load_dwordx4 v[0:3], v[0:1], off offset:64  
	
	;;#ASMEND
	ds_read_b32 v13, v12 offset:51200
	v_add_u32_e32 v12, 0xc800, v12
	s_waitcnt lgkmcnt(0)
	v_cmp_ne_u32_e32 vcc, v13, v56
	s_and_saveexec_b64 s[12:13], vcc
	s_cbranch_execz .LBB198_49
; %bb.51:                               ;   in Loop: Header=BB198_50 Depth=2
	s_mov_b64 s[14:15], 0
.LBB198_52:                             ;   Parent Loop BB198_7 Depth=1
                                        ;     Parent Loop BB198_50 Depth=2
                                        ; =>    This Inner Loop Header: Depth=3
	;;#ASMSTART
	s_sleep 0
	;;#ASMEND
	ds_read_b32 v13, v12
	s_waitcnt lgkmcnt(0)
	v_cmp_eq_u32_e32 vcc, v13, v56
	s_or_b64 s[14:15], vcc, s[14:15]
	s_andn2_b64 exec, exec, s[14:15]
	s_cbranch_execnz .LBB198_52
	s_branch .LBB198_49
.LBB198_53:
	s_endpgm
	.section	.rodata,"a",@progbits
	.p2align	6, 0x0
	.amdhsa_kernel _Z19_skinny_gemm_kernelILi2ELi3ELi5ELi16ELi4EEvPKhS1_P6__halfPKfiiiiiiii
		.amdhsa_group_segment_fixed_size 51300
		.amdhsa_private_segment_fixed_size 0
		.amdhsa_kernarg_size 64
		.amdhsa_user_sgpr_count 2
		.amdhsa_user_sgpr_dispatch_ptr 0
		.amdhsa_user_sgpr_queue_ptr 0
		.amdhsa_user_sgpr_kernarg_segment_ptr 1
		.amdhsa_user_sgpr_dispatch_id 0
		.amdhsa_user_sgpr_kernarg_preload_length 0
		.amdhsa_user_sgpr_kernarg_preload_offset 0
		.amdhsa_user_sgpr_private_segment_size 0
		.amdhsa_uses_dynamic_stack 0
		.amdhsa_enable_private_segment 0
		.amdhsa_system_sgpr_workgroup_id_x 1
		.amdhsa_system_sgpr_workgroup_id_y 0
		.amdhsa_system_sgpr_workgroup_id_z 0
		.amdhsa_system_sgpr_workgroup_info 0
		.amdhsa_system_vgpr_workitem_id 0
		.amdhsa_next_free_vgpr 78
		.amdhsa_next_free_sgpr 67
		.amdhsa_accum_offset 80
		.amdhsa_reserve_vcc 1
		.amdhsa_float_round_mode_32 0
		.amdhsa_float_round_mode_16_64 0
		.amdhsa_float_denorm_mode_32 3
		.amdhsa_float_denorm_mode_16_64 3
		.amdhsa_dx10_clamp 1
		.amdhsa_ieee_mode 1
		.amdhsa_fp16_overflow 0
		.amdhsa_tg_split 0
		.amdhsa_exception_fp_ieee_invalid_op 0
		.amdhsa_exception_fp_denorm_src 0
		.amdhsa_exception_fp_ieee_div_zero 0
		.amdhsa_exception_fp_ieee_overflow 0
		.amdhsa_exception_fp_ieee_underflow 0
		.amdhsa_exception_fp_ieee_inexact 0
		.amdhsa_exception_int_div_zero 0
	.end_amdhsa_kernel
	.section	.text._Z19_skinny_gemm_kernelILi2ELi3ELi5ELi16ELi4EEvPKhS1_P6__halfPKfiiiiiiii,"axG",@progbits,_Z19_skinny_gemm_kernelILi2ELi3ELi5ELi16ELi4EEvPKhS1_P6__halfPKfiiiiiiii,comdat
.Lfunc_end198:
	.size	_Z19_skinny_gemm_kernelILi2ELi3ELi5ELi16ELi4EEvPKhS1_P6__halfPKfiiiiiiii, .Lfunc_end198-_Z19_skinny_gemm_kernelILi2ELi3ELi5ELi16ELi4EEvPKhS1_P6__halfPKfiiiiiiii
                                        ; -- End function
	.set _Z19_skinny_gemm_kernelILi2ELi3ELi5ELi16ELi4EEvPKhS1_P6__halfPKfiiiiiiii.num_vgpr, 78
	.set _Z19_skinny_gemm_kernelILi2ELi3ELi5ELi16ELi4EEvPKhS1_P6__halfPKfiiiiiiii.num_agpr, 0
	.set _Z19_skinny_gemm_kernelILi2ELi3ELi5ELi16ELi4EEvPKhS1_P6__halfPKfiiiiiiii.numbered_sgpr, 67
	.set _Z19_skinny_gemm_kernelILi2ELi3ELi5ELi16ELi4EEvPKhS1_P6__halfPKfiiiiiiii.num_named_barrier, 0
	.set _Z19_skinny_gemm_kernelILi2ELi3ELi5ELi16ELi4EEvPKhS1_P6__halfPKfiiiiiiii.private_seg_size, 0
	.set _Z19_skinny_gemm_kernelILi2ELi3ELi5ELi16ELi4EEvPKhS1_P6__halfPKfiiiiiiii.uses_vcc, 1
	.set _Z19_skinny_gemm_kernelILi2ELi3ELi5ELi16ELi4EEvPKhS1_P6__halfPKfiiiiiiii.uses_flat_scratch, 0
	.set _Z19_skinny_gemm_kernelILi2ELi3ELi5ELi16ELi4EEvPKhS1_P6__halfPKfiiiiiiii.has_dyn_sized_stack, 0
	.set _Z19_skinny_gemm_kernelILi2ELi3ELi5ELi16ELi4EEvPKhS1_P6__halfPKfiiiiiiii.has_recursion, 0
	.set _Z19_skinny_gemm_kernelILi2ELi3ELi5ELi16ELi4EEvPKhS1_P6__halfPKfiiiiiiii.has_indirect_call, 0
	.section	.AMDGPU.csdata,"",@progbits
; Kernel info:
; codeLenInByte = 4816
; TotalNumSgprs: 73
; NumVgprs: 78
; NumAgprs: 0
; TotalNumVgprs: 78
; ScratchSize: 0
; MemoryBound: 0
; FloatMode: 240
; IeeeMode: 1
; LDSByteSize: 51300 bytes/workgroup (compile time only)
; SGPRBlocks: 9
; VGPRBlocks: 9
; NumSGPRsForWavesPerEU: 73
; NumVGPRsForWavesPerEU: 78
; AccumOffset: 80
; Occupancy: 6
; WaveLimiterHint : 0
; COMPUTE_PGM_RSRC2:SCRATCH_EN: 0
; COMPUTE_PGM_RSRC2:USER_SGPR: 2
; COMPUTE_PGM_RSRC2:TRAP_HANDLER: 0
; COMPUTE_PGM_RSRC2:TGID_X_EN: 1
; COMPUTE_PGM_RSRC2:TGID_Y_EN: 0
; COMPUTE_PGM_RSRC2:TGID_Z_EN: 0
; COMPUTE_PGM_RSRC2:TIDIG_COMP_CNT: 0
; COMPUTE_PGM_RSRC3_GFX90A:ACCUM_OFFSET: 19
; COMPUTE_PGM_RSRC3_GFX90A:TG_SPLIT: 0
	.section	.text._Z19_skinny_gemm_kernelILi2ELi3ELi5ELi32ELi4EEvPKhS1_P6__halfPKfiiiiiiii,"axG",@progbits,_Z19_skinny_gemm_kernelILi2ELi3ELi5ELi32ELi4EEvPKhS1_P6__halfPKfiiiiiiii,comdat
	.protected	_Z19_skinny_gemm_kernelILi2ELi3ELi5ELi32ELi4EEvPKhS1_P6__halfPKfiiiiiiii ; -- Begin function _Z19_skinny_gemm_kernelILi2ELi3ELi5ELi32ELi4EEvPKhS1_P6__halfPKfiiiiiiii
	.globl	_Z19_skinny_gemm_kernelILi2ELi3ELi5ELi32ELi4EEvPKhS1_P6__halfPKfiiiiiiii
	.p2align	8
	.type	_Z19_skinny_gemm_kernelILi2ELi3ELi5ELi32ELi4EEvPKhS1_P6__halfPKfiiiiiiii,@function
_Z19_skinny_gemm_kernelILi2ELi3ELi5ELi32ELi4EEvPKhS1_P6__halfPKfiiiiiiii: ; @_Z19_skinny_gemm_kernelILi2ELi3ELi5ELi32ELi4EEvPKhS1_P6__halfPKfiiiiiiii
; %bb.0:
	v_cmp_gt_u32_e32 vcc, 25, v0
	s_and_saveexec_b64 s[4:5], vcc
; %bb.1:
	v_lshlrev_b32_e32 v1, 2, v0
	v_mov_b32_e32 v2, 0
	ds_write_b32 v1, v2 offset:51200
; %bb.2:
	s_or_b64 exec, exec, s[4:5]
	s_load_dwordx8 s[92:99], s[0:1], 0x20
	s_waitcnt lgkmcnt(0)
	s_barrier
	s_add_i32 s3, s92, 63
	s_ashr_i32 s5, s3, 31
	s_add_i32 s4, s93, 0x5f
	s_lshr_b32 s5, s5, 26
	s_mul_hi_i32 s4, s4, 0x2aaaaaab
	s_add_i32 s3, s3, s5
	s_ashr_i32 s14, s3, 6
	s_lshr_b32 s3, s4, 31
	s_ashr_i32 s4, s4, 4
	s_add_i32 s15, s4, s3
	s_mul_i32 s3, s15, s14
	s_mul_i32 s3, s3, s96
	s_add_i32 s4, s3, 0x12f
	s_mul_hi_i32 s4, s4, 0x6bca1af3
	s_lshr_b32 s5, s4, 31
	s_ashr_i32 s4, s4, 7
	s_add_i32 s4, s4, s5
	s_add_i32 s5, s2, 1
	s_mul_i32 s5, s4, s5
	v_cvt_f64_i32_e32 v[2:3], s3
	v_cvt_f64_u32_e32 v[4:5], s5
	v_min_f64 v[2:3], v[2:3], v[4:5]
	v_cvt_i32_f64_e32 v62, v[2:3]
	s_mul_i32 s33, s4, s2
	v_cmp_ge_i32_e32 vcc, s33, v62
	s_cbranch_vccnz .LBB199_51
; %bb.3:
	s_load_dwordx8 s[16:23], s[0:1], 0x0
	v_lshrrev_b32_e32 v1, 6, v0
	s_add_i32 s0, s98, s97
	v_cmp_le_i32_e64 s[24:25], s0, v1
	v_mov_b32_e32 v2, s97
	v_cmp_le_i32_e64 s[26:27], s97, v1
	v_mov_b32_e32 v3, s98
	v_cndmask_b32_e64 v3, 0, v3, s[24:25]
	v_cndmask_b32_e64 v2, 0, v2, s[26:27]
	s_abs_i32 s1, s96
	v_add_u32_e32 v2, v2, v3
	v_cvt_f32_u32_e32 v3, s1
	v_sub_u32_e32 v56, v1, v2
	s_ashr_i32 s2, s94, 31
	s_lshr_b32 s2, s2, 26
	v_rcp_iflag_f32_e32 v2, v3
	s_sub_i32 s5, 0, s1
	s_add_i32 s2, s94, s2
	s_ashr_i32 s2, s2, 6
	v_mul_f32_e32 v2, 0x4f7ffffe, v2
	v_cvt_u32_f32_e32 v2, v2
	s_abs_i32 s4, s2
	s_xor_b32 s3, s2, s96
	s_ashr_i32 s3, s3, 31
	v_readfirstlane_b32 s6, v2
	s_mul_i32 s5, s5, s6
	s_mul_hi_u32 s5, s6, s5
	s_add_i32 s6, s6, s5
	s_mul_hi_u32 s5, s4, s6
	s_mul_i32 s6, s5, s1
	s_sub_i32 s4, s4, s6
	s_add_i32 s6, s5, 1
	s_sub_i32 s7, s4, s1
	s_cmp_ge_u32 s4, s1
	s_cselect_b32 s5, s6, s5
	s_cselect_b32 s4, s7, s4
	s_add_i32 s6, s5, 1
	s_cmp_ge_u32 s4, s1
	s_cselect_b32 s1, s6, s5
	s_add_i32 s0, s0, s99
	v_and_b32_e32 v64, 31, v0
	v_lshrrev_b32_e32 v2, 3, v0
	v_cmp_gt_i32_e64 s[34:35], s0, v1
	v_lshlrev_b32_e32 v1, 2, v64
	v_and_b32_e32 v3, 4, v2
	v_lshlrev_b32_e32 v2, 6, v3
	v_or_b32_e32 v4, 0x7800, v1
	v_and_b32_e32 v5, 1, v0
	s_add_i32 s29, s96, -1
	v_or_b32_e32 v65, v4, v2
	v_or_b32_e32 v66, v1, v2
	v_lshlrev_b32_e32 v2, 1, v5
	v_lshrrev_b32_e32 v7, 1, v0
	s_abs_i32 s96, s14
	v_sub_u32_e32 v2, v0, v2
	v_and_b32_e32 v50, 16, v7
	v_cvt_f32_u32_e32 v7, s96
	v_add_u32_e32 v2, 1, v2
	v_and_b32_e32 v6, 63, v2
	v_bitop3_b32 v67, v0, 1, v0 bitop3:0xc
	v_bitop3_b32 v68, v0, 3, 1 bitop3:0x6c
	;; [unrolled: 1-line block ×8, first 2 shown]
	v_and_b32_e32 v2, 30, v0
	v_lshlrev_b32_e32 v0, 4, v0
                                        ; implicit-def: $vgpr92 : SGPR spill to VGPR lane
	v_and_b32_e32 v0, 0x200, v0
	v_writelane_b32 v92, s14, 0
	v_or_b32_e32 v77, v1, v0
	v_rcp_iflag_f32_e32 v1, v7
	v_writelane_b32 v92, s15, 1
	s_waitcnt lgkmcnt(0)
	v_writelane_b32 v92, s16, 2
	s_abs_i32 s90, s15
	v_or_b32_e32 v79, v4, v0
	v_writelane_b32 v92, s17, 3
	v_writelane_b32 v92, s18, 4
	v_mul_f32_e32 v0, 0x4f7ffffe, v1
	v_cvt_f32_u32_e32 v1, s90
	v_writelane_b32 v92, s19, 5
	v_writelane_b32 v92, s20, 6
	;; [unrolled: 1-line block ×4, first 2 shown]
	v_cvt_u32_f32_e32 v0, v0
	v_rcp_iflag_f32_e32 v1, v1
	v_writelane_b32 v92, s23, 9
	v_cndmask_b32_e64 v63, 0, 1, s[24:25]
	s_xor_b32 s1, s1, s3
	v_writelane_b32 v92, s24, 10
	s_sub_i32 s28, s1, s3
	s_mul_i32 s1, s28, s29
	v_writelane_b32 v92, s25, 11
	v_writelane_b32 v92, s26, 12
	s_sub_i32 s30, s2, s1
	v_readfirstlane_b32 s1, v0
	v_mul_f32_e32 v0, 0x4f7ffffe, v1
	v_writelane_b32 v92, s27, 13
	v_cvt_u32_f32_e32 v0, v0
	v_writelane_b32 v92, s28, 14
	s_sub_i32 s0, 0, s96
	v_writelane_b32 v92, s29, 15
	s_mul_i32 s0, s0, s1
	v_writelane_b32 v92, s30, 16
	s_mul_hi_u32 s0, s1, s0
	v_writelane_b32 v92, s34, 17
	s_ashr_i32 s31, s14, 31
	s_add_i32 s36, s1, s0
	s_sub_i32 s0, 0, s90
	v_readfirstlane_b32 s1, v0
	v_mbcnt_lo_u32_b32 v0, -1, 0
	v_writelane_b32 v92, s35, 18
	s_mul_i32 s0, s0, s1
	v_mbcnt_hi_u32_b32 v0, -1, v0
	v_writelane_b32 v92, s31, 19
	v_mov_b32_e32 v49, 0
	v_mul_lo_u32 v52, s95, v64
	v_or_b32_e32 v80, v5, v3
	s_ashr_i32 s37, s15, 31
	s_mul_hi_u32 s0, s1, s0
	v_and_or_b32 v0, v0, 64, v6
	v_writelane_b32 v92, s36, 20
	v_or_b32_e32 v75, 32, v64
	v_or_b32_e32 v76, 64, v64
	v_ashrrev_i32_e32 v53, 31, v52
	v_mov_b32_e32 v51, v49
	s_lshl_b32 s91, s95, 5
	v_mul_lo_u32 v78, s94, v64
	v_or_b32_e32 v81, 2, v80
	s_add_i32 s38, s1, s0
	v_lshlrev_b32_e32 v48, 1, v2
	v_lshlrev_b32_e32 v82, 2, v0
	v_mov_b32_e32 v83, v56
	v_writelane_b32 v92, s37, 21
	v_writelane_b32 v92, s38, 22
	s_branch .LBB199_7
.LBB199_4:                              ;   in Loop: Header=BB199_7 Depth=1
	s_or_b64 exec, exec, s[4:5]
.LBB199_5:                              ;   in Loop: Header=BB199_7 Depth=1
	s_or_b64 exec, exec, s[2:3]
	v_subrev_u32_e32 v83, s10, v83
.LBB199_6:                              ;   in Loop: Header=BB199_7 Depth=1
	s_or_b64 exec, exec, s[0:1]
	s_add_i32 s33, s33, 1
	v_cmp_ge_i32_e32 vcc, s33, v62
	s_cbranch_vccnz .LBB199_51
.LBB199_7:                              ; =>This Loop Header: Depth=1
                                        ;     Child Loop BB199_13 Depth 2
                                        ;       Child Loop BB199_15 Depth 3
                                        ;       Child Loop BB199_18 Depth 3
	;; [unrolled: 1-line block ×4, first 2 shown]
                                        ;     Child Loop BB199_29 Depth 2
                                        ;     Child Loop BB199_38 Depth 2
                                        ;       Child Loop BB199_40 Depth 3
                                        ;     Child Loop BB199_48 Depth 2
                                        ;       Child Loop BB199_50 Depth 3
	s_abs_i32 s1, s33
	s_mul_hi_u32 s2, s1, s36
	s_mul_i32 s3, s2, s96
	s_ashr_i32 s0, s33, 31
	s_sub_i32 s1, s1, s3
	s_xor_b32 s0, s0, s31
	s_add_i32 s3, s2, 1
	s_sub_i32 s4, s1, s96
	s_cmp_ge_u32 s1, s96
	s_cselect_b32 s2, s3, s2
	s_cselect_b32 s1, s4, s1
	s_add_i32 s3, s2, 1
	s_cmp_ge_u32 s1, s96
	s_cselect_b32 s1, s3, s2
	s_xor_b32 s1, s1, s0
	s_sub_i32 s0, s1, s0
	s_abs_i32 s2, s0
	s_mul_i32 s1, s0, s14
	s_mul_hi_u32 s3, s2, s38
	s_sub_i32 s1, s33, s1
	s_mul_i32 s4, s3, s90
	s_lshl_b32 s39, s1, 6
	s_ashr_i32 s1, s0, 31
	s_sub_i32 s2, s2, s4
	s_xor_b32 s1, s1, s37
	s_add_i32 s4, s3, 1
	s_sub_i32 s5, s2, s90
	s_cmp_ge_u32 s2, s90
	s_cselect_b32 s3, s4, s3
	s_cselect_b32 s2, s5, s2
	s_add_i32 s4, s3, 1
	s_cmp_ge_u32 s2, s90
	s_cselect_b32 s2, s4, s3
	s_xor_b32 s2, s2, s1
	s_sub_i32 s1, s2, s1
	s_mul_i32 s2, s1, s28
	s_lshl_b32 s13, s2, 6
	s_cmp_eq_u32 s1, s29
	s_cselect_b32 s4, s30, s28
	s_sub_i32 s2, s39, s92
	s_add_i32 s2, s2, 64
	s_max_i32 s5, s2, 0
	s_and_saveexec_b64 s[2:3], s[26:27]
	s_xor_b64 s[2:3], exec, s[2:3]
	v_writelane_b32 v92, s2, 23
	s_nop 1
	v_writelane_b32 v92, s3, 24
	s_cbranch_execz .LBB199_44
; %bb.8:                                ;   in Loop: Header=BB199_7 Depth=1
	s_mul_i32 s1, s1, s15
	s_sub_i32 s0, s0, s1
	s_mulk_i32 s0, 0x60
	s_sub_i32 s70, s0, s93
	s_addk_i32 s70, 0x60
	s_max_i32 s1, s70, 0
	s_sub_i32 s0, s0, s1
	v_writelane_b32 v92, s13, 25
	s_and_saveexec_b64 s[2:3], s[24:25]
	s_xor_b64 s[2:3], exec, s[2:3]
	s_cbranch_execz .LBB199_34
; %bb.9:                                ;   in Loop: Header=BB199_7 Depth=1
	s_mov_b64 s[6:7], exec
	v_writelane_b32 v92, s6, 26
	s_nop 1
	v_writelane_b32 v92, s7, 27
	s_and_b64 s[6:7], s[6:7], s[34:35]
	s_mov_b64 exec, s[6:7]
	s_cbranch_execz .LBB199_33
; %bb.10:                               ;   in Loop: Header=BB199_7 Depth=1
	global_load_dword v84, v49, s[22:23]
	v_mov_b32_e32 v47, 0
	v_cmp_gt_i32_e32 vcc, s4, v83
	v_mov_b32_e32 v46, v47
	v_mov_b32_e32 v45, v47
	;; [unrolled: 1-line block ×47, first 2 shown]
	s_and_saveexec_b64 s[6:7], vcc
	s_cbranch_execz .LBB199_26
; %bb.11:                               ;   in Loop: Header=BB199_7 Depth=1
	v_mov_b32_e32 v0, 0
	s_mov_b64 s[8:9], 0
	v_mov_b32_e32 v1, v0
	v_mov_b32_e32 v2, v0
	;; [unrolled: 1-line block ×47, first 2 shown]
	s_branch .LBB199_13
.LBB199_12:                             ;   in Loop: Header=BB199_13 Depth=2
	s_or_b64 exec, exec, s[10:11]
	v_add_u32_e32 v89, 0x1000, v88
	ds_read2_b32 v[90:91], v89 offset1:32
	v_add_u32_e32 v83, s99, v83
	s_waitcnt lgkmcnt(0)
	v_mfma_f32_32x32x16_fp8_fp8 v[0:15], v[60:61], v[90:91], v[0:15]
	ds_read2_b32 v[60:61], v89 offset0:128 offset1:160
	s_waitcnt lgkmcnt(0)
	v_mfma_f32_32x32x16_fp8_fp8 v[0:15], v[58:59], v[60:61], v[0:15]
	v_add_u32_e32 v60, 0x1400, v88
	ds_read2_b32 v[58:59], v60 offset1:32
	ds_read2_b32 v[60:61], v60 offset0:128 offset1:160
	ds_write_b32 v86, v87 offset:51220
	s_waitcnt lgkmcnt(2)
	v_mfma_f32_32x32x16_fp8_fp8 v[0:15], v[56:57], v[58:59], v[0:15]
	v_add_u32_e32 v56, s99, v85
	v_add_u32_e32 v57, 2, v63
	v_cmp_lt_i32_e32 vcc, 4, v56
	s_nop 1
	v_cndmask_b32_e32 v63, v63, v57, vcc
	v_cmp_le_i32_e32 vcc, s4, v83
	s_waitcnt lgkmcnt(1)
	v_mfma_f32_32x32x16_fp8_fp8 v[0:15], v[54:55], v[60:61], v[0:15]
	s_or_b64 s[8:9], vcc, s[8:9]
	s_andn2_b64 exec, exec, s[8:9]
	s_cbranch_execz .LBB199_25
.LBB199_13:                             ;   Parent Loop BB199_7 Depth=1
                                        ; =>  This Loop Header: Depth=2
                                        ;       Child Loop BB199_15 Depth 3
                                        ;       Child Loop BB199_18 Depth 3
	;; [unrolled: 1-line block ×4, first 2 shown]
	v_cmp_gt_i32_e32 vcc, 5, v56
	s_nop 1
	v_cndmask_b32_e64 v54, -5, 0, vcc
	v_add_u32_e32 v85, v54, v56
	v_mul_lo_u32 v86, v85, 24
	ds_read_b32 v54, v86 offset:51200
	s_waitcnt lgkmcnt(0)
	v_cmp_ne_u32_e32 vcc, v54, v63
	s_and_saveexec_b64 s[10:11], vcc
	s_cbranch_execz .LBB199_16
; %bb.14:                               ;   in Loop: Header=BB199_13 Depth=2
	s_mov_b64 s[12:13], 0
.LBB199_15:                             ;   Parent Loop BB199_7 Depth=1
                                        ;     Parent Loop BB199_13 Depth=2
                                        ; =>    This Inner Loop Header: Depth=3
	;;#ASMSTART
	s_sleep 0
	;;#ASMEND
	ds_read_b32 v54, v86 offset:51200
	s_waitcnt lgkmcnt(0)
	v_cmp_eq_u32_e32 vcc, v54, v63
	s_or_b64 s[12:13], vcc, s[12:13]
	s_andn2_b64 exec, exec, s[12:13]
	s_cbranch_execnz .LBB199_15
.LBB199_16:                             ;   in Loop: Header=BB199_13 Depth=2
	s_or_b64 exec, exec, s[10:11]
	v_lshl_add_u32 v54, v85, 11, v65
	ds_read2_b32 v[60:61], v54 offset1:32
	ds_read2_b32 v[58:59], v54 offset0:128 offset1:160
	v_add_u32_e32 v54, 0x400, v54
	ds_read2_b32 v[56:57], v54 offset1:32
	ds_read_b32 v88, v86 offset:51204
	ds_read2_b32 v[54:55], v54 offset0:128 offset1:160
	v_add_u32_e32 v87, 1, v63
	ds_write_b32 v86, v87 offset:51200
	s_waitcnt lgkmcnt(2)
	v_cmp_ne_u32_e32 vcc, v88, v63
	s_and_saveexec_b64 s[10:11], vcc
	s_cbranch_execz .LBB199_19
; %bb.17:                               ;   in Loop: Header=BB199_13 Depth=2
	s_mov_b64 s[12:13], 0
.LBB199_18:                             ;   Parent Loop BB199_7 Depth=1
                                        ;     Parent Loop BB199_13 Depth=2
                                        ; =>    This Inner Loop Header: Depth=3
	;;#ASMSTART
	s_sleep 0
	;;#ASMEND
	ds_read_b32 v88, v86 offset:51204
	s_waitcnt lgkmcnt(0)
	v_cmp_eq_u32_e32 vcc, v88, v63
	s_or_b64 s[12:13], vcc, s[12:13]
	s_andn2_b64 exec, exec, s[12:13]
	s_cbranch_execnz .LBB199_18
.LBB199_19:                             ;   in Loop: Header=BB199_13 Depth=2
	s_or_b64 exec, exec, s[10:11]
	s_movk_i32 s1, 0x1800
	v_mul_lo_u32 v88, v85, s1
	v_or_b32_e32 v89, v66, v88
	ds_read2_b32 v[90:91], v89 offset1:32
	ds_write_b32 v86, v87 offset:51204
	s_waitcnt lgkmcnt(1)
	v_mfma_f32_32x32x16_fp8_fp8 v[32:47], v[60:61], v[90:91], v[32:47]
	ds_read2_b32 v[90:91], v89 offset0:128 offset1:160
	v_add_u32_e32 v89, 0x400, v89
	s_waitcnt lgkmcnt(0)
	v_mfma_f32_32x32x16_fp8_fp8 v[32:47], v[58:59], v[90:91], v[32:47]
	ds_read2_b32 v[90:91], v89 offset1:32
	s_waitcnt lgkmcnt(0)
	v_mfma_f32_32x32x16_fp8_fp8 v[32:47], v[56:57], v[90:91], v[32:47]
	ds_read2_b32 v[90:91], v89 offset0:128 offset1:160
	ds_read_b32 v89, v86 offset:51212
	s_waitcnt lgkmcnt(0)
	v_cmp_ne_u32_e32 vcc, v89, v63
	v_mfma_f32_32x32x16_fp8_fp8 v[32:47], v[54:55], v[90:91], v[32:47]
	s_and_saveexec_b64 s[10:11], vcc
	s_cbranch_execz .LBB199_22
; %bb.20:                               ;   in Loop: Header=BB199_13 Depth=2
	s_mov_b64 s[12:13], 0
.LBB199_21:                             ;   Parent Loop BB199_7 Depth=1
                                        ;     Parent Loop BB199_13 Depth=2
                                        ; =>    This Inner Loop Header: Depth=3
	;;#ASMSTART
	s_sleep 0
	;;#ASMEND
	ds_read_b32 v89, v86 offset:51212
	s_waitcnt lgkmcnt(0)
	v_cmp_eq_u32_e32 vcc, v89, v63
	s_or_b64 s[12:13], vcc, s[12:13]
	s_andn2_b64 exec, exec, s[12:13]
	s_cbranch_execnz .LBB199_21
.LBB199_22:                             ;   in Loop: Header=BB199_13 Depth=2
	s_or_b64 exec, exec, s[10:11]
	v_add_u32_e32 v88, v66, v88
	v_add_u32_e32 v89, 0x800, v88
	ds_read2_b32 v[90:91], v89 offset1:32
	ds_write_b32 v86, v87 offset:51212
	s_waitcnt lgkmcnt(1)
	v_mfma_f32_32x32x16_fp8_fp8 v[16:31], v[60:61], v[90:91], v[16:31]
	ds_read2_b32 v[90:91], v89 offset0:128 offset1:160
	v_add_u32_e32 v89, 0xc00, v88
	s_waitcnt lgkmcnt(0)
	v_mfma_f32_32x32x16_fp8_fp8 v[16:31], v[58:59], v[90:91], v[16:31]
	ds_read2_b32 v[90:91], v89 offset1:32
	s_waitcnt lgkmcnt(0)
	v_mfma_f32_32x32x16_fp8_fp8 v[16:31], v[56:57], v[90:91], v[16:31]
	ds_read2_b32 v[90:91], v89 offset0:128 offset1:160
	ds_read_b32 v89, v86 offset:51220
	s_waitcnt lgkmcnt(0)
	v_cmp_ne_u32_e32 vcc, v89, v63
	v_mfma_f32_32x32x16_fp8_fp8 v[16:31], v[54:55], v[90:91], v[16:31]
	s_and_saveexec_b64 s[10:11], vcc
	s_cbranch_execz .LBB199_12
; %bb.23:                               ;   in Loop: Header=BB199_13 Depth=2
	s_mov_b64 s[12:13], 0
.LBB199_24:                             ;   Parent Loop BB199_7 Depth=1
                                        ;     Parent Loop BB199_13 Depth=2
                                        ; =>    This Inner Loop Header: Depth=3
	;;#ASMSTART
	s_sleep 0
	;;#ASMEND
	ds_read_b32 v89, v86 offset:51220
	s_waitcnt lgkmcnt(0)
	v_cmp_eq_u32_e32 vcc, v89, v63
	s_or_b64 s[12:13], vcc, s[12:13]
	s_andn2_b64 exec, exec, s[12:13]
	s_cbranch_execnz .LBB199_24
	s_branch .LBB199_12
.LBB199_25:                             ;   in Loop: Header=BB199_7 Depth=1
	s_or_b64 exec, exec, s[8:9]
.LBB199_26:                             ;   in Loop: Header=BB199_7 Depth=1
	s_or_b64 exec, exec, s[6:7]
	v_cmp_le_i32_e32 vcc, s70, v64
	v_cmp_eq_u32_e64 s[60:61], 1, v67
	v_cmp_eq_u32_e64 s[26:27], 2, v67
	s_waitcnt vmcnt(0)
	v_cndmask_b32_e32 v54, 0, v84, vcc
	v_pk_mul_f32 v[32:33], v[54:55], v[32:33] op_sel_hi:[0,1]
	v_pk_mul_f32 v[46:47], v[54:55], v[46:47] op_sel_hi:[0,1]
	;; [unrolled: 1-line block ×8, first 2 shown]
	v_cndmask_b32_e64 v54, v32, v33, s[60:61]
	v_cndmask_b32_e64 v54, v54, v34, s[26:27]
	v_cmp_eq_u32_e64 s[40:41], 3, v67
	v_cmp_eq_u32_e64 s[42:43], 4, v67
	v_cmp_eq_u32_e64 s[44:45], 5, v67
	v_cndmask_b32_e64 v54, v54, v35, s[40:41]
	v_cndmask_b32_e64 v54, v54, v36, s[42:43]
	v_cndmask_b32_e64 v54, v54, v37, s[44:45]
	v_cmp_eq_u32_e64 s[46:47], 6, v67
	v_cmp_eq_u32_e64 s[48:49], 7, v67
	v_cmp_eq_u32_e64 s[50:51], 8, v67
	v_cndmask_b32_e64 v54, v54, v38, s[46:47]
	;; [unrolled: 6-line block ×4, first 2 shown]
	v_cndmask_b32_e64 v54, v54, v45, s[62:63]
	v_cndmask_b32_e64 v54, v54, v46, s[64:65]
	v_cmp_eq_u32_e64 s[66:67], 15, v67
	s_mul_i32 s6, s39, s93
	s_ashr_i32 s7, s6, 31
	v_cndmask_b32_e64 v54, v54, v47, s[66:67]
	ds_bpermute_b32 v54, v82, v54
	s_lshl_b64 s[6:7], s[6:7], 1
	v_cmp_eq_u32_e64 s[36:37], 0, v67
	s_add_u32 s71, s20, s6
	v_cmp_eq_u32_e32 vcc, 1, v68
	s_waitcnt lgkmcnt(0)
	v_cndmask_b32_e64 v47, v47, v54, s[66:67]
	v_cndmask_b32_e64 v46, v46, v54, s[64:65]
	;; [unrolled: 1-line block ×16, first 2 shown]
	s_addc_u32 s72, s21, s7
	v_cndmask_b32_e32 v32, v54, v86, vcc
	v_cmp_eq_u32_e64 s[6:7], 2, v68
	v_cmp_eq_u32_e64 s[8:9], 3, v68
	v_cmp_eq_u32_e64 s[10:11], 4, v68
	v_cndmask_b32_e64 v32, v32, v85, s[6:7]
	v_cndmask_b32_e64 v32, v32, v61, s[8:9]
	v_cndmask_b32_e64 v32, v32, v60, s[10:11]
	v_cmp_eq_u32_e64 s[12:13], 5, v68
	v_cmp_eq_u32_e64 s[14:15], 6, v68
	v_cmp_eq_u32_e64 s[16:17], 7, v68
	v_cndmask_b32_e64 v32, v32, v59, s[12:13]
	v_cndmask_b32_e64 v32, v32, v58, s[14:15]
	v_cndmask_b32_e64 v32, v32, v57, s[16:17]
	;; [unrolled: 6-line block ×4, first 2 shown]
	v_cmp_eq_u32_e64 s[34:35], 14, v68
	v_writelane_b32 v92, s39, 28
	v_cmp_eq_u32_e64 s[38:39], 15, v68
	v_cndmask_b32_e64 v32, v32, v46, s[34:35]
	s_ashr_i32 s1, s0, 31
	v_cndmask_b32_e64 v32, v32, v47, s[38:39]
	ds_bpermute_b32 v55, v82, v32
	s_lshl_b64 s[68:69], s[0:1], 1
	s_add_u32 s68, s71, s68
	s_addc_u32 s69, s72, s69
	v_writelane_b32 v92, s68, 29
	s_waitcnt lgkmcnt(0)
	v_cndmask_b32_e64 v33, v47, v55, s[38:39]
	v_cndmask_b32_e64 v38, v42, v55, s[22:23]
	v_writelane_b32 v92, s69, 30
	v_cmp_le_i32_e64 s[68:69], s70, v75
	v_cmp_le_i32_e64 s[70:71], s70, v76
	v_cndmask_b32_e64 v42, v58, v55, s[14:15]
	v_cndmask_b32_e64 v32, 0, v84, s[68:69]
	;; [unrolled: 1-line block ×3, first 2 shown]
	v_pk_mul_f32 v[16:17], v[32:33], v[16:17] op_sel_hi:[0,1]
	v_pk_mul_f32 v[0:1], v[58:59], v[0:1] op_sel_hi:[0,1]
	v_cndmask_b32_e64 v35, v45, v55, s[30:31]
	v_cndmask_b32_e64 v36, v44, v55, s[28:29]
	;; [unrolled: 1-line block ×4, first 2 shown]
	v_pk_mul_f32 v[30:31], v[32:33], v[30:31] op_sel_hi:[0,1]
	v_pk_mul_f32 v[28:29], v[32:33], v[28:29] op_sel_hi:[0,1]
	;; [unrolled: 1-line block ×7, first 2 shown]
	v_cndmask_b32_e64 v32, v16, v17, s[60:61]
	v_pk_mul_f32 v[60:61], v[58:59], v[4:5] op_sel_hi:[0,1]
	v_pk_mul_f32 v[2:3], v[58:59], v[2:3] op_sel_hi:[0,1]
	v_cndmask_b32_e64 v4, v0, v1, s[60:61]
	v_cndmask_b32_e64 v32, v32, v18, s[26:27]
	;; [unrolled: 1-line block ×8, first 2 shown]
	v_pk_mul_f32 v[6:7], v[58:59], v[6:7] op_sel_hi:[0,1]
	v_cndmask_b32_e64 v4, v4, v61, s[44:45]
	v_cndmask_b32_e64 v32, v32, v22, s[46:47]
	v_cndmask_b32_e64 v4, v4, v6, s[46:47]
	v_cndmask_b32_e64 v32, v32, v23, s[48:49]
	v_pk_mul_f32 v[8:9], v[58:59], v[8:9] op_sel_hi:[0,1]
	v_cndmask_b32_e64 v4, v4, v7, s[48:49]
	v_cndmask_b32_e64 v32, v32, v24, s[50:51]
	v_cndmask_b32_e64 v4, v4, v8, s[50:51]
	v_cndmask_b32_e64 v32, v32, v25, s[52:53]
	;; [unrolled: 5-line block ×5, first 2 shown]
	v_cndmask_b32_e64 v4, v4, v15, s[66:67]
	ds_bpermute_b32 v32, v82, v32
	ds_bpermute_b32 v5, v82, v4
	v_cmp_eq_u32_e64 s[68:69], 0, v68
	v_cndmask_b32_e32 v47, v86, v55, vcc
	v_cmp_eq_u32_e64 s[70:71], 1, v69
	v_cndmask_b32_e64 v54, v54, v55, s[68:69]
	v_cndmask_b32_e64 v34, v46, v55, s[34:35]
	;; [unrolled: 1-line block ×9, first 2 shown]
	s_waitcnt lgkmcnt(1)
	v_cndmask_b32_e64 v4, v17, v32, s[60:61]
	v_cmp_eq_u32_e64 s[60:61], 2, v69
	v_cndmask_b32_e64 v18, v18, v32, s[26:27]
	s_waitcnt lgkmcnt(0)
	v_cndmask_b32_e64 v2, v2, v5, s[26:27]
	v_cmp_ne_u32_e64 s[26:27], 0, v67
	v_cndmask_b32_e64 v17, v55, v46, s[60:61]
	v_cndmask_b32_e64 v31, v31, v32, s[66:67]
	;; [unrolled: 1-line block ×3, first 2 shown]
	v_cmp_eq_u32_e64 s[66:67], 3, v69
	v_cndmask_b32_e64 v1, v1, v5, s[26:27]
	v_cndmask_b32_e64 v16, v16, v32, s[36:37]
	;; [unrolled: 1-line block ×6, first 2 shown]
	v_cmp_eq_u32_e64 s[64:65], 4, v69
	v_cndmask_b32_e64 v29, v29, v32, s[62:63]
	v_cndmask_b32_e64 v13, v13, v5, s[62:63]
	;; [unrolled: 1-line block ×22, first 2 shown]
	v_cndmask_b32_e32 v32, v16, v4, vcc
	v_cndmask_b32_e32 v5, v0, v1, vcc
	v_cndmask_b32_e64 v17, v17, v44, s[64:65]
	v_cmp_eq_u32_e64 s[62:63], 5, v69
	v_cndmask_b32_e64 v32, v32, v18, s[6:7]
	v_cndmask_b32_e64 v5, v5, v2, s[6:7]
	v_cndmask_b32_e64 v17, v17, v43, s[62:63]
	v_cmp_eq_u32_e64 s[58:59], 6, v69
	v_cndmask_b32_e64 v32, v32, v19, s[8:9]
	v_cndmask_b32_e64 v5, v5, v3, s[8:9]
	;; [unrolled: 4-line block ×11, first 2 shown]
	v_cndmask_b32_e64 v17, v17, v33, s[82:83]
	v_cndmask_b32_e64 v32, v32, v29, s[30:31]
	;; [unrolled: 1-line block ×3, first 2 shown]
	ds_bpermute_b32 v17, v82, v17
	v_cndmask_b32_e64 v32, v32, v30, s[34:35]
	v_cndmask_b32_e64 v5, v5, v14, s[34:35]
	;; [unrolled: 1-line block ×4, first 2 shown]
	ds_bpermute_b32 v32, v82, v32
	ds_bpermute_b32 v5, v82, v5
	v_cmp_eq_u32_e64 s[42:43], 0, v69
	s_waitcnt lgkmcnt(2)
	v_cndmask_b32_e64 v33, v33, v17, s[82:83]
	v_cndmask_b32_e64 v34, v34, v17, s[76:77]
	;; [unrolled: 1-line block ×16, first 2 shown]
	v_cmp_eq_u32_e64 s[26:27], 1, v70
	v_cmp_eq_u32_e64 s[36:37], 2, v70
	s_waitcnt lgkmcnt(1)
	v_cndmask_b32_e64 v30, v30, v32, s[34:35]
	v_cndmask_b32_e64 v54, v17, v47, s[26:27]
	;; [unrolled: 1-line block ×3, first 2 shown]
	s_waitcnt lgkmcnt(0)
	v_cndmask_b32_e64 v14, v14, v5, s[34:35]
	v_cmp_eq_u32_e64 s[34:35], 3, v70
	v_cndmask_b32_e32 v4, v4, v32, vcc
	v_cndmask_b32_e32 v1, v1, v5, vcc
	v_cndmask_b32_e64 v16, v16, v32, s[68:69]
	v_cndmask_b32_e64 v0, v0, v5, s[68:69]
	;; [unrolled: 1-line block ×7, first 2 shown]
	v_cmp_eq_u32_e64 s[30:31], 4, v70
	v_cndmask_b32_e64 v28, v28, v32, s[28:29]
	v_cndmask_b32_e64 v12, v12, v5, s[28:29]
	;; [unrolled: 1-line block ×25, first 2 shown]
	v_cmp_eq_u32_e64 s[38:39], 5, v70
	v_cndmask_b32_e64 v32, v32, v18, s[60:61]
	v_cndmask_b32_e64 v5, v5, v2, s[60:61]
	v_cndmask_b32_e64 v54, v54, v43, s[38:39]
	v_cmp_eq_u32_e64 s[24:25], 6, v70
	v_cndmask_b32_e64 v32, v32, v19, s[66:67]
	v_cndmask_b32_e64 v5, v5, v3, s[66:67]
	v_cndmask_b32_e64 v54, v54, v42, s[24:25]
	;; [unrolled: 4-line block ×11, first 2 shown]
	v_cndmask_b32_e64 v32, v32, v29, s[44:45]
	v_cndmask_b32_e64 v5, v5, v13, s[44:45]
	ds_bpermute_b32 v54, v82, v54
	v_cndmask_b32_e64 v32, v32, v30, s[76:77]
	v_cndmask_b32_e64 v5, v5, v14, s[76:77]
	;; [unrolled: 1-line block ×4, first 2 shown]
	ds_bpermute_b32 v32, v82, v32
	ds_bpermute_b32 v5, v82, v5
	v_cmp_eq_u32_e64 s[16:17], 0, v70
	s_waitcnt lgkmcnt(2)
	v_cndmask_b32_e64 v47, v47, v54, s[26:27]
	v_cmp_eq_u32_e64 s[8:9], 1, v71
	v_cndmask_b32_e64 v17, v17, v54, s[16:17]
	v_cndmask_b32_e64 v33, v33, v54, s[86:87]
	;; [unrolled: 1-line block ×16, first 2 shown]
	v_cmp_eq_u32_e64 s[14:15], 2, v71
	v_cmp_eq_u32_e64 s[18:19], 3, v71
	s_waitcnt lgkmcnt(1)
	v_cndmask_b32_e64 v4, v4, v32, s[70:71]
	v_cndmask_b32_e64 v54, v54, v46, s[14:15]
	s_waitcnt lgkmcnt(0)
	v_cndmask_b32_e64 v1, v1, v5, s[70:71]
	v_cndmask_b32_e64 v16, v16, v32, s[42:43]
	;; [unrolled: 1-line block ×10, first 2 shown]
	v_cmp_eq_u32_e64 s[28:29], 4, v71
	v_cndmask_b32_e64 v28, v28, v32, s[46:47]
	v_cndmask_b32_e64 v12, v12, v5, s[46:47]
	;; [unrolled: 1-line block ×25, first 2 shown]
	v_cmp_eq_u32_e64 s[40:41], 5, v71
	v_cndmask_b32_e64 v32, v32, v18, s[36:37]
	v_cndmask_b32_e64 v5, v5, v2, s[36:37]
	v_cndmask_b32_e64 v54, v54, v43, s[40:41]
	v_cmp_eq_u32_e64 s[48:49], 6, v71
	v_cndmask_b32_e64 v32, v32, v19, s[34:35]
	v_cndmask_b32_e64 v5, v5, v3, s[34:35]
	v_cndmask_b32_e64 v54, v54, v42, s[48:49]
	;; [unrolled: 4-line block ×11, first 2 shown]
	v_cndmask_b32_e64 v32, v32, v29, s[12:13]
	v_cndmask_b32_e64 v5, v5, v13, s[12:13]
	ds_bpermute_b32 v54, v82, v54
	v_cndmask_b32_e64 v32, v32, v30, s[10:11]
	v_cndmask_b32_e64 v5, v5, v14, s[10:11]
	;; [unrolled: 1-line block ×4, first 2 shown]
	ds_bpermute_b32 v32, v82, v32
	ds_bpermute_b32 v5, v82, v5
	v_cmp_eq_u32_e64 s[60:61], 0, v71
	s_waitcnt lgkmcnt(2)
	v_cndmask_b32_e64 v47, v47, v54, s[8:9]
	v_cmp_eq_u32_e32 vcc, 1, v72
	v_cndmask_b32_e64 v17, v17, v54, s[60:61]
	v_cndmask_b32_e64 v33, v33, v54, s[88:89]
	;; [unrolled: 1-line block ×15, first 2 shown]
	v_cndmask_b32_e32 v54, v17, v47, vcc
	v_cmp_eq_u32_e64 s[6:7], 2, v72
	s_waitcnt lgkmcnt(1)
	v_cndmask_b32_e64 v30, v30, v32, s[10:11]
	s_waitcnt lgkmcnt(0)
	v_cndmask_b32_e64 v14, v14, v5, s[10:11]
	v_cndmask_b32_e64 v54, v54, v46, s[6:7]
	v_cmp_eq_u32_e64 s[10:11], 3, v72
	v_cndmask_b32_e64 v29, v29, v32, s[12:13]
	v_cndmask_b32_e64 v13, v13, v5, s[12:13]
	v_cndmask_b32_e64 v54, v54, v45, s[10:11]
	v_cmp_eq_u32_e64 s[12:13], 4, v72
	v_cmp_eq_u32_e64 s[42:43], 5, v72
	;; [unrolled: 1-line block ×3, first 2 shown]
	v_cndmask_b32_e64 v54, v54, v44, s[12:13]
	v_cndmask_b32_e64 v54, v54, v43, s[42:43]
	;; [unrolled: 1-line block ×7, first 2 shown]
	v_cmp_eq_u32_e64 s[52:53], 7, v72
	v_cndmask_b32_e64 v9, v9, v5, s[72:73]
	v_cndmask_b32_e64 v8, v8, v5, s[20:21]
	;; [unrolled: 1-line block ×11, first 2 shown]
	v_cmp_eq_u32_e64 s[54:55], 8, v72
	v_cndmask_b32_e64 v0, v5, v58, s[8:9]
	v_cndmask_b32_e64 v31, v31, v32, s[86:87]
	v_cndmask_b32_e64 v28, v28, v32, s[80:81]
	v_cndmask_b32_e64 v27, v27, v32, s[78:79]
	v_cndmask_b32_e64 v26, v26, v32, s[74:75]
	v_cndmask_b32_e64 v25, v25, v32, s[72:73]
	v_cndmask_b32_e64 v54, v54, v40, s[54:55]
	v_cndmask_b32_e64 v24, v24, v32, s[20:21]
	v_cmp_eq_u32_e64 s[56:57], 9, v72
	v_cndmask_b32_e64 v23, v23, v32, s[22:23]
	v_cndmask_b32_e64 v22, v22, v32, s[24:25]
	;; [unrolled: 1-line block ×10, first 2 shown]
	v_cmp_eq_u32_e64 s[62:63], 10, v72
	v_cndmask_b32_e64 v1, v32, v4, s[8:9]
	v_cndmask_b32_e64 v0, v0, v3, s[18:19]
	v_cndmask_b32_e64 v54, v54, v38, s[62:63]
	v_cmp_eq_u32_e64 s[66:67], 11, v72
	v_cndmask_b32_e64 v1, v1, v18, s[14:15]
	v_cndmask_b32_e64 v0, v0, v57, s[28:29]
	v_cndmask_b32_e64 v54, v54, v37, s[66:67]
	;; [unrolled: 4-line block ×6, first 2 shown]
	v_cndmask_b32_e64 v1, v1, v23, s[46:47]
	v_cndmask_b32_e64 v0, v0, v9, s[68:69]
	ds_bpermute_b32 v54, v82, v54
	v_cndmask_b32_e64 v1, v1, v24, s[44:45]
	v_cndmask_b32_e64 v0, v0, v10, s[76:77]
	;; [unrolled: 1-line block ×10, first 2 shown]
	v_cmp_eq_u32_e64 s[34:35], 0, v72
	s_waitcnt lgkmcnt(0)
	v_cndmask_b32_e32 v47, v47, v54, vcc
	v_cndmask_b32_e64 v1, v1, v29, s[64:65]
	v_cndmask_b32_e64 v0, v0, v15, s[88:89]
	;; [unrolled: 1-line block ×3, first 2 shown]
	v_cmp_eq_u32_e64 s[16:17], 1, v73
	v_cndmask_b32_e64 v46, v46, v54, s[6:7]
	v_cndmask_b32_e64 v1, v1, v30, s[84:85]
	ds_bpermute_b32 v60, v82, v0
	v_cndmask_b32_e64 v0, v17, v47, s[16:17]
	v_cmp_eq_u32_e64 s[20:21], 2, v73
	v_cndmask_b32_e64 v45, v45, v54, s[10:11]
	v_cndmask_b32_e64 v1, v1, v31, s[88:89]
	;; [unrolled: 1-line block ×3, first 2 shown]
	v_cmp_eq_u32_e64 s[22:23], 3, v73
	v_cndmask_b32_e64 v44, v44, v54, s[12:13]
	ds_bpermute_b32 v59, v82, v1
	v_cndmask_b32_e64 v0, v0, v45, s[22:23]
	v_cmp_eq_u32_e64 s[24:25], 4, v73
	v_cndmask_b32_e64 v43, v43, v54, s[42:43]
	v_cmp_eq_u32_e64 s[26:27], 5, v73
	v_cndmask_b32_e64 v0, v0, v44, s[24:25]
	v_cndmask_b32_e64 v42, v42, v54, s[50:51]
	;; [unrolled: 1-line block ×3, first 2 shown]
	v_cmp_eq_u32_e64 s[30:31], 6, v73
	v_cndmask_b32_e64 v41, v41, v54, s[52:53]
	v_cmp_eq_u32_e64 s[36:37], 7, v73
	v_cndmask_b32_e64 v0, v0, v42, s[30:31]
	v_cndmask_b32_e64 v40, v40, v54, s[54:55]
	;; [unrolled: 1-line block ×3, first 2 shown]
	v_cmp_eq_u32_e64 s[38:39], 8, v73
	v_cndmask_b32_e64 v39, v39, v54, s[56:57]
	s_waitcnt lgkmcnt(0)
	v_cndmask_b32_e64 v24, v24, v59, s[44:45]
	v_cndmask_b32_e64 v0, v0, v40, s[38:39]
	v_cndmask_b32_e64 v8, v8, v60, s[44:45]
	v_cmp_eq_u32_e64 s[44:45], 9, v73
	v_cndmask_b32_e64 v38, v38, v54, s[62:63]
	v_cndmask_b32_e64 v23, v23, v59, s[46:47]
	v_cndmask_b32_e64 v0, v0, v39, s[44:45]
	v_cndmask_b32_e64 v7, v7, v60, s[46:47]
	v_cmp_eq_u32_e64 s[46:47], 10, v73
	v_cndmask_b32_e64 v37, v37, v54, s[66:67]
	;; [unrolled: 5-line block ×3, first 2 shown]
	v_cndmask_b32_e64 v34, v34, v54, s[74:75]
	v_cndmask_b32_e64 v35, v35, v54, s[72:73]
	;; [unrolled: 1-line block ×6, first 2 shown]
	v_cmp_eq_u32_e64 s[40:41], 12, v73
	v_cndmask_b32_e64 v20, v20, v59, s[28:29]
	v_cndmask_b32_e64 v55, v57, v60, s[28:29]
	v_cndmask_b32_e64 v0, v0, v36, s[40:41]
	v_cmp_eq_u32_e64 s[28:29], 13, v73
	v_cndmask_b32_e64 v27, v27, v59, s[58:59]
	v_cndmask_b32_e64 v11, v11, v60, s[58:59]
	v_cndmask_b32_e64 v0, v0, v35, s[28:29]
	;; [unrolled: 4-line block ×4, first 2 shown]
	ds_bpermute_b32 v57, v82, v0
	v_cndmask_b32_e64 v32, v32, v59, s[60:61]
	v_cndmask_b32_e64 v18, v18, v59, s[14:15]
	;; [unrolled: 1-line block ×4, first 2 shown]
	s_waitcnt lgkmcnt(0)
	v_cndmask_b32_e64 v1, v43, v57, s[26:27]
	v_cndmask_b32_e64 v3, v45, v57, s[22:23]
	;; [unrolled: 1-line block ×5, first 2 shown]
	v_cndmask_b32_e32 v44, v32, v4, vcc
	v_cndmask_b32_e32 v5, v45, v43, vcc
	v_cndmask_b32_e64 v44, v44, v18, s[6:7]
	v_cndmask_b32_e64 v5, v5, v84, s[6:7]
	;; [unrolled: 1-line block ×38, first 2 shown]
	v_cmp_eq_u32_e64 s[76:77], 0, v73
	v_cndmask_b32_e64 v16, v46, v57, s[20:21]
	v_cndmask_b32_e64 v0, v47, v57, s[16:17]
	ds_bpermute_b32 v44, v82, v44
	ds_bpermute_b32 v46, v82, v5
	v_cndmask_b32_e64 v47, v17, v57, s[76:77]
	v_cmp_eq_u32_e64 s[8:9], 1, v74
	v_cmp_eq_u32_e64 s[14:15], 2, v74
	;; [unrolled: 1-line block ×3, first 2 shown]
	v_cndmask_b32_e64 v5, v47, v0, s[8:9]
	v_cndmask_b32_e64 v5, v5, v16, s[14:15]
	;; [unrolled: 1-line block ×3, first 2 shown]
	v_cmp_eq_u32_e64 s[60:61], 4, v74
	v_cmp_eq_u32_e64 s[68:69], 5, v74
	v_cndmask_b32_e64 v42, v42, v57, s[30:31]
	v_cndmask_b32_e64 v5, v5, v2, s[60:61]
	;; [unrolled: 1-line block ×3, first 2 shown]
	s_waitcnt lgkmcnt(1)
	v_cndmask_b32_e64 v27, v27, v44, s[66:67]
	s_waitcnt lgkmcnt(0)
	v_cndmask_b32_e64 v60, v11, v46, s[66:67]
	v_cmp_eq_u32_e64 s[66:67], 6, v74
	v_cndmask_b32_e32 v91, v4, v44, vcc
	v_cndmask_b32_e64 v32, v32, v44, s[34:35]
	v_cndmask_b32_e64 v41, v41, v57, s[36:37]
	v_cndmask_b32_e64 v5, v5, v42, s[66:67]
	v_cndmask_b32_e64 v26, v26, v44, s[62:63]
	v_cndmask_b32_e64 v85, v10, v46, s[62:63]
	v_cmp_eq_u32_e64 s[62:63], 7, v74
	v_cndmask_b32_e64 v18, v18, v44, s[6:7]
	v_cndmask_b32_e64 v4, v32, v91, s[16:17]
	v_cndmask_b32_e64 v40, v40, v57, s[38:39]
	v_cndmask_b32_e64 v5, v5, v41, s[62:63]
	v_cndmask_b32_e64 v25, v25, v44, s[56:57]
	v_cndmask_b32_e64 v86, v9, v46, s[56:57]
	v_cmp_eq_u32_e64 s[56:57], 8, v74
	v_cndmask_b32_e64 v19, v19, v44, s[10:11]
	;; [unrolled: 7-line block ×5, first 2 shown]
	v_cndmask_b32_e64 v36, v36, v57, s[40:41]
	v_cndmask_b32_e64 v5, v5, v37, s[50:51]
	v_cndmask_b32_e64 v54, v54, v46, s[42:43]
	v_cmp_eq_u32_e64 s[42:43], 12, v74
	v_cndmask_b32_e64 v4, v4, v22, s[30:31]
	v_cndmask_b32_e64 v35, v35, v57, s[28:29]
	v_cndmask_b32_e64 v5, v5, v36, s[42:43]
	v_cndmask_b32_e64 v55, v55, v46, s[12:13]
	v_cmp_eq_u32_e64 s[12:13], 13, v74
	v_cndmask_b32_e64 v4, v4, v23, s[36:37]
	;; [unrolled: 5-line block ×4, first 2 shown]
	v_cndmask_b32_e64 v4, v4, v26, s[46:47]
	v_cndmask_b32_e64 v5, v5, v33, s[6:7]
	;; [unrolled: 1-line block ×3, first 2 shown]
	ds_bpermute_b32 v90, v82, v5
	v_cndmask_b32_e64 v4, v4, v27, s[48:49]
	v_cndmask_b32_e64 v29, v29, v44, s[72:73]
	;; [unrolled: 1-line block ×9, first 2 shown]
	s_waitcnt lgkmcnt(0)
	v_cndmask_b32_e64 v15, v33, v90, s[6:7]
	ds_bpermute_b32 v33, v82, v4
	v_cndmask_b32_e64 v57, v14, v46, s[74:75]
	v_cndmask_b32_e64 v14, v34, v90, s[10:11]
	;; [unrolled: 1-line block ×4, first 2 shown]
	s_waitcnt lgkmcnt(0)
	v_cndmask_b32_e64 v34, v91, v33, s[16:17]
	v_cndmask_b32_e64 v32, v32, v33, s[76:77]
	;; [unrolled: 1-line block ×32, first 2 shown]
	ds_bpermute_b32 v33, v82, v1
	v_cndmask_b32_e64 v58, v13, v46, s[72:73]
	v_cndmask_b32_e32 v43, v43, v46, vcc
	v_cndmask_b32_e64 v13, v35, v90, s[12:13]
	v_cndmask_b32_e64 v35, v45, v46, s[34:35]
	s_waitcnt lgkmcnt(0)
	v_cndmask_b32_e64 v31, v16, v33, s[6:7]
	v_cndmask_b32_e64 v16, v35, v43, s[16:17]
	;; [unrolled: 1-line block ×17, first 2 shown]
	ds_bpermute_b32 v16, v82, v16
	v_cndmask_b32_e64 v11, v37, v90, s[50:51]
	v_cndmask_b32_e64 v7, v41, v90, s[62:63]
	;; [unrolled: 1-line block ×4, first 2 shown]
	s_waitcnt lgkmcnt(0)
	v_cndmask_b32_e64 v37, v57, v16, s[58:59]
	v_cndmask_b32_e64 v41, v85, v16, s[46:47]
	;; [unrolled: 1-line block ×33, first 2 shown]
	ds_bpermute_b32 v87, v82, v16
	v_cmp_eq_u32_e32 vcc, 0, v74
	v_cndmask_b32_e64 v1, v0, v90, s[8:9]
	v_readlane_b32 s24, v92, 10
	v_cndmask_b32_e32 v0, v47, v90, vcc
	s_waitcnt lgkmcnt(0)
	v_cndmask_b32_e64 v47, v36, v87, s[6:7]
	v_readlane_b32 s6, v92, 29
	v_readlane_b32 s7, v92, 30
	;; [unrolled: 1-line block ×4, first 2 shown]
	v_subrev_u32_e32 v83, s4, v83
	s_mov_b32 s1, 0
	v_cndmask_b32_e64 v6, v42, v90, s[66:67]
	v_cndmask_b32_e64 v3, v3, v90, s[18:19]
	v_cndmask_b32_e64 v30, v30, v33, s[10:11]
	v_cndmask_b32_e64 v29, v29, v33, s[12:13]
	v_cndmask_b32_e64 v28, v28, v33, s[42:43]
	v_cndmask_b32_e64 v27, v27, v33, s[50:51]
	v_cndmask_b32_e64 v26, v26, v33, s[52:53]
	v_cndmask_b32_e64 v25, v25, v33, s[54:55]
	v_cndmask_b32_e64 v24, v24, v33, s[56:57]
	v_cndmask_b32_e64 v23, v23, v33, s[62:63]
	v_cndmask_b32_e64 v22, v22, v33, s[66:67]
	v_cndmask_b32_e64 v21, v21, v33, s[68:69]
	v_cndmask_b32_e64 v20, v20, v33, s[60:61]
	v_cndmask_b32_e64 v19, v19, v33, s[18:19]
	v_cndmask_b32_e64 v18, v18, v33, s[14:15]
	v_cndmask_b32_e64 v17, v34, v33, s[8:9]
	v_cndmask_b32_e32 v16, v32, v33, vcc
	v_cndmask_b32_e64 v46, v37, v87, s[10:11]
	v_cndmask_b32_e64 v45, v38, v87, s[12:13]
	;; [unrolled: 1-line block ×14, first 2 shown]
	v_cndmask_b32_e32 v32, v86, v87, vcc
	v_lshl_add_u64 v[54:55], s[6:7], 0, v[48:49]
	s_mov_b64 s[6:7], 0
	s_mov_b32 s16, 0
	v_readlane_b32 s25, v92, 11
	v_readlane_b32 s27, v92, 13
	v_readlane_b32 s28, v92, 14
	v_readlane_b32 s29, v92, 15
	v_readlane_b32 s30, v92, 16
	v_readlane_b32 s35, v92, 18
	v_readlane_b32 s31, v92, 19
	v_readlane_b32 s36, v92, 20
	v_readlane_b32 s37, v92, 21
	v_readlane_b32 s38, v92, 22
	s_mov_b64 s[20:21], 0x80
                                        ; implicit-def: $sgpr8_sgpr9
	s_branch .LBB199_29
.LBB199_27:                             ;   in Loop: Header=BB199_29 Depth=2
	s_or_b64 exec, exec, s[12:13]
	s_andn2_b64 s[8:9], s[8:9], exec
	s_and_b64 s[12:13], s[14:15], exec
	s_or_b64 s[8:9], s[8:9], s[12:13]
.LBB199_28:                             ;   in Loop: Header=BB199_29 Depth=2
	s_or_b64 exec, exec, s[10:11]
	s_and_b64 s[10:11], exec, s[8:9]
	s_or_b64 s[6:7], s[10:11], s[6:7]
	s_andn2_b64 exec, exec, s[6:7]
	s_cbranch_execz .LBB199_32
.LBB199_29:                             ;   Parent Loop BB199_7 Depth=1
                                        ; =>  This Inner Loop Header: Depth=2
	s_and_b32 s12, s1, 24
	v_or_b32_e32 v57, s12, v80
	v_add_u32_e32 v58, s5, v57
	v_cmp_gt_u32_e32 vcc, 32, v58
	s_or_b64 s[8:9], s[8:9], exec
	s_and_saveexec_b64 s[10:11], vcc
	s_cbranch_execz .LBB199_28
; %bb.30:                               ;   in Loop: Header=BB199_29 Depth=2
	s_add_i32 s13, s16, 1
	s_set_gpr_idx_on s16, gpr_idx(SRC0)
	v_mov_b32_e32 v58, v0
	s_set_gpr_idx_off
	v_cvt_f16_f32_e32 v60, v58
	s_set_gpr_idx_on s13, gpr_idx(SRC0)
	v_mov_b32_e32 v58, v0
	s_set_gpr_idx_off
	v_cvt_f16_f32_sdwa v61, v58 dst_sel:WORD_1 dst_unused:UNUSED_PAD src0_sel:DWORD
	v_mul_lo_u32 v58, v57, s93
	v_ashrrev_i32_e32 v59, 31, v58
	v_lshl_add_u64 v[58:59], v[58:59], 1, v[54:55]
	v_or_b32_e32 v57, v61, v60
	;;#ASMSTART
	global_atomic_pk_add_f16 v[58:59], v57, off
	
	;;#ASMEND
	s_set_gpr_idx_on s16, gpr_idx(SRC0)
	v_mov_b32_e32 v57, v16
	s_set_gpr_idx_off
	v_cvt_f16_f32_e32 v57, v57
	s_set_gpr_idx_on s13, gpr_idx(SRC0)
	v_mov_b32_e32 v60, v16
	s_set_gpr_idx_off
	v_cvt_f16_f32_sdwa v84, v60 dst_sel:WORD_1 dst_unused:UNUSED_PAD src0_sel:DWORD
	v_lshl_add_u64 v[60:61], v[58:59], 0, 64
	v_lshl_add_u64 v[58:59], v[58:59], 0, s[20:21]
	s_mov_b64 s[14:15], -1
	v_or_b32_e32 v57, v84, v57
	;;#ASMSTART
	global_atomic_pk_add_f16 v[60:61], v57, off
	
	;;#ASMEND
	s_set_gpr_idx_on s16, gpr_idx(SRC0)
	v_mov_b32_e32 v57, v32
	s_set_gpr_idx_off
	v_cvt_f16_f32_e32 v57, v57
	s_set_gpr_idx_on s13, gpr_idx(SRC0)
	v_mov_b32_e32 v60, v32
	s_set_gpr_idx_off
	v_cvt_f16_f32_sdwa v60, v60 dst_sel:WORD_1 dst_unused:UNUSED_PAD src0_sel:DWORD
	s_nop 0
	v_or_b32_e32 v57, v60, v57
	;;#ASMSTART
	global_atomic_pk_add_f16 v[58:59], v57, off
	
	;;#ASMEND
	v_or_b32_e32 v57, s12, v81
	v_add_u32_e32 v58, s5, v57
	v_cmp_gt_u32_e32 vcc, 32, v58
	s_and_saveexec_b64 s[12:13], vcc
	s_cbranch_execz .LBB199_27
; %bb.31:                               ;   in Loop: Header=BB199_29 Depth=2
	s_add_i32 s14, s16, 2
	s_add_i32 s15, s16, 3
	s_set_gpr_idx_on s14, gpr_idx(SRC0)
	v_mov_b32_e32 v58, v0
	s_set_gpr_idx_off
	v_cvt_f16_f32_e32 v60, v58
	s_set_gpr_idx_on s15, gpr_idx(SRC0)
	v_mov_b32_e32 v58, v0
	s_set_gpr_idx_off
	v_cvt_f16_f32_sdwa v61, v58 dst_sel:WORD_1 dst_unused:UNUSED_PAD src0_sel:DWORD
	v_mul_lo_u32 v58, v57, s93
	v_ashrrev_i32_e32 v59, 31, v58
	v_lshl_add_u64 v[58:59], v[58:59], 1, v[54:55]
	v_or_b32_e32 v57, v61, v60
	;;#ASMSTART
	global_atomic_pk_add_f16 v[58:59], v57, off
	
	;;#ASMEND
	s_set_gpr_idx_on s14, gpr_idx(SRC0)
	v_mov_b32_e32 v57, v16
	s_set_gpr_idx_off
	v_cvt_f16_f32_e32 v57, v57
	s_set_gpr_idx_on s15, gpr_idx(SRC0)
	v_mov_b32_e32 v60, v16
	s_set_gpr_idx_off
	v_cvt_f16_f32_sdwa v84, v60 dst_sel:WORD_1 dst_unused:UNUSED_PAD src0_sel:DWORD
	v_lshl_add_u64 v[60:61], v[58:59], 0, 64
	s_add_i32 s16, s16, 4
	s_add_i32 s1, s1, 8
	v_or_b32_e32 v57, v84, v57
	;;#ASMSTART
	global_atomic_pk_add_f16 v[60:61], v57, off
	
	;;#ASMEND
	s_set_gpr_idx_on s14, gpr_idx(SRC0)
	v_mov_b32_e32 v57, v32
	s_set_gpr_idx_off
	v_cvt_f16_f32_e32 v57, v57
	s_set_gpr_idx_on s15, gpr_idx(SRC0)
	v_mov_b32_e32 v60, v32
	s_set_gpr_idx_off
	v_cvt_f16_f32_sdwa v60, v60 dst_sel:WORD_1 dst_unused:UNUSED_PAD src0_sel:DWORD
	s_cmp_eq_u32 s16, 16
	s_cselect_b64 s[14:15], -1, 0
	s_orn2_b64 s[14:15], s[14:15], exec
	v_lshl_add_u64 v[58:59], v[58:59], 0, s[20:21]
	v_or_b32_e32 v57, v60, v57
	;;#ASMSTART
	global_atomic_pk_add_f16 v[58:59], v57, off
	
	;;#ASMEND
	s_branch .LBB199_27
.LBB199_32:                             ;   in Loop: Header=BB199_7 Depth=1
	s_or_b64 exec, exec, s[6:7]
	v_readlane_b32 s16, v92, 2
	v_readlane_b32 s14, v92, 0
	;; [unrolled: 1-line block ×11, first 2 shown]
.LBB199_33:                             ;   in Loop: Header=BB199_7 Depth=1
	v_readlane_b32 s6, v92, 26
	v_readlane_b32 s7, v92, 27
	s_or_b64 exec, exec, s[6:7]
.LBB199_34:                             ;   in Loop: Header=BB199_7 Depth=1
	s_or_saveexec_b64 s[2:3], s[2:3]
	v_readlane_b32 s13, v92, 25
	s_xor_b64 exec, exec, s[2:3]
	s_cbranch_execz .LBB199_43
; %bb.35:                               ;   in Loop: Header=BB199_7 Depth=1
	s_mul_i32 s12, s4, 3
	v_cmp_gt_i32_e32 vcc, s12, v83
	s_and_saveexec_b64 s[6:7], vcc
	s_cbranch_execz .LBB199_42
; %bb.36:                               ;   in Loop: Header=BB199_7 Depth=1
	s_mul_i32 s0, s0, s95
	s_ashr_i32 s1, s0, 31
	s_add_u32 s0, s18, s0
	s_addc_u32 s1, s19, s1
	s_ashr_i32 s8, s13, 31
	s_add_u32 s0, s0, s13
	s_addc_u32 s1, s1, s8
	v_lshl_add_u64 v[0:1], s[0:1], 0, v[52:53]
	v_lshl_add_u64 v[8:9], v[0:1], 0, v[50:51]
	s_mov_b64 s[0:1], 0
	s_branch .LBB199_38
.LBB199_37:                             ;   in Loop: Header=BB199_38 Depth=2
	s_or_b64 exec, exec, s[8:9]
	v_lshl_or_b32 v12, v10, 11, v77
	;;#ASMSTART
	s_waitcnt vmcnt(1)
	;;#ASMEND
	ds_write2_b32 v12, v4, v5 offset1:32
	ds_write2_b32 v12, v6, v7 offset0:64 offset1:96
	v_add_u32_e32 v4, 0x400, v12
	v_add_u32_e32 v83, s98, v83
	;;#ASMSTART
	s_waitcnt vmcnt(0)
	;;#ASMEND
	ds_write2_b32 v4, v0, v1 offset1:32
	ds_write2_b32 v4, v2, v3 offset0:64 offset1:96
	v_add_u32_e32 v0, 1, v63
	v_add_u32_e32 v56, s98, v10
	v_cmp_le_i32_e32 vcc, s12, v83
	ds_write_b32 v11, v0 offset:40
	v_add_u32_e32 v0, 2, v63
	s_or_b64 s[0:1], vcc, s[0:1]
	v_cmp_lt_i32_e32 vcc, 14, v56
	s_nop 1
	v_cndmask_b32_e32 v63, v63, v0, vcc
	s_andn2_b64 exec, exec, s[0:1]
	s_cbranch_execz .LBB199_41
.LBB199_38:                             ;   Parent Loop BB199_7 Depth=1
                                        ; =>  This Loop Header: Depth=2
                                        ;       Child Loop BB199_40 Depth 3
	v_cmp_gt_i32_e32 vcc, 15, v56
	s_mov_b32 s8, 0x55555556
	s_nop 0
	v_cndmask_b32_e64 v0, -15, 0, vcc
	v_add_u32_e32 v10, v0, v56
	v_mul_hi_i32 v0, v83, s8
	v_lshrrev_b32_e32 v1, 31, v0
	v_add_u32_e32 v0, v0, v1
	v_lshl_add_u32 v1, v0, 1, v0
	v_sub_u32_e32 v2, v83, v1
	v_lshlrev_b32_e32 v0, 6, v0
	v_ashrrev_i32_e32 v1, 31, v0
	v_mul_lo_u32 v2, s91, v2
	v_lshl_add_u64 v[0:1], v[8:9], 0, v[0:1]
	v_ashrrev_i32_e32 v3, 31, v2
	v_lshl_add_u64 v[0:1], v[0:1], 0, v[2:3]
	v_lshlrev_b32_e32 v11, 2, v10
	;;#ASMSTART
	global_load_dwordx4 v[4:7], v[0:1], off offset:0   sc0 sc1 nt  
	global_load_dwordx4 v[0:3], v[0:1], off offset:32  sc0 sc1 nt  
	
	;;#ASMEND
	ds_read_b32 v12, v11 offset:51240
	v_add_u32_e32 v11, 0xc800, v11
	s_waitcnt lgkmcnt(0)
	v_cmp_ne_u32_e32 vcc, v12, v63
	s_and_saveexec_b64 s[8:9], vcc
	s_cbranch_execz .LBB199_37
; %bb.39:                               ;   in Loop: Header=BB199_38 Depth=2
	s_mov_b64 s[10:11], 0
.LBB199_40:                             ;   Parent Loop BB199_7 Depth=1
                                        ;     Parent Loop BB199_38 Depth=2
                                        ; =>    This Inner Loop Header: Depth=3
	;;#ASMSTART
	s_sleep 0
	;;#ASMEND
	ds_read_b32 v12, v11 offset:40
	s_waitcnt lgkmcnt(0)
	v_cmp_eq_u32_e32 vcc, v12, v63
	s_or_b64 s[10:11], vcc, s[10:11]
	s_andn2_b64 exec, exec, s[10:11]
	s_cbranch_execnz .LBB199_40
	s_branch .LBB199_37
.LBB199_41:                             ;   in Loop: Header=BB199_7 Depth=1
	s_or_b64 exec, exec, s[0:1]
.LBB199_42:                             ;   in Loop: Header=BB199_7 Depth=1
	s_or_b64 exec, exec, s[6:7]
	v_subrev_u32_e32 v83, s12, v83
.LBB199_43:                             ;   in Loop: Header=BB199_7 Depth=1
	s_or_b64 exec, exec, s[2:3]
.LBB199_44:                             ;   in Loop: Header=BB199_7 Depth=1
	v_readlane_b32 s0, v92, 23
	v_readlane_b32 s1, v92, 24
	s_andn2_saveexec_b64 s[0:1], s[0:1]
	s_cbranch_execz .LBB199_6
; %bb.45:                               ;   in Loop: Header=BB199_7 Depth=1
	s_lshl_b32 s10, s4, 1
	v_cmp_gt_i32_e32 vcc, s10, v83
	s_and_saveexec_b64 s[2:3], vcc
	s_cbranch_execz .LBB199_5
; %bb.46:                               ;   in Loop: Header=BB199_7 Depth=1
	s_mul_i32 s4, s39, s94
	s_ashr_i32 s6, s4, 31
	s_add_u32 s4, s16, s4
	v_add_u32_e32 v2, s5, v64
	s_addc_u32 s7, s17, s6
	s_ashr_i32 s8, s13, 31
	v_cmp_gt_u32_e32 vcc, 64, v2
	s_add_u32 s6, s4, s13
	s_addc_u32 s7, s7, s8
	v_cndmask_b32_e32 v0, 0, v78, vcc
	v_ashrrev_i32_e32 v1, 31, v0
	v_lshl_add_u64 v[0:1], s[6:7], 0, v[0:1]
	v_lshl_add_u64 v[8:9], v[0:1], 0, v[50:51]
	v_sub_u32_e32 v10, 63, v2
	s_mov_b64 s[4:5], 0
	s_branch .LBB199_48
.LBB199_47:                             ;   in Loop: Header=BB199_48 Depth=2
	s_or_b64 exec, exec, s[6:7]
	v_lshl_add_u32 v13, v11, 11, v79
	;;#ASMSTART
	s_waitcnt vmcnt(1)
	;;#ASMEND
	ds_write2_b32 v13, v4, v5 offset1:32
	ds_write2_b32 v13, v6, v7 offset0:64 offset1:96
	v_add_u32_e32 v4, 0x400, v13
	v_add_u32_e32 v83, s97, v83
	;;#ASMSTART
	s_waitcnt vmcnt(0)
	;;#ASMEND
	ds_write2_b32 v4, v0, v1 offset1:32
	ds_write2_b32 v4, v2, v3 offset0:64 offset1:96
	v_add_u32_e32 v0, 1, v63
	v_add_u32_e32 v56, s97, v11
	v_cmp_le_i32_e32 vcc, s10, v83
	ds_write_b32 v12, v0
	v_add_u32_e32 v0, 2, v63
	s_or_b64 s[4:5], vcc, s[4:5]
	v_cmp_lt_i32_e32 vcc, 9, v56
	s_nop 1
	v_cndmask_b32_e32 v63, v63, v0, vcc
	s_andn2_b64 exec, exec, s[4:5]
	s_cbranch_execz .LBB199_4
.LBB199_48:                             ;   Parent Loop BB199_7 Depth=1
                                        ; =>  This Loop Header: Depth=2
                                        ;       Child Loop BB199_50 Depth 3
	v_cmp_gt_i32_e32 vcc, 10, v56
	s_nop 1
	v_cndmask_b32_e64 v0, -10, 0, vcc
	v_add_u32_e32 v11, v0, v56
	v_lshrrev_b32_e32 v0, 31, v83
	v_add_u32_e32 v0, v83, v0
	v_and_b32_e32 v1, 0x7fffffe, v0
	v_sub_u32_e32 v1, v83, v1
	v_lshlrev_b32_e32 v1, 5, v1
	v_cmp_le_i32_e32 vcc, v1, v10
	v_lshlrev_b32_e32 v0, 5, v0
	v_and_b32_e32 v0, 0xffffffc0, v0
	v_cndmask_b32_e32 v2, 0, v1, vcc
	v_ashrrev_i32_e32 v1, 31, v0
	v_mul_lo_u32 v2, v2, s94
	v_lshl_add_u64 v[0:1], v[8:9], 0, v[0:1]
	v_ashrrev_i32_e32 v3, 31, v2
	v_lshl_add_u64 v[0:1], v[0:1], 0, v[2:3]
	v_lshlrev_b32_e32 v12, 2, v11
	;;#ASMSTART
	global_load_dwordx4 v[4:7], v[0:1], off offset:0   
	global_load_dwordx4 v[0:3], v[0:1], off offset:32  
	
	;;#ASMEND
	ds_read_b32 v13, v12 offset:51200
	v_add_u32_e32 v12, 0xc800, v12
	s_waitcnt lgkmcnt(0)
	v_cmp_ne_u32_e32 vcc, v13, v63
	s_and_saveexec_b64 s[6:7], vcc
	s_cbranch_execz .LBB199_47
; %bb.49:                               ;   in Loop: Header=BB199_48 Depth=2
	s_mov_b64 s[8:9], 0
.LBB199_50:                             ;   Parent Loop BB199_7 Depth=1
                                        ;     Parent Loop BB199_48 Depth=2
                                        ; =>    This Inner Loop Header: Depth=3
	;;#ASMSTART
	s_sleep 0
	;;#ASMEND
	ds_read_b32 v13, v12
	s_waitcnt lgkmcnt(0)
	v_cmp_eq_u32_e32 vcc, v13, v63
	s_or_b64 s[8:9], vcc, s[8:9]
	s_andn2_b64 exec, exec, s[8:9]
	s_cbranch_execnz .LBB199_50
	s_branch .LBB199_47
.LBB199_51:
	s_endpgm
	.section	.rodata,"a",@progbits
	.p2align	6, 0x0
	.amdhsa_kernel _Z19_skinny_gemm_kernelILi2ELi3ELi5ELi32ELi4EEvPKhS1_P6__halfPKfiiiiiiii
		.amdhsa_group_segment_fixed_size 51300
		.amdhsa_private_segment_fixed_size 0
		.amdhsa_kernarg_size 64
		.amdhsa_user_sgpr_count 2
		.amdhsa_user_sgpr_dispatch_ptr 0
		.amdhsa_user_sgpr_queue_ptr 0
		.amdhsa_user_sgpr_kernarg_segment_ptr 1
		.amdhsa_user_sgpr_dispatch_id 0
		.amdhsa_user_sgpr_kernarg_preload_length 0
		.amdhsa_user_sgpr_kernarg_preload_offset 0
		.amdhsa_user_sgpr_private_segment_size 0
		.amdhsa_uses_dynamic_stack 0
		.amdhsa_enable_private_segment 0
		.amdhsa_system_sgpr_workgroup_id_x 1
		.amdhsa_system_sgpr_workgroup_id_y 0
		.amdhsa_system_sgpr_workgroup_id_z 0
		.amdhsa_system_sgpr_workgroup_info 0
		.amdhsa_system_vgpr_workitem_id 0
		.amdhsa_next_free_vgpr 93
		.amdhsa_next_free_sgpr 100
		.amdhsa_accum_offset 96
		.amdhsa_reserve_vcc 1
		.amdhsa_float_round_mode_32 0
		.amdhsa_float_round_mode_16_64 0
		.amdhsa_float_denorm_mode_32 3
		.amdhsa_float_denorm_mode_16_64 3
		.amdhsa_dx10_clamp 1
		.amdhsa_ieee_mode 1
		.amdhsa_fp16_overflow 0
		.amdhsa_tg_split 0
		.amdhsa_exception_fp_ieee_invalid_op 0
		.amdhsa_exception_fp_denorm_src 0
		.amdhsa_exception_fp_ieee_div_zero 0
		.amdhsa_exception_fp_ieee_overflow 0
		.amdhsa_exception_fp_ieee_underflow 0
		.amdhsa_exception_fp_ieee_inexact 0
		.amdhsa_exception_int_div_zero 0
	.end_amdhsa_kernel
	.section	.text._Z19_skinny_gemm_kernelILi2ELi3ELi5ELi32ELi4EEvPKhS1_P6__halfPKfiiiiiiii,"axG",@progbits,_Z19_skinny_gemm_kernelILi2ELi3ELi5ELi32ELi4EEvPKhS1_P6__halfPKfiiiiiiii,comdat
.Lfunc_end199:
	.size	_Z19_skinny_gemm_kernelILi2ELi3ELi5ELi32ELi4EEvPKhS1_P6__halfPKfiiiiiiii, .Lfunc_end199-_Z19_skinny_gemm_kernelILi2ELi3ELi5ELi32ELi4EEvPKhS1_P6__halfPKfiiiiiiii
                                        ; -- End function
	.set _Z19_skinny_gemm_kernelILi2ELi3ELi5ELi32ELi4EEvPKhS1_P6__halfPKfiiiiiiii.num_vgpr, 93
	.set _Z19_skinny_gemm_kernelILi2ELi3ELi5ELi32ELi4EEvPKhS1_P6__halfPKfiiiiiiii.num_agpr, 0
	.set _Z19_skinny_gemm_kernelILi2ELi3ELi5ELi32ELi4EEvPKhS1_P6__halfPKfiiiiiiii.numbered_sgpr, 100
	.set _Z19_skinny_gemm_kernelILi2ELi3ELi5ELi32ELi4EEvPKhS1_P6__halfPKfiiiiiiii.num_named_barrier, 0
	.set _Z19_skinny_gemm_kernelILi2ELi3ELi5ELi32ELi4EEvPKhS1_P6__halfPKfiiiiiiii.private_seg_size, 0
	.set _Z19_skinny_gemm_kernelILi2ELi3ELi5ELi32ELi4EEvPKhS1_P6__halfPKfiiiiiiii.uses_vcc, 1
	.set _Z19_skinny_gemm_kernelILi2ELi3ELi5ELi32ELi4EEvPKhS1_P6__halfPKfiiiiiiii.uses_flat_scratch, 0
	.set _Z19_skinny_gemm_kernelILi2ELi3ELi5ELi32ELi4EEvPKhS1_P6__halfPKfiiiiiiii.has_dyn_sized_stack, 0
	.set _Z19_skinny_gemm_kernelILi2ELi3ELi5ELi32ELi4EEvPKhS1_P6__halfPKfiiiiiiii.has_recursion, 0
	.set _Z19_skinny_gemm_kernelILi2ELi3ELi5ELi32ELi4EEvPKhS1_P6__halfPKfiiiiiiii.has_indirect_call, 0
	.section	.AMDGPU.csdata,"",@progbits
; Kernel info:
; codeLenInByte = 11612
; TotalNumSgprs: 106
; NumVgprs: 93
; NumAgprs: 0
; TotalNumVgprs: 93
; ScratchSize: 0
; MemoryBound: 0
; FloatMode: 240
; IeeeMode: 1
; LDSByteSize: 51300 bytes/workgroup (compile time only)
; SGPRBlocks: 13
; VGPRBlocks: 11
; NumSGPRsForWavesPerEU: 106
; NumVGPRsForWavesPerEU: 93
; AccumOffset: 96
; Occupancy: 5
; WaveLimiterHint : 0
; COMPUTE_PGM_RSRC2:SCRATCH_EN: 0
; COMPUTE_PGM_RSRC2:USER_SGPR: 2
; COMPUTE_PGM_RSRC2:TRAP_HANDLER: 0
; COMPUTE_PGM_RSRC2:TGID_X_EN: 1
; COMPUTE_PGM_RSRC2:TGID_Y_EN: 0
; COMPUTE_PGM_RSRC2:TGID_Z_EN: 0
; COMPUTE_PGM_RSRC2:TIDIG_COMP_CNT: 0
; COMPUTE_PGM_RSRC3_GFX90A:ACCUM_OFFSET: 23
; COMPUTE_PGM_RSRC3_GFX90A:TG_SPLIT: 0
	.section	.text._Z19_skinny_gemm_kernelILi2ELi3ELi6ELi16ELi4EEvPKhS1_P6__halfPKfiiiiiiii,"axG",@progbits,_Z19_skinny_gemm_kernelILi2ELi3ELi6ELi16ELi4EEvPKhS1_P6__halfPKfiiiiiiii,comdat
	.protected	_Z19_skinny_gemm_kernelILi2ELi3ELi6ELi16ELi4EEvPKhS1_P6__halfPKfiiiiiiii ; -- Begin function _Z19_skinny_gemm_kernelILi2ELi3ELi6ELi16ELi4EEvPKhS1_P6__halfPKfiiiiiiii
	.globl	_Z19_skinny_gemm_kernelILi2ELi3ELi6ELi16ELi4EEvPKhS1_P6__halfPKfiiiiiiii
	.p2align	8
	.type	_Z19_skinny_gemm_kernelILi2ELi3ELi6ELi16ELi4EEvPKhS1_P6__halfPKfiiiiiiii,@function
_Z19_skinny_gemm_kernelILi2ELi3ELi6ELi16ELi4EEvPKhS1_P6__halfPKfiiiiiiii: ; @_Z19_skinny_gemm_kernelILi2ELi3ELi6ELi16ELi4EEvPKhS1_P6__halfPKfiiiiiiii
; %bb.0:
	v_cmp_gt_u32_e32 vcc, 30, v0
	v_lshlrev_b32_e32 v1, 2, v0
	s_and_saveexec_b64 s[4:5], vcc
; %bb.1:
	v_mov_b32_e32 v2, 0
	ds_write_b32 v1, v2 offset:61440
; %bb.2:
	s_or_b64 exec, exec, s[4:5]
	s_load_dwordx8 s[20:27], s[0:1], 0x20
	s_waitcnt lgkmcnt(0)
	s_barrier
	s_add_i32 s3, s20, 31
	s_ashr_i32 s5, s3, 31
	s_add_i32 s4, s21, 47
	s_lshr_b32 s5, s5, 27
	s_mul_hi_i32 s4, s4, 0x2aaaaaab
	s_add_i32 s3, s3, s5
	s_ashr_i32 s33, s3, 5
	s_lshr_b32 s3, s4, 31
	s_ashr_i32 s50, s4, 3
	s_add_i32 s50, s50, s3
	s_mul_i32 s3, s50, s33
	s_mul_i32 s3, s3, s24
	s_add_i32 s4, s3, 0x12f
	s_mul_hi_i32 s4, s4, 0x6bca1af3
	s_lshr_b32 s5, s4, 31
	s_ashr_i32 s4, s4, 7
	s_add_i32 s4, s4, s5
	s_add_i32 s5, s2, 1
	s_mul_i32 s5, s4, s5
	v_cvt_f64_i32_e32 v[2:3], s3
	v_cvt_f64_u32_e32 v[4:5], s5
	v_min_f64 v[2:3], v[2:3], v[4:5]
	v_cvt_i32_f64_e32 v25, v[2:3]
	s_mul_i32 s51, s4, s2
	v_cmp_ge_i32_e32 vcc, s51, v25
	s_cbranch_vccnz .LBB200_53
; %bb.3:
	v_lshrrev_b32_e32 v2, 6, v0
	s_add_i32 s4, s26, s25
	s_load_dwordx8 s[36:43], s[0:1], 0x0
	v_cmp_le_i32_e64 s[0:1], s4, v2
	v_mov_b32_e32 v3, s25
	v_cmp_le_i32_e64 s[2:3], s25, v2
	v_mov_b32_e32 v4, s26
	v_cndmask_b32_e64 v4, 0, v4, s[0:1]
	v_cndmask_b32_e64 v3, 0, v3, s[2:3]
	s_abs_i32 s5, s24
	v_add_u32_e32 v3, v3, v4
	v_cvt_f32_u32_e32 v4, s5
	v_sub_u32_e32 v36, v2, v3
	s_ashr_i32 s6, s22, 31
	s_lshr_b32 s6, s6, 25
	v_rcp_iflag_f32_e32 v3, v4
	s_sub_i32 s9, 0, s5
	s_add_i32 s6, s22, s6
	s_ashr_i32 s6, s6, 7
	v_mul_f32_e32 v3, 0x4f7ffffe, v3
	v_cvt_u32_f32_e32 v3, v3
	s_abs_i32 s8, s6
	s_xor_b32 s7, s6, s24
	s_ashr_i32 s7, s7, 31
	v_readfirstlane_b32 s10, v3
	s_mul_i32 s9, s9, s10
	s_mul_hi_u32 s9, s10, s9
	s_add_i32 s10, s10, s9
	s_mul_hi_u32 s9, s8, s10
	s_mul_i32 s10, s9, s5
	s_sub_i32 s8, s8, s10
	s_add_i32 s10, s9, 1
	s_sub_i32 s11, s8, s5
	s_cmp_ge_u32 s8, s5
	s_cselect_b32 s9, s10, s9
	s_cselect_b32 s8, s11, s8
	s_add_i32 s10, s9, 1
	s_cmp_ge_u32 s8, s5
	s_cselect_b32 s5, s10, s9
	s_xor_b32 s5, s5, s7
	s_sub_i32 s52, s5, s7
	s_add_i32 s24, s24, -1
	s_mul_i32 s5, s52, s24
	s_add_i32 s4, s4, s27
	s_sub_i32 s53, s6, s5
	v_cmp_gt_i32_e64 s[4:5], s4, v2
	v_lshlrev_b32_e32 v2, 1, v0
	v_lshlrev_b32_e32 v3, 4, v0
	v_and_b32_e32 v1, 60, v1
	v_and_b32_e32 v2, 64, v2
	v_and_b32_e32 v4, 0x100, v3
	v_or3_b32 v57, v1, v2, v4
	v_and_b32_e32 v1, 1, v0
	v_lshrrev_b32_e32 v4, 2, v0
	s_abs_i32 s54, s33
	v_and_or_b32 v62, v4, 12, v1
	v_cvt_f32_u32_e32 v4, s54
	v_lshlrev_b32_e32 v2, 1, v1
	v_and_b32_e32 v24, 14, v0
	v_sub_u32_e32 v2, v0, v2
	v_bitop3_b32 v58, v0, 1, v0 bitop3:0xc
	v_bitop3_b32 v59, v0, 3, 1 bitop3:0x6c
	v_and_b32_e32 v30, 48, v3
	v_bfe_u32 v64, v0, 2, 4
	v_and_b32_e32 v1, 60, v0
	v_lshlrev_b32_e32 v3, 8, v0
	v_lshlrev_b32_e32 v0, 6, v0
	v_and_b32_e32 v3, 0x200, v3
	v_and_b32_e32 v0, 64, v0
	v_or3_b32 v65, v1, v3, v0
	v_rcp_iflag_f32_e32 v0, v4
	s_abs_i32 s56, s50
	v_cvt_f32_u32_e32 v1, s56
	v_mad_u64_u32 v[26:27], s[6:7], s21, v62, v[24:25]
	v_mul_f32_e32 v0, 0x4f7ffffe, v0
	v_cvt_u32_f32_e32 v0, v0
	v_rcp_iflag_f32_e32 v1, v1
	s_sub_i32 s6, 0, s54
	v_add_u32_e32 v2, 1, v2
	v_readfirstlane_b32 s7, v0
	v_mul_f32_e32 v0, 0x4f7ffffe, v1
	v_cvt_u32_f32_e32 v0, v0
	s_mul_i32 s6, s6, s7
	s_mul_hi_u32 s6, s7, s6
	s_add_i32 s58, s7, s6
	s_sub_i32 s6, 0, s56
	v_readfirstlane_b32 s7, v0
	v_mbcnt_lo_u32_b32 v0, -1, 0
	v_and_b32_e32 v2, 63, v2
	s_mul_i32 s6, s6, s7
	v_mbcnt_hi_u32_b32 v0, -1, v0
	v_lshl_add_u32 v28, s21, 4, v26
	v_mul_lo_u32 v32, s23, v64
	s_mul_hi_u32 s6, s7, s6
	v_and_or_b32 v0, v0, 64, v2
	v_cndmask_b32_e64 v56, 0, 1, s[0:1]
	s_ashr_i32 s29, s21, 31
	s_mov_b32 s28, s21
	v_or_b32_e32 v60, 16, v24
	v_or_b32_e32 v61, 32, v24
	v_ashrrev_i32_e32 v27, 31, v26
	v_or_b32_e32 v63, 16, v62
	v_ashrrev_i32_e32 v29, 31, v28
	v_ashrrev_i32_e32 v33, 31, v32
	v_mov_b32_e32 v31, 0
	s_lshl_b32 s55, s23, 4
	v_mul_lo_u32 v66, s22, v64
	v_or_b32_e32 v67, 0x9000, v65
	s_ashr_i32 s57, s33, 31
	s_ashr_i32 s59, s50, 31
	s_add_i32 s60, s7, s6
	s_movk_i32 s61, 0x1800
	s_mov_b32 s62, 0x55555556
	v_lshlrev_b32_e32 v68, 2, v0
	v_not_b32_e32 v69, 17
	v_mov_b32_e32 v70, v36
	s_branch .LBB200_7
.LBB200_4:                              ;   in Loop: Header=BB200_7 Depth=1
	s_or_b64 exec, exec, s[10:11]
.LBB200_5:                              ;   in Loop: Header=BB200_7 Depth=1
	s_or_b64 exec, exec, s[8:9]
	v_subrev_u32_e32 v70, s16, v70
.LBB200_6:                              ;   in Loop: Header=BB200_7 Depth=1
	s_or_b64 exec, exec, s[6:7]
	s_add_i32 s51, s51, 1
	v_cmp_ge_i32_e32 vcc, s51, v25
	s_cbranch_vccnz .LBB200_53
.LBB200_7:                              ; =>This Loop Header: Depth=1
                                        ;     Child Loop BB200_13 Depth 2
                                        ;       Child Loop BB200_15 Depth 3
                                        ;       Child Loop BB200_18 Depth 3
	;; [unrolled: 1-line block ×5, first 2 shown]
                                        ;     Child Loop BB200_40 Depth 2
                                        ;       Child Loop BB200_42 Depth 3
                                        ;     Child Loop BB200_50 Depth 2
                                        ;       Child Loop BB200_52 Depth 3
	s_abs_i32 s7, s51
	s_mul_hi_u32 s8, s7, s58
	s_mul_i32 s9, s8, s54
	s_ashr_i32 s6, s51, 31
	s_sub_i32 s7, s7, s9
	s_xor_b32 s6, s6, s57
	s_add_i32 s9, s8, 1
	s_sub_i32 s10, s7, s54
	s_cmp_ge_u32 s7, s54
	s_cselect_b32 s8, s9, s8
	s_cselect_b32 s7, s10, s7
	s_add_i32 s9, s8, 1
	s_cmp_ge_u32 s7, s54
	s_cselect_b32 s7, s9, s8
	s_xor_b32 s7, s7, s6
	s_sub_i32 s6, s7, s6
	s_abs_i32 s8, s6
	s_mul_i32 s7, s6, s33
	s_mul_hi_u32 s9, s8, s60
	s_sub_i32 s7, s51, s7
	s_mul_i32 s10, s9, s56
	s_lshl_b32 s63, s7, 5
	s_ashr_i32 s7, s6, 31
	s_sub_i32 s8, s8, s10
	s_xor_b32 s7, s7, s59
	s_add_i32 s10, s9, 1
	s_sub_i32 s11, s8, s56
	s_cmp_ge_u32 s8, s56
	s_cselect_b32 s9, s10, s9
	s_cselect_b32 s8, s11, s8
	s_add_i32 s10, s9, 1
	s_cmp_ge_u32 s8, s56
	s_cselect_b32 s8, s10, s9
	s_xor_b32 s8, s8, s7
	s_sub_i32 s7, s8, s7
	s_mul_i32 s8, s7, s52
	s_lshl_b32 s64, s8, 7
	s_cmp_eq_u32 s7, s24
	s_cselect_b32 s66, s53, s52
	s_sub_i32 s8, s63, s20
	s_add_i32 s8, s8, 32
	s_max_i32 s65, s8, 0
	s_and_saveexec_b64 s[8:9], s[2:3]
	s_xor_b64 s[30:31], exec, s[8:9]
	s_cbranch_execz .LBB200_46
; %bb.8:                                ;   in Loop: Header=BB200_7 Depth=1
	s_mul_i32 s7, s7, s50
	s_sub_i32 s6, s6, s7
	s_mul_i32 s6, s6, 48
	s_sub_i32 s18, s6, s21
	s_add_i32 s18, s18, 48
	s_max_i32 s7, s18, 0
	s_sub_i32 s34, s6, s7
	s_and_saveexec_b64 s[6:7], s[0:1]
	s_xor_b64 s[44:45], exec, s[6:7]
	s_cbranch_execz .LBB200_36
; %bb.9:                                ;   in Loop: Header=BB200_7 Depth=1
	s_and_saveexec_b64 s[46:47], s[4:5]
	s_cbranch_execz .LBB200_35
; %bb.10:                               ;   in Loop: Header=BB200_7 Depth=1
	s_waitcnt lgkmcnt(0)
	global_load_dword v71, v31, s[42:43]
	v_mov_b32_e32 v23, 0
	v_cmp_gt_i32_e32 vcc, s66, v70
	v_mov_b32_e32 v22, v23
	v_mov_b32_e32 v21, v23
	;; [unrolled: 1-line block ×23, first 2 shown]
	s_and_saveexec_b64 s[6:7], vcc
	s_cbranch_execz .LBB200_29
; %bb.11:                               ;   in Loop: Header=BB200_7 Depth=1
	v_mov_b32_e32 v0, 0
	s_mov_b64 s[8:9], 0
	v_mov_b32_e32 v1, v0
	v_mov_b32_e32 v2, v0
	;; [unrolled: 1-line block ×23, first 2 shown]
	s_branch .LBB200_13
.LBB200_12:                             ;   in Loop: Header=BB200_13 Depth=2
	s_or_b64 exec, exec, s[10:11]
	v_add_u32_e32 v51, 0x1000, v50
	ds_read2_b32 v[52:53], v51 offset1:32
	v_add_u32_e32 v54, 0x1400, v50
	v_add_u32_e32 v70, s27, v70
	s_waitcnt lgkmcnt(0)
	v_mfma_f32_16x16x32_fp8_fp8 v[12:15], v[34:35], v[52:53], v[12:15]
	ds_read2_b32 v[34:35], v51 offset0:128 offset1:160
	ds_read2_b32 v[50:51], v54 offset1:32
	v_mfma_f32_16x16x32_fp8_fp8 v[0:3], v[44:45], v[52:53], v[0:3]
	s_waitcnt lgkmcnt(1)
	v_mfma_f32_16x16x32_fp8_fp8 v[12:15], v[36:37], v[34:35], v[12:15]
	v_add_u32_e32 v36, s27, v72
	v_cmp_lt_i32_e32 vcc, 5, v36
	v_mfma_f32_16x16x32_fp8_fp8 v[0:3], v[46:47], v[34:35], v[0:3]
	v_add_u32_e32 v34, 2, v56
	v_cndmask_b32_e32 v56, v56, v34, vcc
	v_cmp_le_i32_e32 vcc, s66, v70
	s_waitcnt lgkmcnt(0)
	v_mfma_f32_16x16x32_fp8_fp8 v[12:15], v[38:39], v[50:51], v[12:15]
	ds_read2_b32 v[38:39], v54 offset0:128 offset1:160
	s_or_b64 s[8:9], vcc, s[8:9]
	;;#ASMSTART
	s_waitcnt lgkmcnt(0)
	;;#ASMEND
	v_mfma_f32_16x16x32_fp8_fp8 v[0:3], v[48:49], v[50:51], v[0:3]
	ds_write_b32 v73, v74 offset:61496
	s_waitcnt lgkmcnt(1)
	v_mfma_f32_16x16x32_fp8_fp8 v[12:15], v[40:41], v[38:39], v[12:15]
	v_mfma_f32_16x16x32_fp8_fp8 v[0:3], v[42:43], v[38:39], v[0:3]
	s_andn2_b64 exec, exec, s[8:9]
	s_cbranch_execz .LBB200_28
.LBB200_13:                             ;   Parent Loop BB200_7 Depth=1
                                        ; =>  This Loop Header: Depth=2
                                        ;       Child Loop BB200_15 Depth 3
                                        ;       Child Loop BB200_18 Depth 3
	;; [unrolled: 1-line block ×5, first 2 shown]
	v_cmp_gt_i32_e32 vcc, 6, v36
	s_nop 1
	v_cndmask_b32_e64 v34, -6, 0, vcc
	v_add_u32_e32 v72, v34, v36
	v_mul_lo_u32 v73, v72, 12
	ds_read_b32 v34, v73 offset:61488
	s_waitcnt lgkmcnt(0)
	v_cmp_ne_u32_e32 vcc, v34, v56
	s_and_saveexec_b64 s[10:11], vcc
	s_cbranch_execz .LBB200_16
; %bb.14:                               ;   in Loop: Header=BB200_13 Depth=2
	s_mov_b64 s[12:13], 0
.LBB200_15:                             ;   Parent Loop BB200_7 Depth=1
                                        ;     Parent Loop BB200_13 Depth=2
                                        ; =>    This Inner Loop Header: Depth=3
	;;#ASMSTART
	s_sleep 0
	;;#ASMEND
	ds_read_b32 v34, v73 offset:61488
	s_waitcnt lgkmcnt(0)
	v_cmp_eq_u32_e32 vcc, v34, v56
	s_or_b64 s[12:13], vcc, s[12:13]
	s_andn2_b64 exec, exec, s[12:13]
	s_cbranch_execnz .LBB200_15
.LBB200_16:                             ;   in Loop: Header=BB200_13 Depth=2
	s_or_b64 exec, exec, s[10:11]
	v_mul_lo_u32 v75, v72, s61
	v_or_b32_e32 v34, v57, v75
	ds_read2_b32 v[42:43], v34 offset1:32
	ds_read2_b32 v[50:51], v34 offset0:128 offset1:160
	v_add_u32_e32 v34, 0x400, v34
	v_add_u32_e32 v74, 1, v56
	ds_read2_b32 v[54:55], v34 offset1:32
	ds_read2_b32 v[52:53], v34 offset0:128 offset1:160
	;;#ASMSTART
	s_waitcnt lgkmcnt(0)
	;;#ASMEND
	ds_write_b32 v73, v74 offset:61488
	v_lshlrev_b32_e32 v76, 3, v72
	ds_read_b32 v34, v76 offset:61440
	s_waitcnt lgkmcnt(0)
	v_cmp_ne_u32_e32 vcc, v34, v56
	s_and_saveexec_b64 s[10:11], vcc
	s_cbranch_execz .LBB200_19
; %bb.17:                               ;   in Loop: Header=BB200_13 Depth=2
	s_mov_b64 s[12:13], 0
.LBB200_18:                             ;   Parent Loop BB200_7 Depth=1
                                        ;     Parent Loop BB200_13 Depth=2
                                        ; =>    This Inner Loop Header: Depth=3
	;;#ASMSTART
	s_sleep 0
	;;#ASMEND
	ds_read_b32 v34, v76 offset:61440
	s_waitcnt lgkmcnt(0)
	v_cmp_eq_u32_e32 vcc, v34, v56
	s_or_b64 s[12:13], vcc, s[12:13]
	s_andn2_b64 exec, exec, s[12:13]
	s_cbranch_execnz .LBB200_18
.LBB200_19:                             ;   in Loop: Header=BB200_13 Depth=2
	s_or_b64 exec, exec, s[10:11]
	v_lshlrev_b32_e32 v34, 12, v72
	v_or_b32_e32 v35, 0x9000, v57
	v_add_u32_e32 v48, v35, v34
	ds_read2_b32 v[34:35], v48 offset1:32
	ds_read2_b32 v[36:37], v48 offset0:128 offset1:160
	v_add_u32_e32 v40, 0x400, v48
	ds_read2_b32 v[38:39], v40 offset1:32
	ds_read2_b32 v[40:41], v40 offset0:128 offset1:160
	ds_read_b32 v44, v76 offset:61444
	ds_write_b32 v76, v74 offset:61440
	s_waitcnt lgkmcnt(5)
	v_mfma_f32_16x16x32_fp8_fp8 v[20:23], v[34:35], v[42:43], v[20:23]
	s_waitcnt lgkmcnt(1)
	v_cmp_ne_u32_e32 vcc, v44, v56
	v_mfma_f32_16x16x32_fp8_fp8 v[20:23], v[36:37], v[50:51], v[20:23]
	v_mfma_f32_16x16x32_fp8_fp8 v[20:23], v[38:39], v[54:55], v[20:23]
	;; [unrolled: 1-line block ×3, first 2 shown]
	s_and_saveexec_b64 s[10:11], vcc
	s_cbranch_execz .LBB200_22
; %bb.20:                               ;   in Loop: Header=BB200_13 Depth=2
	s_mov_b64 s[12:13], 0
.LBB200_21:                             ;   Parent Loop BB200_7 Depth=1
                                        ;     Parent Loop BB200_13 Depth=2
                                        ; =>    This Inner Loop Header: Depth=3
	;;#ASMSTART
	s_sleep 0
	;;#ASMEND
	ds_read_b32 v44, v76 offset:61444
	s_waitcnt lgkmcnt(0)
	v_cmp_eq_u32_e32 vcc, v44, v56
	s_or_b64 s[12:13], vcc, s[12:13]
	s_andn2_b64 exec, exec, s[12:13]
	s_cbranch_execnz .LBB200_21
.LBB200_22:                             ;   in Loop: Header=BB200_13 Depth=2
	s_or_b64 exec, exec, s[10:11]
	v_add_u32_e32 v46, 0x800, v48
	ds_read2_b32 v[44:45], v46 offset1:32
	ds_read2_b32 v[46:47], v46 offset0:128 offset1:160
	v_add_u32_e32 v77, 0xc00, v48
	ds_read2_b32 v[48:49], v77 offset1:32
	ds_write_b32 v76, v74 offset:61444
	s_waitcnt lgkmcnt(3)
	v_mfma_f32_16x16x32_fp8_fp8 v[8:11], v[44:45], v[42:43], v[8:11]
	ds_read2_b32 v[42:43], v77 offset0:128 offset1:160
	s_waitcnt lgkmcnt(3)
	v_mfma_f32_16x16x32_fp8_fp8 v[8:11], v[46:47], v[50:51], v[8:11]
	ds_read_b32 v50, v73 offset:61492
	s_waitcnt lgkmcnt(0)
	v_cmp_ne_u32_e32 vcc, v50, v56
	v_mfma_f32_16x16x32_fp8_fp8 v[8:11], v[48:49], v[54:55], v[8:11]
	v_mfma_f32_16x16x32_fp8_fp8 v[8:11], v[42:43], v[52:53], v[8:11]
	s_and_saveexec_b64 s[10:11], vcc
	s_cbranch_execz .LBB200_25
; %bb.23:                               ;   in Loop: Header=BB200_13 Depth=2
	s_mov_b64 s[12:13], 0
.LBB200_24:                             ;   Parent Loop BB200_7 Depth=1
                                        ;     Parent Loop BB200_13 Depth=2
                                        ; =>    This Inner Loop Header: Depth=3
	;;#ASMSTART
	s_sleep 0
	;;#ASMEND
	ds_read_b32 v50, v73 offset:61492
	s_waitcnt lgkmcnt(0)
	v_cmp_eq_u32_e32 vcc, v50, v56
	s_or_b64 s[12:13], vcc, s[12:13]
	s_andn2_b64 exec, exec, s[12:13]
	s_cbranch_execnz .LBB200_24
.LBB200_25:                             ;   in Loop: Header=BB200_13 Depth=2
	s_or_b64 exec, exec, s[10:11]
	v_add_u32_e32 v50, v57, v75
	v_add_u32_e32 v51, 0x800, v50
	ds_read2_b32 v[52:53], v51 offset1:32
	s_waitcnt lgkmcnt(0)
	v_mfma_f32_16x16x32_fp8_fp8 v[16:19], v[34:35], v[52:53], v[16:19]
	v_mfma_f32_16x16x32_fp8_fp8 v[4:7], v[44:45], v[52:53], v[4:7]
	ds_read2_b32 v[52:53], v51 offset0:128 offset1:160
	v_add_u32_e32 v51, 0xc00, v50
	ds_read2_b32 v[54:55], v51 offset1:32
	s_waitcnt lgkmcnt(1)
	v_mfma_f32_16x16x32_fp8_fp8 v[16:19], v[36:37], v[52:53], v[16:19]
	ds_read2_b32 v[76:77], v51 offset0:128 offset1:160
	;;#ASMSTART
	s_waitcnt lgkmcnt(0)
	;;#ASMEND
	ds_read_b32 v51, v73 offset:61496
	v_mfma_f32_16x16x32_fp8_fp8 v[4:7], v[46:47], v[52:53], v[4:7]
	ds_write_b32 v73, v74 offset:61492
	s_waitcnt lgkmcnt(1)
	v_cmp_ne_u32_e32 vcc, v51, v56
	v_mfma_f32_16x16x32_fp8_fp8 v[16:19], v[38:39], v[54:55], v[16:19]
	v_mfma_f32_16x16x32_fp8_fp8 v[4:7], v[48:49], v[54:55], v[4:7]
	;; [unrolled: 1-line block ×4, first 2 shown]
	s_and_saveexec_b64 s[10:11], vcc
	s_cbranch_execz .LBB200_12
; %bb.26:                               ;   in Loop: Header=BB200_13 Depth=2
	s_mov_b64 s[12:13], 0
.LBB200_27:                             ;   Parent Loop BB200_7 Depth=1
                                        ;     Parent Loop BB200_13 Depth=2
                                        ; =>    This Inner Loop Header: Depth=3
	;;#ASMSTART
	s_sleep 0
	;;#ASMEND
	ds_read_b32 v51, v73 offset:61496
	s_waitcnt lgkmcnt(0)
	v_cmp_eq_u32_e32 vcc, v51, v56
	s_or_b64 s[12:13], vcc, s[12:13]
	s_andn2_b64 exec, exec, s[12:13]
	s_cbranch_execnz .LBB200_27
	s_branch .LBB200_12
.LBB200_28:                             ;   in Loop: Header=BB200_7 Depth=1
	s_or_b64 exec, exec, s[8:9]
.LBB200_29:                             ;   in Loop: Header=BB200_7 Depth=1
	s_or_b64 exec, exec, s[6:7]
	v_cmp_le_i32_e32 vcc, s18, v24
	v_cmp_eq_u32_e64 s[6:7], 2, v58
	v_cmp_eq_u32_e64 s[8:9], 3, v58
	s_waitcnt vmcnt(0)
	v_cndmask_b32_e32 v34, 0, v71, vcc
	v_pk_mul_f32 v[20:21], v[34:35], v[20:21] op_sel_hi:[0,1]
	v_cmp_eq_u32_e32 vcc, 1, v58
	v_pk_mul_f32 v[38:39], v[34:35], v[22:23] op_sel_hi:[0,1]
	v_cmp_eq_u32_e64 s[10:11], 0, v58
	v_cndmask_b32_e32 v22, v20, v21, vcc
	v_cndmask_b32_e64 v22, v22, v38, s[6:7]
	v_cndmask_b32_e64 v22, v22, v39, s[8:9]
	ds_bpermute_b32 v35, v68, v22
	v_cmp_le_i32_e64 s[14:15], s18, v60
	v_cmp_eq_u32_e64 s[12:13], 1, v59
	v_cmp_le_i32_e64 s[18:19], s18, v61
	v_cmp_eq_u32_e64 s[16:17], 3, v59
	s_waitcnt lgkmcnt(0)
	v_cndmask_b32_e64 v22, v39, v35, s[8:9]
	v_cndmask_b32_e64 v23, v38, v35, s[6:7]
	v_cndmask_b32_e32 v21, v21, v35, vcc
	v_cndmask_b32_e64 v35, v20, v35, s[10:11]
	v_cndmask_b32_e64 v20, 0, v71, s[14:15]
	v_pk_mul_f32 v[16:17], v[20:21], v[16:17] op_sel_hi:[0,1]
	v_pk_mul_f32 v[38:39], v[20:21], v[18:19] op_sel_hi:[0,1]
	v_cndmask_b32_e32 v18, v16, v17, vcc
	v_cndmask_b32_e64 v18, v18, v38, s[6:7]
	v_cndmask_b32_e64 v18, v18, v39, s[8:9]
	ds_bpermute_b32 v41, v68, v18
	v_cndmask_b32_e64 v37, v35, v21, s[12:13]
	v_cmp_eq_u32_e64 s[14:15], 2, v59
	s_waitcnt lgkmcnt(0)
	v_cndmask_b32_e64 v19, v39, v41, s[8:9]
	v_cndmask_b32_e64 v18, v37, v23, s[14:15]
	;; [unrolled: 1-line block ×3, first 2 shown]
	v_cndmask_b32_e32 v40, v17, v41, vcc
	v_cndmask_b32_e64 v41, v16, v41, s[10:11]
	v_cndmask_b32_e64 v16, 0, v71, s[18:19]
	v_pk_mul_f32 v[42:43], v[16:17], v[12:13] op_sel_hi:[0,1]
	v_pk_mul_f32 v[38:39], v[16:17], v[14:15] op_sel_hi:[0,1]
	v_cndmask_b32_e32 v12, v42, v43, vcc
	v_cndmask_b32_e64 v12, v12, v38, s[6:7]
	v_cndmask_b32_e64 v12, v12, v39, s[8:9]
	ds_bpermute_b32 v13, v68, v12
	v_cndmask_b32_e64 v12, v41, v40, s[12:13]
	v_cndmask_b32_e64 v12, v12, v37, s[14:15]
	v_cndmask_b32_e64 v12, v12, v19, s[16:17]
	v_cmp_ne_u32_e32 vcc, 0, v58
	ds_bpermute_b32 v14, v68, v12
	s_waitcnt lgkmcnt(1)
	v_cndmask_b32_e64 v15, v39, v13, s[8:9]
	v_cndmask_b32_e64 v38, v38, v13, s[6:7]
	v_cndmask_b32_e32 v12, v43, v13, vcc
	v_cndmask_b32_e64 v13, v42, v13, s[10:11]
	v_cndmask_b32_e64 v17, v13, v12, s[12:13]
	v_cndmask_b32_e64 v17, v17, v38, s[14:15]
	v_cndmask_b32_e64 v18, v18, v22, s[16:17]
	v_cndmask_b32_e64 v17, v17, v15, s[16:17]
	ds_bpermute_b32 v18, v68, v18
	ds_bpermute_b32 v39, v68, v17
	v_add_u32_e32 v17, s65, v62
	v_cmp_gt_u32_e32 vcc, 32, v17
	s_and_saveexec_b64 s[18:19], vcc
	s_cbranch_execz .LBB200_34
; %bb.30:                               ;   in Loop: Header=BB200_7 Depth=1
	v_cmp_eq_u32_e64 s[8:9], 1, v59
	v_cmp_eq_u32_e64 s[10:11], 0, v59
	v_cmp_eq_u32_e32 vcc, 3, v59
	s_waitcnt lgkmcnt(1)
	v_cndmask_b32_e64 v21, v21, v18, s[8:9]
	v_cndmask_b32_e64 v40, v40, v14, s[8:9]
	s_waitcnt lgkmcnt(0)
	v_cndmask_b32_e64 v42, v12, v39, s[8:9]
	s_mul_i32 s8, s63, s21
	s_ashr_i32 s9, s8, 31
	v_cndmask_b32_e64 v35, v35, v18, s[10:11]
	s_lshl_b64 s[8:9], s[8:9], 1
	v_cndmask_b32_e64 v41, v41, v14, s[10:11]
	v_cndmask_b32_e64 v43, v13, v39, s[10:11]
	s_add_u32 s10, s40, s8
	v_cvt_f16_f32_e32 v35, v35
	v_cvt_f16_f32_sdwa v21, v21 dst_sel:WORD_1 dst_unused:UNUSED_PAD src0_sel:DWORD
	s_addc_u32 s11, s41, s9
	s_ashr_i32 s35, s34, 31
	s_lshl_b64 s[8:9], s[34:35], 1
	s_add_u32 s48, s10, s8
	s_addc_u32 s49, s11, s9
	v_or_b32_e32 v21, v21, v35
	v_lshl_add_u64 v[12:13], v[26:27], 1, s[48:49]
	;;#ASMSTART
	global_atomic_pk_add_f16 v[12:13], v21, off
	
	;;#ASMEND
	v_cvt_f16_f32_e32 v21, v41
	v_cvt_f16_f32_sdwa v35, v40 dst_sel:WORD_1 dst_unused:UNUSED_PAD src0_sel:DWORD
	v_cvt_f16_f32_e32 v43, v43
	v_cvt_f16_f32_sdwa v42, v42 dst_sel:WORD_1 dst_unused:UNUSED_PAD src0_sel:DWORD
	v_cmp_eq_u32_e64 s[6:7], 2, v59
	v_lshl_add_u64 v[40:41], v[12:13], 0, 32
	v_or_b32_e32 v21, v35, v21
	v_cmp_gt_u32_e64 s[8:9], 30, v17
	;;#ASMSTART
	global_atomic_pk_add_f16 v[40:41], v21, off
	
	;;#ASMEND
	v_lshl_add_u64 v[40:41], v[12:13], 0, 64
	v_or_b32_e32 v21, v42, v43
	;;#ASMSTART
	global_atomic_pk_add_f16 v[40:41], v21, off
	
	;;#ASMEND
	s_and_b64 exec, exec, s[8:9]
	s_cbranch_execz .LBB200_34
; %bb.31:                               ;   in Loop: Header=BB200_7 Depth=1
	v_cndmask_b32_e32 v22, v22, v18, vcc
	v_cndmask_b32_e64 v18, v23, v18, s[6:7]
	v_cndmask_b32_e32 v19, v19, v14, vcc
	v_cndmask_b32_e64 v14, v37, v14, s[6:7]
	v_cndmask_b32_e32 v23, v15, v39, vcc
	v_cvt_f16_f32_e32 v15, v18
	v_cvt_f16_f32_sdwa v18, v22 dst_sel:WORD_1 dst_unused:UNUSED_PAD src0_sel:DWORD
	v_cvt_f16_f32_e32 v22, v14
	v_cvt_f16_f32_sdwa v19, v19 dst_sel:WORD_1 dst_unused:UNUSED_PAD src0_sel:DWORD
	v_mov_b32_e32 v35, v34
	v_or_b32_e32 v14, v18, v15
	v_mov_b32_e32 v18, v34
	v_or_b32_e32 v22, v19, v22
	v_mov_b32_e32 v19, v34
	v_pk_mul_f32 v[10:11], v[18:19], v[10:11]
	v_pk_mul_f32 v[18:19], v[34:35], v[8:9]
	v_cmp_eq_u32_e32 vcc, 1, v58
	v_cndmask_b32_e64 v37, v38, v39, s[6:7]
	v_cmp_eq_u32_e64 s[6:7], 2, v58
	v_cndmask_b32_e32 v8, v18, v19, vcc
	v_cmp_eq_u32_e64 s[8:9], 3, v58
	v_cndmask_b32_e64 v8, v8, v10, s[6:7]
	v_lshl_add_u64 v[12:13], s[28:29], 2, v[12:13]
	v_cndmask_b32_e64 v8, v8, v11, s[8:9]
	v_mov_b32_e32 v21, v20
	;;#ASMSTART
	global_atomic_pk_add_f16 v[12:13], v14, off
	
	;;#ASMEND
	v_lshl_add_u64 v[14:15], v[12:13], 0, 32
	ds_bpermute_b32 v34, v68, v8
	;;#ASMSTART
	global_atomic_pk_add_f16 v[14:15], v22, off
	
	;;#ASMEND
	v_cvt_f16_f32_sdwa v35, v23 dst_sel:WORD_1 dst_unused:UNUSED_PAD src0_sel:DWORD
	v_lshl_add_u64 v[22:23], v[12:13], 0, 64
	v_mov_b32_e32 v12, v20
	v_mov_b32_e32 v13, v20
	v_pk_mul_f32 v[6:7], v[12:13], v[6:7]
	v_pk_mul_f32 v[12:13], v[20:21], v[4:5]
	v_cmp_eq_u32_e64 s[10:11], 0, v58
	v_cndmask_b32_e32 v4, v12, v13, vcc
	v_cndmask_b32_e64 v4, v4, v6, s[6:7]
	v_cndmask_b32_e64 v4, v4, v7, s[8:9]
	s_waitcnt lgkmcnt(0)
	v_cndmask_b32_e64 v8, v11, v34, s[8:9]
	v_cndmask_b32_e64 v11, v18, v34, s[10:11]
	ds_bpermute_b32 v18, v68, v4
	v_cndmask_b32_e64 v9, v10, v34, s[6:7]
	v_cndmask_b32_e32 v10, v19, v34, vcc
	v_cmp_eq_u32_e64 s[12:13], 1, v59
	v_mov_b32_e32 v17, v16
	v_cmp_eq_u32_e64 s[14:15], 2, v59
	v_cndmask_b32_e64 v14, v11, v10, s[12:13]
	s_waitcnt lgkmcnt(0)
	v_cndmask_b32_e64 v5, v7, v18, s[8:9]
	v_cndmask_b32_e64 v4, v14, v9, s[14:15]
	;; [unrolled: 1-line block ×3, first 2 shown]
	v_cndmask_b32_e32 v13, v13, v18, vcc
	v_cndmask_b32_e64 v14, v12, v18, s[10:11]
	v_mov_b32_e32 v18, v16
	v_mov_b32_e32 v19, v16
	v_pk_mul_f32 v[16:17], v[16:17], v[0:1]
	v_pk_mul_f32 v[18:19], v[18:19], v[2:3]
	v_cndmask_b32_e32 v0, v16, v17, vcc
	v_cndmask_b32_e64 v0, v0, v18, s[6:7]
	v_cndmask_b32_e64 v0, v0, v19, s[8:9]
	ds_bpermute_b32 v1, v68, v0
	v_cndmask_b32_e64 v0, v14, v13, s[12:13]
	v_cmp_eq_u32_e64 s[16:17], 3, v59
	v_cndmask_b32_e64 v0, v0, v6, s[14:15]
	v_cmp_ne_u32_e32 vcc, 0, v58
	v_cndmask_b32_e64 v0, v0, v5, s[16:17]
	ds_bpermute_b32 v7, v68, v0
	s_waitcnt lgkmcnt(1)
	v_cndmask_b32_e64 v2, v19, v1, s[8:9]
	v_cndmask_b32_e64 v3, v18, v1, s[6:7]
	v_cndmask_b32_e32 v0, v17, v1, vcc
	v_cndmask_b32_e64 v1, v16, v1, s[10:11]
	v_cndmask_b32_e64 v12, v1, v0, s[12:13]
	v_cvt_f16_f32_e32 v15, v37
	v_cndmask_b32_e64 v12, v12, v3, s[14:15]
	v_cndmask_b32_e64 v4, v4, v8, s[16:17]
	;; [unrolled: 1-line block ×3, first 2 shown]
	ds_bpermute_b32 v4, v68, v4
	ds_bpermute_b32 v12, v68, v12
	v_or_b32_e32 v15, v35, v15
	;;#ASMSTART
	global_atomic_pk_add_f16 v[22:23], v15, off
	
	;;#ASMEND
	v_add_u32_e32 v15, s65, v63
	v_cmp_gt_u32_e32 vcc, 32, v15
	s_and_b64 exec, exec, vcc
	s_cbranch_execz .LBB200_34
; %bb.32:                               ;   in Loop: Header=BB200_7 Depth=1
	v_cmp_eq_u32_e64 s[8:9], 1, v59
	v_cmp_eq_u32_e64 s[10:11], 0, v59
	v_cmp_eq_u32_e32 vcc, 3, v59
	s_waitcnt lgkmcnt(1)
	v_cndmask_b32_e64 v10, v10, v4, s[8:9]
	v_cndmask_b32_e64 v11, v11, v4, s[10:11]
	;; [unrolled: 1-line block ×4, first 2 shown]
	v_cvt_f16_f32_e32 v11, v11
	v_cvt_f16_f32_sdwa v10, v10 dst_sel:WORD_1 dst_unused:UNUSED_PAD src0_sel:DWORD
	s_waitcnt lgkmcnt(0)
	v_cndmask_b32_e64 v16, v0, v12, s[8:9]
	v_cndmask_b32_e64 v17, v1, v12, s[10:11]
	v_cvt_f16_f32_e32 v14, v14
	v_cvt_f16_f32_sdwa v13, v13 dst_sel:WORD_1 dst_unused:UNUSED_PAD src0_sel:DWORD
	v_cvt_f16_f32_e32 v17, v17
	v_cvt_f16_f32_sdwa v16, v16 dst_sel:WORD_1 dst_unused:UNUSED_PAD src0_sel:DWORD
	v_lshl_add_u64 v[0:1], v[28:29], 1, s[48:49]
	v_or_b32_e32 v10, v10, v11
	v_cmp_eq_u32_e64 s[6:7], 2, v59
	;;#ASMSTART
	global_atomic_pk_add_f16 v[0:1], v10, off
	
	;;#ASMEND
	v_lshl_add_u64 v[10:11], v[0:1], 0, 32
	v_or_b32_e32 v13, v13, v14
	v_cmp_gt_u32_e64 s[8:9], 30, v15
	;;#ASMSTART
	global_atomic_pk_add_f16 v[10:11], v13, off
	
	;;#ASMEND
	v_lshl_add_u64 v[10:11], v[0:1], 0, 64
	v_or_b32_e32 v13, v16, v17
	;;#ASMSTART
	global_atomic_pk_add_f16 v[10:11], v13, off
	
	;;#ASMEND
	s_and_b64 exec, exec, s[8:9]
	s_cbranch_execz .LBB200_34
; %bb.33:                               ;   in Loop: Header=BB200_7 Depth=1
	v_cndmask_b32_e32 v8, v8, v4, vcc
	v_cndmask_b32_e64 v4, v9, v4, s[6:7]
	v_cndmask_b32_e32 v5, v5, v7, vcc
	v_cndmask_b32_e64 v6, v6, v7, s[6:7]
	v_cvt_f16_f32_e32 v4, v4
	v_cvt_f16_f32_sdwa v7, v8 dst_sel:WORD_1 dst_unused:UNUSED_PAD src0_sel:DWORD
	v_cndmask_b32_e32 v8, v2, v12, vcc
	v_cndmask_b32_e64 v9, v3, v12, s[6:7]
	v_cvt_f16_f32_sdwa v5, v5 dst_sel:WORD_1 dst_unused:UNUSED_PAD src0_sel:DWORD
	v_or_b32_e32 v2, v7, v4
	v_cvt_f16_f32_e32 v4, v6
	v_cvt_f16_f32_e32 v6, v9
	v_cvt_f16_f32_sdwa v7, v8 dst_sel:WORD_1 dst_unused:UNUSED_PAD src0_sel:DWORD
	v_lshl_add_u64 v[0:1], s[28:29], 2, v[0:1]
	;;#ASMSTART
	global_atomic_pk_add_f16 v[0:1], v2, off
	
	;;#ASMEND
	v_lshl_add_u64 v[2:3], v[0:1], 0, 32
	v_or_b32_e32 v4, v5, v4
	;;#ASMSTART
	global_atomic_pk_add_f16 v[2:3], v4, off
	
	;;#ASMEND
	v_lshl_add_u64 v[0:1], v[0:1], 0, 64
	v_or_b32_e32 v2, v7, v6
	;;#ASMSTART
	global_atomic_pk_add_f16 v[0:1], v2, off
	
	;;#ASMEND
.LBB200_34:                             ;   in Loop: Header=BB200_7 Depth=1
	s_or_b64 exec, exec, s[18:19]
	v_subrev_u32_e32 v70, s66, v70
.LBB200_35:                             ;   in Loop: Header=BB200_7 Depth=1
	s_or_b64 exec, exec, s[46:47]
.LBB200_36:                             ;   in Loop: Header=BB200_7 Depth=1
	s_andn2_saveexec_b64 s[6:7], s[44:45]
	s_cbranch_execz .LBB200_45
; %bb.37:                               ;   in Loop: Header=BB200_7 Depth=1
	s_mul_i32 s16, s66, 3
	v_cmp_gt_i32_e32 vcc, s16, v70
	s_and_saveexec_b64 s[8:9], vcc
	s_cbranch_execz .LBB200_44
; %bb.38:                               ;   in Loop: Header=BB200_7 Depth=1
	s_mul_i32 s10, s34, s23
	s_ashr_i32 s11, s10, 31
	s_waitcnt lgkmcnt(0)
	s_add_u32 s10, s38, s10
	s_addc_u32 s11, s39, s11
	s_ashr_i32 s12, s64, 31
	s_add_u32 s10, s10, s64
	s_addc_u32 s11, s11, s12
	v_lshl_add_u64 v[0:1], s[10:11], 0, v[32:33]
	v_lshl_add_u64 v[8:9], v[0:1], 0, v[30:31]
	s_mov_b64 s[10:11], 0
	s_branch .LBB200_40
.LBB200_39:                             ;   in Loop: Header=BB200_40 Depth=2
	s_or_b64 exec, exec, s[12:13]
	v_lshl_or_b32 v12, v10, 11, v65
	;;#ASMSTART
	s_waitcnt vmcnt(1)
	;;#ASMEND
	ds_write2_b32 v12, v4, v5 offset1:32
	ds_write2_b32 v12, v6, v7 offset0:64 offset1:96
	v_add_u32_e32 v4, 0x400, v12
	v_add_u32_e32 v70, s26, v70
	;;#ASMSTART
	s_waitcnt vmcnt(0)
	;;#ASMEND
	ds_write2_b32 v4, v0, v1 offset1:32
	ds_write2_b32 v4, v2, v3 offset0:64 offset1:96
	v_add_u32_e32 v0, 1, v56
	v_add_u32_e32 v36, s26, v10
	v_cmp_le_i32_e32 vcc, s16, v70
	ds_write_b32 v11, v0 offset:48
	v_add_u32_e32 v0, 2, v56
	s_or_b64 s[10:11], vcc, s[10:11]
	v_cmp_lt_i32_e32 vcc, 17, v36
	s_nop 1
	v_cndmask_b32_e32 v56, v56, v0, vcc
	s_andn2_b64 exec, exec, s[10:11]
	s_cbranch_execz .LBB200_43
.LBB200_40:                             ;   Parent Loop BB200_7 Depth=1
                                        ; =>  This Loop Header: Depth=2
                                        ;       Child Loop BB200_42 Depth 3
	v_cmp_gt_i32_e32 vcc, 18, v36
	s_nop 1
	v_cndmask_b32_e64 v0, v69, 0, vcc
	v_add_u32_e32 v10, v0, v36
	v_mul_hi_i32 v0, v70, s62
	v_lshrrev_b32_e32 v1, 31, v0
	v_add_u32_e32 v0, v0, v1
	v_lshl_add_u32 v1, v0, 1, v0
	v_sub_u32_e32 v2, v70, v1
	v_lshlrev_b32_e32 v0, 7, v0
	v_ashrrev_i32_e32 v1, 31, v0
	v_mul_lo_u32 v2, s55, v2
	v_lshl_add_u64 v[0:1], v[8:9], 0, v[0:1]
	v_ashrrev_i32_e32 v3, 31, v2
	v_lshl_add_u64 v[0:1], v[0:1], 0, v[2:3]
	v_lshlrev_b32_e32 v11, 2, v10
	;;#ASMSTART
	global_load_dwordx4 v[4:7], v[0:1], off offset:0   sc0 sc1 nt  
	global_load_dwordx4 v[0:3], v[0:1], off offset:64  sc0 sc1 nt  
	
	;;#ASMEND
	ds_read_b32 v12, v11 offset:61488
	v_add_u32_e32 v11, 0xf000, v11
	s_waitcnt lgkmcnt(0)
	v_cmp_ne_u32_e32 vcc, v12, v56
	s_and_saveexec_b64 s[12:13], vcc
	s_cbranch_execz .LBB200_39
; %bb.41:                               ;   in Loop: Header=BB200_40 Depth=2
	s_mov_b64 s[14:15], 0
.LBB200_42:                             ;   Parent Loop BB200_7 Depth=1
                                        ;     Parent Loop BB200_40 Depth=2
                                        ; =>    This Inner Loop Header: Depth=3
	;;#ASMSTART
	s_sleep 0
	;;#ASMEND
	ds_read_b32 v12, v11 offset:48
	s_waitcnt lgkmcnt(0)
	v_cmp_eq_u32_e32 vcc, v12, v56
	s_or_b64 s[14:15], vcc, s[14:15]
	s_andn2_b64 exec, exec, s[14:15]
	s_cbranch_execnz .LBB200_42
	s_branch .LBB200_39
.LBB200_43:                             ;   in Loop: Header=BB200_7 Depth=1
	s_or_b64 exec, exec, s[10:11]
.LBB200_44:                             ;   in Loop: Header=BB200_7 Depth=1
	s_or_b64 exec, exec, s[8:9]
	v_subrev_u32_e32 v70, s16, v70
.LBB200_45:                             ;   in Loop: Header=BB200_7 Depth=1
	s_or_b64 exec, exec, s[6:7]
.LBB200_46:                             ;   in Loop: Header=BB200_7 Depth=1
	s_andn2_saveexec_b64 s[6:7], s[30:31]
	s_cbranch_execz .LBB200_6
; %bb.47:                               ;   in Loop: Header=BB200_7 Depth=1
	s_lshl_b32 s16, s66, 1
	v_cmp_gt_i32_e32 vcc, s16, v70
	s_and_saveexec_b64 s[8:9], vcc
	s_cbranch_execz .LBB200_5
; %bb.48:                               ;   in Loop: Header=BB200_7 Depth=1
	s_mul_i32 s63, s63, s22
	s_ashr_i32 s10, s63, 31
	s_waitcnt lgkmcnt(0)
	s_add_u32 s11, s36, s63
	v_add_u32_e32 v2, s65, v64
	s_addc_u32 s12, s37, s10
	s_ashr_i32 s13, s64, 31
	v_cmp_gt_u32_e32 vcc, 32, v2
	s_add_u32 s10, s11, s64
	s_addc_u32 s11, s12, s13
	v_cndmask_b32_e32 v0, 0, v66, vcc
	v_ashrrev_i32_e32 v1, 31, v0
	v_lshl_add_u64 v[0:1], s[10:11], 0, v[0:1]
	v_lshl_add_u64 v[8:9], v[0:1], 0, v[30:31]
	v_sub_u32_e32 v10, 31, v2
	s_mov_b64 s[10:11], 0
	s_branch .LBB200_50
.LBB200_49:                             ;   in Loop: Header=BB200_50 Depth=2
	s_or_b64 exec, exec, s[12:13]
	v_lshl_add_u32 v13, v11, 11, v67
	;;#ASMSTART
	s_waitcnt vmcnt(1)
	;;#ASMEND
	ds_write2_b32 v13, v4, v5 offset1:32
	ds_write2_b32 v13, v6, v7 offset0:64 offset1:96
	v_add_u32_e32 v4, 0x400, v13
	v_add_u32_e32 v70, s25, v70
	;;#ASMSTART
	s_waitcnt vmcnt(0)
	;;#ASMEND
	ds_write2_b32 v4, v0, v1 offset1:32
	ds_write2_b32 v4, v2, v3 offset0:64 offset1:96
	v_add_u32_e32 v0, 1, v56
	v_add_u32_e32 v36, s25, v11
	v_cmp_le_i32_e32 vcc, s16, v70
	ds_write_b32 v12, v0
	v_add_u32_e32 v0, 2, v56
	s_or_b64 s[10:11], vcc, s[10:11]
	v_cmp_lt_i32_e32 vcc, 11, v36
	s_nop 1
	v_cndmask_b32_e32 v56, v56, v0, vcc
	s_andn2_b64 exec, exec, s[10:11]
	s_cbranch_execz .LBB200_4
.LBB200_50:                             ;   Parent Loop BB200_7 Depth=1
                                        ; =>  This Loop Header: Depth=2
                                        ;       Child Loop BB200_52 Depth 3
	v_cmp_gt_i32_e32 vcc, 12, v36
	s_nop 1
	v_cndmask_b32_e64 v0, -12, 0, vcc
	v_add_u32_e32 v11, v0, v36
	v_lshrrev_b32_e32 v0, 31, v70
	v_add_u32_e32 v0, v70, v0
	v_and_b32_e32 v1, 0xffffffe, v0
	v_sub_u32_e32 v1, v70, v1
	v_lshlrev_b32_e32 v1, 4, v1
	v_cmp_le_i32_e32 vcc, v1, v10
	v_lshlrev_b32_e32 v0, 6, v0
	v_and_b32_e32 v0, 0xffffff80, v0
	v_cndmask_b32_e32 v2, 0, v1, vcc
	v_ashrrev_i32_e32 v1, 31, v0
	v_mul_lo_u32 v2, v2, s22
	v_lshl_add_u64 v[0:1], v[8:9], 0, v[0:1]
	v_ashrrev_i32_e32 v3, 31, v2
	v_lshl_add_u64 v[0:1], v[0:1], 0, v[2:3]
	v_lshlrev_b32_e32 v12, 2, v11
	;;#ASMSTART
	global_load_dwordx4 v[4:7], v[0:1], off offset:0   
	global_load_dwordx4 v[0:3], v[0:1], off offset:64  
	
	;;#ASMEND
	ds_read_b32 v13, v12 offset:61440
	v_add_u32_e32 v12, 0xf000, v12
	s_waitcnt lgkmcnt(0)
	v_cmp_ne_u32_e32 vcc, v13, v56
	s_and_saveexec_b64 s[12:13], vcc
	s_cbranch_execz .LBB200_49
; %bb.51:                               ;   in Loop: Header=BB200_50 Depth=2
	s_mov_b64 s[14:15], 0
.LBB200_52:                             ;   Parent Loop BB200_7 Depth=1
                                        ;     Parent Loop BB200_50 Depth=2
                                        ; =>    This Inner Loop Header: Depth=3
	;;#ASMSTART
	s_sleep 0
	;;#ASMEND
	ds_read_b32 v13, v12
	s_waitcnt lgkmcnt(0)
	v_cmp_eq_u32_e32 vcc, v13, v56
	s_or_b64 s[14:15], vcc, s[14:15]
	s_andn2_b64 exec, exec, s[14:15]
	s_cbranch_execnz .LBB200_52
	s_branch .LBB200_49
.LBB200_53:
	s_endpgm
	.section	.rodata,"a",@progbits
	.p2align	6, 0x0
	.amdhsa_kernel _Z19_skinny_gemm_kernelILi2ELi3ELi6ELi16ELi4EEvPKhS1_P6__halfPKfiiiiiiii
		.amdhsa_group_segment_fixed_size 61560
		.amdhsa_private_segment_fixed_size 0
		.amdhsa_kernarg_size 64
		.amdhsa_user_sgpr_count 2
		.amdhsa_user_sgpr_dispatch_ptr 0
		.amdhsa_user_sgpr_queue_ptr 0
		.amdhsa_user_sgpr_kernarg_segment_ptr 1
		.amdhsa_user_sgpr_dispatch_id 0
		.amdhsa_user_sgpr_kernarg_preload_length 0
		.amdhsa_user_sgpr_kernarg_preload_offset 0
		.amdhsa_user_sgpr_private_segment_size 0
		.amdhsa_uses_dynamic_stack 0
		.amdhsa_enable_private_segment 0
		.amdhsa_system_sgpr_workgroup_id_x 1
		.amdhsa_system_sgpr_workgroup_id_y 0
		.amdhsa_system_sgpr_workgroup_id_z 0
		.amdhsa_system_sgpr_workgroup_info 0
		.amdhsa_system_vgpr_workitem_id 0
		.amdhsa_next_free_vgpr 78
		.amdhsa_next_free_sgpr 67
		.amdhsa_accum_offset 80
		.amdhsa_reserve_vcc 1
		.amdhsa_float_round_mode_32 0
		.amdhsa_float_round_mode_16_64 0
		.amdhsa_float_denorm_mode_32 3
		.amdhsa_float_denorm_mode_16_64 3
		.amdhsa_dx10_clamp 1
		.amdhsa_ieee_mode 1
		.amdhsa_fp16_overflow 0
		.amdhsa_tg_split 0
		.amdhsa_exception_fp_ieee_invalid_op 0
		.amdhsa_exception_fp_denorm_src 0
		.amdhsa_exception_fp_ieee_div_zero 0
		.amdhsa_exception_fp_ieee_overflow 0
		.amdhsa_exception_fp_ieee_underflow 0
		.amdhsa_exception_fp_ieee_inexact 0
		.amdhsa_exception_int_div_zero 0
	.end_amdhsa_kernel
	.section	.text._Z19_skinny_gemm_kernelILi2ELi3ELi6ELi16ELi4EEvPKhS1_P6__halfPKfiiiiiiii,"axG",@progbits,_Z19_skinny_gemm_kernelILi2ELi3ELi6ELi16ELi4EEvPKhS1_P6__halfPKfiiiiiiii,comdat
.Lfunc_end200:
	.size	_Z19_skinny_gemm_kernelILi2ELi3ELi6ELi16ELi4EEvPKhS1_P6__halfPKfiiiiiiii, .Lfunc_end200-_Z19_skinny_gemm_kernelILi2ELi3ELi6ELi16ELi4EEvPKhS1_P6__halfPKfiiiiiiii
                                        ; -- End function
	.set _Z19_skinny_gemm_kernelILi2ELi3ELi6ELi16ELi4EEvPKhS1_P6__halfPKfiiiiiiii.num_vgpr, 78
	.set _Z19_skinny_gemm_kernelILi2ELi3ELi6ELi16ELi4EEvPKhS1_P6__halfPKfiiiiiiii.num_agpr, 0
	.set _Z19_skinny_gemm_kernelILi2ELi3ELi6ELi16ELi4EEvPKhS1_P6__halfPKfiiiiiiii.numbered_sgpr, 67
	.set _Z19_skinny_gemm_kernelILi2ELi3ELi6ELi16ELi4EEvPKhS1_P6__halfPKfiiiiiiii.num_named_barrier, 0
	.set _Z19_skinny_gemm_kernelILi2ELi3ELi6ELi16ELi4EEvPKhS1_P6__halfPKfiiiiiiii.private_seg_size, 0
	.set _Z19_skinny_gemm_kernelILi2ELi3ELi6ELi16ELi4EEvPKhS1_P6__halfPKfiiiiiiii.uses_vcc, 1
	.set _Z19_skinny_gemm_kernelILi2ELi3ELi6ELi16ELi4EEvPKhS1_P6__halfPKfiiiiiiii.uses_flat_scratch, 0
	.set _Z19_skinny_gemm_kernelILi2ELi3ELi6ELi16ELi4EEvPKhS1_P6__halfPKfiiiiiiii.has_dyn_sized_stack, 0
	.set _Z19_skinny_gemm_kernelILi2ELi3ELi6ELi16ELi4EEvPKhS1_P6__halfPKfiiiiiiii.has_recursion, 0
	.set _Z19_skinny_gemm_kernelILi2ELi3ELi6ELi16ELi4EEvPKhS1_P6__halfPKfiiiiiiii.has_indirect_call, 0
	.section	.AMDGPU.csdata,"",@progbits
; Kernel info:
; codeLenInByte = 4820
; TotalNumSgprs: 73
; NumVgprs: 78
; NumAgprs: 0
; TotalNumVgprs: 78
; ScratchSize: 0
; MemoryBound: 0
; FloatMode: 240
; IeeeMode: 1
; LDSByteSize: 61560 bytes/workgroup (compile time only)
; SGPRBlocks: 9
; VGPRBlocks: 9
; NumSGPRsForWavesPerEU: 73
; NumVGPRsForWavesPerEU: 78
; AccumOffset: 80
; Occupancy: 6
; WaveLimiterHint : 0
; COMPUTE_PGM_RSRC2:SCRATCH_EN: 0
; COMPUTE_PGM_RSRC2:USER_SGPR: 2
; COMPUTE_PGM_RSRC2:TRAP_HANDLER: 0
; COMPUTE_PGM_RSRC2:TGID_X_EN: 1
; COMPUTE_PGM_RSRC2:TGID_Y_EN: 0
; COMPUTE_PGM_RSRC2:TGID_Z_EN: 0
; COMPUTE_PGM_RSRC2:TIDIG_COMP_CNT: 0
; COMPUTE_PGM_RSRC3_GFX90A:ACCUM_OFFSET: 19
; COMPUTE_PGM_RSRC3_GFX90A:TG_SPLIT: 0
	.section	.text._Z19_skinny_gemm_kernelILi2ELi3ELi6ELi32ELi4EEvPKhS1_P6__halfPKfiiiiiiii,"axG",@progbits,_Z19_skinny_gemm_kernelILi2ELi3ELi6ELi32ELi4EEvPKhS1_P6__halfPKfiiiiiiii,comdat
	.protected	_Z19_skinny_gemm_kernelILi2ELi3ELi6ELi32ELi4EEvPKhS1_P6__halfPKfiiiiiiii ; -- Begin function _Z19_skinny_gemm_kernelILi2ELi3ELi6ELi32ELi4EEvPKhS1_P6__halfPKfiiiiiiii
	.globl	_Z19_skinny_gemm_kernelILi2ELi3ELi6ELi32ELi4EEvPKhS1_P6__halfPKfiiiiiiii
	.p2align	8
	.type	_Z19_skinny_gemm_kernelILi2ELi3ELi6ELi32ELi4EEvPKhS1_P6__halfPKfiiiiiiii,@function
_Z19_skinny_gemm_kernelILi2ELi3ELi6ELi32ELi4EEvPKhS1_P6__halfPKfiiiiiiii: ; @_Z19_skinny_gemm_kernelILi2ELi3ELi6ELi32ELi4EEvPKhS1_P6__halfPKfiiiiiiii
; %bb.0:
	v_cmp_gt_u32_e32 vcc, 30, v0
	s_and_saveexec_b64 s[4:5], vcc
; %bb.1:
	v_lshlrev_b32_e32 v1, 2, v0
	v_mov_b32_e32 v2, 0
	ds_write_b32 v1, v2 offset:61440
; %bb.2:
	s_or_b64 exec, exec, s[4:5]
	s_load_dwordx8 s[92:99], s[0:1], 0x20
	s_waitcnt lgkmcnt(0)
	s_barrier
	s_add_i32 s3, s92, 63
	s_ashr_i32 s5, s3, 31
	s_add_i32 s4, s93, 0x5f
	s_lshr_b32 s5, s5, 26
	s_mul_hi_i32 s4, s4, 0x2aaaaaab
	s_add_i32 s3, s3, s5
	s_ashr_i32 s14, s3, 6
	s_lshr_b32 s3, s4, 31
	s_ashr_i32 s4, s4, 4
	s_add_i32 s15, s4, s3
	s_mul_i32 s3, s15, s14
	s_mul_i32 s3, s3, s96
	s_add_i32 s4, s3, 0x12f
	s_mul_hi_i32 s4, s4, 0x6bca1af3
	s_lshr_b32 s5, s4, 31
	s_ashr_i32 s4, s4, 7
	s_add_i32 s4, s4, s5
	s_add_i32 s5, s2, 1
	s_mul_i32 s5, s4, s5
	v_cvt_f64_i32_e32 v[2:3], s3
	v_cvt_f64_u32_e32 v[4:5], s5
	v_min_f64 v[2:3], v[2:3], v[4:5]
	v_cvt_i32_f64_e32 v62, v[2:3]
	s_mul_i32 s33, s4, s2
	v_cmp_ge_i32_e32 vcc, s33, v62
	s_cbranch_vccnz .LBB201_51
; %bb.3:
	s_load_dwordx8 s[16:23], s[0:1], 0x0
	v_lshrrev_b32_e32 v1, 6, v0
	s_add_i32 s0, s98, s97
	v_cmp_le_i32_e64 s[24:25], s0, v1
	v_mov_b32_e32 v2, s97
	v_cmp_le_i32_e64 s[26:27], s97, v1
	v_mov_b32_e32 v3, s98
	v_cndmask_b32_e64 v3, 0, v3, s[24:25]
	v_cndmask_b32_e64 v2, 0, v2, s[26:27]
	s_abs_i32 s1, s96
	v_add_u32_e32 v2, v2, v3
	v_cvt_f32_u32_e32 v3, s1
	v_sub_u32_e32 v56, v1, v2
	s_ashr_i32 s2, s94, 31
	s_lshr_b32 s2, s2, 26
	v_rcp_iflag_f32_e32 v2, v3
	s_sub_i32 s5, 0, s1
	s_add_i32 s2, s94, s2
	s_ashr_i32 s2, s2, 6
	v_mul_f32_e32 v2, 0x4f7ffffe, v2
	v_cvt_u32_f32_e32 v2, v2
	s_abs_i32 s4, s2
	s_xor_b32 s3, s2, s96
	s_ashr_i32 s3, s3, 31
	v_readfirstlane_b32 s6, v2
	s_mul_i32 s5, s5, s6
	s_mul_hi_u32 s5, s6, s5
	s_add_i32 s6, s6, s5
	s_mul_hi_u32 s5, s4, s6
	s_mul_i32 s6, s5, s1
	s_sub_i32 s4, s4, s6
	s_add_i32 s6, s5, 1
	s_sub_i32 s7, s4, s1
	s_cmp_ge_u32 s4, s1
	s_cselect_b32 s5, s6, s5
	s_cselect_b32 s4, s7, s4
	s_add_i32 s6, s5, 1
	s_cmp_ge_u32 s4, s1
	s_cselect_b32 s1, s6, s5
	s_add_i32 s0, s0, s99
	v_and_b32_e32 v64, 31, v0
	v_lshrrev_b32_e32 v2, 3, v0
	v_cmp_gt_i32_e64 s[34:35], s0, v1
	v_lshlrev_b32_e32 v1, 2, v64
	v_and_b32_e32 v3, 4, v2
	v_lshlrev_b32_e32 v2, 6, v3
	v_or_b32_e32 v4, 0x9000, v1
	v_and_b32_e32 v5, 1, v0
	s_add_i32 s29, s96, -1
	v_or_b32_e32 v65, v4, v2
	v_or_b32_e32 v66, v1, v2
	v_lshlrev_b32_e32 v2, 1, v5
	v_lshrrev_b32_e32 v7, 1, v0
	s_abs_i32 s96, s14
	v_sub_u32_e32 v2, v0, v2
	v_and_b32_e32 v50, 16, v7
	v_cvt_f32_u32_e32 v7, s96
	v_add_u32_e32 v2, 1, v2
	v_and_b32_e32 v6, 63, v2
	v_bitop3_b32 v67, v0, 1, v0 bitop3:0xc
	v_bitop3_b32 v68, v0, 3, 1 bitop3:0x6c
	;; [unrolled: 1-line block ×8, first 2 shown]
	v_and_b32_e32 v2, 30, v0
	v_lshlrev_b32_e32 v0, 4, v0
                                        ; implicit-def: $vgpr93 : SGPR spill to VGPR lane
	v_and_b32_e32 v0, 0x200, v0
	v_writelane_b32 v93, s14, 0
	v_or_b32_e32 v77, v1, v0
	v_rcp_iflag_f32_e32 v1, v7
	v_writelane_b32 v93, s15, 1
	s_waitcnt lgkmcnt(0)
	v_writelane_b32 v93, s16, 2
	s_abs_i32 s90, s15
	v_or_b32_e32 v79, v4, v0
	v_writelane_b32 v93, s17, 3
	v_writelane_b32 v93, s18, 4
	v_mul_f32_e32 v0, 0x4f7ffffe, v1
	v_cvt_f32_u32_e32 v1, s90
	v_writelane_b32 v93, s19, 5
	v_writelane_b32 v93, s20, 6
	;; [unrolled: 1-line block ×4, first 2 shown]
	v_cvt_u32_f32_e32 v0, v0
	v_rcp_iflag_f32_e32 v1, v1
	v_writelane_b32 v93, s23, 9
	v_cndmask_b32_e64 v63, 0, 1, s[24:25]
	s_xor_b32 s1, s1, s3
	v_writelane_b32 v93, s24, 10
	s_sub_i32 s28, s1, s3
	s_mul_i32 s1, s28, s29
	v_writelane_b32 v93, s25, 11
	v_writelane_b32 v93, s26, 12
	s_sub_i32 s30, s2, s1
	v_readfirstlane_b32 s1, v0
	v_mul_f32_e32 v0, 0x4f7ffffe, v1
	v_writelane_b32 v93, s27, 13
	v_cvt_u32_f32_e32 v0, v0
	v_writelane_b32 v93, s28, 14
	s_sub_i32 s0, 0, s96
	v_writelane_b32 v93, s29, 15
	s_mul_i32 s0, s0, s1
	v_writelane_b32 v93, s30, 16
	s_mul_hi_u32 s0, s1, s0
	v_writelane_b32 v93, s34, 17
	s_ashr_i32 s31, s14, 31
	s_add_i32 s36, s1, s0
	s_sub_i32 s0, 0, s90
	v_readfirstlane_b32 s1, v0
	v_mbcnt_lo_u32_b32 v0, -1, 0
	v_writelane_b32 v93, s35, 18
	s_mul_i32 s0, s0, s1
	v_mbcnt_hi_u32_b32 v0, -1, v0
	v_writelane_b32 v93, s31, 19
	v_mov_b32_e32 v49, 0
	v_mul_lo_u32 v52, s95, v64
	v_or_b32_e32 v80, v5, v3
	s_ashr_i32 s37, s15, 31
	s_mul_hi_u32 s0, s1, s0
	v_and_or_b32 v0, v0, 64, v6
	v_writelane_b32 v93, s36, 20
	v_or_b32_e32 v75, 32, v64
	v_or_b32_e32 v76, 64, v64
	v_ashrrev_i32_e32 v53, 31, v52
	v_mov_b32_e32 v51, v49
	s_lshl_b32 s91, s95, 5
	v_mul_lo_u32 v78, s94, v64
	v_or_b32_e32 v81, 2, v80
	s_add_i32 s38, s1, s0
	v_lshlrev_b32_e32 v48, 1, v2
	v_lshlrev_b32_e32 v82, 2, v0
	v_not_b32_e32 v83, 17
	v_mov_b32_e32 v84, v56
	v_writelane_b32 v93, s37, 21
	v_writelane_b32 v93, s38, 22
	s_branch .LBB201_7
.LBB201_4:                              ;   in Loop: Header=BB201_7 Depth=1
	s_or_b64 exec, exec, s[4:5]
.LBB201_5:                              ;   in Loop: Header=BB201_7 Depth=1
	s_or_b64 exec, exec, s[2:3]
	v_subrev_u32_e32 v84, s10, v84
.LBB201_6:                              ;   in Loop: Header=BB201_7 Depth=1
	s_or_b64 exec, exec, s[0:1]
	s_add_i32 s33, s33, 1
	v_cmp_ge_i32_e32 vcc, s33, v62
	s_cbranch_vccnz .LBB201_51
.LBB201_7:                              ; =>This Loop Header: Depth=1
                                        ;     Child Loop BB201_13 Depth 2
                                        ;       Child Loop BB201_15 Depth 3
                                        ;       Child Loop BB201_18 Depth 3
	;; [unrolled: 1-line block ×4, first 2 shown]
                                        ;     Child Loop BB201_29 Depth 2
                                        ;     Child Loop BB201_38 Depth 2
                                        ;       Child Loop BB201_40 Depth 3
                                        ;     Child Loop BB201_48 Depth 2
                                        ;       Child Loop BB201_50 Depth 3
	s_abs_i32 s1, s33
	s_mul_hi_u32 s2, s1, s36
	s_mul_i32 s3, s2, s96
	s_ashr_i32 s0, s33, 31
	s_sub_i32 s1, s1, s3
	s_xor_b32 s0, s0, s31
	s_add_i32 s3, s2, 1
	s_sub_i32 s4, s1, s96
	s_cmp_ge_u32 s1, s96
	s_cselect_b32 s2, s3, s2
	s_cselect_b32 s1, s4, s1
	s_add_i32 s3, s2, 1
	s_cmp_ge_u32 s1, s96
	s_cselect_b32 s1, s3, s2
	s_xor_b32 s1, s1, s0
	s_sub_i32 s0, s1, s0
	s_abs_i32 s2, s0
	s_mul_i32 s1, s0, s14
	s_mul_hi_u32 s3, s2, s38
	s_sub_i32 s1, s33, s1
	s_mul_i32 s4, s3, s90
	s_lshl_b32 s39, s1, 6
	s_ashr_i32 s1, s0, 31
	s_sub_i32 s2, s2, s4
	s_xor_b32 s1, s1, s37
	s_add_i32 s4, s3, 1
	s_sub_i32 s5, s2, s90
	s_cmp_ge_u32 s2, s90
	s_cselect_b32 s3, s4, s3
	s_cselect_b32 s2, s5, s2
	s_add_i32 s4, s3, 1
	s_cmp_ge_u32 s2, s90
	s_cselect_b32 s2, s4, s3
	s_xor_b32 s2, s2, s1
	s_sub_i32 s1, s2, s1
	s_mul_i32 s2, s1, s28
	s_lshl_b32 s13, s2, 6
	s_cmp_eq_u32 s1, s29
	s_cselect_b32 s4, s30, s28
	s_sub_i32 s2, s39, s92
	s_add_i32 s2, s2, 64
	s_max_i32 s5, s2, 0
	s_and_saveexec_b64 s[2:3], s[26:27]
	s_xor_b64 s[2:3], exec, s[2:3]
	v_writelane_b32 v93, s2, 23
	s_nop 1
	v_writelane_b32 v93, s3, 24
	s_cbranch_execz .LBB201_44
; %bb.8:                                ;   in Loop: Header=BB201_7 Depth=1
	s_mul_i32 s1, s1, s15
	s_sub_i32 s0, s0, s1
	s_mulk_i32 s0, 0x60
	s_sub_i32 s70, s0, s93
	s_addk_i32 s70, 0x60
	s_max_i32 s1, s70, 0
	s_sub_i32 s0, s0, s1
	v_writelane_b32 v93, s13, 25
	s_and_saveexec_b64 s[2:3], s[24:25]
	s_xor_b64 s[2:3], exec, s[2:3]
	s_cbranch_execz .LBB201_34
; %bb.9:                                ;   in Loop: Header=BB201_7 Depth=1
	s_mov_b64 s[6:7], exec
	v_writelane_b32 v93, s6, 26
	s_nop 1
	v_writelane_b32 v93, s7, 27
	s_and_b64 s[6:7], s[6:7], s[34:35]
	s_mov_b64 exec, s[6:7]
	s_cbranch_execz .LBB201_33
; %bb.10:                               ;   in Loop: Header=BB201_7 Depth=1
	global_load_dword v85, v49, s[22:23]
	v_mov_b32_e32 v47, 0
	v_cmp_gt_i32_e32 vcc, s4, v84
	v_mov_b32_e32 v46, v47
	v_mov_b32_e32 v45, v47
	v_mov_b32_e32 v44, v47
	v_mov_b32_e32 v43, v47
	v_mov_b32_e32 v42, v47
	v_mov_b32_e32 v41, v47
	v_mov_b32_e32 v40, v47
	v_mov_b32_e32 v39, v47
	v_mov_b32_e32 v38, v47
	v_mov_b32_e32 v37, v47
	v_mov_b32_e32 v36, v47
	v_mov_b32_e32 v35, v47
	v_mov_b32_e32 v34, v47
	v_mov_b32_e32 v33, v47
	v_mov_b32_e32 v32, v47
	v_mov_b32_e32 v31, v47
	v_mov_b32_e32 v30, v47
	v_mov_b32_e32 v29, v47
	v_mov_b32_e32 v28, v47
	v_mov_b32_e32 v27, v47
	v_mov_b32_e32 v26, v47
	v_mov_b32_e32 v25, v47
	v_mov_b32_e32 v24, v47
	v_mov_b32_e32 v23, v47
	v_mov_b32_e32 v22, v47
	v_mov_b32_e32 v21, v47
	v_mov_b32_e32 v20, v47
	v_mov_b32_e32 v19, v47
	v_mov_b32_e32 v18, v47
	v_mov_b32_e32 v17, v47
	v_mov_b32_e32 v16, v47
	v_mov_b32_e32 v15, v47
	v_mov_b32_e32 v14, v47
	v_mov_b32_e32 v13, v47
	v_mov_b32_e32 v12, v47
	v_mov_b32_e32 v11, v47
	v_mov_b32_e32 v10, v47
	v_mov_b32_e32 v9, v47
	v_mov_b32_e32 v8, v47
	v_mov_b32_e32 v7, v47
	v_mov_b32_e32 v6, v47
	v_mov_b32_e32 v5, v47
	v_mov_b32_e32 v4, v47
	v_mov_b32_e32 v3, v47
	v_mov_b32_e32 v2, v47
	v_mov_b32_e32 v1, v47
	v_mov_b32_e32 v0, v47
	s_and_saveexec_b64 s[6:7], vcc
	s_cbranch_execz .LBB201_26
; %bb.11:                               ;   in Loop: Header=BB201_7 Depth=1
	v_mov_b32_e32 v0, 0
	s_mov_b64 s[8:9], 0
	v_mov_b32_e32 v1, v0
	v_mov_b32_e32 v2, v0
	;; [unrolled: 1-line block ×47, first 2 shown]
	s_branch .LBB201_13
.LBB201_12:                             ;   in Loop: Header=BB201_13 Depth=2
	s_or_b64 exec, exec, s[10:11]
	v_add_u32_e32 v92, 0x1000, v89
	ds_read2_b32 v[90:91], v92 offset1:32
	v_add_u32_e32 v84, s99, v84
	s_waitcnt lgkmcnt(0)
	v_mfma_f32_32x32x16_fp8_fp8 v[0:15], v[60:61], v[90:91], v[0:15]
	ds_read2_b32 v[60:61], v92 offset0:128 offset1:160
	s_waitcnt lgkmcnt(0)
	v_mfma_f32_32x32x16_fp8_fp8 v[0:15], v[58:59], v[60:61], v[0:15]
	v_add_u32_e32 v60, 0x1400, v89
	ds_read2_b32 v[58:59], v60 offset1:32
	ds_read2_b32 v[60:61], v60 offset0:128 offset1:160
	ds_write_b32 v87, v88 offset:61460
	s_waitcnt lgkmcnt(2)
	v_mfma_f32_32x32x16_fp8_fp8 v[0:15], v[56:57], v[58:59], v[0:15]
	v_add_u32_e32 v56, s99, v86
	v_add_u32_e32 v57, 2, v63
	v_cmp_lt_i32_e32 vcc, 5, v56
	s_nop 1
	v_cndmask_b32_e32 v63, v63, v57, vcc
	v_cmp_le_i32_e32 vcc, s4, v84
	s_waitcnt lgkmcnt(1)
	v_mfma_f32_32x32x16_fp8_fp8 v[0:15], v[54:55], v[60:61], v[0:15]
	s_or_b64 s[8:9], vcc, s[8:9]
	s_andn2_b64 exec, exec, s[8:9]
	s_cbranch_execz .LBB201_25
.LBB201_13:                             ;   Parent Loop BB201_7 Depth=1
                                        ; =>  This Loop Header: Depth=2
                                        ;       Child Loop BB201_15 Depth 3
                                        ;       Child Loop BB201_18 Depth 3
	;; [unrolled: 1-line block ×4, first 2 shown]
	v_cmp_gt_i32_e32 vcc, 6, v56
	s_nop 1
	v_cndmask_b32_e64 v54, -6, 0, vcc
	v_add_u32_e32 v86, v54, v56
	v_mul_lo_u32 v87, v86, 24
	ds_read_b32 v54, v87 offset:61440
	s_waitcnt lgkmcnt(0)
	v_cmp_ne_u32_e32 vcc, v54, v63
	s_and_saveexec_b64 s[10:11], vcc
	s_cbranch_execz .LBB201_16
; %bb.14:                               ;   in Loop: Header=BB201_13 Depth=2
	s_mov_b64 s[12:13], 0
.LBB201_15:                             ;   Parent Loop BB201_7 Depth=1
                                        ;     Parent Loop BB201_13 Depth=2
                                        ; =>    This Inner Loop Header: Depth=3
	;;#ASMSTART
	s_sleep 0
	;;#ASMEND
	ds_read_b32 v54, v87 offset:61440
	s_waitcnt lgkmcnt(0)
	v_cmp_eq_u32_e32 vcc, v54, v63
	s_or_b64 s[12:13], vcc, s[12:13]
	s_andn2_b64 exec, exec, s[12:13]
	s_cbranch_execnz .LBB201_15
.LBB201_16:                             ;   in Loop: Header=BB201_13 Depth=2
	s_or_b64 exec, exec, s[10:11]
	v_lshl_add_u32 v54, v86, 11, v65
	ds_read2_b32 v[60:61], v54 offset1:32
	ds_read2_b32 v[58:59], v54 offset0:128 offset1:160
	v_add_u32_e32 v54, 0x400, v54
	ds_read2_b32 v[56:57], v54 offset1:32
	ds_read_b32 v89, v87 offset:61444
	ds_read2_b32 v[54:55], v54 offset0:128 offset1:160
	v_add_u32_e32 v88, 1, v63
	ds_write_b32 v87, v88 offset:61440
	s_waitcnt lgkmcnt(2)
	v_cmp_ne_u32_e32 vcc, v89, v63
	s_and_saveexec_b64 s[10:11], vcc
	s_cbranch_execz .LBB201_19
; %bb.17:                               ;   in Loop: Header=BB201_13 Depth=2
	s_mov_b64 s[12:13], 0
.LBB201_18:                             ;   Parent Loop BB201_7 Depth=1
                                        ;     Parent Loop BB201_13 Depth=2
                                        ; =>    This Inner Loop Header: Depth=3
	;;#ASMSTART
	s_sleep 0
	;;#ASMEND
	ds_read_b32 v89, v87 offset:61444
	s_waitcnt lgkmcnt(0)
	v_cmp_eq_u32_e32 vcc, v89, v63
	s_or_b64 s[12:13], vcc, s[12:13]
	s_andn2_b64 exec, exec, s[12:13]
	s_cbranch_execnz .LBB201_18
.LBB201_19:                             ;   in Loop: Header=BB201_13 Depth=2
	s_or_b64 exec, exec, s[10:11]
	s_movk_i32 s1, 0x1800
	v_mul_lo_u32 v89, v86, s1
	v_or_b32_e32 v92, v66, v89
	ds_read2_b32 v[90:91], v92 offset1:32
	ds_write_b32 v87, v88 offset:61444
	s_waitcnt lgkmcnt(1)
	v_mfma_f32_32x32x16_fp8_fp8 v[32:47], v[60:61], v[90:91], v[32:47]
	ds_read2_b32 v[90:91], v92 offset0:128 offset1:160
	v_add_u32_e32 v92, 0x400, v92
	s_waitcnt lgkmcnt(0)
	v_mfma_f32_32x32x16_fp8_fp8 v[32:47], v[58:59], v[90:91], v[32:47]
	ds_read2_b32 v[90:91], v92 offset1:32
	s_waitcnt lgkmcnt(0)
	v_mfma_f32_32x32x16_fp8_fp8 v[32:47], v[56:57], v[90:91], v[32:47]
	ds_read2_b32 v[90:91], v92 offset0:128 offset1:160
	ds_read_b32 v92, v87 offset:61452
	s_waitcnt lgkmcnt(0)
	v_cmp_ne_u32_e32 vcc, v92, v63
	v_mfma_f32_32x32x16_fp8_fp8 v[32:47], v[54:55], v[90:91], v[32:47]
	s_and_saveexec_b64 s[10:11], vcc
	s_cbranch_execz .LBB201_22
; %bb.20:                               ;   in Loop: Header=BB201_13 Depth=2
	s_mov_b64 s[12:13], 0
.LBB201_21:                             ;   Parent Loop BB201_7 Depth=1
                                        ;     Parent Loop BB201_13 Depth=2
                                        ; =>    This Inner Loop Header: Depth=3
	;;#ASMSTART
	s_sleep 0
	;;#ASMEND
	ds_read_b32 v90, v87 offset:61452
	s_waitcnt lgkmcnt(0)
	v_cmp_eq_u32_e32 vcc, v90, v63
	s_or_b64 s[12:13], vcc, s[12:13]
	s_andn2_b64 exec, exec, s[12:13]
	s_cbranch_execnz .LBB201_21
.LBB201_22:                             ;   in Loop: Header=BB201_13 Depth=2
	s_or_b64 exec, exec, s[10:11]
	v_add_u32_e32 v89, v66, v89
	v_add_u32_e32 v92, 0x800, v89
	ds_read2_b32 v[90:91], v92 offset1:32
	ds_write_b32 v87, v88 offset:61452
	s_waitcnt lgkmcnt(1)
	v_mfma_f32_32x32x16_fp8_fp8 v[16:31], v[60:61], v[90:91], v[16:31]
	ds_read2_b32 v[90:91], v92 offset0:128 offset1:160
	v_add_u32_e32 v92, 0xc00, v89
	s_waitcnt lgkmcnt(0)
	v_mfma_f32_32x32x16_fp8_fp8 v[16:31], v[58:59], v[90:91], v[16:31]
	ds_read2_b32 v[90:91], v92 offset1:32
	s_waitcnt lgkmcnt(0)
	v_mfma_f32_32x32x16_fp8_fp8 v[16:31], v[56:57], v[90:91], v[16:31]
	ds_read2_b32 v[90:91], v92 offset0:128 offset1:160
	ds_read_b32 v92, v87 offset:61460
	s_waitcnt lgkmcnt(0)
	v_cmp_ne_u32_e32 vcc, v92, v63
	v_mfma_f32_32x32x16_fp8_fp8 v[16:31], v[54:55], v[90:91], v[16:31]
	s_and_saveexec_b64 s[10:11], vcc
	s_cbranch_execz .LBB201_12
; %bb.23:                               ;   in Loop: Header=BB201_13 Depth=2
	s_mov_b64 s[12:13], 0
.LBB201_24:                             ;   Parent Loop BB201_7 Depth=1
                                        ;     Parent Loop BB201_13 Depth=2
                                        ; =>    This Inner Loop Header: Depth=3
	;;#ASMSTART
	s_sleep 0
	;;#ASMEND
	ds_read_b32 v90, v87 offset:61460
	s_waitcnt lgkmcnt(0)
	v_cmp_eq_u32_e32 vcc, v90, v63
	s_or_b64 s[12:13], vcc, s[12:13]
	s_andn2_b64 exec, exec, s[12:13]
	s_cbranch_execnz .LBB201_24
	s_branch .LBB201_12
.LBB201_25:                             ;   in Loop: Header=BB201_7 Depth=1
	s_or_b64 exec, exec, s[8:9]
.LBB201_26:                             ;   in Loop: Header=BB201_7 Depth=1
	s_or_b64 exec, exec, s[6:7]
	v_cmp_le_i32_e32 vcc, s70, v64
	v_cmp_eq_u32_e64 s[60:61], 1, v67
	v_cmp_eq_u32_e64 s[26:27], 2, v67
	s_waitcnt vmcnt(0)
	v_cndmask_b32_e32 v54, 0, v85, vcc
	v_pk_mul_f32 v[32:33], v[54:55], v[32:33] op_sel_hi:[0,1]
	v_pk_mul_f32 v[46:47], v[54:55], v[46:47] op_sel_hi:[0,1]
	;; [unrolled: 1-line block ×8, first 2 shown]
	v_cndmask_b32_e64 v54, v32, v33, s[60:61]
	v_cndmask_b32_e64 v54, v54, v34, s[26:27]
	v_cmp_eq_u32_e64 s[40:41], 3, v67
	v_cmp_eq_u32_e64 s[42:43], 4, v67
	v_cmp_eq_u32_e64 s[44:45], 5, v67
	v_cndmask_b32_e64 v54, v54, v35, s[40:41]
	v_cndmask_b32_e64 v54, v54, v36, s[42:43]
	v_cndmask_b32_e64 v54, v54, v37, s[44:45]
	v_cmp_eq_u32_e64 s[46:47], 6, v67
	v_cmp_eq_u32_e64 s[48:49], 7, v67
	v_cmp_eq_u32_e64 s[50:51], 8, v67
	v_cndmask_b32_e64 v54, v54, v38, s[46:47]
	;; [unrolled: 6-line block ×4, first 2 shown]
	v_cndmask_b32_e64 v54, v54, v45, s[62:63]
	v_cndmask_b32_e64 v54, v54, v46, s[64:65]
	v_cmp_eq_u32_e64 s[66:67], 15, v67
	s_mul_i32 s6, s39, s93
	s_ashr_i32 s7, s6, 31
	v_cndmask_b32_e64 v54, v54, v47, s[66:67]
	ds_bpermute_b32 v54, v82, v54
	s_lshl_b64 s[6:7], s[6:7], 1
	v_cmp_eq_u32_e64 s[36:37], 0, v67
	s_add_u32 s71, s20, s6
	v_cmp_eq_u32_e32 vcc, 1, v68
	s_waitcnt lgkmcnt(0)
	v_cndmask_b32_e64 v47, v47, v54, s[66:67]
	v_cndmask_b32_e64 v46, v46, v54, s[64:65]
	;; [unrolled: 1-line block ×16, first 2 shown]
	s_addc_u32 s72, s21, s7
	v_cndmask_b32_e32 v32, v54, v87, vcc
	v_cmp_eq_u32_e64 s[6:7], 2, v68
	v_cmp_eq_u32_e64 s[8:9], 3, v68
	v_cmp_eq_u32_e64 s[10:11], 4, v68
	v_cndmask_b32_e64 v32, v32, v86, s[6:7]
	v_cndmask_b32_e64 v32, v32, v61, s[8:9]
	v_cndmask_b32_e64 v32, v32, v60, s[10:11]
	v_cmp_eq_u32_e64 s[12:13], 5, v68
	v_cmp_eq_u32_e64 s[14:15], 6, v68
	v_cmp_eq_u32_e64 s[16:17], 7, v68
	v_cndmask_b32_e64 v32, v32, v59, s[12:13]
	v_cndmask_b32_e64 v32, v32, v58, s[14:15]
	v_cndmask_b32_e64 v32, v32, v57, s[16:17]
	;; [unrolled: 6-line block ×4, first 2 shown]
	v_cmp_eq_u32_e64 s[34:35], 14, v68
	v_writelane_b32 v93, s39, 28
	v_cmp_eq_u32_e64 s[38:39], 15, v68
	v_cndmask_b32_e64 v32, v32, v46, s[34:35]
	s_ashr_i32 s1, s0, 31
	v_cndmask_b32_e64 v32, v32, v47, s[38:39]
	ds_bpermute_b32 v55, v82, v32
	s_lshl_b64 s[68:69], s[0:1], 1
	s_add_u32 s68, s71, s68
	s_addc_u32 s69, s72, s69
	v_writelane_b32 v93, s68, 29
	s_waitcnt lgkmcnt(0)
	v_cndmask_b32_e64 v33, v47, v55, s[38:39]
	v_cndmask_b32_e64 v38, v42, v55, s[22:23]
	v_writelane_b32 v93, s69, 30
	v_cmp_le_i32_e64 s[68:69], s70, v75
	v_cmp_le_i32_e64 s[70:71], s70, v76
	v_cndmask_b32_e64 v42, v58, v55, s[14:15]
	v_cndmask_b32_e64 v32, 0, v85, s[68:69]
	;; [unrolled: 1-line block ×3, first 2 shown]
	v_pk_mul_f32 v[16:17], v[32:33], v[16:17] op_sel_hi:[0,1]
	v_pk_mul_f32 v[0:1], v[58:59], v[0:1] op_sel_hi:[0,1]
	v_cndmask_b32_e64 v35, v45, v55, s[30:31]
	v_cndmask_b32_e64 v36, v44, v55, s[28:29]
	;; [unrolled: 1-line block ×4, first 2 shown]
	v_pk_mul_f32 v[30:31], v[32:33], v[30:31] op_sel_hi:[0,1]
	v_pk_mul_f32 v[28:29], v[32:33], v[28:29] op_sel_hi:[0,1]
	;; [unrolled: 1-line block ×7, first 2 shown]
	v_cndmask_b32_e64 v32, v16, v17, s[60:61]
	v_pk_mul_f32 v[60:61], v[58:59], v[4:5] op_sel_hi:[0,1]
	v_pk_mul_f32 v[2:3], v[58:59], v[2:3] op_sel_hi:[0,1]
	v_cndmask_b32_e64 v4, v0, v1, s[60:61]
	v_cndmask_b32_e64 v32, v32, v18, s[26:27]
	;; [unrolled: 1-line block ×8, first 2 shown]
	v_pk_mul_f32 v[6:7], v[58:59], v[6:7] op_sel_hi:[0,1]
	v_cndmask_b32_e64 v4, v4, v61, s[44:45]
	v_cndmask_b32_e64 v32, v32, v22, s[46:47]
	v_cndmask_b32_e64 v4, v4, v6, s[46:47]
	v_cndmask_b32_e64 v32, v32, v23, s[48:49]
	v_pk_mul_f32 v[8:9], v[58:59], v[8:9] op_sel_hi:[0,1]
	v_cndmask_b32_e64 v4, v4, v7, s[48:49]
	v_cndmask_b32_e64 v32, v32, v24, s[50:51]
	v_cndmask_b32_e64 v4, v4, v8, s[50:51]
	v_cndmask_b32_e64 v32, v32, v25, s[52:53]
	;; [unrolled: 5-line block ×5, first 2 shown]
	v_cndmask_b32_e64 v4, v4, v15, s[66:67]
	ds_bpermute_b32 v32, v82, v32
	ds_bpermute_b32 v5, v82, v4
	v_cmp_eq_u32_e64 s[68:69], 0, v68
	v_cndmask_b32_e32 v47, v87, v55, vcc
	v_cmp_eq_u32_e64 s[70:71], 1, v69
	v_cndmask_b32_e64 v54, v54, v55, s[68:69]
	v_cndmask_b32_e64 v34, v46, v55, s[34:35]
	;; [unrolled: 1-line block ×9, first 2 shown]
	s_waitcnt lgkmcnt(1)
	v_cndmask_b32_e64 v4, v17, v32, s[60:61]
	v_cmp_eq_u32_e64 s[60:61], 2, v69
	v_cndmask_b32_e64 v18, v18, v32, s[26:27]
	s_waitcnt lgkmcnt(0)
	v_cndmask_b32_e64 v2, v2, v5, s[26:27]
	v_cmp_ne_u32_e64 s[26:27], 0, v67
	v_cndmask_b32_e64 v17, v55, v46, s[60:61]
	v_cndmask_b32_e64 v31, v31, v32, s[66:67]
	v_cndmask_b32_e64 v15, v15, v5, s[66:67]
	v_cmp_eq_u32_e64 s[66:67], 3, v69
	v_cndmask_b32_e64 v1, v1, v5, s[26:27]
	v_cndmask_b32_e64 v16, v16, v32, s[36:37]
	;; [unrolled: 1-line block ×6, first 2 shown]
	v_cmp_eq_u32_e64 s[64:65], 4, v69
	v_cndmask_b32_e64 v29, v29, v32, s[62:63]
	v_cndmask_b32_e64 v13, v13, v5, s[62:63]
	;; [unrolled: 1-line block ×22, first 2 shown]
	v_cndmask_b32_e32 v32, v16, v4, vcc
	v_cndmask_b32_e32 v5, v0, v1, vcc
	v_cndmask_b32_e64 v17, v17, v44, s[64:65]
	v_cmp_eq_u32_e64 s[62:63], 5, v69
	v_cndmask_b32_e64 v32, v32, v18, s[6:7]
	v_cndmask_b32_e64 v5, v5, v2, s[6:7]
	v_cndmask_b32_e64 v17, v17, v43, s[62:63]
	v_cmp_eq_u32_e64 s[58:59], 6, v69
	v_cndmask_b32_e64 v32, v32, v19, s[8:9]
	v_cndmask_b32_e64 v5, v5, v3, s[8:9]
	;; [unrolled: 4-line block ×11, first 2 shown]
	v_cndmask_b32_e64 v17, v17, v33, s[82:83]
	v_cndmask_b32_e64 v32, v32, v29, s[30:31]
	;; [unrolled: 1-line block ×3, first 2 shown]
	ds_bpermute_b32 v17, v82, v17
	v_cndmask_b32_e64 v32, v32, v30, s[34:35]
	v_cndmask_b32_e64 v5, v5, v14, s[34:35]
	;; [unrolled: 1-line block ×4, first 2 shown]
	ds_bpermute_b32 v32, v82, v32
	ds_bpermute_b32 v5, v82, v5
	v_cmp_eq_u32_e64 s[42:43], 0, v69
	s_waitcnt lgkmcnt(2)
	v_cndmask_b32_e64 v33, v33, v17, s[82:83]
	v_cndmask_b32_e64 v34, v34, v17, s[76:77]
	;; [unrolled: 1-line block ×16, first 2 shown]
	v_cmp_eq_u32_e64 s[26:27], 1, v70
	v_cmp_eq_u32_e64 s[36:37], 2, v70
	s_waitcnt lgkmcnt(1)
	v_cndmask_b32_e64 v30, v30, v32, s[34:35]
	v_cndmask_b32_e64 v54, v17, v47, s[26:27]
	;; [unrolled: 1-line block ×3, first 2 shown]
	s_waitcnt lgkmcnt(0)
	v_cndmask_b32_e64 v14, v14, v5, s[34:35]
	v_cmp_eq_u32_e64 s[34:35], 3, v70
	v_cndmask_b32_e32 v4, v4, v32, vcc
	v_cndmask_b32_e32 v1, v1, v5, vcc
	v_cndmask_b32_e64 v16, v16, v32, s[68:69]
	v_cndmask_b32_e64 v0, v0, v5, s[68:69]
	v_cndmask_b32_e64 v31, v31, v32, s[38:39]
	v_cndmask_b32_e64 v15, v15, v5, s[38:39]
	v_cndmask_b32_e64 v54, v54, v45, s[34:35]
	v_cndmask_b32_e64 v29, v29, v32, s[30:31]
	v_cndmask_b32_e64 v13, v13, v5, s[30:31]
	v_cmp_eq_u32_e64 s[30:31], 4, v70
	v_cndmask_b32_e64 v28, v28, v32, s[28:29]
	v_cndmask_b32_e64 v12, v12, v5, s[28:29]
	;; [unrolled: 1-line block ×25, first 2 shown]
	v_cmp_eq_u32_e64 s[38:39], 5, v70
	v_cndmask_b32_e64 v32, v32, v18, s[60:61]
	v_cndmask_b32_e64 v5, v5, v2, s[60:61]
	v_cndmask_b32_e64 v54, v54, v43, s[38:39]
	v_cmp_eq_u32_e64 s[24:25], 6, v70
	v_cndmask_b32_e64 v32, v32, v19, s[66:67]
	v_cndmask_b32_e64 v5, v5, v3, s[66:67]
	v_cndmask_b32_e64 v54, v54, v42, s[24:25]
	;; [unrolled: 4-line block ×11, first 2 shown]
	v_cndmask_b32_e64 v32, v32, v29, s[44:45]
	v_cndmask_b32_e64 v5, v5, v13, s[44:45]
	ds_bpermute_b32 v54, v82, v54
	v_cndmask_b32_e64 v32, v32, v30, s[76:77]
	v_cndmask_b32_e64 v5, v5, v14, s[76:77]
	v_cndmask_b32_e64 v32, v32, v31, s[82:83]
	v_cndmask_b32_e64 v5, v5, v15, s[82:83]
	ds_bpermute_b32 v32, v82, v32
	ds_bpermute_b32 v5, v82, v5
	v_cmp_eq_u32_e64 s[16:17], 0, v70
	s_waitcnt lgkmcnt(2)
	v_cndmask_b32_e64 v47, v47, v54, s[26:27]
	v_cmp_eq_u32_e64 s[8:9], 1, v71
	v_cndmask_b32_e64 v17, v17, v54, s[16:17]
	v_cndmask_b32_e64 v33, v33, v54, s[86:87]
	;; [unrolled: 1-line block ×16, first 2 shown]
	v_cmp_eq_u32_e64 s[14:15], 2, v71
	v_cmp_eq_u32_e64 s[18:19], 3, v71
	s_waitcnt lgkmcnt(1)
	v_cndmask_b32_e64 v4, v4, v32, s[70:71]
	v_cndmask_b32_e64 v54, v54, v46, s[14:15]
	s_waitcnt lgkmcnt(0)
	v_cndmask_b32_e64 v1, v1, v5, s[70:71]
	v_cndmask_b32_e64 v16, v16, v32, s[42:43]
	v_cndmask_b32_e64 v0, v0, v5, s[42:43]
	v_cndmask_b32_e64 v31, v31, v32, s[82:83]
	v_cndmask_b32_e64 v15, v15, v5, s[82:83]
	v_cndmask_b32_e64 v30, v30, v32, s[76:77]
	v_cndmask_b32_e64 v14, v14, v5, s[76:77]
	v_cndmask_b32_e64 v54, v54, v45, s[18:19]
	v_cndmask_b32_e64 v29, v29, v32, s[44:45]
	v_cndmask_b32_e64 v13, v13, v5, s[44:45]
	v_cmp_eq_u32_e64 s[28:29], 4, v71
	v_cndmask_b32_e64 v28, v28, v32, s[46:47]
	v_cndmask_b32_e64 v12, v12, v5, s[46:47]
	;; [unrolled: 1-line block ×25, first 2 shown]
	v_cmp_eq_u32_e64 s[40:41], 5, v71
	v_cndmask_b32_e64 v32, v32, v18, s[36:37]
	v_cndmask_b32_e64 v5, v5, v2, s[36:37]
	v_cndmask_b32_e64 v54, v54, v43, s[40:41]
	v_cmp_eq_u32_e64 s[48:49], 6, v71
	v_cndmask_b32_e64 v32, v32, v19, s[34:35]
	v_cndmask_b32_e64 v5, v5, v3, s[34:35]
	v_cndmask_b32_e64 v54, v54, v42, s[48:49]
	;; [unrolled: 4-line block ×11, first 2 shown]
	v_cndmask_b32_e64 v32, v32, v29, s[12:13]
	v_cndmask_b32_e64 v5, v5, v13, s[12:13]
	ds_bpermute_b32 v54, v82, v54
	v_cndmask_b32_e64 v32, v32, v30, s[10:11]
	v_cndmask_b32_e64 v5, v5, v14, s[10:11]
	;; [unrolled: 1-line block ×4, first 2 shown]
	ds_bpermute_b32 v32, v82, v32
	ds_bpermute_b32 v5, v82, v5
	v_cmp_eq_u32_e64 s[60:61], 0, v71
	s_waitcnt lgkmcnt(2)
	v_cndmask_b32_e64 v47, v47, v54, s[8:9]
	v_cmp_eq_u32_e32 vcc, 1, v72
	v_cndmask_b32_e64 v17, v17, v54, s[60:61]
	v_cndmask_b32_e64 v33, v33, v54, s[88:89]
	;; [unrolled: 1-line block ×15, first 2 shown]
	v_cndmask_b32_e32 v54, v17, v47, vcc
	v_cmp_eq_u32_e64 s[6:7], 2, v72
	s_waitcnt lgkmcnt(1)
	v_cndmask_b32_e64 v30, v30, v32, s[10:11]
	s_waitcnt lgkmcnt(0)
	v_cndmask_b32_e64 v14, v14, v5, s[10:11]
	v_cndmask_b32_e64 v54, v54, v46, s[6:7]
	v_cmp_eq_u32_e64 s[10:11], 3, v72
	v_cndmask_b32_e64 v29, v29, v32, s[12:13]
	v_cndmask_b32_e64 v13, v13, v5, s[12:13]
	v_cndmask_b32_e64 v54, v54, v45, s[10:11]
	v_cmp_eq_u32_e64 s[12:13], 4, v72
	v_cmp_eq_u32_e64 s[42:43], 5, v72
	v_cmp_eq_u32_e64 s[50:51], 6, v72
	v_cndmask_b32_e64 v54, v54, v44, s[12:13]
	v_cndmask_b32_e64 v54, v54, v43, s[42:43]
	;; [unrolled: 1-line block ×7, first 2 shown]
	v_cmp_eq_u32_e64 s[52:53], 7, v72
	v_cndmask_b32_e64 v9, v9, v5, s[72:73]
	v_cndmask_b32_e64 v8, v8, v5, s[20:21]
	;; [unrolled: 1-line block ×11, first 2 shown]
	v_cmp_eq_u32_e64 s[54:55], 8, v72
	v_cndmask_b32_e64 v0, v5, v58, s[8:9]
	v_cndmask_b32_e64 v31, v31, v32, s[86:87]
	;; [unrolled: 1-line block ×8, first 2 shown]
	v_cmp_eq_u32_e64 s[56:57], 9, v72
	v_cndmask_b32_e64 v23, v23, v32, s[22:23]
	v_cndmask_b32_e64 v22, v22, v32, s[24:25]
	;; [unrolled: 1-line block ×10, first 2 shown]
	v_cmp_eq_u32_e64 s[62:63], 10, v72
	v_cndmask_b32_e64 v1, v32, v4, s[8:9]
	v_cndmask_b32_e64 v0, v0, v3, s[18:19]
	v_cndmask_b32_e64 v54, v54, v38, s[62:63]
	v_cmp_eq_u32_e64 s[66:67], 11, v72
	v_cndmask_b32_e64 v1, v1, v18, s[14:15]
	v_cndmask_b32_e64 v0, v0, v57, s[28:29]
	v_cndmask_b32_e64 v54, v54, v37, s[66:67]
	;; [unrolled: 4-line block ×6, first 2 shown]
	v_cndmask_b32_e64 v1, v1, v23, s[46:47]
	v_cndmask_b32_e64 v0, v0, v9, s[68:69]
	ds_bpermute_b32 v54, v82, v54
	v_cndmask_b32_e64 v1, v1, v24, s[44:45]
	v_cndmask_b32_e64 v0, v0, v10, s[76:77]
	;; [unrolled: 1-line block ×10, first 2 shown]
	v_cmp_eq_u32_e64 s[34:35], 0, v72
	s_waitcnt lgkmcnt(0)
	v_cndmask_b32_e32 v47, v47, v54, vcc
	v_cndmask_b32_e64 v1, v1, v29, s[64:65]
	v_cndmask_b32_e64 v0, v0, v15, s[88:89]
	;; [unrolled: 1-line block ×3, first 2 shown]
	v_cmp_eq_u32_e64 s[16:17], 1, v73
	v_cndmask_b32_e64 v46, v46, v54, s[6:7]
	v_cndmask_b32_e64 v1, v1, v30, s[84:85]
	ds_bpermute_b32 v60, v82, v0
	v_cndmask_b32_e64 v0, v17, v47, s[16:17]
	v_cmp_eq_u32_e64 s[20:21], 2, v73
	v_cndmask_b32_e64 v45, v45, v54, s[10:11]
	v_cndmask_b32_e64 v1, v1, v31, s[88:89]
	v_cndmask_b32_e64 v0, v0, v46, s[20:21]
	v_cmp_eq_u32_e64 s[22:23], 3, v73
	v_cndmask_b32_e64 v44, v44, v54, s[12:13]
	ds_bpermute_b32 v59, v82, v1
	v_cndmask_b32_e64 v0, v0, v45, s[22:23]
	v_cmp_eq_u32_e64 s[24:25], 4, v73
	v_cndmask_b32_e64 v43, v43, v54, s[42:43]
	v_cmp_eq_u32_e64 s[26:27], 5, v73
	v_cndmask_b32_e64 v0, v0, v44, s[24:25]
	v_cndmask_b32_e64 v42, v42, v54, s[50:51]
	;; [unrolled: 1-line block ×3, first 2 shown]
	v_cmp_eq_u32_e64 s[30:31], 6, v73
	v_cndmask_b32_e64 v41, v41, v54, s[52:53]
	v_cmp_eq_u32_e64 s[36:37], 7, v73
	v_cndmask_b32_e64 v0, v0, v42, s[30:31]
	v_cndmask_b32_e64 v40, v40, v54, s[54:55]
	;; [unrolled: 1-line block ×3, first 2 shown]
	v_cmp_eq_u32_e64 s[38:39], 8, v73
	v_cndmask_b32_e64 v39, v39, v54, s[56:57]
	s_waitcnt lgkmcnt(0)
	v_cndmask_b32_e64 v24, v24, v59, s[44:45]
	v_cndmask_b32_e64 v0, v0, v40, s[38:39]
	v_cndmask_b32_e64 v8, v8, v60, s[44:45]
	v_cmp_eq_u32_e64 s[44:45], 9, v73
	v_cndmask_b32_e64 v38, v38, v54, s[62:63]
	v_cndmask_b32_e64 v23, v23, v59, s[46:47]
	v_cndmask_b32_e64 v0, v0, v39, s[44:45]
	v_cndmask_b32_e64 v7, v7, v60, s[46:47]
	v_cmp_eq_u32_e64 s[46:47], 10, v73
	v_cndmask_b32_e64 v37, v37, v54, s[66:67]
	;; [unrolled: 5-line block ×3, first 2 shown]
	v_cndmask_b32_e64 v34, v34, v54, s[74:75]
	v_cndmask_b32_e64 v35, v35, v54, s[72:73]
	;; [unrolled: 1-line block ×6, first 2 shown]
	v_cmp_eq_u32_e64 s[40:41], 12, v73
	v_cndmask_b32_e64 v20, v20, v59, s[28:29]
	v_cndmask_b32_e64 v55, v57, v60, s[28:29]
	v_cndmask_b32_e64 v0, v0, v36, s[40:41]
	v_cmp_eq_u32_e64 s[28:29], 13, v73
	v_cndmask_b32_e64 v27, v27, v59, s[58:59]
	v_cndmask_b32_e64 v11, v11, v60, s[58:59]
	v_cndmask_b32_e64 v0, v0, v35, s[28:29]
	;; [unrolled: 4-line block ×4, first 2 shown]
	ds_bpermute_b32 v57, v82, v0
	v_cndmask_b32_e64 v32, v32, v59, s[60:61]
	v_cndmask_b32_e64 v18, v18, v59, s[14:15]
	;; [unrolled: 1-line block ×4, first 2 shown]
	s_waitcnt lgkmcnt(0)
	v_cndmask_b32_e64 v1, v43, v57, s[26:27]
	v_cndmask_b32_e64 v3, v45, v57, s[22:23]
	;; [unrolled: 1-line block ×5, first 2 shown]
	v_cndmask_b32_e32 v44, v32, v4, vcc
	v_cndmask_b32_e32 v5, v45, v43, vcc
	v_cndmask_b32_e64 v44, v44, v18, s[6:7]
	v_cndmask_b32_e64 v5, v5, v85, s[6:7]
	;; [unrolled: 1-line block ×38, first 2 shown]
	v_cmp_eq_u32_e64 s[76:77], 0, v73
	v_cndmask_b32_e64 v16, v46, v57, s[20:21]
	v_cndmask_b32_e64 v0, v47, v57, s[16:17]
	ds_bpermute_b32 v44, v82, v44
	ds_bpermute_b32 v46, v82, v5
	v_cndmask_b32_e64 v47, v17, v57, s[76:77]
	v_cmp_eq_u32_e64 s[8:9], 1, v74
	v_cmp_eq_u32_e64 s[14:15], 2, v74
	;; [unrolled: 1-line block ×3, first 2 shown]
	v_cndmask_b32_e64 v5, v47, v0, s[8:9]
	v_cndmask_b32_e64 v5, v5, v16, s[14:15]
	;; [unrolled: 1-line block ×3, first 2 shown]
	v_cmp_eq_u32_e64 s[60:61], 4, v74
	v_cmp_eq_u32_e64 s[68:69], 5, v74
	v_cndmask_b32_e64 v42, v42, v57, s[30:31]
	v_cndmask_b32_e64 v5, v5, v2, s[60:61]
	;; [unrolled: 1-line block ×3, first 2 shown]
	s_waitcnt lgkmcnt(1)
	v_cndmask_b32_e64 v27, v27, v44, s[66:67]
	s_waitcnt lgkmcnt(0)
	v_cndmask_b32_e64 v60, v11, v46, s[66:67]
	v_cmp_eq_u32_e64 s[66:67], 6, v74
	v_cndmask_b32_e32 v92, v4, v44, vcc
	v_cndmask_b32_e64 v32, v32, v44, s[34:35]
	v_cndmask_b32_e64 v41, v41, v57, s[36:37]
	v_cndmask_b32_e64 v5, v5, v42, s[66:67]
	v_cndmask_b32_e64 v26, v26, v44, s[62:63]
	v_cndmask_b32_e64 v86, v10, v46, s[62:63]
	v_cmp_eq_u32_e64 s[62:63], 7, v74
	v_cndmask_b32_e64 v18, v18, v44, s[6:7]
	v_cndmask_b32_e64 v4, v32, v92, s[16:17]
	v_cndmask_b32_e64 v40, v40, v57, s[38:39]
	v_cndmask_b32_e64 v5, v5, v41, s[62:63]
	v_cndmask_b32_e64 v25, v25, v44, s[56:57]
	v_cndmask_b32_e64 v87, v9, v46, s[56:57]
	v_cmp_eq_u32_e64 s[56:57], 8, v74
	v_cndmask_b32_e64 v19, v19, v44, s[10:11]
	v_cndmask_b32_e64 v4, v4, v18, s[20:21]
	v_cndmask_b32_e64 v39, v39, v57, s[44:45]
	v_cndmask_b32_e64 v5, v5, v40, s[56:57]
	v_cndmask_b32_e64 v24, v24, v44, s[54:55]
	v_cndmask_b32_e64 v88, v8, v46, s[54:55]
	v_cmp_eq_u32_e64 s[54:55], 9, v74
	v_cndmask_b32_e64 v20, v20, v44, s[12:13]
	v_cndmask_b32_e64 v4, v4, v19, s[22:23]
	v_cndmask_b32_e64 v38, v38, v57, s[46:47]
	v_cndmask_b32_e64 v5, v5, v39, s[54:55]
	v_cndmask_b32_e64 v23, v23, v44, s[52:53]
	v_cndmask_b32_e64 v89, v7, v46, s[52:53]
	v_cmp_eq_u32_e64 s[52:53], 10, v74
	v_cndmask_b32_e64 v21, v21, v44, s[42:43]
	v_cndmask_b32_e64 v4, v4, v20, s[24:25]
	v_cndmask_b32_e64 v37, v37, v57, s[48:49]
	v_cndmask_b32_e64 v5, v5, v38, s[52:53]
	v_cndmask_b32_e64 v22, v22, v44, s[50:51]
	v_cndmask_b32_e64 v90, v6, v46, s[50:51]
	v_cmp_eq_u32_e64 s[50:51], 11, v74
	v_cndmask_b32_e64 v4, v4, v21, s[26:27]
	v_cndmask_b32_e64 v36, v36, v57, s[40:41]
	v_cndmask_b32_e64 v5, v5, v37, s[50:51]
	v_cndmask_b32_e64 v54, v54, v46, s[42:43]
	v_cmp_eq_u32_e64 s[42:43], 12, v74
	v_cndmask_b32_e64 v4, v4, v22, s[30:31]
	v_cndmask_b32_e64 v35, v35, v57, s[28:29]
	v_cndmask_b32_e64 v5, v5, v36, s[42:43]
	v_cndmask_b32_e64 v55, v55, v46, s[12:13]
	v_cmp_eq_u32_e64 s[12:13], 13, v74
	v_cndmask_b32_e64 v4, v4, v23, s[36:37]
	;; [unrolled: 5-line block ×4, first 2 shown]
	v_cndmask_b32_e64 v4, v4, v26, s[46:47]
	v_cndmask_b32_e64 v5, v5, v33, s[6:7]
	;; [unrolled: 1-line block ×3, first 2 shown]
	ds_bpermute_b32 v91, v82, v5
	v_cndmask_b32_e64 v4, v4, v27, s[48:49]
	v_cndmask_b32_e64 v29, v29, v44, s[72:73]
	;; [unrolled: 1-line block ×9, first 2 shown]
	s_waitcnt lgkmcnt(0)
	v_cndmask_b32_e64 v15, v33, v91, s[6:7]
	ds_bpermute_b32 v33, v82, v4
	v_cndmask_b32_e64 v57, v14, v46, s[74:75]
	v_cndmask_b32_e64 v14, v34, v91, s[10:11]
	v_cndmask_b32_e64 v5, v1, v91, s[68:69]
	v_cndmask_b32_e64 v4, v2, v91, s[60:61]
	s_waitcnt lgkmcnt(0)
	v_cndmask_b32_e64 v34, v92, v33, s[16:17]
	v_cndmask_b32_e64 v32, v32, v33, s[76:77]
	;; [unrolled: 1-line block ×32, first 2 shown]
	ds_bpermute_b32 v33, v82, v1
	v_cndmask_b32_e64 v58, v13, v46, s[72:73]
	v_cndmask_b32_e32 v43, v43, v46, vcc
	v_cndmask_b32_e64 v13, v35, v91, s[12:13]
	v_cndmask_b32_e64 v35, v45, v46, s[34:35]
	s_waitcnt lgkmcnt(0)
	v_cndmask_b32_e64 v31, v16, v33, s[6:7]
	v_cndmask_b32_e64 v16, v35, v43, s[16:17]
	;; [unrolled: 1-line block ×17, first 2 shown]
	ds_bpermute_b32 v16, v82, v16
	v_cndmask_b32_e64 v11, v37, v91, s[50:51]
	v_cndmask_b32_e64 v7, v41, v91, s[62:63]
	;; [unrolled: 1-line block ×4, first 2 shown]
	s_waitcnt lgkmcnt(0)
	v_cndmask_b32_e64 v37, v57, v16, s[58:59]
	v_cndmask_b32_e64 v41, v86, v16, s[46:47]
	;; [unrolled: 1-line block ×33, first 2 shown]
	ds_bpermute_b32 v88, v82, v16
	v_cmp_eq_u32_e32 vcc, 0, v74
	v_cndmask_b32_e64 v1, v0, v91, s[8:9]
	v_readlane_b32 s24, v93, 10
	v_cndmask_b32_e32 v0, v47, v91, vcc
	s_waitcnt lgkmcnt(0)
	v_cndmask_b32_e64 v47, v36, v88, s[6:7]
	v_readlane_b32 s6, v93, 29
	v_readlane_b32 s7, v93, 30
	;; [unrolled: 1-line block ×4, first 2 shown]
	v_subrev_u32_e32 v84, s4, v84
	s_mov_b32 s1, 0
	v_cndmask_b32_e64 v6, v42, v91, s[66:67]
	v_cndmask_b32_e64 v3, v3, v91, s[18:19]
	;; [unrolled: 1-line block ×16, first 2 shown]
	v_cndmask_b32_e32 v16, v32, v33, vcc
	v_cndmask_b32_e64 v46, v37, v88, s[10:11]
	v_cndmask_b32_e64 v45, v38, v88, s[12:13]
	;; [unrolled: 1-line block ×14, first 2 shown]
	v_cndmask_b32_e32 v32, v87, v88, vcc
	v_lshl_add_u64 v[54:55], s[6:7], 0, v[48:49]
	s_mov_b64 s[6:7], 0
	s_mov_b32 s16, 0
	v_readlane_b32 s25, v93, 11
	v_readlane_b32 s27, v93, 13
	;; [unrolled: 1-line block ×10, first 2 shown]
	s_mov_b64 s[20:21], 0x80
                                        ; implicit-def: $sgpr8_sgpr9
	s_branch .LBB201_29
.LBB201_27:                             ;   in Loop: Header=BB201_29 Depth=2
	s_or_b64 exec, exec, s[12:13]
	s_andn2_b64 s[8:9], s[8:9], exec
	s_and_b64 s[12:13], s[14:15], exec
	s_or_b64 s[8:9], s[8:9], s[12:13]
.LBB201_28:                             ;   in Loop: Header=BB201_29 Depth=2
	s_or_b64 exec, exec, s[10:11]
	s_and_b64 s[10:11], exec, s[8:9]
	s_or_b64 s[6:7], s[10:11], s[6:7]
	s_andn2_b64 exec, exec, s[6:7]
	s_cbranch_execz .LBB201_32
.LBB201_29:                             ;   Parent Loop BB201_7 Depth=1
                                        ; =>  This Inner Loop Header: Depth=2
	s_and_b32 s12, s1, 24
	v_or_b32_e32 v57, s12, v80
	v_add_u32_e32 v58, s5, v57
	v_cmp_gt_u32_e32 vcc, 32, v58
	s_or_b64 s[8:9], s[8:9], exec
	s_and_saveexec_b64 s[10:11], vcc
	s_cbranch_execz .LBB201_28
; %bb.30:                               ;   in Loop: Header=BB201_29 Depth=2
	s_add_i32 s13, s16, 1
	s_set_gpr_idx_on s16, gpr_idx(SRC0)
	v_mov_b32_e32 v58, v0
	s_set_gpr_idx_off
	v_cvt_f16_f32_e32 v60, v58
	s_set_gpr_idx_on s13, gpr_idx(SRC0)
	v_mov_b32_e32 v58, v0
	s_set_gpr_idx_off
	v_cvt_f16_f32_sdwa v61, v58 dst_sel:WORD_1 dst_unused:UNUSED_PAD src0_sel:DWORD
	v_mul_lo_u32 v58, v57, s93
	v_ashrrev_i32_e32 v59, 31, v58
	v_lshl_add_u64 v[58:59], v[58:59], 1, v[54:55]
	v_or_b32_e32 v57, v61, v60
	;;#ASMSTART
	global_atomic_pk_add_f16 v[58:59], v57, off
	
	;;#ASMEND
	s_set_gpr_idx_on s16, gpr_idx(SRC0)
	v_mov_b32_e32 v57, v16
	s_set_gpr_idx_off
	v_cvt_f16_f32_e32 v57, v57
	s_set_gpr_idx_on s13, gpr_idx(SRC0)
	v_mov_b32_e32 v60, v16
	s_set_gpr_idx_off
	v_cvt_f16_f32_sdwa v85, v60 dst_sel:WORD_1 dst_unused:UNUSED_PAD src0_sel:DWORD
	v_lshl_add_u64 v[60:61], v[58:59], 0, 64
	v_lshl_add_u64 v[58:59], v[58:59], 0, s[20:21]
	s_mov_b64 s[14:15], -1
	v_or_b32_e32 v57, v85, v57
	;;#ASMSTART
	global_atomic_pk_add_f16 v[60:61], v57, off
	
	;;#ASMEND
	s_set_gpr_idx_on s16, gpr_idx(SRC0)
	v_mov_b32_e32 v57, v32
	s_set_gpr_idx_off
	v_cvt_f16_f32_e32 v57, v57
	s_set_gpr_idx_on s13, gpr_idx(SRC0)
	v_mov_b32_e32 v60, v32
	s_set_gpr_idx_off
	v_cvt_f16_f32_sdwa v60, v60 dst_sel:WORD_1 dst_unused:UNUSED_PAD src0_sel:DWORD
	s_nop 0
	v_or_b32_e32 v57, v60, v57
	;;#ASMSTART
	global_atomic_pk_add_f16 v[58:59], v57, off
	
	;;#ASMEND
	v_or_b32_e32 v57, s12, v81
	v_add_u32_e32 v58, s5, v57
	v_cmp_gt_u32_e32 vcc, 32, v58
	s_and_saveexec_b64 s[12:13], vcc
	s_cbranch_execz .LBB201_27
; %bb.31:                               ;   in Loop: Header=BB201_29 Depth=2
	s_add_i32 s14, s16, 2
	s_add_i32 s15, s16, 3
	s_set_gpr_idx_on s14, gpr_idx(SRC0)
	v_mov_b32_e32 v58, v0
	s_set_gpr_idx_off
	v_cvt_f16_f32_e32 v60, v58
	s_set_gpr_idx_on s15, gpr_idx(SRC0)
	v_mov_b32_e32 v58, v0
	s_set_gpr_idx_off
	v_cvt_f16_f32_sdwa v61, v58 dst_sel:WORD_1 dst_unused:UNUSED_PAD src0_sel:DWORD
	v_mul_lo_u32 v58, v57, s93
	v_ashrrev_i32_e32 v59, 31, v58
	v_lshl_add_u64 v[58:59], v[58:59], 1, v[54:55]
	v_or_b32_e32 v57, v61, v60
	;;#ASMSTART
	global_atomic_pk_add_f16 v[58:59], v57, off
	
	;;#ASMEND
	s_set_gpr_idx_on s14, gpr_idx(SRC0)
	v_mov_b32_e32 v57, v16
	s_set_gpr_idx_off
	v_cvt_f16_f32_e32 v57, v57
	s_set_gpr_idx_on s15, gpr_idx(SRC0)
	v_mov_b32_e32 v60, v16
	s_set_gpr_idx_off
	v_cvt_f16_f32_sdwa v85, v60 dst_sel:WORD_1 dst_unused:UNUSED_PAD src0_sel:DWORD
	v_lshl_add_u64 v[60:61], v[58:59], 0, 64
	s_add_i32 s16, s16, 4
	s_add_i32 s1, s1, 8
	v_or_b32_e32 v57, v85, v57
	;;#ASMSTART
	global_atomic_pk_add_f16 v[60:61], v57, off
	
	;;#ASMEND
	s_set_gpr_idx_on s14, gpr_idx(SRC0)
	v_mov_b32_e32 v57, v32
	s_set_gpr_idx_off
	v_cvt_f16_f32_e32 v57, v57
	s_set_gpr_idx_on s15, gpr_idx(SRC0)
	v_mov_b32_e32 v60, v32
	s_set_gpr_idx_off
	v_cvt_f16_f32_sdwa v60, v60 dst_sel:WORD_1 dst_unused:UNUSED_PAD src0_sel:DWORD
	s_cmp_eq_u32 s16, 16
	s_cselect_b64 s[14:15], -1, 0
	s_orn2_b64 s[14:15], s[14:15], exec
	v_lshl_add_u64 v[58:59], v[58:59], 0, s[20:21]
	v_or_b32_e32 v57, v60, v57
	;;#ASMSTART
	global_atomic_pk_add_f16 v[58:59], v57, off
	
	;;#ASMEND
	s_branch .LBB201_27
.LBB201_32:                             ;   in Loop: Header=BB201_7 Depth=1
	s_or_b64 exec, exec, s[6:7]
	v_readlane_b32 s16, v93, 2
	v_readlane_b32 s14, v93, 0
	;; [unrolled: 1-line block ×11, first 2 shown]
.LBB201_33:                             ;   in Loop: Header=BB201_7 Depth=1
	v_readlane_b32 s6, v93, 26
	v_readlane_b32 s7, v93, 27
	s_or_b64 exec, exec, s[6:7]
.LBB201_34:                             ;   in Loop: Header=BB201_7 Depth=1
	s_or_saveexec_b64 s[2:3], s[2:3]
	v_readlane_b32 s13, v93, 25
	s_xor_b64 exec, exec, s[2:3]
	s_cbranch_execz .LBB201_43
; %bb.35:                               ;   in Loop: Header=BB201_7 Depth=1
	s_mul_i32 s12, s4, 3
	v_cmp_gt_i32_e32 vcc, s12, v84
	s_and_saveexec_b64 s[6:7], vcc
	s_cbranch_execz .LBB201_42
; %bb.36:                               ;   in Loop: Header=BB201_7 Depth=1
	s_mul_i32 s0, s0, s95
	s_ashr_i32 s1, s0, 31
	s_add_u32 s0, s18, s0
	s_addc_u32 s1, s19, s1
	s_ashr_i32 s8, s13, 31
	s_add_u32 s0, s0, s13
	s_addc_u32 s1, s1, s8
	v_lshl_add_u64 v[0:1], s[0:1], 0, v[52:53]
	v_lshl_add_u64 v[8:9], v[0:1], 0, v[50:51]
	s_mov_b64 s[0:1], 0
	s_branch .LBB201_38
.LBB201_37:                             ;   in Loop: Header=BB201_38 Depth=2
	s_or_b64 exec, exec, s[8:9]
	v_lshl_or_b32 v12, v10, 11, v77
	;;#ASMSTART
	s_waitcnt vmcnt(1)
	;;#ASMEND
	ds_write2_b32 v12, v4, v5 offset1:32
	ds_write2_b32 v12, v6, v7 offset0:64 offset1:96
	v_add_u32_e32 v4, 0x400, v12
	v_add_u32_e32 v84, s98, v84
	;;#ASMSTART
	s_waitcnt vmcnt(0)
	;;#ASMEND
	ds_write2_b32 v4, v0, v1 offset1:32
	ds_write2_b32 v4, v2, v3 offset0:64 offset1:96
	v_add_u32_e32 v0, 1, v63
	v_add_u32_e32 v56, s98, v10
	v_cmp_le_i32_e32 vcc, s12, v84
	ds_write_b32 v11, v0 offset:48
	v_add_u32_e32 v0, 2, v63
	s_or_b64 s[0:1], vcc, s[0:1]
	v_cmp_lt_i32_e32 vcc, 17, v56
	s_nop 1
	v_cndmask_b32_e32 v63, v63, v0, vcc
	s_andn2_b64 exec, exec, s[0:1]
	s_cbranch_execz .LBB201_41
.LBB201_38:                             ;   Parent Loop BB201_7 Depth=1
                                        ; =>  This Loop Header: Depth=2
                                        ;       Child Loop BB201_40 Depth 3
	v_cmp_gt_i32_e32 vcc, 18, v56
	s_mov_b32 s8, 0x55555556
	s_nop 0
	v_cndmask_b32_e64 v0, v83, 0, vcc
	v_add_u32_e32 v10, v0, v56
	v_mul_hi_i32 v0, v84, s8
	v_lshrrev_b32_e32 v1, 31, v0
	v_add_u32_e32 v0, v0, v1
	v_lshl_add_u32 v1, v0, 1, v0
	v_sub_u32_e32 v2, v84, v1
	v_lshlrev_b32_e32 v0, 6, v0
	v_ashrrev_i32_e32 v1, 31, v0
	v_mul_lo_u32 v2, s91, v2
	v_lshl_add_u64 v[0:1], v[8:9], 0, v[0:1]
	v_ashrrev_i32_e32 v3, 31, v2
	v_lshl_add_u64 v[0:1], v[0:1], 0, v[2:3]
	v_lshlrev_b32_e32 v11, 2, v10
	;;#ASMSTART
	global_load_dwordx4 v[4:7], v[0:1], off offset:0   sc0 sc1 nt  
	global_load_dwordx4 v[0:3], v[0:1], off offset:32  sc0 sc1 nt  
	
	;;#ASMEND
	ds_read_b32 v12, v11 offset:61488
	v_add_u32_e32 v11, 0xf000, v11
	s_waitcnt lgkmcnt(0)
	v_cmp_ne_u32_e32 vcc, v12, v63
	s_and_saveexec_b64 s[8:9], vcc
	s_cbranch_execz .LBB201_37
; %bb.39:                               ;   in Loop: Header=BB201_38 Depth=2
	s_mov_b64 s[10:11], 0
.LBB201_40:                             ;   Parent Loop BB201_7 Depth=1
                                        ;     Parent Loop BB201_38 Depth=2
                                        ; =>    This Inner Loop Header: Depth=3
	;;#ASMSTART
	s_sleep 0
	;;#ASMEND
	ds_read_b32 v12, v11 offset:48
	s_waitcnt lgkmcnt(0)
	v_cmp_eq_u32_e32 vcc, v12, v63
	s_or_b64 s[10:11], vcc, s[10:11]
	s_andn2_b64 exec, exec, s[10:11]
	s_cbranch_execnz .LBB201_40
	s_branch .LBB201_37
.LBB201_41:                             ;   in Loop: Header=BB201_7 Depth=1
	s_or_b64 exec, exec, s[0:1]
.LBB201_42:                             ;   in Loop: Header=BB201_7 Depth=1
	s_or_b64 exec, exec, s[6:7]
	v_subrev_u32_e32 v84, s12, v84
.LBB201_43:                             ;   in Loop: Header=BB201_7 Depth=1
	s_or_b64 exec, exec, s[2:3]
.LBB201_44:                             ;   in Loop: Header=BB201_7 Depth=1
	v_readlane_b32 s0, v93, 23
	v_readlane_b32 s1, v93, 24
	s_andn2_saveexec_b64 s[0:1], s[0:1]
	s_cbranch_execz .LBB201_6
; %bb.45:                               ;   in Loop: Header=BB201_7 Depth=1
	s_lshl_b32 s10, s4, 1
	v_cmp_gt_i32_e32 vcc, s10, v84
	s_and_saveexec_b64 s[2:3], vcc
	s_cbranch_execz .LBB201_5
; %bb.46:                               ;   in Loop: Header=BB201_7 Depth=1
	s_mul_i32 s4, s39, s94
	s_ashr_i32 s6, s4, 31
	s_add_u32 s4, s16, s4
	v_add_u32_e32 v2, s5, v64
	s_addc_u32 s7, s17, s6
	s_ashr_i32 s8, s13, 31
	v_cmp_gt_u32_e32 vcc, 64, v2
	s_add_u32 s6, s4, s13
	s_addc_u32 s7, s7, s8
	v_cndmask_b32_e32 v0, 0, v78, vcc
	v_ashrrev_i32_e32 v1, 31, v0
	v_lshl_add_u64 v[0:1], s[6:7], 0, v[0:1]
	v_lshl_add_u64 v[8:9], v[0:1], 0, v[50:51]
	v_sub_u32_e32 v10, 63, v2
	s_mov_b64 s[4:5], 0
	s_branch .LBB201_48
.LBB201_47:                             ;   in Loop: Header=BB201_48 Depth=2
	s_or_b64 exec, exec, s[6:7]
	v_lshl_add_u32 v13, v11, 11, v79
	;;#ASMSTART
	s_waitcnt vmcnt(1)
	;;#ASMEND
	ds_write2_b32 v13, v4, v5 offset1:32
	ds_write2_b32 v13, v6, v7 offset0:64 offset1:96
	v_add_u32_e32 v4, 0x400, v13
	v_add_u32_e32 v84, s97, v84
	;;#ASMSTART
	s_waitcnt vmcnt(0)
	;;#ASMEND
	ds_write2_b32 v4, v0, v1 offset1:32
	ds_write2_b32 v4, v2, v3 offset0:64 offset1:96
	v_add_u32_e32 v0, 1, v63
	v_add_u32_e32 v56, s97, v11
	v_cmp_le_i32_e32 vcc, s10, v84
	ds_write_b32 v12, v0
	v_add_u32_e32 v0, 2, v63
	s_or_b64 s[4:5], vcc, s[4:5]
	v_cmp_lt_i32_e32 vcc, 11, v56
	s_nop 1
	v_cndmask_b32_e32 v63, v63, v0, vcc
	s_andn2_b64 exec, exec, s[4:5]
	s_cbranch_execz .LBB201_4
.LBB201_48:                             ;   Parent Loop BB201_7 Depth=1
                                        ; =>  This Loop Header: Depth=2
                                        ;       Child Loop BB201_50 Depth 3
	v_cmp_gt_i32_e32 vcc, 12, v56
	s_nop 1
	v_cndmask_b32_e64 v0, -12, 0, vcc
	v_add_u32_e32 v11, v0, v56
	v_lshrrev_b32_e32 v0, 31, v84
	v_add_u32_e32 v0, v84, v0
	v_and_b32_e32 v1, 0x7fffffe, v0
	v_sub_u32_e32 v1, v84, v1
	v_lshlrev_b32_e32 v1, 5, v1
	v_cmp_le_i32_e32 vcc, v1, v10
	v_lshlrev_b32_e32 v0, 5, v0
	v_and_b32_e32 v0, 0xffffffc0, v0
	v_cndmask_b32_e32 v2, 0, v1, vcc
	v_ashrrev_i32_e32 v1, 31, v0
	v_mul_lo_u32 v2, v2, s94
	v_lshl_add_u64 v[0:1], v[8:9], 0, v[0:1]
	v_ashrrev_i32_e32 v3, 31, v2
	v_lshl_add_u64 v[0:1], v[0:1], 0, v[2:3]
	v_lshlrev_b32_e32 v12, 2, v11
	;;#ASMSTART
	global_load_dwordx4 v[4:7], v[0:1], off offset:0   
	global_load_dwordx4 v[0:3], v[0:1], off offset:32  
	
	;;#ASMEND
	ds_read_b32 v13, v12 offset:61440
	v_add_u32_e32 v12, 0xf000, v12
	s_waitcnt lgkmcnt(0)
	v_cmp_ne_u32_e32 vcc, v13, v63
	s_and_saveexec_b64 s[6:7], vcc
	s_cbranch_execz .LBB201_47
; %bb.49:                               ;   in Loop: Header=BB201_48 Depth=2
	s_mov_b64 s[8:9], 0
.LBB201_50:                             ;   Parent Loop BB201_7 Depth=1
                                        ;     Parent Loop BB201_48 Depth=2
                                        ; =>    This Inner Loop Header: Depth=3
	;;#ASMSTART
	s_sleep 0
	;;#ASMEND
	ds_read_b32 v13, v12
	s_waitcnt lgkmcnt(0)
	v_cmp_eq_u32_e32 vcc, v13, v63
	s_or_b64 s[8:9], vcc, s[8:9]
	s_andn2_b64 exec, exec, s[8:9]
	s_cbranch_execnz .LBB201_50
	s_branch .LBB201_47
.LBB201_51:
	s_endpgm
	.section	.rodata,"a",@progbits
	.p2align	6, 0x0
	.amdhsa_kernel _Z19_skinny_gemm_kernelILi2ELi3ELi6ELi32ELi4EEvPKhS1_P6__halfPKfiiiiiiii
		.amdhsa_group_segment_fixed_size 61560
		.amdhsa_private_segment_fixed_size 0
		.amdhsa_kernarg_size 64
		.amdhsa_user_sgpr_count 2
		.amdhsa_user_sgpr_dispatch_ptr 0
		.amdhsa_user_sgpr_queue_ptr 0
		.amdhsa_user_sgpr_kernarg_segment_ptr 1
		.amdhsa_user_sgpr_dispatch_id 0
		.amdhsa_user_sgpr_kernarg_preload_length 0
		.amdhsa_user_sgpr_kernarg_preload_offset 0
		.amdhsa_user_sgpr_private_segment_size 0
		.amdhsa_uses_dynamic_stack 0
		.amdhsa_enable_private_segment 0
		.amdhsa_system_sgpr_workgroup_id_x 1
		.amdhsa_system_sgpr_workgroup_id_y 0
		.amdhsa_system_sgpr_workgroup_id_z 0
		.amdhsa_system_sgpr_workgroup_info 0
		.amdhsa_system_vgpr_workitem_id 0
		.amdhsa_next_free_vgpr 94
		.amdhsa_next_free_sgpr 100
		.amdhsa_accum_offset 96
		.amdhsa_reserve_vcc 1
		.amdhsa_float_round_mode_32 0
		.amdhsa_float_round_mode_16_64 0
		.amdhsa_float_denorm_mode_32 3
		.amdhsa_float_denorm_mode_16_64 3
		.amdhsa_dx10_clamp 1
		.amdhsa_ieee_mode 1
		.amdhsa_fp16_overflow 0
		.amdhsa_tg_split 0
		.amdhsa_exception_fp_ieee_invalid_op 0
		.amdhsa_exception_fp_denorm_src 0
		.amdhsa_exception_fp_ieee_div_zero 0
		.amdhsa_exception_fp_ieee_overflow 0
		.amdhsa_exception_fp_ieee_underflow 0
		.amdhsa_exception_fp_ieee_inexact 0
		.amdhsa_exception_int_div_zero 0
	.end_amdhsa_kernel
	.section	.text._Z19_skinny_gemm_kernelILi2ELi3ELi6ELi32ELi4EEvPKhS1_P6__halfPKfiiiiiiii,"axG",@progbits,_Z19_skinny_gemm_kernelILi2ELi3ELi6ELi32ELi4EEvPKhS1_P6__halfPKfiiiiiiii,comdat
.Lfunc_end201:
	.size	_Z19_skinny_gemm_kernelILi2ELi3ELi6ELi32ELi4EEvPKhS1_P6__halfPKfiiiiiiii, .Lfunc_end201-_Z19_skinny_gemm_kernelILi2ELi3ELi6ELi32ELi4EEvPKhS1_P6__halfPKfiiiiiiii
                                        ; -- End function
	.set _Z19_skinny_gemm_kernelILi2ELi3ELi6ELi32ELi4EEvPKhS1_P6__halfPKfiiiiiiii.num_vgpr, 94
	.set _Z19_skinny_gemm_kernelILi2ELi3ELi6ELi32ELi4EEvPKhS1_P6__halfPKfiiiiiiii.num_agpr, 0
	.set _Z19_skinny_gemm_kernelILi2ELi3ELi6ELi32ELi4EEvPKhS1_P6__halfPKfiiiiiiii.numbered_sgpr, 100
	.set _Z19_skinny_gemm_kernelILi2ELi3ELi6ELi32ELi4EEvPKhS1_P6__halfPKfiiiiiiii.num_named_barrier, 0
	.set _Z19_skinny_gemm_kernelILi2ELi3ELi6ELi32ELi4EEvPKhS1_P6__halfPKfiiiiiiii.private_seg_size, 0
	.set _Z19_skinny_gemm_kernelILi2ELi3ELi6ELi32ELi4EEvPKhS1_P6__halfPKfiiiiiiii.uses_vcc, 1
	.set _Z19_skinny_gemm_kernelILi2ELi3ELi6ELi32ELi4EEvPKhS1_P6__halfPKfiiiiiiii.uses_flat_scratch, 0
	.set _Z19_skinny_gemm_kernelILi2ELi3ELi6ELi32ELi4EEvPKhS1_P6__halfPKfiiiiiiii.has_dyn_sized_stack, 0
	.set _Z19_skinny_gemm_kernelILi2ELi3ELi6ELi32ELi4EEvPKhS1_P6__halfPKfiiiiiiii.has_recursion, 0
	.set _Z19_skinny_gemm_kernelILi2ELi3ELi6ELi32ELi4EEvPKhS1_P6__halfPKfiiiiiiii.has_indirect_call, 0
	.section	.AMDGPU.csdata,"",@progbits
; Kernel info:
; codeLenInByte = 11616
; TotalNumSgprs: 106
; NumVgprs: 94
; NumAgprs: 0
; TotalNumVgprs: 94
; ScratchSize: 0
; MemoryBound: 0
; FloatMode: 240
; IeeeMode: 1
; LDSByteSize: 61560 bytes/workgroup (compile time only)
; SGPRBlocks: 13
; VGPRBlocks: 11
; NumSGPRsForWavesPerEU: 106
; NumVGPRsForWavesPerEU: 94
; AccumOffset: 96
; Occupancy: 5
; WaveLimiterHint : 0
; COMPUTE_PGM_RSRC2:SCRATCH_EN: 0
; COMPUTE_PGM_RSRC2:USER_SGPR: 2
; COMPUTE_PGM_RSRC2:TRAP_HANDLER: 0
; COMPUTE_PGM_RSRC2:TGID_X_EN: 1
; COMPUTE_PGM_RSRC2:TGID_Y_EN: 0
; COMPUTE_PGM_RSRC2:TGID_Z_EN: 0
; COMPUTE_PGM_RSRC2:TIDIG_COMP_CNT: 0
; COMPUTE_PGM_RSRC3_GFX90A:ACCUM_OFFSET: 23
; COMPUTE_PGM_RSRC3_GFX90A:TG_SPLIT: 0
	.section	.text._Z19_skinny_gemm_kernelILi2ELi4ELi1ELi16ELi4EEvPKhS1_P6__halfPKfiiiiiiii,"axG",@progbits,_Z19_skinny_gemm_kernelILi2ELi4ELi1ELi16ELi4EEvPKhS1_P6__halfPKfiiiiiiii,comdat
	.protected	_Z19_skinny_gemm_kernelILi2ELi4ELi1ELi16ELi4EEvPKhS1_P6__halfPKfiiiiiiii ; -- Begin function _Z19_skinny_gemm_kernelILi2ELi4ELi1ELi16ELi4EEvPKhS1_P6__halfPKfiiiiiiii
	.globl	_Z19_skinny_gemm_kernelILi2ELi4ELi1ELi16ELi4EEvPKhS1_P6__halfPKfiiiiiiii
	.p2align	8
	.type	_Z19_skinny_gemm_kernelILi2ELi4ELi1ELi16ELi4EEvPKhS1_P6__halfPKfiiiiiiii,@function
_Z19_skinny_gemm_kernelILi2ELi4ELi1ELi16ELi4EEvPKhS1_P6__halfPKfiiiiiiii: ; @_Z19_skinny_gemm_kernelILi2ELi4ELi1ELi16ELi4EEvPKhS1_P6__halfPKfiiiiiiii
; %bb.0:
	v_cmp_gt_u32_e32 vcc, 6, v0
	v_lshlrev_b32_e32 v1, 2, v0
	s_and_saveexec_b64 s[4:5], vcc
; %bb.1:
	v_mov_b32_e32 v2, 0
	ds_write_b32 v1, v2 offset:12288
; %bb.2:
	s_or_b64 exec, exec, s[4:5]
	s_load_dwordx8 s[20:27], s[0:1], 0x20
	s_waitcnt lgkmcnt(0)
	s_barrier
	s_add_i32 s3, s20, 31
	s_ashr_i32 s5, s3, 31
	s_add_i32 s4, s21, 63
	s_lshr_b32 s5, s5, 27
	s_ashr_i32 s6, s4, 31
	s_add_i32 s3, s3, s5
	s_ashr_i32 s33, s3, 5
	s_lshr_b32 s3, s6, 26
	s_add_i32 s4, s4, s3
	s_ashr_i32 s52, s4, 6
	s_mul_i32 s3, s52, s33
	s_mul_i32 s3, s3, s24
	s_add_i32 s4, s3, 0x12f
	s_mul_hi_i32 s4, s4, 0x6bca1af3
	s_lshr_b32 s5, s4, 31
	s_ashr_i32 s4, s4, 7
	s_add_i32 s4, s4, s5
	s_add_i32 s5, s2, 1
	s_mul_i32 s5, s4, s5
	v_cvt_f64_i32_e32 v[2:3], s3
	v_cvt_f64_u32_e32 v[4:5], s5
	v_min_f64 v[2:3], v[2:3], v[4:5]
	v_cvt_i32_f64_e32 v33, v[2:3]
	s_mul_i32 s53, s4, s2
	v_cmp_ge_i32_e32 vcc, s53, v33
	s_cbranch_vccnz .LBB202_56
; %bb.3:
	v_lshrrev_b32_e32 v2, 6, v0
	s_add_i32 s4, s26, s25
	s_load_dwordx8 s[36:43], s[0:1], 0x0
	v_cmp_le_i32_e64 s[0:1], s4, v2
	v_mov_b32_e32 v3, s25
	v_cmp_le_i32_e64 s[2:3], s25, v2
	v_mov_b32_e32 v4, s26
	v_cndmask_b32_e64 v4, 0, v4, s[0:1]
	v_cndmask_b32_e64 v3, 0, v3, s[2:3]
	s_abs_i32 s5, s24
	v_add_u32_e32 v3, v3, v4
	v_cvt_f32_u32_e32 v4, s5
	v_sub_u32_e32 v44, v2, v3
	s_ashr_i32 s6, s22, 31
	s_lshr_b32 s6, s6, 25
	v_rcp_iflag_f32_e32 v3, v4
	s_sub_i32 s9, 0, s5
	s_add_i32 s6, s22, s6
	s_ashr_i32 s6, s6, 7
	v_mul_f32_e32 v3, 0x4f7ffffe, v3
	v_cvt_u32_f32_e32 v3, v3
	s_abs_i32 s8, s6
	s_xor_b32 s7, s6, s24
	s_ashr_i32 s7, s7, 31
	v_readfirstlane_b32 s10, v3
	s_mul_i32 s9, s9, s10
	s_mul_hi_u32 s9, s10, s9
	s_add_i32 s10, s10, s9
	s_mul_hi_u32 s9, s8, s10
	s_mul_i32 s10, s9, s5
	s_sub_i32 s8, s8, s10
	s_add_i32 s10, s9, 1
	s_sub_i32 s11, s8, s5
	s_cmp_ge_u32 s8, s5
	s_cselect_b32 s9, s10, s9
	s_cselect_b32 s8, s11, s8
	s_add_i32 s10, s9, 1
	s_cmp_ge_u32 s8, s5
	s_cselect_b32 s5, s10, s9
	s_xor_b32 s5, s5, s7
	s_sub_i32 s54, s5, s7
	s_add_i32 s24, s24, -1
	s_mul_i32 s5, s54, s24
	s_add_i32 s4, s4, s27
	s_sub_i32 s55, s6, s5
	v_cmp_gt_i32_e64 s[4:5], s4, v2
	v_lshlrev_b32_e32 v2, 1, v0
	v_lshlrev_b32_e32 v3, 4, v0
	v_and_b32_e32 v1, 60, v1
	v_and_b32_e32 v2, 64, v2
	;; [unrolled: 1-line block ×3, first 2 shown]
	v_or3_b32 v65, v1, v2, v4
	v_and_b32_e32 v1, 1, v0
	v_lshrrev_b32_e32 v4, 2, v0
	s_abs_i32 s56, s33
	v_and_or_b32 v72, v4, 12, v1
	v_cvt_f32_u32_e32 v4, s56
	v_lshlrev_b32_e32 v2, 1, v1
	v_and_b32_e32 v32, 14, v0
	v_sub_u32_e32 v2, v0, v2
	v_bitop3_b32 v67, v0, 1, v0 bitop3:0xc
	v_bitop3_b32 v68, v0, 3, 1 bitop3:0x6c
	v_and_b32_e32 v38, 48, v3
	v_bfe_u32 v74, v0, 2, 4
	v_and_b32_e32 v1, 60, v0
	v_lshlrev_b32_e32 v3, 8, v0
	v_lshlrev_b32_e32 v0, 6, v0
	v_and_b32_e32 v3, 0x200, v3
	v_and_b32_e32 v0, 64, v0
	v_or3_b32 v75, v1, v3, v0
	v_rcp_iflag_f32_e32 v0, v4
	s_abs_i32 s58, s52
	v_cvt_f32_u32_e32 v1, s58
	v_mad_u64_u32 v[34:35], s[6:7], s21, v72, v[32:33]
	v_mul_f32_e32 v0, 0x4f7ffffe, v0
	v_cvt_u32_f32_e32 v0, v0
	v_rcp_iflag_f32_e32 v1, v1
	s_sub_i32 s6, 0, s56
	v_add_u32_e32 v2, 1, v2
	v_readfirstlane_b32 s7, v0
	v_mul_f32_e32 v0, 0x4f7ffffe, v1
	v_cvt_u32_f32_e32 v0, v0
	s_mul_i32 s6, s6, s7
	s_mul_hi_u32 s6, s7, s6
	s_add_i32 s60, s7, s6
	s_sub_i32 s6, 0, s58
	v_readfirstlane_b32 s7, v0
	v_mbcnt_lo_u32_b32 v0, -1, 0
	v_and_b32_e32 v2, 63, v2
	s_mul_i32 s6, s6, s7
	v_mbcnt_hi_u32_b32 v0, -1, v0
	v_lshl_add_u32 v36, s21, 4, v34
	v_mul_lo_u32 v40, s23, v74
	s_mul_hi_u32 s6, s7, s6
	v_and_or_b32 v0, v0, 64, v2
	v_cndmask_b32_e64 v64, 0, 1, s[0:1]
	v_or_b32_e32 v66, 0x2000, v65
	s_ashr_i32 s29, s21, 31
	s_mov_b32 s28, s21
	v_or_b32_e32 v69, 16, v32
	v_or_b32_e32 v70, 32, v32
	;; [unrolled: 1-line block ×3, first 2 shown]
	v_ashrrev_i32_e32 v35, 31, v34
	v_or_b32_e32 v73, 16, v72
	v_ashrrev_i32_e32 v37, 31, v36
	v_ashrrev_i32_e32 v41, 31, v40
	v_mov_b32_e32 v39, 0
	s_lshl_b32 s57, s23, 4
	v_mul_lo_u32 v76, s22, v74
	v_or_b32_e32 v77, 0x2000, v75
	s_ashr_i32 s59, s33, 31
	s_ashr_i32 s61, s52, 31
	s_add_i32 s62, s7, s6
	s_mov_b64 s[30:31], 0x60
	v_lshlrev_b32_e32 v78, 2, v0
	v_mov_b32_e32 v79, v44
	s_branch .LBB202_7
.LBB202_4:                              ;   in Loop: Header=BB202_7 Depth=1
	s_or_b64 exec, exec, s[10:11]
.LBB202_5:                              ;   in Loop: Header=BB202_7 Depth=1
	s_or_b64 exec, exec, s[8:9]
	v_subrev_u32_e32 v79, s16, v79
.LBB202_6:                              ;   in Loop: Header=BB202_7 Depth=1
	s_or_b64 exec, exec, s[6:7]
	s_add_i32 s53, s53, 1
	v_cmp_ge_i32_e32 vcc, s53, v33
	s_cbranch_vccnz .LBB202_56
.LBB202_7:                              ; =>This Loop Header: Depth=1
                                        ;     Child Loop BB202_13 Depth 2
                                        ;       Child Loop BB202_15 Depth 3
                                        ;       Child Loop BB202_18 Depth 3
                                        ;       Child Loop BB202_21 Depth 3
                                        ;       Child Loop BB202_24 Depth 3
                                        ;       Child Loop BB202_27 Depth 3
                                        ;       Child Loop BB202_30 Depth 3
                                        ;     Child Loop BB202_43 Depth 2
                                        ;       Child Loop BB202_45 Depth 3
                                        ;     Child Loop BB202_53 Depth 2
                                        ;       Child Loop BB202_55 Depth 3
	s_abs_i32 s7, s53
	s_mul_hi_u32 s8, s7, s60
	s_mul_i32 s9, s8, s56
	s_ashr_i32 s6, s53, 31
	s_sub_i32 s7, s7, s9
	s_xor_b32 s6, s6, s59
	s_add_i32 s9, s8, 1
	s_sub_i32 s10, s7, s56
	s_cmp_ge_u32 s7, s56
	s_cselect_b32 s8, s9, s8
	s_cselect_b32 s7, s10, s7
	s_add_i32 s9, s8, 1
	s_cmp_ge_u32 s7, s56
	s_cselect_b32 s7, s9, s8
	s_xor_b32 s7, s7, s6
	s_sub_i32 s6, s7, s6
	s_abs_i32 s8, s6
	s_mul_i32 s7, s6, s33
	s_mul_hi_u32 s9, s8, s62
	s_sub_i32 s7, s53, s7
	s_mul_i32 s10, s9, s58
	s_lshl_b32 s63, s7, 5
	s_ashr_i32 s7, s6, 31
	s_sub_i32 s8, s8, s10
	s_xor_b32 s7, s7, s61
	s_add_i32 s10, s9, 1
	s_sub_i32 s11, s8, s58
	s_cmp_ge_u32 s8, s58
	s_cselect_b32 s9, s10, s9
	s_cselect_b32 s8, s11, s8
	s_add_i32 s10, s9, 1
	s_cmp_ge_u32 s8, s58
	s_cselect_b32 s8, s10, s9
	s_xor_b32 s8, s8, s7
	s_sub_i32 s7, s8, s7
	s_mul_i32 s8, s7, s54
	s_lshl_b32 s64, s8, 7
	s_cmp_eq_u32 s7, s24
	s_cselect_b32 s66, s55, s54
	s_sub_i32 s8, s63, s20
	s_add_i32 s8, s8, 32
	s_max_i32 s65, s8, 0
	s_and_saveexec_b64 s[8:9], s[2:3]
	s_xor_b64 s[34:35], exec, s[8:9]
	s_cbranch_execz .LBB202_49
; %bb.8:                                ;   in Loop: Header=BB202_7 Depth=1
	s_mul_i32 s7, s7, s52
	s_sub_i32 s6, s6, s7
	s_lshl_b32 s6, s6, 6
	s_sub_i32 s45, s6, s21
	s_add_i32 s45, s45, 64
	s_max_i32 s7, s45, 0
	s_sub_i32 s44, s6, s7
	s_and_saveexec_b64 s[6:7], s[0:1]
	s_xor_b64 s[46:47], exec, s[6:7]
	s_cbranch_execz .LBB202_39
; %bb.9:                                ;   in Loop: Header=BB202_7 Depth=1
	s_and_saveexec_b64 s[48:49], s[4:5]
	s_cbranch_execz .LBB202_38
; %bb.10:                               ;   in Loop: Header=BB202_7 Depth=1
	s_waitcnt lgkmcnt(0)
	global_load_dword v80, v39, s[42:43]
	v_mov_b32_e32 v31, 0
	v_cmp_gt_i32_e32 vcc, s66, v79
	v_mov_b32_e32 v30, v31
	v_mov_b32_e32 v29, v31
	;; [unrolled: 1-line block ×31, first 2 shown]
	s_and_saveexec_b64 s[6:7], vcc
	s_cbranch_execz .LBB202_32
; %bb.11:                               ;   in Loop: Header=BB202_7 Depth=1
	v_mov_b32_e32 v4, 0
	s_mov_b64 s[8:9], 0
	v_mov_b32_e32 v5, v4
	v_mov_b32_e32 v6, v4
	;; [unrolled: 1-line block ×31, first 2 shown]
	s_branch .LBB202_13
.LBB202_12:                             ;   in Loop: Header=BB202_13 Depth=2
	s_or_b64 exec, exec, s[10:11]
	v_add_u32_e32 v59, 0x1800, v58
	ds_read2_b32 v[60:61], v59 offset1:32
	v_add_u32_e32 v62, 0x1c00, v58
	v_add_u32_e32 v79, s27, v79
	s_waitcnt lgkmcnt(0)
	v_mfma_f32_16x16x32_fp8_fp8 v[16:19], v[42:43], v[60:61], v[16:19]
	ds_read2_b32 v[42:43], v59 offset0:128 offset1:160
	ds_read2_b32 v[58:59], v62 offset1:32
	v_mfma_f32_16x16x32_fp8_fp8 v[4:7], v[52:53], v[60:61], v[4:7]
	s_waitcnt lgkmcnt(1)
	v_mfma_f32_16x16x32_fp8_fp8 v[16:19], v[44:45], v[42:43], v[16:19]
	v_add_u32_e32 v44, s27, v81
	v_cmp_lt_i32_e32 vcc, 0, v44
	v_mfma_f32_16x16x32_fp8_fp8 v[4:7], v[54:55], v[42:43], v[4:7]
	v_add_u32_e32 v42, 2, v64
	v_cndmask_b32_e32 v64, v64, v42, vcc
	v_cmp_le_i32_e32 vcc, s66, v79
	s_waitcnt lgkmcnt(0)
	v_mfma_f32_16x16x32_fp8_fp8 v[16:19], v[46:47], v[58:59], v[16:19]
	ds_read2_b32 v[46:47], v62 offset0:128 offset1:160
	s_or_b64 s[8:9], vcc, s[8:9]
	;;#ASMSTART
	s_waitcnt lgkmcnt(0)
	;;#ASMEND
	v_mfma_f32_16x16x32_fp8_fp8 v[4:7], v[56:57], v[58:59], v[4:7]
	ds_write_b32 v82, v83 offset:12308
	s_waitcnt lgkmcnt(1)
	v_mfma_f32_16x16x32_fp8_fp8 v[16:19], v[48:49], v[46:47], v[16:19]
	v_mfma_f32_16x16x32_fp8_fp8 v[4:7], v[50:51], v[46:47], v[4:7]
	s_andn2_b64 exec, exec, s[8:9]
	s_cbranch_execz .LBB202_31
.LBB202_13:                             ;   Parent Loop BB202_7 Depth=1
                                        ; =>  This Loop Header: Depth=2
                                        ;       Child Loop BB202_15 Depth 3
                                        ;       Child Loop BB202_18 Depth 3
	;; [unrolled: 1-line block ×6, first 2 shown]
	v_cmp_lt_i32_e32 vcc, 0, v44
	s_nop 1
	v_subbrev_co_u32_e32 v81, vcc, 0, v44, vcc
	v_lshlrev_b32_e32 v82, 4, v81
	ds_read_b32 v42, v82 offset:12296
	s_waitcnt lgkmcnt(0)
	v_cmp_ne_u32_e32 vcc, v42, v64
	s_and_saveexec_b64 s[10:11], vcc
	s_cbranch_execz .LBB202_16
; %bb.14:                               ;   in Loop: Header=BB202_13 Depth=2
	s_mov_b64 s[12:13], 0
.LBB202_15:                             ;   Parent Loop BB202_7 Depth=1
                                        ;     Parent Loop BB202_13 Depth=2
                                        ; =>    This Inner Loop Header: Depth=3
	;;#ASMSTART
	s_sleep 0
	;;#ASMEND
	ds_read_b32 v42, v82 offset:12296
	s_waitcnt lgkmcnt(0)
	v_cmp_eq_u32_e32 vcc, v42, v64
	s_or_b64 s[12:13], vcc, s[12:13]
	s_andn2_b64 exec, exec, s[12:13]
	s_cbranch_execnz .LBB202_15
.LBB202_16:                             ;   in Loop: Header=BB202_13 Depth=2
	s_or_b64 exec, exec, s[10:11]
	v_lshlrev_b32_e32 v84, 13, v81
	v_or_b32_e32 v42, v65, v84
	ds_read2_b32 v[50:51], v42 offset1:32
	ds_read2_b32 v[58:59], v42 offset0:128 offset1:160
	v_add_u32_e32 v42, 0x400, v42
	v_add_u32_e32 v83, 1, v64
	ds_read2_b32 v[62:63], v42 offset1:32
	ds_read2_b32 v[60:61], v42 offset0:128 offset1:160
	;;#ASMSTART
	s_waitcnt lgkmcnt(0)
	;;#ASMEND
	ds_write_b32 v82, v83 offset:12296
	v_lshlrev_b32_e32 v85, 3, v81
	ds_read_b32 v42, v85 offset:12288
	s_waitcnt lgkmcnt(0)
	v_cmp_ne_u32_e32 vcc, v42, v64
	s_and_saveexec_b64 s[10:11], vcc
	s_cbranch_execz .LBB202_19
; %bb.17:                               ;   in Loop: Header=BB202_13 Depth=2
	s_mov_b64 s[12:13], 0
.LBB202_18:                             ;   Parent Loop BB202_7 Depth=1
                                        ;     Parent Loop BB202_13 Depth=2
                                        ; =>    This Inner Loop Header: Depth=3
	;;#ASMSTART
	s_sleep 0
	;;#ASMEND
	ds_read_b32 v42, v85 offset:12288
	s_waitcnt lgkmcnt(0)
	v_cmp_eq_u32_e32 vcc, v42, v64
	s_or_b64 s[12:13], vcc, s[12:13]
	s_andn2_b64 exec, exec, s[12:13]
	s_cbranch_execnz .LBB202_18
.LBB202_19:                             ;   in Loop: Header=BB202_13 Depth=2
	s_or_b64 exec, exec, s[10:11]
	v_lshlrev_b32_e32 v42, 12, v81
	v_add_u32_e32 v56, v66, v42
	ds_read2_b32 v[42:43], v56 offset1:32
	ds_read2_b32 v[44:45], v56 offset0:128 offset1:160
	v_add_u32_e32 v48, 0x400, v56
	ds_read2_b32 v[46:47], v48 offset1:32
	ds_read2_b32 v[48:49], v48 offset0:128 offset1:160
	ds_read_b32 v52, v85 offset:12292
	ds_write_b32 v85, v83 offset:12288
	s_waitcnt lgkmcnt(5)
	v_mfma_f32_16x16x32_fp8_fp8 v[28:31], v[42:43], v[50:51], v[28:31]
	s_waitcnt lgkmcnt(1)
	v_cmp_ne_u32_e32 vcc, v52, v64
	v_mfma_f32_16x16x32_fp8_fp8 v[28:31], v[44:45], v[58:59], v[28:31]
	v_mfma_f32_16x16x32_fp8_fp8 v[28:31], v[46:47], v[62:63], v[28:31]
	;; [unrolled: 1-line block ×3, first 2 shown]
	s_and_saveexec_b64 s[10:11], vcc
	s_cbranch_execz .LBB202_22
; %bb.20:                               ;   in Loop: Header=BB202_13 Depth=2
	s_mov_b64 s[12:13], 0
.LBB202_21:                             ;   Parent Loop BB202_7 Depth=1
                                        ;     Parent Loop BB202_13 Depth=2
                                        ; =>    This Inner Loop Header: Depth=3
	;;#ASMSTART
	s_sleep 0
	;;#ASMEND
	ds_read_b32 v52, v85 offset:12292
	s_waitcnt lgkmcnt(0)
	v_cmp_eq_u32_e32 vcc, v52, v64
	s_or_b64 s[12:13], vcc, s[12:13]
	s_andn2_b64 exec, exec, s[12:13]
	s_cbranch_execnz .LBB202_21
.LBB202_22:                             ;   in Loop: Header=BB202_13 Depth=2
	s_or_b64 exec, exec, s[10:11]
	v_add_u32_e32 v54, 0x800, v56
	ds_read2_b32 v[52:53], v54 offset1:32
	ds_read2_b32 v[54:55], v54 offset0:128 offset1:160
	v_add_u32_e32 v86, 0xc00, v56
	ds_read2_b32 v[56:57], v86 offset1:32
	ds_write_b32 v85, v83 offset:12292
	s_waitcnt lgkmcnt(3)
	v_mfma_f32_16x16x32_fp8_fp8 v[12:15], v[52:53], v[50:51], v[12:15]
	ds_read2_b32 v[50:51], v86 offset0:128 offset1:160
	s_waitcnt lgkmcnt(3)
	v_mfma_f32_16x16x32_fp8_fp8 v[12:15], v[54:55], v[58:59], v[12:15]
	ds_read_b32 v58, v82 offset:12300
	s_waitcnt lgkmcnt(0)
	v_cmp_ne_u32_e32 vcc, v58, v64
	v_mfma_f32_16x16x32_fp8_fp8 v[12:15], v[56:57], v[62:63], v[12:15]
	v_mfma_f32_16x16x32_fp8_fp8 v[12:15], v[50:51], v[60:61], v[12:15]
	s_and_saveexec_b64 s[10:11], vcc
	s_cbranch_execz .LBB202_25
; %bb.23:                               ;   in Loop: Header=BB202_13 Depth=2
	s_mov_b64 s[12:13], 0
.LBB202_24:                             ;   Parent Loop BB202_7 Depth=1
                                        ;     Parent Loop BB202_13 Depth=2
                                        ; =>    This Inner Loop Header: Depth=3
	;;#ASMSTART
	s_sleep 0
	;;#ASMEND
	ds_read_b32 v58, v82 offset:12300
	s_waitcnt lgkmcnt(0)
	v_cmp_eq_u32_e32 vcc, v58, v64
	s_or_b64 s[12:13], vcc, s[12:13]
	s_andn2_b64 exec, exec, s[12:13]
	s_cbranch_execnz .LBB202_24
.LBB202_25:                             ;   in Loop: Header=BB202_13 Depth=2
	s_or_b64 exec, exec, s[10:11]
	v_add_u32_e32 v58, v65, v84
	v_add_u32_e32 v59, 0x800, v58
	ds_read2_b32 v[60:61], v59 offset1:32
	s_waitcnt lgkmcnt(0)
	v_mfma_f32_16x16x32_fp8_fp8 v[24:27], v[42:43], v[60:61], v[24:27]
	v_mfma_f32_16x16x32_fp8_fp8 v[8:11], v[52:53], v[60:61], v[8:11]
	ds_read2_b32 v[60:61], v59 offset0:128 offset1:160
	v_add_u32_e32 v59, 0xc00, v58
	ds_read2_b32 v[62:63], v59 offset1:32
	s_waitcnt lgkmcnt(1)
	v_mfma_f32_16x16x32_fp8_fp8 v[24:27], v[44:45], v[60:61], v[24:27]
	ds_read2_b32 v[84:85], v59 offset0:128 offset1:160
	;;#ASMSTART
	s_waitcnt lgkmcnt(0)
	;;#ASMEND
	ds_read_b32 v59, v82 offset:12304
	v_mfma_f32_16x16x32_fp8_fp8 v[8:11], v[54:55], v[60:61], v[8:11]
	ds_write_b32 v82, v83 offset:12300
	s_waitcnt lgkmcnt(1)
	v_cmp_ne_u32_e32 vcc, v59, v64
	v_mfma_f32_16x16x32_fp8_fp8 v[24:27], v[46:47], v[62:63], v[24:27]
	v_mfma_f32_16x16x32_fp8_fp8 v[8:11], v[56:57], v[62:63], v[8:11]
	;; [unrolled: 1-line block ×4, first 2 shown]
	s_and_saveexec_b64 s[10:11], vcc
	s_cbranch_execz .LBB202_28
; %bb.26:                               ;   in Loop: Header=BB202_13 Depth=2
	s_mov_b64 s[12:13], 0
.LBB202_27:                             ;   Parent Loop BB202_7 Depth=1
                                        ;     Parent Loop BB202_13 Depth=2
                                        ; =>    This Inner Loop Header: Depth=3
	;;#ASMSTART
	s_sleep 0
	;;#ASMEND
	ds_read_b32 v59, v82 offset:12304
	s_waitcnt lgkmcnt(0)
	v_cmp_eq_u32_e32 vcc, v59, v64
	s_or_b64 s[12:13], vcc, s[12:13]
	s_andn2_b64 exec, exec, s[12:13]
	s_cbranch_execnz .LBB202_27
.LBB202_28:                             ;   in Loop: Header=BB202_13 Depth=2
	s_or_b64 exec, exec, s[10:11]
	v_add_u32_e32 v59, 0x1000, v58
	ds_read2_b32 v[60:61], v59 offset1:32
	ds_read2_b32 v[62:63], v59 offset0:128 offset1:160
	v_add_u32_e32 v59, 0x1400, v58
	ds_read2_b32 v[84:85], v59 offset1:32
	ds_read2_b32 v[86:87], v59 offset0:128 offset1:160
	s_waitcnt lgkmcnt(3)
	v_mfma_f32_16x16x32_fp8_fp8 v[20:23], v[42:43], v[60:61], v[20:23]
	;;#ASMSTART
	s_waitcnt lgkmcnt(0)
	;;#ASMEND
	ds_read_b32 v59, v82 offset:12308
	ds_write_b32 v82, v83 offset:12304
	v_mfma_f32_16x16x32_fp8_fp8 v[0:3], v[52:53], v[60:61], v[0:3]
	s_waitcnt lgkmcnt(1)
	v_cmp_ne_u32_e32 vcc, v59, v64
	v_mfma_f32_16x16x32_fp8_fp8 v[20:23], v[44:45], v[62:63], v[20:23]
	v_mfma_f32_16x16x32_fp8_fp8 v[0:3], v[54:55], v[62:63], v[0:3]
	;; [unrolled: 1-line block ×6, first 2 shown]
	s_and_saveexec_b64 s[10:11], vcc
	s_cbranch_execz .LBB202_12
; %bb.29:                               ;   in Loop: Header=BB202_13 Depth=2
	s_mov_b64 s[12:13], 0
.LBB202_30:                             ;   Parent Loop BB202_7 Depth=1
                                        ;     Parent Loop BB202_13 Depth=2
                                        ; =>    This Inner Loop Header: Depth=3
	;;#ASMSTART
	s_sleep 0
	;;#ASMEND
	ds_read_b32 v59, v82 offset:12308
	s_waitcnt lgkmcnt(0)
	v_cmp_eq_u32_e32 vcc, v59, v64
	s_or_b64 s[12:13], vcc, s[12:13]
	s_andn2_b64 exec, exec, s[12:13]
	s_cbranch_execnz .LBB202_30
	s_branch .LBB202_12
.LBB202_31:                             ;   in Loop: Header=BB202_7 Depth=1
	s_or_b64 exec, exec, s[8:9]
.LBB202_32:                             ;   in Loop: Header=BB202_7 Depth=1
	s_or_b64 exec, exec, s[6:7]
	v_cmp_le_i32_e32 vcc, s45, v32
	v_cmp_eq_u32_e64 s[6:7], 2, v67
	v_cmp_eq_u32_e64 s[8:9], 3, v67
	s_waitcnt vmcnt(0)
	v_cndmask_b32_e32 v42, 0, v80, vcc
	v_pk_mul_f32 v[28:29], v[42:43], v[28:29] op_sel_hi:[0,1]
	v_cmp_eq_u32_e32 vcc, 1, v67
	v_pk_mul_f32 v[46:47], v[42:43], v[30:31] op_sel_hi:[0,1]
	v_cmp_eq_u32_e64 s[10:11], 0, v67
	v_cndmask_b32_e32 v30, v28, v29, vcc
	v_cndmask_b32_e64 v30, v30, v46, s[6:7]
	v_cndmask_b32_e64 v30, v30, v47, s[8:9]
	ds_bpermute_b32 v43, v78, v30
	v_cmp_le_i32_e64 s[14:15], s45, v69
	v_cmp_le_i32_e64 s[18:19], s45, v70
	v_cmp_eq_u32_e64 s[12:13], 1, v68
	v_cmp_eq_u32_e64 s[16:17], 3, v68
	s_waitcnt lgkmcnt(0)
	v_cndmask_b32_e64 v30, v47, v43, s[8:9]
	v_cndmask_b32_e64 v31, v46, v43, s[6:7]
	v_cndmask_b32_e32 v29, v29, v43, vcc
	v_cndmask_b32_e64 v43, v28, v43, s[10:11]
	v_cndmask_b32_e64 v28, 0, v80, s[14:15]
	v_pk_mul_f32 v[24:25], v[28:29], v[24:25] op_sel_hi:[0,1]
	v_pk_mul_f32 v[46:47], v[28:29], v[26:27] op_sel_hi:[0,1]
	v_cndmask_b32_e32 v26, v24, v25, vcc
	v_cndmask_b32_e64 v26, v26, v46, s[6:7]
	v_cndmask_b32_e64 v26, v26, v47, s[8:9]
	ds_bpermute_b32 v48, v78, v26
	v_cndmask_b32_e64 v45, v43, v29, s[12:13]
	v_cmp_eq_u32_e64 s[14:15], 2, v68
	s_waitcnt lgkmcnt(0)
	v_cndmask_b32_e32 v25, v25, v48, vcc
	v_cndmask_b32_e64 v49, v24, v48, s[10:11]
	v_cndmask_b32_e64 v24, 0, v80, s[18:19]
	v_pk_mul_f32 v[20:21], v[24:25], v[20:21] op_sel_hi:[0,1]
	v_cndmask_b32_e64 v26, v45, v31, s[14:15]
	v_cndmask_b32_e64 v27, v47, v48, s[8:9]
	;; [unrolled: 1-line block ×3, first 2 shown]
	v_pk_mul_f32 v[46:47], v[24:25], v[22:23] op_sel_hi:[0,1]
	v_cndmask_b32_e32 v22, v20, v21, vcc
	v_cndmask_b32_e64 v22, v22, v46, s[6:7]
	v_cndmask_b32_e64 v22, v22, v47, s[8:9]
	ds_bpermute_b32 v48, v78, v22
	v_cmp_le_i32_e64 s[18:19], s45, v71
	v_cndmask_b32_e64 v22, v49, v25, s[12:13]
	v_cndmask_b32_e64 v22, v22, v45, s[14:15]
	;; [unrolled: 1-line block ×3, first 2 shown]
	s_waitcnt lgkmcnt(0)
	v_cndmask_b32_e64 v51, v20, v48, s[10:11]
	v_cndmask_b32_e64 v20, 0, v80, s[18:19]
	v_pk_mul_f32 v[54:55], v[20:21], v[16:17] op_sel_hi:[0,1]
	v_pk_mul_f32 v[52:53], v[20:21], v[18:19] op_sel_hi:[0,1]
	v_cndmask_b32_e32 v16, v54, v55, vcc
	v_cndmask_b32_e64 v16, v16, v52, s[6:7]
	v_cndmask_b32_e64 v16, v16, v53, s[8:9]
	ds_bpermute_b32 v17, v78, v16
	v_cndmask_b32_e32 v50, v21, v48, vcc
	v_cndmask_b32_e64 v46, v46, v48, s[6:7]
	v_cndmask_b32_e64 v16, v51, v50, s[12:13]
	;; [unrolled: 1-line block ×5, first 2 shown]
	v_cmp_ne_u32_e32 vcc, 0, v67
	ds_bpermute_b32 v47, v78, v16
	s_waitcnt lgkmcnt(1)
	v_cndmask_b32_e64 v18, v53, v17, s[8:9]
	v_cndmask_b32_e64 v19, v52, v17, s[6:7]
	v_cndmask_b32_e32 v16, v55, v17, vcc
	v_cndmask_b32_e64 v17, v54, v17, s[10:11]
	v_cndmask_b32_e64 v21, v17, v16, s[12:13]
	;; [unrolled: 1-line block ×5, first 2 shown]
	ds_bpermute_b32 v26, v78, v26
	ds_bpermute_b32 v22, v78, v22
	;; [unrolled: 1-line block ×3, first 2 shown]
	v_add_u32_e32 v21, s65, v72
	v_cmp_gt_u32_e32 vcc, 32, v21
	s_and_saveexec_b64 s[18:19], vcc
	s_cbranch_execz .LBB202_37
; %bb.33:                               ;   in Loop: Header=BB202_7 Depth=1
	v_cmp_eq_u32_e64 s[8:9], 1, v68
	v_cmp_eq_u32_e64 s[10:11], 0, v68
	v_cmp_eq_u32_e32 vcc, 3, v68
	s_waitcnt lgkmcnt(2)
	v_cndmask_b32_e64 v29, v29, v26, s[8:9]
	s_waitcnt lgkmcnt(1)
	v_cndmask_b32_e64 v25, v25, v22, s[8:9]
	v_cndmask_b32_e64 v52, v50, v47, s[8:9]
	s_waitcnt lgkmcnt(0)
	v_cndmask_b32_e64 v54, v16, v48, s[8:9]
	s_mul_i32 s8, s63, s21
	s_ashr_i32 s9, s8, 31
	s_lshl_b64 s[8:9], s[8:9], 1
	v_cndmask_b32_e64 v43, v43, v26, s[10:11]
	v_cndmask_b32_e64 v49, v49, v22, s[10:11]
	;; [unrolled: 1-line block ×4, first 2 shown]
	s_add_u32 s10, s40, s8
	s_addc_u32 s11, s41, s9
	s_ashr_i32 s45, s44, 31
	v_cvt_f16_f32_e32 v43, v43
	v_cvt_f16_f32_sdwa v29, v29 dst_sel:WORD_1 dst_unused:UNUSED_PAD src0_sel:DWORD
	v_cvt_f16_f32_e32 v49, v49
	v_cvt_f16_f32_sdwa v25, v25 dst_sel:WORD_1 dst_unused:UNUSED_PAD src0_sel:DWORD
	s_lshl_b64 s[8:9], s[44:45], 1
	s_add_u32 s50, s10, s8
	s_addc_u32 s51, s11, s9
	v_lshl_add_u64 v[16:17], v[34:35], 1, s[50:51]
	v_or_b32_e32 v29, v29, v43
	v_or_b32_e32 v25, v25, v49
	;;#ASMSTART
	global_atomic_pk_add_f16 v[16:17], v29, off
	
	;;#ASMEND
	v_lshl_add_u64 v[50:51], v[16:17], 0, 32
	;;#ASMSTART
	global_atomic_pk_add_f16 v[50:51], v25, off
	
	;;#ASMEND
	v_cvt_f16_f32_e32 v25, v53
	v_cvt_f16_f32_sdwa v29, v52 dst_sel:WORD_1 dst_unused:UNUSED_PAD src0_sel:DWORD
	v_cvt_f16_f32_e32 v43, v55
	v_cvt_f16_f32_sdwa v49, v54 dst_sel:WORD_1 dst_unused:UNUSED_PAD src0_sel:DWORD
	v_cmp_eq_u32_e64 s[6:7], 2, v68
	v_lshl_add_u64 v[50:51], v[16:17], 0, 64
	v_or_b32_e32 v25, v29, v25
	v_cmp_gt_u32_e64 s[8:9], 30, v21
	;;#ASMSTART
	global_atomic_pk_add_f16 v[50:51], v25, off
	
	;;#ASMEND
	v_lshl_add_u64 v[50:51], v[16:17], 0, s[30:31]
	v_or_b32_e32 v25, v49, v43
	;;#ASMSTART
	global_atomic_pk_add_f16 v[50:51], v25, off
	
	;;#ASMEND
	s_and_b64 exec, exec, s[8:9]
	s_cbranch_execz .LBB202_37
; %bb.34:                               ;   in Loop: Header=BB202_7 Depth=1
	v_cndmask_b32_e32 v30, v30, v26, vcc
	v_cndmask_b32_e64 v26, v31, v26, s[6:7]
	v_cvt_f16_f32_e32 v26, v26
	v_cvt_f16_f32_sdwa v30, v30 dst_sel:WORD_1 dst_unused:UNUSED_PAD src0_sel:DWORD
	v_cndmask_b32_e32 v27, v27, v22, vcc
	v_cndmask_b32_e64 v22, v45, v22, s[6:7]
	v_cndmask_b32_e32 v23, v23, v47, vcc
	v_cndmask_b32_e64 v31, v46, v47, s[6:7]
	v_cndmask_b32_e32 v45, v18, v48, vcc
	v_or_b32_e32 v18, v30, v26
	v_cvt_f16_f32_e32 v22, v22
	v_cvt_f16_f32_sdwa v26, v27 dst_sel:WORD_1 dst_unused:UNUSED_PAD src0_sel:DWORD
	v_cvt_f16_f32_e32 v27, v31
	v_cvt_f16_f32_sdwa v23, v23 dst_sel:WORD_1 dst_unused:UNUSED_PAD src0_sel:DWORD
	v_lshl_add_u64 v[16:17], s[28:29], 2, v[16:17]
	v_or_b32_e32 v22, v26, v22
	v_mov_b32_e32 v43, v42
	v_cndmask_b32_e64 v46, v19, v48, s[6:7]
	;;#ASMSTART
	global_atomic_pk_add_f16 v[16:17], v18, off
	
	;;#ASMEND
	v_lshl_add_u64 v[18:19], v[16:17], 0, 32
	;;#ASMSTART
	global_atomic_pk_add_f16 v[18:19], v22, off
	
	;;#ASMEND
	v_or_b32_e32 v26, v23, v27
	v_mov_b32_e32 v22, v42
	v_mov_b32_e32 v23, v42
	v_pk_mul_f32 v[14:15], v[22:23], v[14:15]
	v_pk_mul_f32 v[22:23], v[42:43], v[12:13]
	v_cmp_eq_u32_e32 vcc, 1, v67
	v_mov_b32_e32 v29, v28
	v_lshl_add_u64 v[18:19], v[16:17], 0, 64
	v_cndmask_b32_e32 v12, v22, v23, vcc
	v_cmp_eq_u32_e64 s[6:7], 2, v67
	v_cmp_eq_u32_e64 s[8:9], 3, v67
	;;#ASMSTART
	global_atomic_pk_add_f16 v[18:19], v26, off
	
	;;#ASMEND
	v_lshl_add_u64 v[26:27], v[16:17], 0, s[30:31]
	v_cndmask_b32_e64 v12, v12, v14, s[6:7]
	v_mov_b32_e32 v16, v28
	v_mov_b32_e32 v17, v28
	v_pk_mul_f32 v[18:19], v[28:29], v[8:9]
	v_cndmask_b32_e64 v12, v12, v15, s[8:9]
	v_pk_mul_f32 v[10:11], v[16:17], v[10:11]
	v_cndmask_b32_e32 v8, v18, v19, vcc
	ds_bpermute_b32 v30, v78, v12
	v_cndmask_b32_e64 v8, v8, v10, s[6:7]
	v_cndmask_b32_e64 v8, v8, v11, s[8:9]
	ds_bpermute_b32 v17, v78, v8
	v_cmp_eq_u32_e64 s[10:11], 0, v67
	s_waitcnt lgkmcnt(1)
	v_cndmask_b32_e64 v12, v15, v30, s[8:9]
	v_cndmask_b32_e64 v13, v14, v30, s[6:7]
	v_cndmask_b32_e32 v14, v23, v30, vcc
	v_cndmask_b32_e64 v15, v22, v30, s[10:11]
	v_cmp_eq_u32_e64 s[12:13], 1, v68
	v_mov_b32_e32 v25, v24
	v_cmp_eq_u32_e64 s[14:15], 2, v68
	v_cndmask_b32_e64 v22, v15, v14, s[12:13]
	s_waitcnt lgkmcnt(0)
	v_cndmask_b32_e64 v9, v11, v17, s[8:9]
	v_cndmask_b32_e64 v8, v22, v13, s[14:15]
	;; [unrolled: 1-line block ×3, first 2 shown]
	v_cndmask_b32_e32 v16, v19, v17, vcc
	v_cndmask_b32_e64 v17, v18, v17, s[10:11]
	v_mov_b32_e32 v18, v24
	v_mov_b32_e32 v19, v24
	v_pk_mul_f32 v[22:23], v[24:25], v[0:1]
	v_pk_mul_f32 v[18:19], v[18:19], v[2:3]
	v_cndmask_b32_e32 v0, v22, v23, vcc
	v_cndmask_b32_e64 v0, v0, v18, s[6:7]
	v_cndmask_b32_e64 v0, v0, v19, s[8:9]
	ds_bpermute_b32 v1, v78, v0
	v_mov_b32_e32 v21, v20
	v_cndmask_b32_e64 v0, v17, v16, s[12:13]
	v_cmp_eq_u32_e64 s[16:17], 3, v68
	v_cndmask_b32_e64 v0, v0, v10, s[14:15]
	s_waitcnt lgkmcnt(0)
	v_cndmask_b32_e64 v3, v19, v1, s[8:9]
	v_cndmask_b32_e64 v11, v18, v1, s[6:7]
	v_mov_b32_e32 v18, v20
	v_mov_b32_e32 v19, v20
	v_pk_mul_f32 v[6:7], v[18:19], v[6:7]
	v_pk_mul_f32 v[18:19], v[20:21], v[4:5]
	v_cndmask_b32_e64 v0, v0, v9, s[16:17]
	v_cndmask_b32_e32 v4, v18, v19, vcc
	v_cndmask_b32_e64 v4, v4, v6, s[6:7]
	v_cndmask_b32_e64 v4, v4, v7, s[8:9]
	ds_bpermute_b32 v20, v78, v4
	ds_bpermute_b32 v2, v78, v0
	v_cndmask_b32_e32 v0, v23, v1, vcc
	v_cmp_ne_u32_e32 vcc, 0, v67
	v_cndmask_b32_e64 v1, v22, v1, s[10:11]
	s_waitcnt lgkmcnt(1)
	v_cndmask_b32_e64 v5, v7, v20, s[8:9]
	v_cndmask_b32_e64 v6, v6, v20, s[6:7]
	v_cndmask_b32_e32 v19, v19, v20, vcc
	v_cndmask_b32_e64 v20, v18, v20, s[10:11]
	v_cndmask_b32_e64 v4, v1, v0, s[12:13]
	;; [unrolled: 1-line block ×3, first 2 shown]
	v_cvt_f16_f32_e32 v31, v46
	v_cvt_f16_f32_sdwa v42, v45 dst_sel:WORD_1 dst_unused:UNUSED_PAD src0_sel:DWORD
	v_cndmask_b32_e64 v4, v4, v11, s[14:15]
	v_cndmask_b32_e64 v7, v7, v6, s[14:15]
	;; [unrolled: 1-line block ×5, first 2 shown]
	ds_bpermute_b32 v8, v78, v8
	ds_bpermute_b32 v4, v78, v4
	;; [unrolled: 1-line block ×3, first 2 shown]
	v_or_b32_e32 v18, v42, v31
	;;#ASMSTART
	global_atomic_pk_add_f16 v[26:27], v18, off
	
	;;#ASMEND
	v_add_u32_e32 v18, s65, v73
	v_cmp_gt_u32_e32 vcc, 32, v18
	s_and_b64 exec, exec, vcc
	s_cbranch_execz .LBB202_37
; %bb.35:                               ;   in Loop: Header=BB202_7 Depth=1
	v_cmp_eq_u32_e64 s[8:9], 1, v68
	v_cmp_eq_u32_e64 s[10:11], 0, v68
	v_cmp_eq_u32_e32 vcc, 3, v68
	s_waitcnt lgkmcnt(2)
	v_cndmask_b32_e64 v14, v14, v8, s[8:9]
	v_cndmask_b32_e64 v15, v15, v8, s[10:11]
	;; [unrolled: 1-line block ×4, first 2 shown]
	v_cvt_f16_f32_e32 v15, v15
	v_cvt_f16_f32_sdwa v14, v14 dst_sel:WORD_1 dst_unused:UNUSED_PAD src0_sel:DWORD
	v_cvt_f16_f32_e32 v17, v17
	v_cvt_f16_f32_sdwa v16, v16 dst_sel:WORD_1 dst_unused:UNUSED_PAD src0_sel:DWORD
	s_waitcnt lgkmcnt(1)
	v_cndmask_b32_e64 v21, v0, v4, s[8:9]
	v_cndmask_b32_e64 v22, v1, v4, s[10:11]
	v_lshl_add_u64 v[0:1], v[36:37], 1, s[50:51]
	v_or_b32_e32 v14, v14, v15
	v_or_b32_e32 v16, v16, v17
	s_waitcnt lgkmcnt(0)
	v_cndmask_b32_e64 v19, v19, v7, s[8:9]
	v_cndmask_b32_e64 v20, v20, v7, s[10:11]
	;;#ASMSTART
	global_atomic_pk_add_f16 v[0:1], v14, off
	
	;;#ASMEND
	v_lshl_add_u64 v[14:15], v[0:1], 0, 32
	;;#ASMSTART
	global_atomic_pk_add_f16 v[14:15], v16, off
	
	;;#ASMEND
	v_cvt_f16_f32_e32 v16, v22
	v_cvt_f16_f32_sdwa v17, v21 dst_sel:WORD_1 dst_unused:UNUSED_PAD src0_sel:DWORD
	v_cvt_f16_f32_e32 v20, v20
	v_cvt_f16_f32_sdwa v19, v19 dst_sel:WORD_1 dst_unused:UNUSED_PAD src0_sel:DWORD
	v_cmp_eq_u32_e64 s[6:7], 2, v68
	v_lshl_add_u64 v[14:15], v[0:1], 0, 64
	v_or_b32_e32 v16, v17, v16
	v_cmp_gt_u32_e64 s[8:9], 30, v18
	;;#ASMSTART
	global_atomic_pk_add_f16 v[14:15], v16, off
	
	;;#ASMEND
	v_lshl_add_u64 v[14:15], v[0:1], 0, s[30:31]
	v_or_b32_e32 v16, v19, v20
	;;#ASMSTART
	global_atomic_pk_add_f16 v[14:15], v16, off
	
	;;#ASMEND
	s_and_b64 exec, exec, s[8:9]
	s_cbranch_execz .LBB202_37
; %bb.36:                               ;   in Loop: Header=BB202_7 Depth=1
	v_cndmask_b32_e32 v12, v12, v8, vcc
	v_cndmask_b32_e64 v8, v13, v8, s[6:7]
	v_cndmask_b32_e32 v9, v9, v2, vcc
	v_cndmask_b32_e64 v2, v10, v2, s[6:7]
	v_cndmask_b32_e32 v10, v3, v4, vcc
	v_cndmask_b32_e32 v5, v5, v7, vcc
	v_cndmask_b32_e64 v6, v6, v7, s[6:7]
	v_cvt_f16_f32_e32 v3, v8
	v_cvt_f16_f32_sdwa v7, v12 dst_sel:WORD_1 dst_unused:UNUSED_PAD src0_sel:DWORD
	v_cvt_f16_f32_e32 v8, v2
	v_cvt_f16_f32_sdwa v9, v9 dst_sel:WORD_1 dst_unused:UNUSED_PAD src0_sel:DWORD
	v_cndmask_b32_e64 v4, v11, v4, s[6:7]
	v_lshl_add_u64 v[0:1], s[28:29], 2, v[0:1]
	v_or_b32_e32 v2, v7, v3
	v_or_b32_e32 v7, v9, v8
	;;#ASMSTART
	global_atomic_pk_add_f16 v[0:1], v2, off
	
	;;#ASMEND
	v_lshl_add_u64 v[2:3], v[0:1], 0, 32
	;;#ASMSTART
	global_atomic_pk_add_f16 v[2:3], v7, off
	
	;;#ASMEND
	v_cvt_f16_f32_e32 v4, v4
	v_cvt_f16_f32_sdwa v7, v10 dst_sel:WORD_1 dst_unused:UNUSED_PAD src0_sel:DWORD
	v_cvt_f16_f32_e32 v6, v6
	v_cvt_f16_f32_sdwa v5, v5 dst_sel:WORD_1 dst_unused:UNUSED_PAD src0_sel:DWORD
	v_lshl_add_u64 v[2:3], v[0:1], 0, 64
	v_or_b32_e32 v4, v7, v4
	;;#ASMSTART
	global_atomic_pk_add_f16 v[2:3], v4, off
	
	;;#ASMEND
	v_lshl_add_u64 v[0:1], v[0:1], 0, s[30:31]
	v_or_b32_e32 v2, v5, v6
	;;#ASMSTART
	global_atomic_pk_add_f16 v[0:1], v2, off
	
	;;#ASMEND
.LBB202_37:                             ;   in Loop: Header=BB202_7 Depth=1
	s_or_b64 exec, exec, s[18:19]
	v_subrev_u32_e32 v79, s66, v79
.LBB202_38:                             ;   in Loop: Header=BB202_7 Depth=1
	s_or_b64 exec, exec, s[48:49]
.LBB202_39:                             ;   in Loop: Header=BB202_7 Depth=1
	s_andn2_saveexec_b64 s[6:7], s[46:47]
	s_cbranch_execz .LBB202_48
; %bb.40:                               ;   in Loop: Header=BB202_7 Depth=1
	s_lshl_b32 s16, s66, 2
	v_cmp_gt_i32_e32 vcc, s16, v79
	s_and_saveexec_b64 s[8:9], vcc
	s_cbranch_execz .LBB202_47
; %bb.41:                               ;   in Loop: Header=BB202_7 Depth=1
	s_mul_i32 s10, s44, s23
	s_ashr_i32 s11, s10, 31
	s_waitcnt lgkmcnt(0)
	s_add_u32 s10, s38, s10
	s_addc_u32 s11, s39, s11
	s_ashr_i32 s12, s64, 31
	s_add_u32 s10, s10, s64
	s_addc_u32 s11, s11, s12
	v_lshl_add_u64 v[0:1], s[10:11], 0, v[40:41]
	v_lshl_add_u64 v[8:9], v[0:1], 0, v[38:39]
	s_mov_b64 s[10:11], 0
	s_branch .LBB202_43
.LBB202_42:                             ;   in Loop: Header=BB202_43 Depth=2
	s_or_b64 exec, exec, s[12:13]
	v_lshl_or_b32 v12, v10, 11, v75
	;;#ASMSTART
	s_waitcnt vmcnt(1)
	;;#ASMEND
	ds_write2_b32 v12, v4, v5 offset1:32
	ds_write2_b32 v12, v6, v7 offset0:64 offset1:96
	v_add_u32_e32 v4, 0x400, v12
	v_add_u32_e32 v79, s26, v79
	;;#ASMSTART
	s_waitcnt vmcnt(0)
	;;#ASMEND
	ds_write2_b32 v4, v0, v1 offset1:32
	ds_write2_b32 v4, v2, v3 offset0:64 offset1:96
	v_add_u32_e32 v0, 1, v64
	v_add_u32_e32 v44, s26, v10
	v_cmp_le_i32_e32 vcc, s16, v79
	ds_write_b32 v11, v0 offset:8
	v_add_u32_e32 v0, 2, v64
	s_or_b64 s[10:11], vcc, s[10:11]
	v_cmp_lt_i32_e32 vcc, 3, v44
	s_nop 1
	v_cndmask_b32_e32 v64, v64, v0, vcc
	s_andn2_b64 exec, exec, s[10:11]
	s_cbranch_execz .LBB202_46
.LBB202_43:                             ;   Parent Loop BB202_7 Depth=1
                                        ; =>  This Loop Header: Depth=2
                                        ;       Child Loop BB202_45 Depth 3
	v_cmp_gt_i32_e32 vcc, 4, v44
	s_nop 1
	v_cndmask_b32_e64 v0, -4, 0, vcc
	v_add_u32_e32 v10, v0, v44
	v_ashrrev_i32_e32 v0, 31, v79
	v_lshrrev_b32_e32 v0, 30, v0
	v_add_u32_e32 v0, v79, v0
	v_and_b32_e32 v1, -4, v0
	v_lshlrev_b32_e32 v0, 5, v0
	v_sub_u32_e32 v2, v79, v1
	v_and_b32_e32 v0, 0xffffff80, v0
	v_ashrrev_i32_e32 v1, 31, v0
	v_mul_lo_u32 v2, s57, v2
	v_lshl_add_u64 v[0:1], v[8:9], 0, v[0:1]
	v_ashrrev_i32_e32 v3, 31, v2
	v_lshl_add_u64 v[0:1], v[0:1], 0, v[2:3]
	v_lshlrev_b32_e32 v11, 2, v10
	;;#ASMSTART
	global_load_dwordx4 v[4:7], v[0:1], off offset:0   sc0 sc1 nt  
	global_load_dwordx4 v[0:3], v[0:1], off offset:64  sc0 sc1 nt  
	
	;;#ASMEND
	ds_read_b32 v12, v11 offset:12296
	v_add_u32_e32 v11, 0x3000, v11
	s_waitcnt lgkmcnt(0)
	v_cmp_ne_u32_e32 vcc, v12, v64
	s_and_saveexec_b64 s[12:13], vcc
	s_cbranch_execz .LBB202_42
; %bb.44:                               ;   in Loop: Header=BB202_43 Depth=2
	s_mov_b64 s[14:15], 0
.LBB202_45:                             ;   Parent Loop BB202_7 Depth=1
                                        ;     Parent Loop BB202_43 Depth=2
                                        ; =>    This Inner Loop Header: Depth=3
	;;#ASMSTART
	s_sleep 0
	;;#ASMEND
	ds_read_b32 v12, v11 offset:8
	s_waitcnt lgkmcnt(0)
	v_cmp_eq_u32_e32 vcc, v12, v64
	s_or_b64 s[14:15], vcc, s[14:15]
	s_andn2_b64 exec, exec, s[14:15]
	s_cbranch_execnz .LBB202_45
	s_branch .LBB202_42
.LBB202_46:                             ;   in Loop: Header=BB202_7 Depth=1
	s_or_b64 exec, exec, s[10:11]
.LBB202_47:                             ;   in Loop: Header=BB202_7 Depth=1
	s_or_b64 exec, exec, s[8:9]
	v_subrev_u32_e32 v79, s16, v79
.LBB202_48:                             ;   in Loop: Header=BB202_7 Depth=1
	s_or_b64 exec, exec, s[6:7]
.LBB202_49:                             ;   in Loop: Header=BB202_7 Depth=1
	s_andn2_saveexec_b64 s[6:7], s[34:35]
	s_cbranch_execz .LBB202_6
; %bb.50:                               ;   in Loop: Header=BB202_7 Depth=1
	s_lshl_b32 s16, s66, 1
	v_cmp_gt_i32_e32 vcc, s16, v79
	s_and_saveexec_b64 s[8:9], vcc
	s_cbranch_execz .LBB202_5
; %bb.51:                               ;   in Loop: Header=BB202_7 Depth=1
	s_mul_i32 s63, s63, s22
	s_ashr_i32 s10, s63, 31
	s_waitcnt lgkmcnt(0)
	s_add_u32 s11, s36, s63
	v_add_u32_e32 v2, s65, v74
	s_addc_u32 s12, s37, s10
	s_ashr_i32 s13, s64, 31
	v_cmp_gt_u32_e32 vcc, 32, v2
	s_add_u32 s10, s11, s64
	s_addc_u32 s11, s12, s13
	v_cndmask_b32_e32 v0, 0, v76, vcc
	v_ashrrev_i32_e32 v1, 31, v0
	v_lshl_add_u64 v[0:1], s[10:11], 0, v[0:1]
	v_lshl_add_u64 v[8:9], v[0:1], 0, v[38:39]
	v_sub_u32_e32 v10, 31, v2
	s_mov_b64 s[10:11], 0
	s_branch .LBB202_53
.LBB202_52:                             ;   in Loop: Header=BB202_53 Depth=2
	s_or_b64 exec, exec, s[12:13]
	v_lshl_add_u32 v13, v11, 11, v77
	;;#ASMSTART
	s_waitcnt vmcnt(1)
	;;#ASMEND
	ds_write2_b32 v13, v4, v5 offset1:32
	ds_write2_b32 v13, v6, v7 offset0:64 offset1:96
	v_add_u32_e32 v4, 0x400, v13
	v_add_u32_e32 v79, s25, v79
	;;#ASMSTART
	s_waitcnt vmcnt(0)
	;;#ASMEND
	ds_write2_b32 v4, v0, v1 offset1:32
	ds_write2_b32 v4, v2, v3 offset0:64 offset1:96
	v_add_u32_e32 v0, 1, v64
	v_add_u32_e32 v44, s25, v11
	v_cmp_le_i32_e32 vcc, s16, v79
	ds_write_b32 v12, v0
	v_add_u32_e32 v0, 2, v64
	s_or_b64 s[10:11], vcc, s[10:11]
	v_cmp_lt_i32_e32 vcc, 1, v44
	s_nop 1
	v_cndmask_b32_e32 v64, v64, v0, vcc
	s_andn2_b64 exec, exec, s[10:11]
	s_cbranch_execz .LBB202_4
.LBB202_53:                             ;   Parent Loop BB202_7 Depth=1
                                        ; =>  This Loop Header: Depth=2
                                        ;       Child Loop BB202_55 Depth 3
	v_cmp_gt_i32_e32 vcc, 2, v44
	s_nop 1
	v_cndmask_b32_e64 v0, -2, 0, vcc
	v_add_u32_e32 v11, v0, v44
	v_lshrrev_b32_e32 v0, 31, v79
	v_add_u32_e32 v0, v79, v0
	v_and_b32_e32 v1, 0xffffffe, v0
	v_sub_u32_e32 v1, v79, v1
	v_lshlrev_b32_e32 v1, 4, v1
	v_cmp_le_i32_e32 vcc, v1, v10
	v_lshlrev_b32_e32 v0, 6, v0
	v_and_b32_e32 v0, 0xffffff80, v0
	v_cndmask_b32_e32 v2, 0, v1, vcc
	v_ashrrev_i32_e32 v1, 31, v0
	v_mul_lo_u32 v2, v2, s22
	v_lshl_add_u64 v[0:1], v[8:9], 0, v[0:1]
	v_ashrrev_i32_e32 v3, 31, v2
	v_lshl_add_u64 v[0:1], v[0:1], 0, v[2:3]
	v_lshlrev_b32_e32 v12, 2, v11
	;;#ASMSTART
	global_load_dwordx4 v[4:7], v[0:1], off offset:0   
	global_load_dwordx4 v[0:3], v[0:1], off offset:64  
	
	;;#ASMEND
	ds_read_b32 v13, v12 offset:12288
	v_add_u32_e32 v12, 0x3000, v12
	s_waitcnt lgkmcnt(0)
	v_cmp_ne_u32_e32 vcc, v13, v64
	s_and_saveexec_b64 s[12:13], vcc
	s_cbranch_execz .LBB202_52
; %bb.54:                               ;   in Loop: Header=BB202_53 Depth=2
	s_mov_b64 s[14:15], 0
.LBB202_55:                             ;   Parent Loop BB202_7 Depth=1
                                        ;     Parent Loop BB202_53 Depth=2
                                        ; =>    This Inner Loop Header: Depth=3
	;;#ASMSTART
	s_sleep 0
	;;#ASMEND
	ds_read_b32 v13, v12
	s_waitcnt lgkmcnt(0)
	v_cmp_eq_u32_e32 vcc, v13, v64
	s_or_b64 s[14:15], vcc, s[14:15]
	s_andn2_b64 exec, exec, s[14:15]
	s_cbranch_execnz .LBB202_55
	s_branch .LBB202_52
.LBB202_56:
	s_endpgm
	.section	.rodata,"a",@progbits
	.p2align	6, 0x0
	.amdhsa_kernel _Z19_skinny_gemm_kernelILi2ELi4ELi1ELi16ELi4EEvPKhS1_P6__halfPKfiiiiiiii
		.amdhsa_group_segment_fixed_size 12312
		.amdhsa_private_segment_fixed_size 0
		.amdhsa_kernarg_size 64
		.amdhsa_user_sgpr_count 2
		.amdhsa_user_sgpr_dispatch_ptr 0
		.amdhsa_user_sgpr_queue_ptr 0
		.amdhsa_user_sgpr_kernarg_segment_ptr 1
		.amdhsa_user_sgpr_dispatch_id 0
		.amdhsa_user_sgpr_kernarg_preload_length 0
		.amdhsa_user_sgpr_kernarg_preload_offset 0
		.amdhsa_user_sgpr_private_segment_size 0
		.amdhsa_uses_dynamic_stack 0
		.amdhsa_enable_private_segment 0
		.amdhsa_system_sgpr_workgroup_id_x 1
		.amdhsa_system_sgpr_workgroup_id_y 0
		.amdhsa_system_sgpr_workgroup_id_z 0
		.amdhsa_system_sgpr_workgroup_info 0
		.amdhsa_system_vgpr_workitem_id 0
		.amdhsa_next_free_vgpr 88
		.amdhsa_next_free_sgpr 67
		.amdhsa_accum_offset 88
		.amdhsa_reserve_vcc 1
		.amdhsa_float_round_mode_32 0
		.amdhsa_float_round_mode_16_64 0
		.amdhsa_float_denorm_mode_32 3
		.amdhsa_float_denorm_mode_16_64 3
		.amdhsa_dx10_clamp 1
		.amdhsa_ieee_mode 1
		.amdhsa_fp16_overflow 0
		.amdhsa_tg_split 0
		.amdhsa_exception_fp_ieee_invalid_op 0
		.amdhsa_exception_fp_denorm_src 0
		.amdhsa_exception_fp_ieee_div_zero 0
		.amdhsa_exception_fp_ieee_overflow 0
		.amdhsa_exception_fp_ieee_underflow 0
		.amdhsa_exception_fp_ieee_inexact 0
		.amdhsa_exception_int_div_zero 0
	.end_amdhsa_kernel
	.section	.text._Z19_skinny_gemm_kernelILi2ELi4ELi1ELi16ELi4EEvPKhS1_P6__halfPKfiiiiiiii,"axG",@progbits,_Z19_skinny_gemm_kernelILi2ELi4ELi1ELi16ELi4EEvPKhS1_P6__halfPKfiiiiiiii,comdat
.Lfunc_end202:
	.size	_Z19_skinny_gemm_kernelILi2ELi4ELi1ELi16ELi4EEvPKhS1_P6__halfPKfiiiiiiii, .Lfunc_end202-_Z19_skinny_gemm_kernelILi2ELi4ELi1ELi16ELi4EEvPKhS1_P6__halfPKfiiiiiiii
                                        ; -- End function
	.set _Z19_skinny_gemm_kernelILi2ELi4ELi1ELi16ELi4EEvPKhS1_P6__halfPKfiiiiiiii.num_vgpr, 88
	.set _Z19_skinny_gemm_kernelILi2ELi4ELi1ELi16ELi4EEvPKhS1_P6__halfPKfiiiiiiii.num_agpr, 0
	.set _Z19_skinny_gemm_kernelILi2ELi4ELi1ELi16ELi4EEvPKhS1_P6__halfPKfiiiiiiii.numbered_sgpr, 67
	.set _Z19_skinny_gemm_kernelILi2ELi4ELi1ELi16ELi4EEvPKhS1_P6__halfPKfiiiiiiii.num_named_barrier, 0
	.set _Z19_skinny_gemm_kernelILi2ELi4ELi1ELi16ELi4EEvPKhS1_P6__halfPKfiiiiiiii.private_seg_size, 0
	.set _Z19_skinny_gemm_kernelILi2ELi4ELi1ELi16ELi4EEvPKhS1_P6__halfPKfiiiiiiii.uses_vcc, 1
	.set _Z19_skinny_gemm_kernelILi2ELi4ELi1ELi16ELi4EEvPKhS1_P6__halfPKfiiiiiiii.uses_flat_scratch, 0
	.set _Z19_skinny_gemm_kernelILi2ELi4ELi1ELi16ELi4EEvPKhS1_P6__halfPKfiiiiiiii.has_dyn_sized_stack, 0
	.set _Z19_skinny_gemm_kernelILi2ELi4ELi1ELi16ELi4EEvPKhS1_P6__halfPKfiiiiiiii.has_recursion, 0
	.set _Z19_skinny_gemm_kernelILi2ELi4ELi1ELi16ELi4EEvPKhS1_P6__halfPKfiiiiiiii.has_indirect_call, 0
	.section	.AMDGPU.csdata,"",@progbits
; Kernel info:
; codeLenInByte = 5544
; TotalNumSgprs: 73
; NumVgprs: 88
; NumAgprs: 0
; TotalNumVgprs: 88
; ScratchSize: 0
; MemoryBound: 0
; FloatMode: 240
; IeeeMode: 1
; LDSByteSize: 12312 bytes/workgroup (compile time only)
; SGPRBlocks: 9
; VGPRBlocks: 10
; NumSGPRsForWavesPerEU: 73
; NumVGPRsForWavesPerEU: 88
; AccumOffset: 88
; Occupancy: 5
; WaveLimiterHint : 0
; COMPUTE_PGM_RSRC2:SCRATCH_EN: 0
; COMPUTE_PGM_RSRC2:USER_SGPR: 2
; COMPUTE_PGM_RSRC2:TRAP_HANDLER: 0
; COMPUTE_PGM_RSRC2:TGID_X_EN: 1
; COMPUTE_PGM_RSRC2:TGID_Y_EN: 0
; COMPUTE_PGM_RSRC2:TGID_Z_EN: 0
; COMPUTE_PGM_RSRC2:TIDIG_COMP_CNT: 0
; COMPUTE_PGM_RSRC3_GFX90A:ACCUM_OFFSET: 21
; COMPUTE_PGM_RSRC3_GFX90A:TG_SPLIT: 0
	.section	.text._Z19_skinny_gemm_kernelILi2ELi4ELi1ELi16ELi8EEvPKhS1_P6__halfPKfiiiiiiii,"axG",@progbits,_Z19_skinny_gemm_kernelILi2ELi4ELi1ELi16ELi8EEvPKhS1_P6__halfPKfiiiiiiii,comdat
	.protected	_Z19_skinny_gemm_kernelILi2ELi4ELi1ELi16ELi8EEvPKhS1_P6__halfPKfiiiiiiii ; -- Begin function _Z19_skinny_gemm_kernelILi2ELi4ELi1ELi16ELi8EEvPKhS1_P6__halfPKfiiiiiiii
	.globl	_Z19_skinny_gemm_kernelILi2ELi4ELi1ELi16ELi8EEvPKhS1_P6__halfPKfiiiiiiii
	.p2align	8
	.type	_Z19_skinny_gemm_kernelILi2ELi4ELi1ELi16ELi8EEvPKhS1_P6__halfPKfiiiiiiii,@function
_Z19_skinny_gemm_kernelILi2ELi4ELi1ELi16ELi8EEvPKhS1_P6__halfPKfiiiiiiii: ; @_Z19_skinny_gemm_kernelILi2ELi4ELi1ELi16ELi8EEvPKhS1_P6__halfPKfiiiiiiii
; %bb.0:
	v_cmp_gt_u32_e32 vcc, 6, v0
	v_lshlrev_b32_e32 v1, 2, v0
	s_and_saveexec_b64 s[4:5], vcc
; %bb.1:
	v_mov_b32_e32 v2, 0
	ds_write_b32 v1, v2 offset:24576
; %bb.2:
	s_or_b64 exec, exec, s[4:5]
	s_load_dwordx8 s[20:27], s[0:1], 0x20
	s_waitcnt lgkmcnt(0)
	s_barrier
	s_add_i32 s3, s20, 31
	s_ashr_i32 s5, s3, 31
	s_add_i32 s4, s21, 63
	s_lshr_b32 s5, s5, 27
	s_ashr_i32 s6, s4, 31
	s_add_i32 s3, s3, s5
	s_ashr_i32 s33, s3, 5
	s_lshr_b32 s3, s6, 26
	s_add_i32 s4, s4, s3
	s_ashr_i32 s52, s4, 6
	s_mul_i32 s3, s52, s33
	s_mul_i32 s3, s3, s24
	s_add_i32 s4, s3, 0x12f
	s_mul_hi_i32 s4, s4, 0x6bca1af3
	s_lshr_b32 s5, s4, 31
	s_ashr_i32 s4, s4, 7
	s_add_i32 s4, s4, s5
	s_add_i32 s5, s2, 1
	s_mul_i32 s5, s4, s5
	v_cvt_f64_i32_e32 v[2:3], s3
	v_cvt_f64_u32_e32 v[4:5], s5
	v_min_f64 v[2:3], v[2:3], v[4:5]
	v_cvt_i32_f64_e32 v33, v[2:3]
	s_mul_i32 s53, s4, s2
	v_cmp_ge_i32_e32 vcc, s53, v33
	s_cbranch_vccnz .LBB203_56
; %bb.3:
	v_lshrrev_b32_e32 v2, 6, v0
	s_add_i32 s4, s26, s25
	s_load_dwordx8 s[36:43], s[0:1], 0x0
	v_cmp_le_i32_e64 s[0:1], s4, v2
	v_mov_b32_e32 v3, s25
	v_cmp_le_i32_e64 s[2:3], s25, v2
	v_mov_b32_e32 v4, s26
	v_cndmask_b32_e64 v4, 0, v4, s[0:1]
	v_cndmask_b32_e64 v3, 0, v3, s[2:3]
	s_abs_i32 s5, s24
	v_add_u32_e32 v3, v3, v4
	v_cvt_f32_u32_e32 v4, s5
	v_sub_u32_e32 v44, v2, v3
	s_ashr_i32 s6, s22, 31
	s_lshr_b32 s6, s6, 24
	v_rcp_iflag_f32_e32 v3, v4
	s_sub_i32 s9, 0, s5
	s_add_i32 s6, s22, s6
	s_ashr_i32 s6, s6, 8
	v_mul_f32_e32 v3, 0x4f7ffffe, v3
	v_cvt_u32_f32_e32 v3, v3
	s_abs_i32 s8, s6
	s_xor_b32 s7, s6, s24
	s_ashr_i32 s7, s7, 31
	v_readfirstlane_b32 s10, v3
	s_mul_i32 s9, s9, s10
	s_mul_hi_u32 s9, s10, s9
	s_add_i32 s10, s10, s9
	s_mul_hi_u32 s9, s8, s10
	s_mul_i32 s10, s9, s5
	s_sub_i32 s8, s8, s10
	s_add_i32 s10, s9, 1
	s_sub_i32 s11, s8, s5
	s_cmp_ge_u32 s8, s5
	s_cselect_b32 s9, s10, s9
	s_cselect_b32 s8, s11, s8
	s_add_i32 s10, s9, 1
	s_cmp_ge_u32 s8, s5
	s_cselect_b32 s5, s10, s9
	s_xor_b32 s5, s5, s7
	s_sub_i32 s54, s5, s7
	s_add_i32 s24, s24, -1
	s_mul_i32 s5, s54, s24
	s_add_i32 s4, s4, s27
	s_sub_i32 s55, s6, s5
	v_cmp_gt_i32_e64 s[4:5], s4, v2
	v_lshlrev_b32_e32 v2, 1, v0
	v_lshlrev_b32_e32 v3, 4, v0
	v_and_b32_e32 v1, 60, v1
	v_and_b32_e32 v2, 64, v2
	;; [unrolled: 1-line block ×3, first 2 shown]
	v_or3_b32 v83, v1, v2, v4
	v_and_b32_e32 v1, 1, v0
	v_lshrrev_b32_e32 v4, 2, v0
	s_abs_i32 s56, s33
	v_and_or_b32 v90, v4, 12, v1
	v_cvt_f32_u32_e32 v4, s56
	v_lshlrev_b32_e32 v2, 1, v1
	v_and_b32_e32 v32, 14, v0
	v_sub_u32_e32 v2, v0, v2
	v_bitop3_b32 v85, v0, 1, v0 bitop3:0xc
	v_bitop3_b32 v86, v0, 3, 1 bitop3:0x6c
	v_and_b32_e32 v38, 48, v3
	v_bfe_u32 v92, v0, 2, 4
	v_and_b32_e32 v1, 60, v0
	v_lshlrev_b32_e32 v3, 8, v0
	v_lshlrev_b32_e32 v0, 6, v0
	v_and_b32_e32 v3, 0x200, v3
	v_and_b32_e32 v0, 64, v0
	v_or3_b32 v93, v1, v3, v0
	v_rcp_iflag_f32_e32 v0, v4
	s_abs_i32 s58, s52
	v_cvt_f32_u32_e32 v1, s58
	v_mad_u64_u32 v[34:35], s[6:7], s21, v90, v[32:33]
	v_mul_f32_e32 v0, 0x4f7ffffe, v0
	v_cvt_u32_f32_e32 v0, v0
	v_rcp_iflag_f32_e32 v1, v1
	s_sub_i32 s6, 0, s56
	v_add_u32_e32 v2, 1, v2
	v_readfirstlane_b32 s7, v0
	v_mul_f32_e32 v0, 0x4f7ffffe, v1
	v_cvt_u32_f32_e32 v0, v0
	s_mul_i32 s6, s6, s7
	s_mul_hi_u32 s6, s7, s6
	s_add_i32 s60, s7, s6
	s_sub_i32 s6, 0, s58
	v_readfirstlane_b32 s7, v0
	v_mbcnt_lo_u32_b32 v0, -1, 0
	v_and_b32_e32 v2, 63, v2
	s_mul_i32 s6, s6, s7
	v_mbcnt_hi_u32_b32 v0, -1, v0
	v_lshl_add_u32 v36, s21, 4, v34
	v_mul_lo_u32 v40, s23, v92
	s_mul_hi_u32 s6, s7, s6
	v_and_or_b32 v0, v0, 64, v2
	v_cndmask_b32_e64 v82, 0, 1, s[0:1]
	v_or_b32_e32 v84, 0x4000, v83
	s_ashr_i32 s29, s21, 31
	s_mov_b32 s28, s21
	v_or_b32_e32 v87, 16, v32
	v_or_b32_e32 v88, 32, v32
	;; [unrolled: 1-line block ×3, first 2 shown]
	v_ashrrev_i32_e32 v35, 31, v34
	v_or_b32_e32 v91, 16, v90
	v_ashrrev_i32_e32 v37, 31, v36
	v_ashrrev_i32_e32 v41, 31, v40
	v_mov_b32_e32 v39, 0
	s_lshl_b32 s57, s23, 4
	v_mul_lo_u32 v94, s22, v92
	v_or_b32_e32 v95, 0x4000, v93
	s_ashr_i32 s59, s33, 31
	s_ashr_i32 s61, s52, 31
	s_add_i32 s62, s7, s6
	s_mov_b64 s[30:31], 0x60
	v_lshlrev_b32_e32 v96, 2, v0
	v_mov_b32_e32 v97, v44
	s_branch .LBB203_7
.LBB203_4:                              ;   in Loop: Header=BB203_7 Depth=1
	s_or_b64 exec, exec, s[10:11]
.LBB203_5:                              ;   in Loop: Header=BB203_7 Depth=1
	s_or_b64 exec, exec, s[8:9]
	v_subrev_u32_e32 v97, s16, v97
.LBB203_6:                              ;   in Loop: Header=BB203_7 Depth=1
	s_or_b64 exec, exec, s[6:7]
	s_add_i32 s53, s53, 1
	v_cmp_ge_i32_e32 vcc, s53, v33
	s_cbranch_vccnz .LBB203_56
.LBB203_7:                              ; =>This Loop Header: Depth=1
                                        ;     Child Loop BB203_13 Depth 2
                                        ;       Child Loop BB203_15 Depth 3
                                        ;       Child Loop BB203_18 Depth 3
	;; [unrolled: 1-line block ×6, first 2 shown]
                                        ;     Child Loop BB203_43 Depth 2
                                        ;       Child Loop BB203_45 Depth 3
                                        ;     Child Loop BB203_53 Depth 2
                                        ;       Child Loop BB203_55 Depth 3
	s_abs_i32 s7, s53
	s_mul_hi_u32 s8, s7, s60
	s_mul_i32 s9, s8, s56
	s_ashr_i32 s6, s53, 31
	s_sub_i32 s7, s7, s9
	s_xor_b32 s6, s6, s59
	s_add_i32 s9, s8, 1
	s_sub_i32 s10, s7, s56
	s_cmp_ge_u32 s7, s56
	s_cselect_b32 s8, s9, s8
	s_cselect_b32 s7, s10, s7
	s_add_i32 s9, s8, 1
	s_cmp_ge_u32 s7, s56
	s_cselect_b32 s7, s9, s8
	s_xor_b32 s7, s7, s6
	s_sub_i32 s6, s7, s6
	s_abs_i32 s8, s6
	s_mul_i32 s7, s6, s33
	s_mul_hi_u32 s9, s8, s62
	s_sub_i32 s7, s53, s7
	s_mul_i32 s10, s9, s58
	s_lshl_b32 s63, s7, 5
	s_ashr_i32 s7, s6, 31
	s_sub_i32 s8, s8, s10
	s_xor_b32 s7, s7, s61
	s_add_i32 s10, s9, 1
	s_sub_i32 s11, s8, s58
	s_cmp_ge_u32 s8, s58
	s_cselect_b32 s9, s10, s9
	s_cselect_b32 s8, s11, s8
	s_add_i32 s10, s9, 1
	s_cmp_ge_u32 s8, s58
	s_cselect_b32 s8, s10, s9
	s_xor_b32 s8, s8, s7
	s_sub_i32 s7, s8, s7
	s_mul_i32 s8, s7, s54
	s_lshl_b32 s64, s8, 8
	s_cmp_eq_u32 s7, s24
	s_cselect_b32 s66, s55, s54
	s_sub_i32 s8, s63, s20
	s_add_i32 s8, s8, 32
	s_max_i32 s65, s8, 0
	s_and_saveexec_b64 s[8:9], s[2:3]
	s_xor_b64 s[34:35], exec, s[8:9]
	s_cbranch_execz .LBB203_49
; %bb.8:                                ;   in Loop: Header=BB203_7 Depth=1
	s_mul_i32 s7, s7, s52
	s_sub_i32 s6, s6, s7
	s_lshl_b32 s6, s6, 6
	s_sub_i32 s45, s6, s21
	s_add_i32 s45, s45, 64
	s_max_i32 s7, s45, 0
	s_sub_i32 s44, s6, s7
	s_and_saveexec_b64 s[6:7], s[0:1]
	s_xor_b64 s[46:47], exec, s[6:7]
	s_cbranch_execz .LBB203_39
; %bb.9:                                ;   in Loop: Header=BB203_7 Depth=1
	s_and_saveexec_b64 s[48:49], s[4:5]
	s_cbranch_execz .LBB203_38
; %bb.10:                               ;   in Loop: Header=BB203_7 Depth=1
	s_waitcnt lgkmcnt(0)
	global_load_dword v98, v39, s[42:43]
	v_mov_b32_e32 v31, 0
	v_cmp_gt_i32_e32 vcc, s66, v97
	v_mov_b32_e32 v30, v31
	v_mov_b32_e32 v29, v31
	v_mov_b32_e32 v28, v31
	v_mov_b32_e32 v27, v31
	v_mov_b32_e32 v26, v31
	v_mov_b32_e32 v25, v31
	v_mov_b32_e32 v24, v31
	v_mov_b32_e32 v23, v31
	v_mov_b32_e32 v22, v31
	v_mov_b32_e32 v21, v31
	v_mov_b32_e32 v20, v31
	v_mov_b32_e32 v19, v31
	v_mov_b32_e32 v18, v31
	v_mov_b32_e32 v17, v31
	v_mov_b32_e32 v16, v31
	v_mov_b32_e32 v15, v31
	v_mov_b32_e32 v14, v31
	v_mov_b32_e32 v13, v31
	v_mov_b32_e32 v12, v31
	v_mov_b32_e32 v11, v31
	v_mov_b32_e32 v10, v31
	v_mov_b32_e32 v9, v31
	v_mov_b32_e32 v8, v31
	v_mov_b32_e32 v3, v31
	v_mov_b32_e32 v2, v31
	v_mov_b32_e32 v1, v31
	v_mov_b32_e32 v0, v31
	v_mov_b32_e32 v7, v31
	v_mov_b32_e32 v6, v31
	v_mov_b32_e32 v5, v31
	v_mov_b32_e32 v4, v31
	s_and_saveexec_b64 s[6:7], vcc
	s_cbranch_execz .LBB203_32
; %bb.11:                               ;   in Loop: Header=BB203_7 Depth=1
	v_mov_b32_e32 v4, 0
	s_mov_b64 s[8:9], 0
	v_mov_b32_e32 v5, v4
	v_mov_b32_e32 v6, v4
	;; [unrolled: 1-line block ×31, first 2 shown]
	s_branch .LBB203_13
.LBB203_12:                             ;   in Loop: Header=BB203_13 Depth=2
	s_or_b64 exec, exec, s[10:11]
	v_add_u32_e32 v76, 0x3000, v101
	ds_read2_b32 v[74:75], v76 offset1:32
	v_add_u32_e32 v97, s27, v97
	s_waitcnt lgkmcnt(0)
	v_mfma_f32_16x16x32_fp8_fp8 v[16:19], v[42:43], v[74:75], v[16:19]
	ds_read2_b32 v[42:43], v76 offset0:128 offset1:160
	v_add_u32_e32 v76, 0x3400, v101
	v_mfma_f32_16x16x32_fp8_fp8 v[4:7], v[58:59], v[74:75], v[4:7]
	s_waitcnt lgkmcnt(0)
	v_mfma_f32_16x16x32_fp8_fp8 v[16:19], v[44:45], v[42:43], v[16:19]
	ds_read2_b32 v[44:45], v76 offset1:32
	s_waitcnt lgkmcnt(0)
	v_mfma_f32_16x16x32_fp8_fp8 v[16:19], v[50:51], v[44:45], v[16:19]
	ds_read2_b32 v[50:51], v76 offset0:128 offset1:160
	v_add_u32_e32 v76, 0x3800, v101
	v_mfma_f32_16x16x32_fp8_fp8 v[4:7], v[60:61], v[42:43], v[4:7]
	v_add_u32_e32 v42, 2, v82
	s_waitcnt lgkmcnt(0)
	v_mfma_f32_16x16x32_fp8_fp8 v[16:19], v[46:47], v[50:51], v[16:19]
	ds_read2_b32 v[46:47], v76 offset1:32
	v_mfma_f32_16x16x32_fp8_fp8 v[4:7], v[66:67], v[44:45], v[4:7]
	v_add_u32_e32 v44, s27, v99
	v_cmp_lt_i32_e32 vcc, 0, v44
	v_mfma_f32_16x16x32_fp8_fp8 v[4:7], v[68:69], v[50:51], v[4:7]
	s_nop 0
	v_cndmask_b32_e32 v82, v82, v42, vcc
	v_cmp_le_i32_e32 vcc, s66, v97
	s_or_b64 s[8:9], vcc, s[8:9]
	s_waitcnt lgkmcnt(0)
	v_mfma_f32_16x16x32_fp8_fp8 v[16:19], v[52:53], v[46:47], v[16:19]
	ds_read2_b32 v[52:53], v76 offset0:128 offset1:160
	v_add_u32_e32 v76, 0x3c00, v101
	v_mfma_f32_16x16x32_fp8_fp8 v[4:7], v[70:71], v[46:47], v[4:7]
	s_waitcnt lgkmcnt(0)
	v_mfma_f32_16x16x32_fp8_fp8 v[16:19], v[48:49], v[52:53], v[16:19]
	ds_read2_b32 v[48:49], v76 offset1:32
	v_mfma_f32_16x16x32_fp8_fp8 v[4:7], v[72:73], v[52:53], v[4:7]
	s_waitcnt lgkmcnt(0)
	v_mfma_f32_16x16x32_fp8_fp8 v[16:19], v[54:55], v[48:49], v[16:19]
	ds_read2_b32 v[54:55], v76 offset0:128 offset1:160
	;;#ASMSTART
	s_waitcnt lgkmcnt(0)
	;;#ASMEND
	ds_write_b32 v100, v102 offset:24596
	v_mfma_f32_16x16x32_fp8_fp8 v[4:7], v[64:65], v[48:49], v[4:7]
	s_waitcnt lgkmcnt(1)
	v_mfma_f32_16x16x32_fp8_fp8 v[16:19], v[56:57], v[54:55], v[16:19]
	v_mfma_f32_16x16x32_fp8_fp8 v[4:7], v[62:63], v[54:55], v[4:7]
	s_andn2_b64 exec, exec, s[8:9]
	s_cbranch_execz .LBB203_31
.LBB203_13:                             ;   Parent Loop BB203_7 Depth=1
                                        ; =>  This Loop Header: Depth=2
                                        ;       Child Loop BB203_15 Depth 3
                                        ;       Child Loop BB203_18 Depth 3
	;; [unrolled: 1-line block ×6, first 2 shown]
	v_cmp_lt_i32_e32 vcc, 0, v44
	s_nop 1
	v_subbrev_co_u32_e32 v99, vcc, 0, v44, vcc
	v_lshlrev_b32_e32 v100, 4, v99
	ds_read_b32 v42, v100 offset:24584
	s_waitcnt lgkmcnt(0)
	v_cmp_ne_u32_e32 vcc, v42, v82
	s_and_saveexec_b64 s[10:11], vcc
	s_cbranch_execz .LBB203_16
; %bb.14:                               ;   in Loop: Header=BB203_13 Depth=2
	s_mov_b64 s[12:13], 0
.LBB203_15:                             ;   Parent Loop BB203_7 Depth=1
                                        ;     Parent Loop BB203_13 Depth=2
                                        ; =>    This Inner Loop Header: Depth=3
	;;#ASMSTART
	s_sleep 0
	;;#ASMEND
	ds_read_b32 v42, v100 offset:24584
	s_waitcnt lgkmcnt(0)
	v_cmp_eq_u32_e32 vcc, v42, v82
	s_or_b64 s[12:13], vcc, s[12:13]
	s_andn2_b64 exec, exec, s[12:13]
	s_cbranch_execnz .LBB203_15
.LBB203_16:                             ;   in Loop: Header=BB203_13 Depth=2
	s_or_b64 exec, exec, s[10:11]
	v_lshl_or_b32 v101, v99, 14, v83
	v_add_u32_e32 v42, 0x400, v101
	ds_read2_b32 v[62:63], v101 offset1:32
	ds_read2_b32 v[64:65], v101 offset0:128 offset1:160
	ds_read2_b32 v[70:71], v42 offset1:32
	ds_read2_b32 v[72:73], v42 offset0:128 offset1:160
	v_add_u32_e32 v42, 0x800, v101
	ds_read2_b32 v[74:75], v42 offset1:32
	ds_read2_b32 v[76:77], v42 offset0:128 offset1:160
	v_add_u32_e32 v42, 0xc00, v101
	v_add_u32_e32 v102, 1, v82
	ds_read2_b32 v[80:81], v42 offset1:32
	ds_read2_b32 v[78:79], v42 offset0:128 offset1:160
	;;#ASMSTART
	s_waitcnt lgkmcnt(0)
	;;#ASMEND
	ds_write_b32 v100, v102 offset:24584
	v_lshlrev_b32_e32 v103, 3, v99
	ds_read_b32 v42, v103 offset:24576
	s_waitcnt lgkmcnt(0)
	v_cmp_ne_u32_e32 vcc, v42, v82
	s_and_saveexec_b64 s[10:11], vcc
	s_cbranch_execz .LBB203_19
; %bb.17:                               ;   in Loop: Header=BB203_13 Depth=2
	s_mov_b64 s[12:13], 0
.LBB203_18:                             ;   Parent Loop BB203_7 Depth=1
                                        ;     Parent Loop BB203_13 Depth=2
                                        ; =>    This Inner Loop Header: Depth=3
	;;#ASMSTART
	s_sleep 0
	;;#ASMEND
	ds_read_b32 v42, v103 offset:24576
	s_waitcnt lgkmcnt(0)
	v_cmp_eq_u32_e32 vcc, v42, v82
	s_or_b64 s[12:13], vcc, s[12:13]
	s_andn2_b64 exec, exec, s[12:13]
	s_cbranch_execnz .LBB203_18
.LBB203_19:                             ;   in Loop: Header=BB203_13 Depth=2
	s_or_b64 exec, exec, s[10:11]
	v_lshlrev_b32_e32 v42, 13, v99
	v_add_u32_e32 v104, v84, v42
	ds_read2_b32 v[42:43], v104 offset1:32
	ds_read2_b32 v[44:45], v104 offset0:128 offset1:160
	v_add_u32_e32 v46, 0x400, v104
	ds_read2_b32 v[50:51], v46 offset1:32
	ds_read2_b32 v[46:47], v46 offset0:128 offset1:160
	v_add_u32_e32 v48, 0x800, v104
	ds_read2_b32 v[52:53], v48 offset1:32
	ds_read2_b32 v[48:49], v48 offset0:128 offset1:160
	v_add_u32_e32 v56, 0xc00, v104
	s_waitcnt lgkmcnt(5)
	v_mfma_f32_16x16x32_fp8_fp8 v[28:31], v[42:43], v[62:63], v[28:31]
	ds_read2_b32 v[54:55], v56 offset1:32
	ds_read2_b32 v[56:57], v56 offset0:128 offset1:160
	ds_read_b32 v58, v103 offset:24580
	ds_write_b32 v103, v102 offset:24576
	s_waitcnt lgkmcnt(8)
	v_mfma_f32_16x16x32_fp8_fp8 v[28:31], v[44:45], v[64:65], v[28:31]
	s_waitcnt lgkmcnt(1)
	v_cmp_ne_u32_e32 vcc, v58, v82
	v_mfma_f32_16x16x32_fp8_fp8 v[28:31], v[50:51], v[70:71], v[28:31]
	v_mfma_f32_16x16x32_fp8_fp8 v[28:31], v[46:47], v[72:73], v[28:31]
	;; [unrolled: 1-line block ×6, first 2 shown]
	s_and_saveexec_b64 s[10:11], vcc
	s_cbranch_execz .LBB203_22
; %bb.20:                               ;   in Loop: Header=BB203_13 Depth=2
	s_mov_b64 s[12:13], 0
.LBB203_21:                             ;   Parent Loop BB203_7 Depth=1
                                        ;     Parent Loop BB203_13 Depth=2
                                        ; =>    This Inner Loop Header: Depth=3
	;;#ASMSTART
	s_sleep 0
	;;#ASMEND
	ds_read_b32 v58, v103 offset:24580
	s_waitcnt lgkmcnt(0)
	v_cmp_eq_u32_e32 vcc, v58, v82
	s_or_b64 s[12:13], vcc, s[12:13]
	s_andn2_b64 exec, exec, s[12:13]
	s_cbranch_execnz .LBB203_21
.LBB203_22:                             ;   in Loop: Header=BB203_13 Depth=2
	s_or_b64 exec, exec, s[10:11]
	v_add_u32_e32 v60, 0x1000, v104
	ds_read2_b32 v[58:59], v60 offset1:32
	ds_read2_b32 v[60:61], v60 offset0:128 offset1:160
	v_add_u32_e32 v68, 0x1400, v104
	ds_read2_b32 v[66:67], v68 offset1:32
	ds_read2_b32 v[68:69], v68 offset0:128 offset1:160
	s_waitcnt lgkmcnt(3)
	v_mfma_f32_16x16x32_fp8_fp8 v[12:15], v[58:59], v[62:63], v[12:15]
	v_add_u32_e32 v62, 0x1800, v104
	ds_write_b32 v103, v102 offset:24580
	s_waitcnt lgkmcnt(3)
	v_mfma_f32_16x16x32_fp8_fp8 v[12:15], v[60:61], v[64:65], v[12:15]
	s_waitcnt lgkmcnt(2)
	v_mfma_f32_16x16x32_fp8_fp8 v[12:15], v[66:67], v[70:71], v[12:15]
	ds_read2_b32 v[70:71], v62 offset1:32
	s_waitcnt lgkmcnt(2)
	v_mfma_f32_16x16x32_fp8_fp8 v[12:15], v[68:69], v[72:73], v[12:15]
	ds_read2_b32 v[72:73], v62 offset0:128 offset1:160
	v_add_u32_e32 v62, 0x1c00, v104
	ds_read2_b32 v[64:65], v62 offset1:32
	ds_read2_b32 v[62:63], v62 offset0:128 offset1:160
	s_waitcnt lgkmcnt(3)
	v_mfma_f32_16x16x32_fp8_fp8 v[12:15], v[70:71], v[74:75], v[12:15]
	ds_read_b32 v74, v100 offset:24588
	s_waitcnt lgkmcnt(0)
	v_cmp_ne_u32_e32 vcc, v74, v82
	v_mfma_f32_16x16x32_fp8_fp8 v[12:15], v[72:73], v[76:77], v[12:15]
	v_mfma_f32_16x16x32_fp8_fp8 v[12:15], v[64:65], v[80:81], v[12:15]
	;; [unrolled: 1-line block ×3, first 2 shown]
	s_and_saveexec_b64 s[10:11], vcc
	s_cbranch_execz .LBB203_25
; %bb.23:                               ;   in Loop: Header=BB203_13 Depth=2
	s_mov_b64 s[12:13], 0
.LBB203_24:                             ;   Parent Loop BB203_7 Depth=1
                                        ;     Parent Loop BB203_13 Depth=2
                                        ; =>    This Inner Loop Header: Depth=3
	;;#ASMSTART
	s_sleep 0
	;;#ASMEND
	ds_read_b32 v74, v100 offset:24588
	s_waitcnt lgkmcnt(0)
	v_cmp_eq_u32_e32 vcc, v74, v82
	s_or_b64 s[12:13], vcc, s[12:13]
	s_andn2_b64 exec, exec, s[12:13]
	s_cbranch_execnz .LBB203_24
.LBB203_25:                             ;   in Loop: Header=BB203_13 Depth=2
	s_or_b64 exec, exec, s[10:11]
	v_add_u32_e32 v76, 0x1000, v101
	ds_read2_b32 v[74:75], v76 offset1:32
	ds_read2_b32 v[76:77], v76 offset0:128 offset1:160
	v_add_u32_e32 v80, 0x1400, v101
	ds_read2_b32 v[78:79], v80 offset1:32
	ds_read2_b32 v[80:81], v80 offset0:128 offset1:160
	s_waitcnt lgkmcnt(3)
	v_mfma_f32_16x16x32_fp8_fp8 v[24:27], v[42:43], v[74:75], v[24:27]
	v_add_u32_e32 v103, 0x1800, v101
	ds_read2_b32 v[104:105], v103 offset1:32
	ds_read2_b32 v[106:107], v103 offset0:128 offset1:160
	v_mfma_f32_16x16x32_fp8_fp8 v[8:11], v[58:59], v[74:75], v[8:11]
	v_add_u32_e32 v103, 0x1c00, v101
	ds_read2_b32 v[108:109], v103 offset1:32
	ds_read2_b32 v[110:111], v103 offset0:128 offset1:160
	s_waitcnt lgkmcnt(6)
	v_mfma_f32_16x16x32_fp8_fp8 v[24:27], v[44:45], v[76:77], v[24:27]
	;;#ASMSTART
	s_waitcnt lgkmcnt(0)
	;;#ASMEND
	ds_read_b32 v74, v100 offset:24592
	ds_write_b32 v100, v102 offset:24588
	v_mfma_f32_16x16x32_fp8_fp8 v[8:11], v[60:61], v[76:77], v[8:11]
	s_waitcnt lgkmcnt(1)
	v_cmp_ne_u32_e32 vcc, v74, v82
	v_mfma_f32_16x16x32_fp8_fp8 v[24:27], v[50:51], v[78:79], v[24:27]
	v_mfma_f32_16x16x32_fp8_fp8 v[8:11], v[66:67], v[78:79], v[8:11]
	;; [unrolled: 1-line block ×12, first 2 shown]
	s_and_saveexec_b64 s[10:11], vcc
	s_cbranch_execz .LBB203_28
; %bb.26:                               ;   in Loop: Header=BB203_13 Depth=2
	s_mov_b64 s[12:13], 0
.LBB203_27:                             ;   Parent Loop BB203_7 Depth=1
                                        ;     Parent Loop BB203_13 Depth=2
                                        ; =>    This Inner Loop Header: Depth=3
	;;#ASMSTART
	s_sleep 0
	;;#ASMEND
	ds_read_b32 v74, v100 offset:24592
	s_waitcnt lgkmcnt(0)
	v_cmp_eq_u32_e32 vcc, v74, v82
	s_or_b64 s[12:13], vcc, s[12:13]
	s_andn2_b64 exec, exec, s[12:13]
	s_cbranch_execnz .LBB203_27
.LBB203_28:                             ;   in Loop: Header=BB203_13 Depth=2
	s_or_b64 exec, exec, s[10:11]
	v_add_u32_e32 v76, 0x2000, v101
	ds_read2_b32 v[74:75], v76 offset1:32
	ds_read2_b32 v[76:77], v76 offset0:128 offset1:160
	v_add_u32_e32 v80, 0x2400, v101
	ds_read2_b32 v[78:79], v80 offset1:32
	ds_read2_b32 v[80:81], v80 offset0:128 offset1:160
	s_waitcnt lgkmcnt(3)
	v_mfma_f32_16x16x32_fp8_fp8 v[20:23], v[42:43], v[74:75], v[20:23]
	v_add_u32_e32 v103, 0x2800, v101
	ds_read2_b32 v[104:105], v103 offset1:32
	ds_read2_b32 v[106:107], v103 offset0:128 offset1:160
	v_mfma_f32_16x16x32_fp8_fp8 v[0:3], v[58:59], v[74:75], v[0:3]
	v_add_u32_e32 v103, 0x2c00, v101
	ds_read2_b32 v[108:109], v103 offset1:32
	ds_read2_b32 v[110:111], v103 offset0:128 offset1:160
	s_waitcnt lgkmcnt(6)
	v_mfma_f32_16x16x32_fp8_fp8 v[20:23], v[44:45], v[76:77], v[20:23]
	;;#ASMSTART
	s_waitcnt lgkmcnt(0)
	;;#ASMEND
	ds_read_b32 v74, v100 offset:24596
	ds_write_b32 v100, v102 offset:24592
	v_mfma_f32_16x16x32_fp8_fp8 v[0:3], v[60:61], v[76:77], v[0:3]
	s_waitcnt lgkmcnt(1)
	v_cmp_ne_u32_e32 vcc, v74, v82
	v_mfma_f32_16x16x32_fp8_fp8 v[20:23], v[50:51], v[78:79], v[20:23]
	v_mfma_f32_16x16x32_fp8_fp8 v[0:3], v[66:67], v[78:79], v[0:3]
	;; [unrolled: 1-line block ×12, first 2 shown]
	s_and_saveexec_b64 s[10:11], vcc
	s_cbranch_execz .LBB203_12
; %bb.29:                               ;   in Loop: Header=BB203_13 Depth=2
	s_mov_b64 s[12:13], 0
.LBB203_30:                             ;   Parent Loop BB203_7 Depth=1
                                        ;     Parent Loop BB203_13 Depth=2
                                        ; =>    This Inner Loop Header: Depth=3
	;;#ASMSTART
	s_sleep 0
	;;#ASMEND
	ds_read_b32 v74, v100 offset:24596
	s_waitcnt lgkmcnt(0)
	v_cmp_eq_u32_e32 vcc, v74, v82
	s_or_b64 s[12:13], vcc, s[12:13]
	s_andn2_b64 exec, exec, s[12:13]
	s_cbranch_execnz .LBB203_30
	s_branch .LBB203_12
.LBB203_31:                             ;   in Loop: Header=BB203_7 Depth=1
	s_or_b64 exec, exec, s[8:9]
.LBB203_32:                             ;   in Loop: Header=BB203_7 Depth=1
	s_or_b64 exec, exec, s[6:7]
	v_cmp_le_i32_e32 vcc, s45, v32
	v_cmp_eq_u32_e64 s[6:7], 2, v85
	v_cmp_eq_u32_e64 s[8:9], 3, v85
	s_waitcnt vmcnt(0)
	v_cndmask_b32_e32 v42, 0, v98, vcc
	v_pk_mul_f32 v[28:29], v[42:43], v[28:29] op_sel_hi:[0,1]
	v_cmp_eq_u32_e32 vcc, 1, v85
	v_pk_mul_f32 v[46:47], v[42:43], v[30:31] op_sel_hi:[0,1]
	v_cmp_eq_u32_e64 s[10:11], 0, v85
	v_cndmask_b32_e32 v30, v28, v29, vcc
	v_cndmask_b32_e64 v30, v30, v46, s[6:7]
	v_cndmask_b32_e64 v30, v30, v47, s[8:9]
	ds_bpermute_b32 v43, v96, v30
	v_cmp_le_i32_e64 s[14:15], s45, v87
	v_cmp_le_i32_e64 s[18:19], s45, v88
	v_cmp_eq_u32_e64 s[12:13], 1, v86
	v_cmp_eq_u32_e64 s[16:17], 3, v86
	s_waitcnt lgkmcnt(0)
	v_cndmask_b32_e64 v30, v47, v43, s[8:9]
	v_cndmask_b32_e64 v31, v46, v43, s[6:7]
	v_cndmask_b32_e32 v29, v29, v43, vcc
	v_cndmask_b32_e64 v43, v28, v43, s[10:11]
	v_cndmask_b32_e64 v28, 0, v98, s[14:15]
	v_pk_mul_f32 v[24:25], v[28:29], v[24:25] op_sel_hi:[0,1]
	v_pk_mul_f32 v[46:47], v[28:29], v[26:27] op_sel_hi:[0,1]
	v_cndmask_b32_e32 v26, v24, v25, vcc
	v_cndmask_b32_e64 v26, v26, v46, s[6:7]
	v_cndmask_b32_e64 v26, v26, v47, s[8:9]
	ds_bpermute_b32 v48, v96, v26
	v_cndmask_b32_e64 v45, v43, v29, s[12:13]
	v_cmp_eq_u32_e64 s[14:15], 2, v86
	s_waitcnt lgkmcnt(0)
	v_cndmask_b32_e32 v25, v25, v48, vcc
	v_cndmask_b32_e64 v49, v24, v48, s[10:11]
	v_cndmask_b32_e64 v24, 0, v98, s[18:19]
	v_pk_mul_f32 v[20:21], v[24:25], v[20:21] op_sel_hi:[0,1]
	v_cndmask_b32_e64 v26, v45, v31, s[14:15]
	v_cndmask_b32_e64 v27, v47, v48, s[8:9]
	;; [unrolled: 1-line block ×3, first 2 shown]
	v_pk_mul_f32 v[46:47], v[24:25], v[22:23] op_sel_hi:[0,1]
	v_cndmask_b32_e32 v22, v20, v21, vcc
	v_cndmask_b32_e64 v22, v22, v46, s[6:7]
	v_cndmask_b32_e64 v22, v22, v47, s[8:9]
	ds_bpermute_b32 v48, v96, v22
	v_cmp_le_i32_e64 s[18:19], s45, v89
	v_cndmask_b32_e64 v22, v49, v25, s[12:13]
	v_cndmask_b32_e64 v22, v22, v45, s[14:15]
	;; [unrolled: 1-line block ×3, first 2 shown]
	s_waitcnt lgkmcnt(0)
	v_cndmask_b32_e64 v51, v20, v48, s[10:11]
	v_cndmask_b32_e64 v20, 0, v98, s[18:19]
	v_pk_mul_f32 v[54:55], v[20:21], v[16:17] op_sel_hi:[0,1]
	v_pk_mul_f32 v[52:53], v[20:21], v[18:19] op_sel_hi:[0,1]
	v_cndmask_b32_e32 v16, v54, v55, vcc
	v_cndmask_b32_e64 v16, v16, v52, s[6:7]
	v_cndmask_b32_e64 v16, v16, v53, s[8:9]
	ds_bpermute_b32 v17, v96, v16
	v_cndmask_b32_e32 v50, v21, v48, vcc
	v_cndmask_b32_e64 v46, v46, v48, s[6:7]
	v_cndmask_b32_e64 v16, v51, v50, s[12:13]
	;; [unrolled: 1-line block ×5, first 2 shown]
	v_cmp_ne_u32_e32 vcc, 0, v85
	ds_bpermute_b32 v47, v96, v16
	s_waitcnt lgkmcnt(1)
	v_cndmask_b32_e64 v18, v53, v17, s[8:9]
	v_cndmask_b32_e64 v19, v52, v17, s[6:7]
	v_cndmask_b32_e32 v16, v55, v17, vcc
	v_cndmask_b32_e64 v17, v54, v17, s[10:11]
	v_cndmask_b32_e64 v21, v17, v16, s[12:13]
	;; [unrolled: 1-line block ×5, first 2 shown]
	ds_bpermute_b32 v26, v96, v26
	ds_bpermute_b32 v22, v96, v22
	;; [unrolled: 1-line block ×3, first 2 shown]
	v_add_u32_e32 v21, s65, v90
	v_cmp_gt_u32_e32 vcc, 32, v21
	s_and_saveexec_b64 s[18:19], vcc
	s_cbranch_execz .LBB203_37
; %bb.33:                               ;   in Loop: Header=BB203_7 Depth=1
	v_cmp_eq_u32_e64 s[8:9], 1, v86
	v_cmp_eq_u32_e64 s[10:11], 0, v86
	v_cmp_eq_u32_e32 vcc, 3, v86
	s_waitcnt lgkmcnt(2)
	v_cndmask_b32_e64 v29, v29, v26, s[8:9]
	s_waitcnt lgkmcnt(1)
	v_cndmask_b32_e64 v25, v25, v22, s[8:9]
	v_cndmask_b32_e64 v52, v50, v47, s[8:9]
	s_waitcnt lgkmcnt(0)
	v_cndmask_b32_e64 v54, v16, v48, s[8:9]
	s_mul_i32 s8, s63, s21
	s_ashr_i32 s9, s8, 31
	s_lshl_b64 s[8:9], s[8:9], 1
	v_cndmask_b32_e64 v43, v43, v26, s[10:11]
	v_cndmask_b32_e64 v49, v49, v22, s[10:11]
	;; [unrolled: 1-line block ×4, first 2 shown]
	s_add_u32 s10, s40, s8
	s_addc_u32 s11, s41, s9
	s_ashr_i32 s45, s44, 31
	v_cvt_f16_f32_e32 v43, v43
	v_cvt_f16_f32_sdwa v29, v29 dst_sel:WORD_1 dst_unused:UNUSED_PAD src0_sel:DWORD
	v_cvt_f16_f32_e32 v49, v49
	v_cvt_f16_f32_sdwa v25, v25 dst_sel:WORD_1 dst_unused:UNUSED_PAD src0_sel:DWORD
	s_lshl_b64 s[8:9], s[44:45], 1
	s_add_u32 s50, s10, s8
	s_addc_u32 s51, s11, s9
	v_lshl_add_u64 v[16:17], v[34:35], 1, s[50:51]
	v_or_b32_e32 v29, v29, v43
	v_or_b32_e32 v25, v25, v49
	;;#ASMSTART
	global_atomic_pk_add_f16 v[16:17], v29, off
	
	;;#ASMEND
	v_lshl_add_u64 v[50:51], v[16:17], 0, 32
	;;#ASMSTART
	global_atomic_pk_add_f16 v[50:51], v25, off
	
	;;#ASMEND
	v_cvt_f16_f32_e32 v25, v53
	v_cvt_f16_f32_sdwa v29, v52 dst_sel:WORD_1 dst_unused:UNUSED_PAD src0_sel:DWORD
	v_cvt_f16_f32_e32 v43, v55
	v_cvt_f16_f32_sdwa v49, v54 dst_sel:WORD_1 dst_unused:UNUSED_PAD src0_sel:DWORD
	v_cmp_eq_u32_e64 s[6:7], 2, v86
	v_lshl_add_u64 v[50:51], v[16:17], 0, 64
	v_or_b32_e32 v25, v29, v25
	v_cmp_gt_u32_e64 s[8:9], 30, v21
	;;#ASMSTART
	global_atomic_pk_add_f16 v[50:51], v25, off
	
	;;#ASMEND
	v_lshl_add_u64 v[50:51], v[16:17], 0, s[30:31]
	v_or_b32_e32 v25, v49, v43
	;;#ASMSTART
	global_atomic_pk_add_f16 v[50:51], v25, off
	
	;;#ASMEND
	s_and_b64 exec, exec, s[8:9]
	s_cbranch_execz .LBB203_37
; %bb.34:                               ;   in Loop: Header=BB203_7 Depth=1
	v_cndmask_b32_e32 v30, v30, v26, vcc
	v_cndmask_b32_e64 v26, v31, v26, s[6:7]
	v_cvt_f16_f32_e32 v26, v26
	v_cvt_f16_f32_sdwa v30, v30 dst_sel:WORD_1 dst_unused:UNUSED_PAD src0_sel:DWORD
	v_cndmask_b32_e32 v27, v27, v22, vcc
	v_cndmask_b32_e64 v22, v45, v22, s[6:7]
	v_cndmask_b32_e32 v23, v23, v47, vcc
	v_cndmask_b32_e64 v31, v46, v47, s[6:7]
	v_cndmask_b32_e32 v45, v18, v48, vcc
	v_or_b32_e32 v18, v30, v26
	v_cvt_f16_f32_e32 v22, v22
	v_cvt_f16_f32_sdwa v26, v27 dst_sel:WORD_1 dst_unused:UNUSED_PAD src0_sel:DWORD
	v_cvt_f16_f32_e32 v27, v31
	v_cvt_f16_f32_sdwa v23, v23 dst_sel:WORD_1 dst_unused:UNUSED_PAD src0_sel:DWORD
	v_lshl_add_u64 v[16:17], s[28:29], 2, v[16:17]
	v_or_b32_e32 v22, v26, v22
	v_mov_b32_e32 v43, v42
	v_cndmask_b32_e64 v46, v19, v48, s[6:7]
	;;#ASMSTART
	global_atomic_pk_add_f16 v[16:17], v18, off
	
	;;#ASMEND
	v_lshl_add_u64 v[18:19], v[16:17], 0, 32
	;;#ASMSTART
	global_atomic_pk_add_f16 v[18:19], v22, off
	
	;;#ASMEND
	v_or_b32_e32 v26, v23, v27
	v_mov_b32_e32 v22, v42
	v_mov_b32_e32 v23, v42
	v_pk_mul_f32 v[14:15], v[22:23], v[14:15]
	v_pk_mul_f32 v[22:23], v[42:43], v[12:13]
	v_cmp_eq_u32_e32 vcc, 1, v85
	v_mov_b32_e32 v29, v28
	v_lshl_add_u64 v[18:19], v[16:17], 0, 64
	v_cndmask_b32_e32 v12, v22, v23, vcc
	v_cmp_eq_u32_e64 s[6:7], 2, v85
	v_cmp_eq_u32_e64 s[8:9], 3, v85
	;;#ASMSTART
	global_atomic_pk_add_f16 v[18:19], v26, off
	
	;;#ASMEND
	v_lshl_add_u64 v[26:27], v[16:17], 0, s[30:31]
	v_cndmask_b32_e64 v12, v12, v14, s[6:7]
	v_mov_b32_e32 v16, v28
	v_mov_b32_e32 v17, v28
	v_pk_mul_f32 v[18:19], v[28:29], v[8:9]
	v_cndmask_b32_e64 v12, v12, v15, s[8:9]
	v_pk_mul_f32 v[10:11], v[16:17], v[10:11]
	v_cndmask_b32_e32 v8, v18, v19, vcc
	ds_bpermute_b32 v30, v96, v12
	v_cndmask_b32_e64 v8, v8, v10, s[6:7]
	v_cndmask_b32_e64 v8, v8, v11, s[8:9]
	ds_bpermute_b32 v17, v96, v8
	v_cmp_eq_u32_e64 s[10:11], 0, v85
	s_waitcnt lgkmcnt(1)
	v_cndmask_b32_e64 v12, v15, v30, s[8:9]
	v_cndmask_b32_e64 v13, v14, v30, s[6:7]
	v_cndmask_b32_e32 v14, v23, v30, vcc
	v_cndmask_b32_e64 v15, v22, v30, s[10:11]
	v_cmp_eq_u32_e64 s[12:13], 1, v86
	v_mov_b32_e32 v25, v24
	v_cmp_eq_u32_e64 s[14:15], 2, v86
	v_cndmask_b32_e64 v22, v15, v14, s[12:13]
	s_waitcnt lgkmcnt(0)
	v_cndmask_b32_e64 v9, v11, v17, s[8:9]
	v_cndmask_b32_e64 v8, v22, v13, s[14:15]
	;; [unrolled: 1-line block ×3, first 2 shown]
	v_cndmask_b32_e32 v16, v19, v17, vcc
	v_cndmask_b32_e64 v17, v18, v17, s[10:11]
	v_mov_b32_e32 v18, v24
	v_mov_b32_e32 v19, v24
	v_pk_mul_f32 v[22:23], v[24:25], v[0:1]
	v_pk_mul_f32 v[18:19], v[18:19], v[2:3]
	v_cndmask_b32_e32 v0, v22, v23, vcc
	v_cndmask_b32_e64 v0, v0, v18, s[6:7]
	v_cndmask_b32_e64 v0, v0, v19, s[8:9]
	ds_bpermute_b32 v1, v96, v0
	v_mov_b32_e32 v21, v20
	v_cndmask_b32_e64 v0, v17, v16, s[12:13]
	v_cmp_eq_u32_e64 s[16:17], 3, v86
	v_cndmask_b32_e64 v0, v0, v10, s[14:15]
	s_waitcnt lgkmcnt(0)
	v_cndmask_b32_e64 v3, v19, v1, s[8:9]
	v_cndmask_b32_e64 v11, v18, v1, s[6:7]
	v_mov_b32_e32 v18, v20
	v_mov_b32_e32 v19, v20
	v_pk_mul_f32 v[6:7], v[18:19], v[6:7]
	v_pk_mul_f32 v[18:19], v[20:21], v[4:5]
	v_cndmask_b32_e64 v0, v0, v9, s[16:17]
	v_cndmask_b32_e32 v4, v18, v19, vcc
	v_cndmask_b32_e64 v4, v4, v6, s[6:7]
	v_cndmask_b32_e64 v4, v4, v7, s[8:9]
	ds_bpermute_b32 v20, v96, v4
	ds_bpermute_b32 v2, v96, v0
	v_cndmask_b32_e32 v0, v23, v1, vcc
	v_cmp_ne_u32_e32 vcc, 0, v85
	v_cndmask_b32_e64 v1, v22, v1, s[10:11]
	s_waitcnt lgkmcnt(1)
	v_cndmask_b32_e64 v5, v7, v20, s[8:9]
	v_cndmask_b32_e64 v6, v6, v20, s[6:7]
	v_cndmask_b32_e32 v19, v19, v20, vcc
	v_cndmask_b32_e64 v20, v18, v20, s[10:11]
	v_cndmask_b32_e64 v4, v1, v0, s[12:13]
	v_cndmask_b32_e64 v7, v20, v19, s[12:13]
	v_cvt_f16_f32_e32 v31, v46
	v_cvt_f16_f32_sdwa v42, v45 dst_sel:WORD_1 dst_unused:UNUSED_PAD src0_sel:DWORD
	v_cndmask_b32_e64 v4, v4, v11, s[14:15]
	v_cndmask_b32_e64 v7, v7, v6, s[14:15]
	;; [unrolled: 1-line block ×5, first 2 shown]
	ds_bpermute_b32 v8, v96, v8
	ds_bpermute_b32 v4, v96, v4
	;; [unrolled: 1-line block ×3, first 2 shown]
	v_or_b32_e32 v18, v42, v31
	;;#ASMSTART
	global_atomic_pk_add_f16 v[26:27], v18, off
	
	;;#ASMEND
	v_add_u32_e32 v18, s65, v91
	v_cmp_gt_u32_e32 vcc, 32, v18
	s_and_b64 exec, exec, vcc
	s_cbranch_execz .LBB203_37
; %bb.35:                               ;   in Loop: Header=BB203_7 Depth=1
	v_cmp_eq_u32_e64 s[8:9], 1, v86
	v_cmp_eq_u32_e64 s[10:11], 0, v86
	v_cmp_eq_u32_e32 vcc, 3, v86
	s_waitcnt lgkmcnt(2)
	v_cndmask_b32_e64 v14, v14, v8, s[8:9]
	v_cndmask_b32_e64 v15, v15, v8, s[10:11]
	;; [unrolled: 1-line block ×4, first 2 shown]
	v_cvt_f16_f32_e32 v15, v15
	v_cvt_f16_f32_sdwa v14, v14 dst_sel:WORD_1 dst_unused:UNUSED_PAD src0_sel:DWORD
	v_cvt_f16_f32_e32 v17, v17
	v_cvt_f16_f32_sdwa v16, v16 dst_sel:WORD_1 dst_unused:UNUSED_PAD src0_sel:DWORD
	s_waitcnt lgkmcnt(1)
	v_cndmask_b32_e64 v21, v0, v4, s[8:9]
	v_cndmask_b32_e64 v22, v1, v4, s[10:11]
	v_lshl_add_u64 v[0:1], v[36:37], 1, s[50:51]
	v_or_b32_e32 v14, v14, v15
	v_or_b32_e32 v16, v16, v17
	s_waitcnt lgkmcnt(0)
	v_cndmask_b32_e64 v19, v19, v7, s[8:9]
	v_cndmask_b32_e64 v20, v20, v7, s[10:11]
	;;#ASMSTART
	global_atomic_pk_add_f16 v[0:1], v14, off
	
	;;#ASMEND
	v_lshl_add_u64 v[14:15], v[0:1], 0, 32
	;;#ASMSTART
	global_atomic_pk_add_f16 v[14:15], v16, off
	
	;;#ASMEND
	v_cvt_f16_f32_e32 v16, v22
	v_cvt_f16_f32_sdwa v17, v21 dst_sel:WORD_1 dst_unused:UNUSED_PAD src0_sel:DWORD
	v_cvt_f16_f32_e32 v20, v20
	v_cvt_f16_f32_sdwa v19, v19 dst_sel:WORD_1 dst_unused:UNUSED_PAD src0_sel:DWORD
	v_cmp_eq_u32_e64 s[6:7], 2, v86
	v_lshl_add_u64 v[14:15], v[0:1], 0, 64
	v_or_b32_e32 v16, v17, v16
	v_cmp_gt_u32_e64 s[8:9], 30, v18
	;;#ASMSTART
	global_atomic_pk_add_f16 v[14:15], v16, off
	
	;;#ASMEND
	v_lshl_add_u64 v[14:15], v[0:1], 0, s[30:31]
	v_or_b32_e32 v16, v19, v20
	;;#ASMSTART
	global_atomic_pk_add_f16 v[14:15], v16, off
	
	;;#ASMEND
	s_and_b64 exec, exec, s[8:9]
	s_cbranch_execz .LBB203_37
; %bb.36:                               ;   in Loop: Header=BB203_7 Depth=1
	v_cndmask_b32_e32 v12, v12, v8, vcc
	v_cndmask_b32_e64 v8, v13, v8, s[6:7]
	v_cndmask_b32_e32 v9, v9, v2, vcc
	v_cndmask_b32_e64 v2, v10, v2, s[6:7]
	v_cndmask_b32_e32 v10, v3, v4, vcc
	v_cndmask_b32_e32 v5, v5, v7, vcc
	v_cndmask_b32_e64 v6, v6, v7, s[6:7]
	v_cvt_f16_f32_e32 v3, v8
	v_cvt_f16_f32_sdwa v7, v12 dst_sel:WORD_1 dst_unused:UNUSED_PAD src0_sel:DWORD
	v_cvt_f16_f32_e32 v8, v2
	v_cvt_f16_f32_sdwa v9, v9 dst_sel:WORD_1 dst_unused:UNUSED_PAD src0_sel:DWORD
	v_cndmask_b32_e64 v4, v11, v4, s[6:7]
	v_lshl_add_u64 v[0:1], s[28:29], 2, v[0:1]
	v_or_b32_e32 v2, v7, v3
	v_or_b32_e32 v7, v9, v8
	;;#ASMSTART
	global_atomic_pk_add_f16 v[0:1], v2, off
	
	;;#ASMEND
	v_lshl_add_u64 v[2:3], v[0:1], 0, 32
	;;#ASMSTART
	global_atomic_pk_add_f16 v[2:3], v7, off
	
	;;#ASMEND
	v_cvt_f16_f32_e32 v4, v4
	v_cvt_f16_f32_sdwa v7, v10 dst_sel:WORD_1 dst_unused:UNUSED_PAD src0_sel:DWORD
	v_cvt_f16_f32_e32 v6, v6
	v_cvt_f16_f32_sdwa v5, v5 dst_sel:WORD_1 dst_unused:UNUSED_PAD src0_sel:DWORD
	v_lshl_add_u64 v[2:3], v[0:1], 0, 64
	v_or_b32_e32 v4, v7, v4
	;;#ASMSTART
	global_atomic_pk_add_f16 v[2:3], v4, off
	
	;;#ASMEND
	v_lshl_add_u64 v[0:1], v[0:1], 0, s[30:31]
	v_or_b32_e32 v2, v5, v6
	;;#ASMSTART
	global_atomic_pk_add_f16 v[0:1], v2, off
	
	;;#ASMEND
.LBB203_37:                             ;   in Loop: Header=BB203_7 Depth=1
	s_or_b64 exec, exec, s[18:19]
	v_subrev_u32_e32 v97, s66, v97
.LBB203_38:                             ;   in Loop: Header=BB203_7 Depth=1
	s_or_b64 exec, exec, s[48:49]
.LBB203_39:                             ;   in Loop: Header=BB203_7 Depth=1
	s_andn2_saveexec_b64 s[6:7], s[46:47]
	s_cbranch_execz .LBB203_48
; %bb.40:                               ;   in Loop: Header=BB203_7 Depth=1
	s_lshl_b32 s16, s66, 2
	v_cmp_gt_i32_e32 vcc, s16, v97
	s_and_saveexec_b64 s[8:9], vcc
	s_cbranch_execz .LBB203_47
; %bb.41:                               ;   in Loop: Header=BB203_7 Depth=1
	s_mul_i32 s10, s44, s23
	s_ashr_i32 s11, s10, 31
	s_waitcnt lgkmcnt(0)
	s_add_u32 s10, s38, s10
	s_addc_u32 s11, s39, s11
	s_ashr_i32 s12, s64, 31
	s_add_u32 s10, s10, s64
	s_addc_u32 s11, s11, s12
	v_lshl_add_u64 v[0:1], s[10:11], 0, v[40:41]
	v_lshl_add_u64 v[16:17], v[0:1], 0, v[38:39]
	s_mov_b64 s[10:11], 0
	s_branch .LBB203_43
.LBB203_42:                             ;   in Loop: Header=BB203_43 Depth=2
	s_or_b64 exec, exec, s[12:13]
	v_lshl_or_b32 v20, v18, 12, v93
	;;#ASMSTART
	s_waitcnt vmcnt(3)
	;;#ASMEND
	ds_write2_b32 v20, v12, v13 offset1:32
	ds_write2_b32 v20, v14, v15 offset0:64 offset1:96
	v_add_u32_e32 v12, 0x400, v20
	;;#ASMSTART
	s_waitcnt vmcnt(2)
	;;#ASMEND
	ds_write2_b32 v12, v8, v9 offset1:32
	ds_write2_b32 v12, v10, v11 offset0:64 offset1:96
	v_add_u32_e32 v8, 0x800, v20
	;; [unrolled: 6-line block ×3, first 2 shown]
	v_add_u32_e32 v97, s26, v97
	;;#ASMSTART
	s_waitcnt vmcnt(0)
	;;#ASMEND
	ds_write2_b32 v4, v0, v1 offset1:32
	ds_write2_b32 v4, v2, v3 offset0:64 offset1:96
	v_add_u32_e32 v0, 1, v82
	v_add_u32_e32 v44, s26, v18
	v_cmp_le_i32_e32 vcc, s16, v97
	ds_write_b32 v19, v0 offset:8
	v_add_u32_e32 v0, 2, v82
	s_or_b64 s[10:11], vcc, s[10:11]
	v_cmp_lt_i32_e32 vcc, 3, v44
	s_nop 1
	v_cndmask_b32_e32 v82, v82, v0, vcc
	s_andn2_b64 exec, exec, s[10:11]
	s_cbranch_execz .LBB203_46
.LBB203_43:                             ;   Parent Loop BB203_7 Depth=1
                                        ; =>  This Loop Header: Depth=2
                                        ;       Child Loop BB203_45 Depth 3
	v_cmp_gt_i32_e32 vcc, 4, v44
	s_nop 1
	v_cndmask_b32_e64 v0, -4, 0, vcc
	v_add_u32_e32 v18, v0, v44
	v_ashrrev_i32_e32 v0, 31, v97
	v_lshrrev_b32_e32 v0, 30, v0
	v_add_u32_e32 v0, v97, v0
	v_and_b32_e32 v1, -4, v0
	v_lshlrev_b32_e32 v0, 6, v0
	v_sub_u32_e32 v2, v97, v1
	v_and_b32_e32 v0, 0xffffff00, v0
	v_ashrrev_i32_e32 v1, 31, v0
	v_mul_lo_u32 v2, s57, v2
	v_lshl_add_u64 v[0:1], v[16:17], 0, v[0:1]
	v_ashrrev_i32_e32 v3, 31, v2
	v_lshl_add_u64 v[0:1], v[0:1], 0, v[2:3]
	v_lshlrev_b32_e32 v19, 2, v18
	;;#ASMSTART
	global_load_dwordx4 v[12:15], v[0:1], off offset:0    sc0 sc1 nt  
	global_load_dwordx4 v[8:11], v[0:1], off offset:64   sc0 sc1 nt  
	global_load_dwordx4 v[4:7], v[0:1], off offset:128  sc0 sc1 nt  
	global_load_dwordx4 v[0:3], v[0:1], off offset:192  sc0 sc1 nt  
	
	;;#ASMEND
	ds_read_b32 v20, v19 offset:24584
	v_add_u32_e32 v19, 0x6000, v19
	s_waitcnt lgkmcnt(0)
	v_cmp_ne_u32_e32 vcc, v20, v82
	s_and_saveexec_b64 s[12:13], vcc
	s_cbranch_execz .LBB203_42
; %bb.44:                               ;   in Loop: Header=BB203_43 Depth=2
	s_mov_b64 s[14:15], 0
.LBB203_45:                             ;   Parent Loop BB203_7 Depth=1
                                        ;     Parent Loop BB203_43 Depth=2
                                        ; =>    This Inner Loop Header: Depth=3
	;;#ASMSTART
	s_sleep 0
	;;#ASMEND
	ds_read_b32 v20, v19 offset:8
	s_waitcnt lgkmcnt(0)
	v_cmp_eq_u32_e32 vcc, v20, v82
	s_or_b64 s[14:15], vcc, s[14:15]
	s_andn2_b64 exec, exec, s[14:15]
	s_cbranch_execnz .LBB203_45
	s_branch .LBB203_42
.LBB203_46:                             ;   in Loop: Header=BB203_7 Depth=1
	s_or_b64 exec, exec, s[10:11]
.LBB203_47:                             ;   in Loop: Header=BB203_7 Depth=1
	s_or_b64 exec, exec, s[8:9]
	v_subrev_u32_e32 v97, s16, v97
.LBB203_48:                             ;   in Loop: Header=BB203_7 Depth=1
	s_or_b64 exec, exec, s[6:7]
.LBB203_49:                             ;   in Loop: Header=BB203_7 Depth=1
	s_andn2_saveexec_b64 s[6:7], s[34:35]
	s_cbranch_execz .LBB203_6
; %bb.50:                               ;   in Loop: Header=BB203_7 Depth=1
	s_lshl_b32 s16, s66, 1
	v_cmp_gt_i32_e32 vcc, s16, v97
	s_and_saveexec_b64 s[8:9], vcc
	s_cbranch_execz .LBB203_5
; %bb.51:                               ;   in Loop: Header=BB203_7 Depth=1
	s_mul_i32 s63, s63, s22
	s_ashr_i32 s10, s63, 31
	s_waitcnt lgkmcnt(0)
	s_add_u32 s11, s36, s63
	v_add_u32_e32 v2, s65, v92
	s_addc_u32 s12, s37, s10
	s_ashr_i32 s13, s64, 31
	v_cmp_gt_u32_e32 vcc, 32, v2
	s_add_u32 s10, s11, s64
	s_addc_u32 s11, s12, s13
	v_cndmask_b32_e32 v0, 0, v94, vcc
	v_ashrrev_i32_e32 v1, 31, v0
	v_lshl_add_u64 v[0:1], s[10:11], 0, v[0:1]
	v_lshl_add_u64 v[16:17], v[0:1], 0, v[38:39]
	v_sub_u32_e32 v18, 31, v2
	s_mov_b64 s[10:11], 0
	s_branch .LBB203_53
.LBB203_52:                             ;   in Loop: Header=BB203_53 Depth=2
	s_or_b64 exec, exec, s[12:13]
	v_lshl_add_u32 v21, v19, 12, v95
	;;#ASMSTART
	s_waitcnt vmcnt(3)
	;;#ASMEND
	ds_write2_b32 v21, v12, v13 offset1:32
	ds_write2_b32 v21, v14, v15 offset0:64 offset1:96
	v_add_u32_e32 v12, 0x400, v21
	;;#ASMSTART
	s_waitcnt vmcnt(2)
	;;#ASMEND
	ds_write2_b32 v12, v8, v9 offset1:32
	ds_write2_b32 v12, v10, v11 offset0:64 offset1:96
	v_add_u32_e32 v8, 0x800, v21
	;;#ASMSTART
	s_waitcnt vmcnt(1)
	;;#ASMEND
	ds_write2_b32 v8, v4, v5 offset1:32
	ds_write2_b32 v8, v6, v7 offset0:64 offset1:96
	v_add_u32_e32 v4, 0xc00, v21
	v_add_u32_e32 v97, s25, v97
	;;#ASMSTART
	s_waitcnt vmcnt(0)
	;;#ASMEND
	ds_write2_b32 v4, v0, v1 offset1:32
	ds_write2_b32 v4, v2, v3 offset0:64 offset1:96
	v_add_u32_e32 v0, 1, v82
	v_add_u32_e32 v44, s25, v19
	v_cmp_le_i32_e32 vcc, s16, v97
	ds_write_b32 v20, v0
	v_add_u32_e32 v0, 2, v82
	s_or_b64 s[10:11], vcc, s[10:11]
	v_cmp_lt_i32_e32 vcc, 1, v44
	s_nop 1
	v_cndmask_b32_e32 v82, v82, v0, vcc
	s_andn2_b64 exec, exec, s[10:11]
	s_cbranch_execz .LBB203_4
.LBB203_53:                             ;   Parent Loop BB203_7 Depth=1
                                        ; =>  This Loop Header: Depth=2
                                        ;       Child Loop BB203_55 Depth 3
	v_cmp_gt_i32_e32 vcc, 2, v44
	s_nop 1
	v_cndmask_b32_e64 v0, -2, 0, vcc
	v_add_u32_e32 v19, v0, v44
	v_lshrrev_b32_e32 v0, 31, v97
	v_add_u32_e32 v0, v97, v0
	v_and_b32_e32 v1, 0xffffffe, v0
	v_sub_u32_e32 v1, v97, v1
	v_lshlrev_b32_e32 v1, 4, v1
	v_cmp_le_i32_e32 vcc, v1, v18
	v_lshlrev_b32_e32 v0, 7, v0
	v_and_b32_e32 v0, 0xffffff00, v0
	v_cndmask_b32_e32 v2, 0, v1, vcc
	v_ashrrev_i32_e32 v1, 31, v0
	v_mul_lo_u32 v2, v2, s22
	v_lshl_add_u64 v[0:1], v[16:17], 0, v[0:1]
	v_ashrrev_i32_e32 v3, 31, v2
	v_lshl_add_u64 v[0:1], v[0:1], 0, v[2:3]
	v_lshlrev_b32_e32 v20, 2, v19
	;;#ASMSTART
	global_load_dwordx4 v[12:15], v[0:1], off offset:0    
	global_load_dwordx4 v[8:11], v[0:1], off offset:64   
	;; [unrolled: 1-line block ×4, first 2 shown]
	
	;;#ASMEND
	ds_read_b32 v21, v20 offset:24576
	v_add_u32_e32 v20, 0x6000, v20
	s_waitcnt lgkmcnt(0)
	v_cmp_ne_u32_e32 vcc, v21, v82
	s_and_saveexec_b64 s[12:13], vcc
	s_cbranch_execz .LBB203_52
; %bb.54:                               ;   in Loop: Header=BB203_53 Depth=2
	s_mov_b64 s[14:15], 0
.LBB203_55:                             ;   Parent Loop BB203_7 Depth=1
                                        ;     Parent Loop BB203_53 Depth=2
                                        ; =>    This Inner Loop Header: Depth=3
	;;#ASMSTART
	s_sleep 0
	;;#ASMEND
	ds_read_b32 v21, v20
	s_waitcnt lgkmcnt(0)
	v_cmp_eq_u32_e32 vcc, v21, v82
	s_or_b64 s[14:15], vcc, s[14:15]
	s_andn2_b64 exec, exec, s[14:15]
	s_cbranch_execnz .LBB203_55
	s_branch .LBB203_52
.LBB203_56:
	s_endpgm
	.section	.rodata,"a",@progbits
	.p2align	6, 0x0
	.amdhsa_kernel _Z19_skinny_gemm_kernelILi2ELi4ELi1ELi16ELi8EEvPKhS1_P6__halfPKfiiiiiiii
		.amdhsa_group_segment_fixed_size 24600
		.amdhsa_private_segment_fixed_size 0
		.amdhsa_kernarg_size 64
		.amdhsa_user_sgpr_count 2
		.amdhsa_user_sgpr_dispatch_ptr 0
		.amdhsa_user_sgpr_queue_ptr 0
		.amdhsa_user_sgpr_kernarg_segment_ptr 1
		.amdhsa_user_sgpr_dispatch_id 0
		.amdhsa_user_sgpr_kernarg_preload_length 0
		.amdhsa_user_sgpr_kernarg_preload_offset 0
		.amdhsa_user_sgpr_private_segment_size 0
		.amdhsa_uses_dynamic_stack 0
		.amdhsa_enable_private_segment 0
		.amdhsa_system_sgpr_workgroup_id_x 1
		.amdhsa_system_sgpr_workgroup_id_y 0
		.amdhsa_system_sgpr_workgroup_id_z 0
		.amdhsa_system_sgpr_workgroup_info 0
		.amdhsa_system_vgpr_workitem_id 0
		.amdhsa_next_free_vgpr 112
		.amdhsa_next_free_sgpr 67
		.amdhsa_accum_offset 112
		.amdhsa_reserve_vcc 1
		.amdhsa_float_round_mode_32 0
		.amdhsa_float_round_mode_16_64 0
		.amdhsa_float_denorm_mode_32 3
		.amdhsa_float_denorm_mode_16_64 3
		.amdhsa_dx10_clamp 1
		.amdhsa_ieee_mode 1
		.amdhsa_fp16_overflow 0
		.amdhsa_tg_split 0
		.amdhsa_exception_fp_ieee_invalid_op 0
		.amdhsa_exception_fp_denorm_src 0
		.amdhsa_exception_fp_ieee_div_zero 0
		.amdhsa_exception_fp_ieee_overflow 0
		.amdhsa_exception_fp_ieee_underflow 0
		.amdhsa_exception_fp_ieee_inexact 0
		.amdhsa_exception_int_div_zero 0
	.end_amdhsa_kernel
	.section	.text._Z19_skinny_gemm_kernelILi2ELi4ELi1ELi16ELi8EEvPKhS1_P6__halfPKfiiiiiiii,"axG",@progbits,_Z19_skinny_gemm_kernelILi2ELi4ELi1ELi16ELi8EEvPKhS1_P6__halfPKfiiiiiiii,comdat
.Lfunc_end203:
	.size	_Z19_skinny_gemm_kernelILi2ELi4ELi1ELi16ELi8EEvPKhS1_P6__halfPKfiiiiiiii, .Lfunc_end203-_Z19_skinny_gemm_kernelILi2ELi4ELi1ELi16ELi8EEvPKhS1_P6__halfPKfiiiiiiii
                                        ; -- End function
	.set _Z19_skinny_gemm_kernelILi2ELi4ELi1ELi16ELi8EEvPKhS1_P6__halfPKfiiiiiiii.num_vgpr, 112
	.set _Z19_skinny_gemm_kernelILi2ELi4ELi1ELi16ELi8EEvPKhS1_P6__halfPKfiiiiiiii.num_agpr, 0
	.set _Z19_skinny_gemm_kernelILi2ELi4ELi1ELi16ELi8EEvPKhS1_P6__halfPKfiiiiiiii.numbered_sgpr, 67
	.set _Z19_skinny_gemm_kernelILi2ELi4ELi1ELi16ELi8EEvPKhS1_P6__halfPKfiiiiiiii.num_named_barrier, 0
	.set _Z19_skinny_gemm_kernelILi2ELi4ELi1ELi16ELi8EEvPKhS1_P6__halfPKfiiiiiiii.private_seg_size, 0
	.set _Z19_skinny_gemm_kernelILi2ELi4ELi1ELi16ELi8EEvPKhS1_P6__halfPKfiiiiiiii.uses_vcc, 1
	.set _Z19_skinny_gemm_kernelILi2ELi4ELi1ELi16ELi8EEvPKhS1_P6__halfPKfiiiiiiii.uses_flat_scratch, 0
	.set _Z19_skinny_gemm_kernelILi2ELi4ELi1ELi16ELi8EEvPKhS1_P6__halfPKfiiiiiiii.has_dyn_sized_stack, 0
	.set _Z19_skinny_gemm_kernelILi2ELi4ELi1ELi16ELi8EEvPKhS1_P6__halfPKfiiiiiiii.has_recursion, 0
	.set _Z19_skinny_gemm_kernelILi2ELi4ELi1ELi16ELi8EEvPKhS1_P6__halfPKfiiiiiiii.has_indirect_call, 0
	.section	.AMDGPU.csdata,"",@progbits
; Kernel info:
; codeLenInByte = 6348
; TotalNumSgprs: 73
; NumVgprs: 112
; NumAgprs: 0
; TotalNumVgprs: 112
; ScratchSize: 0
; MemoryBound: 0
; FloatMode: 240
; IeeeMode: 1
; LDSByteSize: 24600 bytes/workgroup (compile time only)
; SGPRBlocks: 9
; VGPRBlocks: 13
; NumSGPRsForWavesPerEU: 73
; NumVGPRsForWavesPerEU: 112
; AccumOffset: 112
; Occupancy: 4
; WaveLimiterHint : 0
; COMPUTE_PGM_RSRC2:SCRATCH_EN: 0
; COMPUTE_PGM_RSRC2:USER_SGPR: 2
; COMPUTE_PGM_RSRC2:TRAP_HANDLER: 0
; COMPUTE_PGM_RSRC2:TGID_X_EN: 1
; COMPUTE_PGM_RSRC2:TGID_Y_EN: 0
; COMPUTE_PGM_RSRC2:TGID_Z_EN: 0
; COMPUTE_PGM_RSRC2:TIDIG_COMP_CNT: 0
; COMPUTE_PGM_RSRC3_GFX90A:ACCUM_OFFSET: 27
; COMPUTE_PGM_RSRC3_GFX90A:TG_SPLIT: 0
	.section	.text._Z19_skinny_gemm_kernelILi2ELi4ELi1ELi32ELi4EEvPKhS1_P6__halfPKfiiiiiiii,"axG",@progbits,_Z19_skinny_gemm_kernelILi2ELi4ELi1ELi32ELi4EEvPKhS1_P6__halfPKfiiiiiiii,comdat
	.protected	_Z19_skinny_gemm_kernelILi2ELi4ELi1ELi32ELi4EEvPKhS1_P6__halfPKfiiiiiiii ; -- Begin function _Z19_skinny_gemm_kernelILi2ELi4ELi1ELi32ELi4EEvPKhS1_P6__halfPKfiiiiiiii
	.globl	_Z19_skinny_gemm_kernelILi2ELi4ELi1ELi32ELi4EEvPKhS1_P6__halfPKfiiiiiiii
	.p2align	8
	.type	_Z19_skinny_gemm_kernelILi2ELi4ELi1ELi32ELi4EEvPKhS1_P6__halfPKfiiiiiiii,@function
_Z19_skinny_gemm_kernelILi2ELi4ELi1ELi32ELi4EEvPKhS1_P6__halfPKfiiiiiiii: ; @_Z19_skinny_gemm_kernelILi2ELi4ELi1ELi32ELi4EEvPKhS1_P6__halfPKfiiiiiiii
; %bb.0:
	v_cmp_gt_u32_e32 vcc, 6, v0
	s_and_saveexec_b64 s[4:5], vcc
; %bb.1:
	v_lshlrev_b32_e32 v1, 2, v0
	v_mov_b32_e32 v2, 0
	ds_write_b32 v1, v2 offset:12288
; %bb.2:
	s_or_b64 exec, exec, s[4:5]
	s_load_dwordx8 s[20:27], s[0:1], 0x20
	s_waitcnt lgkmcnt(0)
	s_barrier
	s_add_i32 s3, s20, 63
	s_ashr_i32 s5, s3, 31
	s_add_i32 s4, s21, 0x7f
	s_lshr_b32 s5, s5, 26
	s_ashr_i32 s6, s4, 31
	s_add_i32 s3, s3, s5
	s_ashr_i32 s12, s3, 6
	s_lshr_b32 s3, s6, 25
	s_add_i32 s4, s4, s3
	s_ashr_i32 s14, s4, 7
	s_mul_i32 s3, s14, s12
	s_mul_i32 s3, s3, s24
	s_add_i32 s4, s3, 0x12f
	s_mul_hi_i32 s4, s4, 0x6bca1af3
	s_lshr_b32 s5, s4, 31
	s_ashr_i32 s4, s4, 7
	s_add_i32 s4, s4, s5
	s_add_i32 s5, s2, 1
	s_mul_i32 s5, s4, s5
	v_cvt_f64_i32_e32 v[2:3], s3
	v_cvt_f64_u32_e32 v[4:5], s5
	v_min_f64 v[2:3], v[2:3], v[4:5]
	v_cvt_i32_f64_e32 v78, v[2:3]
	s_mul_i32 s33, s4, s2
	v_cmp_ge_i32_e32 vcc, s33, v78
	s_cbranch_vccnz .LBB204_54
; %bb.3:
	s_load_dwordx8 s[72:79], s[0:1], 0x0
	v_lshrrev_b32_e32 v1, 6, v0
	s_add_i32 s0, s26, s25
	v_cmp_le_i32_e64 s[18:19], s0, v1
	v_mov_b32_e32 v2, s25
	v_cmp_le_i32_e64 s[28:29], s25, v1
	v_mov_b32_e32 v3, s26
	v_cndmask_b32_e64 v3, 0, v3, s[18:19]
	v_cndmask_b32_e64 v2, 0, v2, s[28:29]
	s_abs_i32 s1, s24
	v_add_u32_e32 v2, v2, v3
	v_cvt_f32_u32_e32 v3, s1
	v_sub_u32_e32 v72, v1, v2
	s_ashr_i32 s2, s22, 31
	s_lshr_b32 s2, s2, 26
	v_rcp_iflag_f32_e32 v2, v3
	s_sub_i32 s5, 0, s1
	s_add_i32 s2, s22, s2
	s_ashr_i32 s2, s2, 6
	v_mul_f32_e32 v2, 0x4f7ffffe, v2
	v_cvt_u32_f32_e32 v2, v2
	s_abs_i32 s4, s2
	s_xor_b32 s3, s2, s24
	s_ashr_i32 s3, s3, 31
	v_readfirstlane_b32 s6, v2
	s_mul_i32 s5, s5, s6
	s_mul_hi_u32 s5, s6, s5
	s_add_i32 s6, s6, s5
	s_mul_hi_u32 s5, s4, s6
	s_mul_i32 s6, s5, s1
	s_sub_i32 s4, s4, s6
	s_add_i32 s6, s5, 1
	s_sub_i32 s7, s4, s1
	s_cmp_ge_u32 s4, s1
	s_cselect_b32 s5, s6, s5
	s_cselect_b32 s4, s7, s4
	s_add_i32 s6, s5, 1
	s_cmp_ge_u32 s4, s1
	s_cselect_b32 s1, s6, s5
	s_add_i32 s0, s0, s27
	v_and_b32_e32 v80, 31, v0
	v_lshrrev_b32_e32 v2, 3, v0
	v_cmp_gt_i32_e64 s[34:35], s0, v1
	v_lshlrev_b32_e32 v1, 2, v80
	v_and_b32_e32 v3, 4, v2
	v_lshlrev_b32_e32 v2, 6, v3
	v_or_b32_e32 v4, 0x2000, v1
	v_and_b32_e32 v5, 1, v0
	v_or_b32_e32 v81, v4, v2
	v_or_b32_e32 v82, v1, v2
	v_lshlrev_b32_e32 v2, 1, v5
	v_lshrrev_b32_e32 v7, 1, v0
	s_abs_i32 s97, s12
	v_sub_u32_e32 v2, v0, v2
	v_and_b32_e32 v66, 16, v7
	v_cvt_f32_u32_e32 v7, s97
	v_add_u32_e32 v2, 1, v2
	v_and_b32_e32 v6, 63, v2
	v_bitop3_b32 v83, v0, 1, v0 bitop3:0xc
	v_bitop3_b32 v84, v0, 3, 1 bitop3:0x6c
	;; [unrolled: 1-line block ×8, first 2 shown]
	v_and_b32_e32 v2, 30, v0
	v_lshlrev_b32_e32 v0, 4, v0
                                        ; implicit-def: $vgpr127 : SGPR spill to VGPR lane
	v_and_b32_e32 v0, 0x200, v0
	v_writelane_b32 v127, s12, 0
	v_or_b32_e32 v94, v1, v0
	v_rcp_iflag_f32_e32 v1, v7
	v_writelane_b32 v127, s14, 1
	s_waitcnt lgkmcnt(0)
	v_writelane_b32 v127, s72, 2
	s_abs_i32 s98, s14
	v_or_b32_e32 v96, v4, v0
	v_writelane_b32 v127, s73, 3
	v_writelane_b32 v127, s74, 4
	v_mul_f32_e32 v0, 0x4f7ffffe, v1
	v_cvt_f32_u32_e32 v1, s98
	v_writelane_b32 v127, s75, 5
	v_writelane_b32 v127, s76, 6
	;; [unrolled: 1-line block ×4, first 2 shown]
	v_cvt_u32_f32_e32 v0, v0
	v_rcp_iflag_f32_e32 v1, v1
	v_writelane_b32 v127, s79, 9
	v_cndmask_b32_e64 v79, 0, 1, s[18:19]
	s_xor_b32 s1, s1, s3
	v_writelane_b32 v127, s18, 10
	s_sub_i32 s15, s1, s3
	s_add_i32 s30, s24, -1
	v_writelane_b32 v127, s19, 11
	s_mul_i32 s1, s15, s30
	v_writelane_b32 v127, s28, 12
	s_sub_i32 s31, s2, s1
	v_readfirstlane_b32 s1, v0
	v_mul_f32_e32 v0, 0x4f7ffffe, v1
	v_writelane_b32 v127, s29, 13
	v_cvt_u32_f32_e32 v0, v0
	v_writelane_b32 v127, s15, 14
	s_sub_i32 s0, 0, s97
	v_writelane_b32 v127, s30, 15
	s_mul_i32 s0, s0, s1
	v_writelane_b32 v127, s31, 16
	s_mul_hi_u32 s0, s1, s0
	v_writelane_b32 v127, s34, 17
	s_ashr_i32 s36, s12, 31
	s_add_i32 s37, s1, s0
	s_sub_i32 s0, 0, s98
	v_readfirstlane_b32 s1, v0
	v_writelane_b32 v127, s35, 18
	s_mul_i32 s0, s0, s1
	v_mbcnt_lo_u32_b32 v0, -1, 0
	v_writelane_b32 v127, s36, 19
	s_ashr_i32 s38, s14, 31
	s_mul_hi_u32 s0, s1, s0
	v_mbcnt_hi_u32_b32 v0, -1, v0
	v_writelane_b32 v127, s37, 20
	v_mov_b32_e32 v65, 0
	v_mul_lo_u32 v68, s23, v80
	v_or_b32_e32 v97, v5, v3
	s_add_i32 s39, s1, s0
	v_and_or_b32 v0, v0, 64, v6
	v_writelane_b32 v127, s38, 21
	v_ashrrev_i32_e32 v69, 31, v68
	v_mov_b32_e32 v67, v65
	s_lshl_b32 s24, s23, 5
	v_mul_lo_u32 v95, s22, v80
	v_or_b32_e32 v98, 2, v97
	v_lshlrev_b32_e32 v64, 1, v2
	v_lshlrev_b32_e32 v99, 2, v0
	v_mov_b32_e32 v100, v72
	v_writelane_b32 v127, s39, 22
	s_branch .LBB204_7
.LBB204_4:                              ;   in Loop: Header=BB204_7 Depth=1
	s_or_b64 exec, exec, s[4:5]
.LBB204_5:                              ;   in Loop: Header=BB204_7 Depth=1
	s_or_b64 exec, exec, s[2:3]
	v_subrev_u32_e32 v100, s10, v100
.LBB204_6:                              ;   in Loop: Header=BB204_7 Depth=1
	s_or_b64 exec, exec, s[0:1]
	s_add_i32 s33, s33, 1
	v_cmp_ge_i32_e32 vcc, s33, v78
	s_cbranch_vccnz .LBB204_54
.LBB204_7:                              ; =>This Loop Header: Depth=1
                                        ;     Child Loop BB204_13 Depth 2
                                        ;       Child Loop BB204_15 Depth 3
                                        ;       Child Loop BB204_18 Depth 3
	;; [unrolled: 1-line block ×5, first 2 shown]
                                        ;     Child Loop BB204_32 Depth 2
                                        ;     Child Loop BB204_41 Depth 2
                                        ;       Child Loop BB204_43 Depth 3
                                        ;     Child Loop BB204_51 Depth 2
                                        ;       Child Loop BB204_53 Depth 3
	s_abs_i32 s1, s33
	s_mul_hi_u32 s2, s1, s37
	s_mul_i32 s3, s2, s97
	s_ashr_i32 s0, s33, 31
	s_sub_i32 s1, s1, s3
	s_xor_b32 s0, s0, s36
	s_add_i32 s3, s2, 1
	s_sub_i32 s4, s1, s97
	s_cmp_ge_u32 s1, s97
	s_cselect_b32 s2, s3, s2
	s_cselect_b32 s1, s4, s1
	s_add_i32 s3, s2, 1
	s_cmp_ge_u32 s1, s97
	s_cselect_b32 s1, s3, s2
	s_xor_b32 s1, s1, s0
	s_sub_i32 s0, s1, s0
	s_abs_i32 s2, s0
	s_mul_i32 s1, s0, s12
	s_mul_hi_u32 s3, s2, s39
	s_sub_i32 s1, s33, s1
	s_mul_i32 s4, s3, s98
	s_lshl_b32 s99, s1, 6
	s_ashr_i32 s1, s0, 31
	s_sub_i32 s2, s2, s4
	s_xor_b32 s1, s1, s38
	s_add_i32 s4, s3, 1
	s_sub_i32 s5, s2, s98
	s_cmp_ge_u32 s2, s98
	s_cselect_b32 s3, s4, s3
	s_cselect_b32 s2, s5, s2
	s_add_i32 s4, s3, 1
	s_cmp_ge_u32 s2, s98
	s_cselect_b32 s2, s4, s3
	s_xor_b32 s2, s2, s1
	s_sub_i32 s1, s2, s1
	s_mul_i32 s2, s1, s15
	s_lshl_b32 s44, s2, 6
	s_cmp_eq_u32 s1, s30
	s_cselect_b32 s4, s31, s15
	s_sub_i32 s2, s99, s20
	s_add_i32 s2, s2, 64
	s_max_i32 s96, s2, 0
	s_and_saveexec_b64 s[2:3], s[28:29]
	s_xor_b64 s[46:47], exec, s[2:3]
	s_cbranch_execz .LBB204_47
; %bb.8:                                ;   in Loop: Header=BB204_7 Depth=1
	s_mul_i32 s1, s1, s14
	s_sub_i32 s0, s0, s1
	s_lshl_b32 s0, s0, 7
	s_sub_i32 s5, s0, s21
	s_addk_i32 s5, 0x80
	s_max_i32 s1, s5, 0
	s_sub_i32 s0, s0, s1
	s_and_saveexec_b64 s[2:3], s[18:19]
	s_xor_b64 s[2:3], exec, s[2:3]
	s_cbranch_execz .LBB204_37
; %bb.9:                                ;   in Loop: Header=BB204_7 Depth=1
	s_and_saveexec_b64 s[48:49], s[34:35]
	s_cbranch_execz .LBB204_36
; %bb.10:                               ;   in Loop: Header=BB204_7 Depth=1
	global_load_dword v101, v65, s[78:79]
	v_mov_b32_e32 v63, 0
	v_cmp_gt_i32_e32 vcc, s4, v100
	v_mov_b32_e32 v62, v63
	v_mov_b32_e32 v61, v63
	;; [unrolled: 1-line block ×63, first 2 shown]
	s_and_saveexec_b64 s[6:7], vcc
	s_cbranch_execz .LBB204_29
; %bb.11:                               ;   in Loop: Header=BB204_7 Depth=1
	v_mov_b32_e32 v0, 0
	s_mov_b64 s[8:9], 0
	v_mov_b32_e32 v1, v0
	v_mov_b32_e32 v2, v0
	;; [unrolled: 1-line block ×63, first 2 shown]
	s_branch .LBB204_13
.LBB204_12:                             ;   in Loop: Header=BB204_13 Depth=2
	s_or_b64 exec, exec, s[10:11]
	v_add_u32_e32 v108, 0x1800, v105
	ds_read2_b32 v[106:107], v108 offset1:32
	v_add_u32_e32 v100, s27, v100
	s_waitcnt lgkmcnt(0)
	v_mfma_f32_32x32x16_fp8_fp8 v[0:15], v[76:77], v[106:107], v[0:15]
	ds_read2_b32 v[76:77], v108 offset0:128 offset1:160
	s_waitcnt lgkmcnt(0)
	v_mfma_f32_32x32x16_fp8_fp8 v[0:15], v[74:75], v[76:77], v[0:15]
	v_add_u32_e32 v76, 0x1c00, v105
	ds_read2_b32 v[74:75], v76 offset1:32
	ds_read2_b32 v[76:77], v76 offset0:128 offset1:160
	ds_write_b32 v103, v104 offset:12316
	s_waitcnt lgkmcnt(2)
	v_mfma_f32_32x32x16_fp8_fp8 v[0:15], v[72:73], v[74:75], v[0:15]
	v_add_u32_e32 v72, s27, v102
	v_add_u32_e32 v73, 2, v79
	v_cmp_lt_i32_e32 vcc, 0, v72
	s_nop 1
	v_cndmask_b32_e32 v79, v79, v73, vcc
	v_cmp_le_i32_e32 vcc, s4, v100
	s_waitcnt lgkmcnt(1)
	v_mfma_f32_32x32x16_fp8_fp8 v[0:15], v[70:71], v[76:77], v[0:15]
	s_or_b64 s[8:9], vcc, s[8:9]
	s_andn2_b64 exec, exec, s[8:9]
	s_cbranch_execz .LBB204_28
.LBB204_13:                             ;   Parent Loop BB204_7 Depth=1
                                        ; =>  This Loop Header: Depth=2
                                        ;       Child Loop BB204_15 Depth 3
                                        ;       Child Loop BB204_18 Depth 3
	;; [unrolled: 1-line block ×5, first 2 shown]
	v_cmp_lt_i32_e32 vcc, 0, v72
	s_nop 1
	v_subbrev_co_u32_e32 v102, vcc, 0, v72, vcc
	v_lshlrev_b32_e32 v103, 5, v102
	ds_read_b32 v70, v103 offset:12288
	s_waitcnt lgkmcnt(0)
	v_cmp_ne_u32_e32 vcc, v70, v79
	s_and_saveexec_b64 s[10:11], vcc
	s_cbranch_execz .LBB204_16
; %bb.14:                               ;   in Loop: Header=BB204_13 Depth=2
	s_mov_b64 s[12:13], 0
.LBB204_15:                             ;   Parent Loop BB204_7 Depth=1
                                        ;     Parent Loop BB204_13 Depth=2
                                        ; =>    This Inner Loop Header: Depth=3
	;;#ASMSTART
	s_sleep 0
	;;#ASMEND
	ds_read_b32 v70, v103 offset:12288
	s_waitcnt lgkmcnt(0)
	v_cmp_eq_u32_e32 vcc, v70, v79
	s_or_b64 s[12:13], vcc, s[12:13]
	s_andn2_b64 exec, exec, s[12:13]
	s_cbranch_execnz .LBB204_15
.LBB204_16:                             ;   in Loop: Header=BB204_13 Depth=2
	s_or_b64 exec, exec, s[10:11]
	v_lshl_add_u32 v70, v102, 11, v81
	ds_read2_b32 v[76:77], v70 offset1:32
	ds_read2_b32 v[74:75], v70 offset0:128 offset1:160
	v_add_u32_e32 v70, 0x400, v70
	ds_read2_b32 v[72:73], v70 offset1:32
	ds_read_b32 v105, v103 offset:12292
	ds_read2_b32 v[70:71], v70 offset0:128 offset1:160
	v_add_u32_e32 v104, 1, v79
	ds_write_b32 v103, v104 offset:12288
	s_waitcnt lgkmcnt(2)
	v_cmp_ne_u32_e32 vcc, v105, v79
	s_and_saveexec_b64 s[10:11], vcc
	s_cbranch_execz .LBB204_19
; %bb.17:                               ;   in Loop: Header=BB204_13 Depth=2
	s_mov_b64 s[12:13], 0
.LBB204_18:                             ;   Parent Loop BB204_7 Depth=1
                                        ;     Parent Loop BB204_13 Depth=2
                                        ; =>    This Inner Loop Header: Depth=3
	;;#ASMSTART
	s_sleep 0
	;;#ASMEND
	ds_read_b32 v105, v103 offset:12292
	s_waitcnt lgkmcnt(0)
	v_cmp_eq_u32_e32 vcc, v105, v79
	s_or_b64 s[12:13], vcc, s[12:13]
	s_andn2_b64 exec, exec, s[12:13]
	s_cbranch_execnz .LBB204_18
.LBB204_19:                             ;   in Loop: Header=BB204_13 Depth=2
	s_or_b64 exec, exec, s[10:11]
	v_lshlrev_b32_e32 v105, 13, v102
	v_or_b32_e32 v108, v82, v105
	ds_read2_b32 v[106:107], v108 offset1:32
	ds_write_b32 v103, v104 offset:12292
	s_waitcnt lgkmcnt(1)
	v_mfma_f32_32x32x16_fp8_fp8 v[48:63], v[76:77], v[106:107], v[48:63]
	ds_read2_b32 v[106:107], v108 offset0:128 offset1:160
	v_add_u32_e32 v108, 0x400, v108
	s_waitcnt lgkmcnt(0)
	v_mfma_f32_32x32x16_fp8_fp8 v[48:63], v[74:75], v[106:107], v[48:63]
	ds_read2_b32 v[106:107], v108 offset1:32
	s_waitcnt lgkmcnt(0)
	v_mfma_f32_32x32x16_fp8_fp8 v[48:63], v[72:73], v[106:107], v[48:63]
	ds_read2_b32 v[106:107], v108 offset0:128 offset1:160
	ds_read_b32 v108, v103 offset:12300
	s_waitcnt lgkmcnt(0)
	v_cmp_ne_u32_e32 vcc, v108, v79
	v_mfma_f32_32x32x16_fp8_fp8 v[48:63], v[70:71], v[106:107], v[48:63]
	s_and_saveexec_b64 s[10:11], vcc
	s_cbranch_execz .LBB204_22
; %bb.20:                               ;   in Loop: Header=BB204_13 Depth=2
	s_mov_b64 s[12:13], 0
.LBB204_21:                             ;   Parent Loop BB204_7 Depth=1
                                        ;     Parent Loop BB204_13 Depth=2
                                        ; =>    This Inner Loop Header: Depth=3
	;;#ASMSTART
	s_sleep 0
	;;#ASMEND
	ds_read_b32 v106, v103 offset:12300
	s_waitcnt lgkmcnt(0)
	v_cmp_eq_u32_e32 vcc, v106, v79
	s_or_b64 s[12:13], vcc, s[12:13]
	s_andn2_b64 exec, exec, s[12:13]
	s_cbranch_execnz .LBB204_21
.LBB204_22:                             ;   in Loop: Header=BB204_13 Depth=2
	s_or_b64 exec, exec, s[10:11]
	v_add_u32_e32 v105, v82, v105
	v_add_u32_e32 v108, 0x800, v105
	ds_read2_b32 v[106:107], v108 offset1:32
	ds_write_b32 v103, v104 offset:12300
	s_waitcnt lgkmcnt(1)
	v_mfma_f32_32x32x16_fp8_fp8 v[32:47], v[76:77], v[106:107], v[32:47]
	ds_read2_b32 v[106:107], v108 offset0:128 offset1:160
	v_add_u32_e32 v108, 0xc00, v105
	s_waitcnt lgkmcnt(0)
	v_mfma_f32_32x32x16_fp8_fp8 v[32:47], v[74:75], v[106:107], v[32:47]
	ds_read2_b32 v[106:107], v108 offset1:32
	s_waitcnt lgkmcnt(0)
	v_mfma_f32_32x32x16_fp8_fp8 v[32:47], v[72:73], v[106:107], v[32:47]
	ds_read2_b32 v[106:107], v108 offset0:128 offset1:160
	ds_read_b32 v108, v103 offset:12308
	s_waitcnt lgkmcnt(0)
	v_cmp_ne_u32_e32 vcc, v108, v79
	v_mfma_f32_32x32x16_fp8_fp8 v[32:47], v[70:71], v[106:107], v[32:47]
	s_and_saveexec_b64 s[10:11], vcc
	s_cbranch_execz .LBB204_25
; %bb.23:                               ;   in Loop: Header=BB204_13 Depth=2
	s_mov_b64 s[12:13], 0
.LBB204_24:                             ;   Parent Loop BB204_7 Depth=1
                                        ;     Parent Loop BB204_13 Depth=2
                                        ; =>    This Inner Loop Header: Depth=3
	;;#ASMSTART
	s_sleep 0
	;;#ASMEND
	ds_read_b32 v106, v103 offset:12308
	s_waitcnt lgkmcnt(0)
	v_cmp_eq_u32_e32 vcc, v106, v79
	s_or_b64 s[12:13], vcc, s[12:13]
	s_andn2_b64 exec, exec, s[12:13]
	s_cbranch_execnz .LBB204_24
.LBB204_25:                             ;   in Loop: Header=BB204_13 Depth=2
	s_or_b64 exec, exec, s[10:11]
	v_add_u32_e32 v108, 0x1000, v105
	ds_read2_b32 v[106:107], v108 offset1:32
	s_waitcnt lgkmcnt(0)
	v_mfma_f32_32x32x16_fp8_fp8 v[16:31], v[76:77], v[106:107], v[16:31]
	ds_read2_b32 v[106:107], v108 offset0:128 offset1:160
	v_add_u32_e32 v108, 0x1400, v105
	s_waitcnt lgkmcnt(0)
	v_mfma_f32_32x32x16_fp8_fp8 v[16:31], v[74:75], v[106:107], v[16:31]
	ds_read2_b32 v[106:107], v108 offset1:32
	s_waitcnt lgkmcnt(0)
	v_mfma_f32_32x32x16_fp8_fp8 v[16:31], v[72:73], v[106:107], v[16:31]
	ds_read_b32 v109, v103 offset:12316
	ds_read2_b32 v[106:107], v108 offset0:128 offset1:160
	ds_write_b32 v103, v104 offset:12308
	s_waitcnt lgkmcnt(2)
	v_cmp_ne_u32_e32 vcc, v109, v79
	s_waitcnt lgkmcnt(1)
	v_mfma_f32_32x32x16_fp8_fp8 v[16:31], v[70:71], v[106:107], v[16:31]
	s_and_saveexec_b64 s[10:11], vcc
	s_cbranch_execz .LBB204_12
; %bb.26:                               ;   in Loop: Header=BB204_13 Depth=2
	s_mov_b64 s[12:13], 0
.LBB204_27:                             ;   Parent Loop BB204_7 Depth=1
                                        ;     Parent Loop BB204_13 Depth=2
                                        ; =>    This Inner Loop Header: Depth=3
	;;#ASMSTART
	s_sleep 0
	;;#ASMEND
	ds_read_b32 v106, v103 offset:12316
	s_waitcnt lgkmcnt(0)
	v_cmp_eq_u32_e32 vcc, v106, v79
	s_or_b64 s[12:13], vcc, s[12:13]
	s_andn2_b64 exec, exec, s[12:13]
	s_cbranch_execnz .LBB204_27
	s_branch .LBB204_12
.LBB204_28:                             ;   in Loop: Header=BB204_7 Depth=1
	s_or_b64 exec, exec, s[8:9]
.LBB204_29:                             ;   in Loop: Header=BB204_7 Depth=1
	v_writelane_b32 v127, s48, 23
	s_nop 1
	v_writelane_b32 v127, s49, 24
	v_writelane_b32 v127, s46, 25
	s_nop 1
	v_writelane_b32 v127, s47, 26
	v_writelane_b32 v127, s44, 27
	s_or_b64 exec, exec, s[6:7]
	v_cmp_le_i32_e32 vcc, s5, v80
	v_cmp_eq_u32_e64 s[64:65], 1, v83
	v_cmp_eq_u32_e64 s[30:31], 2, v83
	s_waitcnt vmcnt(0)
	v_cndmask_b32_e32 v70, 0, v101, vcc
	v_pk_mul_f32 v[48:49], v[70:71], v[48:49] op_sel_hi:[0,1]
	v_pk_mul_f32 v[62:63], v[70:71], v[62:63] op_sel_hi:[0,1]
	;; [unrolled: 1-line block ×8, first 2 shown]
	v_cndmask_b32_e64 v70, v48, v49, s[64:65]
	v_cndmask_b32_e64 v70, v70, v50, s[30:31]
	v_cmp_eq_u32_e64 s[40:41], 3, v83
	v_cmp_eq_u32_e64 s[42:43], 4, v83
	v_cmp_eq_u32_e64 s[44:45], 5, v83
	v_cndmask_b32_e64 v70, v70, v51, s[40:41]
	v_cndmask_b32_e64 v70, v70, v52, s[42:43]
	v_cndmask_b32_e64 v70, v70, v53, s[44:45]
	v_cmp_eq_u32_e64 s[46:47], 6, v83
	v_cmp_eq_u32_e64 s[48:49], 7, v83
	v_cmp_eq_u32_e64 s[50:51], 8, v83
	v_cndmask_b32_e64 v70, v70, v54, s[46:47]
	v_cndmask_b32_e64 v70, v70, v55, s[48:49]
	v_cndmask_b32_e64 v70, v70, v56, s[50:51]
	v_cmp_eq_u32_e64 s[52:53], 9, v83
	v_cmp_eq_u32_e64 s[54:55], 10, v83
	v_cmp_eq_u32_e64 s[56:57], 11, v83
	v_cndmask_b32_e64 v70, v70, v57, s[52:53]
	v_cndmask_b32_e64 v70, v70, v58, s[54:55]
	v_cndmask_b32_e64 v70, v70, v59, s[56:57]
	v_cmp_eq_u32_e64 s[58:59], 12, v83
	v_cmp_eq_u32_e64 s[60:61], 13, v83
	v_cmp_eq_u32_e64 s[62:63], 14, v83
	v_cndmask_b32_e64 v70, v70, v60, s[58:59]
	v_cndmask_b32_e64 v70, v70, v61, s[60:61]
	v_cndmask_b32_e64 v70, v70, v62, s[62:63]
	v_cmp_eq_u32_e64 s[66:67], 15, v83
	s_mul_i32 s6, s99, s21
	s_ashr_i32 s7, s6, 31
	v_cndmask_b32_e64 v70, v70, v63, s[66:67]
	ds_bpermute_b32 v70, v99, v70
	s_lshl_b64 s[6:7], s[6:7], 1
	v_cmp_eq_u32_e64 s[36:37], 0, v83
	s_add_u32 s70, s76, s6
	v_cmp_eq_u32_e32 vcc, 1, v84
	s_waitcnt lgkmcnt(0)
	v_cndmask_b32_e64 v63, v63, v70, s[66:67]
	v_cndmask_b32_e64 v62, v62, v70, s[62:63]
	;; [unrolled: 1-line block ×16, first 2 shown]
	s_addc_u32 s71, s77, s7
	v_cndmask_b32_e32 v48, v70, v103, vcc
	v_cmp_eq_u32_e64 s[6:7], 2, v84
	v_cmp_eq_u32_e64 s[8:9], 3, v84
	v_cmp_eq_u32_e64 s[10:11], 4, v84
	v_cndmask_b32_e64 v48, v48, v102, s[6:7]
	v_cndmask_b32_e64 v48, v48, v77, s[8:9]
	v_cndmask_b32_e64 v48, v48, v76, s[10:11]
	v_cmp_eq_u32_e64 s[12:13], 5, v84
	v_cmp_eq_u32_e64 s[14:15], 6, v84
	v_cmp_eq_u32_e64 s[16:17], 7, v84
	v_cndmask_b32_e64 v48, v48, v75, s[12:13]
	v_cndmask_b32_e64 v48, v48, v74, s[14:15]
	v_cndmask_b32_e64 v48, v48, v73, s[16:17]
	;; [unrolled: 6-line block ×4, first 2 shown]
	v_cmp_eq_u32_e64 s[34:35], 14, v84
	v_cmp_eq_u32_e64 s[38:39], 15, v84
	s_ashr_i32 s1, s0, 31
	v_cndmask_b32_e64 v48, v48, v62, s[34:35]
	v_cndmask_b32_e64 v48, v48, v63, s[38:39]
	ds_bpermute_b32 v71, v99, v48
	s_lshl_b64 s[68:69], s[0:1], 1
	s_add_u32 s68, s70, s68
	s_addc_u32 s69, s71, s69
	v_writelane_b32 v127, s68, 28
	v_or_b32_e32 v48, 32, v80
	s_waitcnt lgkmcnt(0)
	v_cndmask_b32_e64 v55, v57, v71, s[76:77]
	v_writelane_b32 v127, s69, 29
	v_cndmask_b32_e64 v57, v73, v71, s[16:17]
	v_cmp_le_i32_e64 s[68:69], s5, v48
	v_or_b32_e32 v73, 64, v80
	v_cndmask_b32_e64 v49, v63, v71, s[38:39]
	v_cndmask_b32_e64 v48, 0, v101, s[68:69]
	v_cmp_le_i32_e64 s[68:69], s5, v73
	v_or_b32_e32 v73, 0x60, v80
	v_cndmask_b32_e64 v54, v58, v71, s[78:79]
	v_cndmask_b32_e64 v58, v74, v71, s[14:15]
	v_cndmask_b32_e64 v74, 0, v101, s[68:69]
	v_cmp_le_i32_e64 s[70:71], s5, v73
	v_cmp_eq_u32_e64 s[68:69], 0, v84
	v_pk_mul_f32 v[32:33], v[48:49], v[32:33] op_sel_hi:[0,1]
	v_pk_mul_f32 v[30:31], v[74:75], v[30:31] op_sel_hi:[0,1]
	;; [unrolled: 1-line block ×9, first 2 shown]
	v_cndmask_b32_e64 v74, 0, v101, s[70:71]
	v_cndmask_b32_e64 v50, v62, v71, s[34:35]
	;; [unrolled: 1-line block ×10, first 2 shown]
	v_cndmask_b32_e32 v63, v103, v71, vcc
	v_cndmask_b32_e64 v70, v70, v71, s[68:69]
	v_pk_mul_f32 v[46:47], v[48:49], v[46:47] op_sel_hi:[0,1]
	v_pk_mul_f32 v[44:45], v[48:49], v[44:45] op_sel_hi:[0,1]
	;; [unrolled: 1-line block ×7, first 2 shown]
	v_cndmask_b32_e64 v48, v32, v33, s[64:65]
	v_cndmask_b32_e64 v71, v16, v17, s[64:65]
	v_pk_mul_f32 v[0:1], v[74:75], v[0:1] op_sel_hi:[0,1]
	v_cndmask_b32_e64 v48, v48, v34, s[30:31]
	v_cndmask_b32_e64 v71, v71, v18, s[30:31]
	v_pk_mul_f32 v[14:15], v[74:75], v[14:15] op_sel_hi:[0,1]
	v_pk_mul_f32 v[12:13], v[74:75], v[12:13] op_sel_hi:[0,1]
	;; [unrolled: 1-line block ×7, first 2 shown]
	v_cndmask_b32_e64 v74, v0, v1, s[64:65]
	v_cndmask_b32_e64 v48, v48, v35, s[40:41]
	;; [unrolled: 1-line block ×40, first 2 shown]
	ds_bpermute_b32 v48, v99, v48
	ds_bpermute_b32 v71, v99, v71
	v_cndmask_b32_e64 v74, v74, v15, s[66:67]
	ds_bpermute_b32 v74, v99, v74
	v_cmp_eq_u32_e64 s[70:71], 1, v85
	s_waitcnt lgkmcnt(2)
	v_cndmask_b32_e64 v33, v33, v48, s[64:65]
	s_waitcnt lgkmcnt(1)
	v_cndmask_b32_e64 v17, v17, v71, s[64:65]
	v_cndmask_b32_e64 v73, v70, v63, s[70:71]
	v_cmp_eq_u32_e64 s[64:65], 2, v85
	v_cndmask_b32_e64 v47, v47, v48, s[66:67]
	v_cndmask_b32_e64 v31, v31, v71, s[66:67]
	;; [unrolled: 1-line block ×3, first 2 shown]
	s_waitcnt lgkmcnt(0)
	v_cndmask_b32_e64 v15, v15, v74, s[66:67]
	v_cmp_eq_u32_e64 s[66:67], 3, v85
	v_cndmask_b32_e64 v46, v46, v48, s[62:63]
	v_cndmask_b32_e64 v30, v30, v71, s[62:63]
	v_cndmask_b32_e64 v73, v73, v61, s[66:67]
	v_cndmask_b32_e64 v14, v14, v74, s[62:63]
	v_cmp_eq_u32_e64 s[62:63], 4, v85
	v_cndmask_b32_e64 v45, v45, v48, s[60:61]
	v_cndmask_b32_e64 v29, v29, v71, s[60:61]
	v_cndmask_b32_e64 v73, v73, v60, s[62:63]
	;; [unrolled: 5-line block ×4, first 2 shown]
	v_cndmask_b32_e64 v11, v11, v74, s[56:57]
	v_cmp_eq_u32_e64 s[56:57], 7, v85
	v_cmp_eq_u32_e64 s[72:73], 8, v85
	v_cndmask_b32_e64 v41, v41, v48, s[52:53]
	v_cndmask_b32_e64 v73, v73, v57, s[56:57]
	;; [unrolled: 1-line block ×5, first 2 shown]
	v_cmp_eq_u32_e64 s[52:53], 9, v85
	v_cndmask_b32_e64 v40, v40, v48, s[50:51]
	v_cndmask_b32_e64 v24, v24, v71, s[50:51]
	v_cndmask_b32_e64 v73, v73, v55, s[52:53]
	v_cndmask_b32_e64 v8, v8, v74, s[50:51]
	v_cmp_eq_u32_e64 s[50:51], 10, v85
	v_cndmask_b32_e64 v42, v42, v48, s[54:55]
	v_cndmask_b32_e64 v26, v26, v71, s[54:55]
	v_cndmask_b32_e64 v10, v10, v74, s[54:55]
	v_cndmask_b32_e64 v73, v73, v54, s[50:51]
	v_cmp_eq_u32_e64 s[54:55], 11, v85
	v_cndmask_b32_e64 v39, v39, v48, s[48:49]
	v_cndmask_b32_e64 v23, v23, v71, s[48:49]
	v_cndmask_b32_e64 v7, v7, v74, s[48:49]
	v_cndmask_b32_e64 v73, v73, v53, s[54:55]
	v_cmp_eq_u32_e64 s[48:49], 12, v85
	v_cmp_eq_u32_e64 s[74:75], 13, v85
	v_cndmask_b32_e64 v36, v36, v48, s[42:43]
	v_cndmask_b32_e64 v73, v73, v52, s[48:49]
	;; [unrolled: 1-line block ×5, first 2 shown]
	v_cmp_eq_u32_e64 s[42:43], 14, v85
	v_cndmask_b32_e64 v37, v37, v48, s[44:45]
	v_cndmask_b32_e64 v21, v21, v71, s[44:45]
	;; [unrolled: 1-line block ×4, first 2 shown]
	v_cmp_eq_u32_e64 s[44:45], 15, v85
	v_cndmask_b32_e64 v34, v34, v48, s[30:31]
	v_cndmask_b32_e64 v18, v18, v71, s[30:31]
	;; [unrolled: 1-line block ×3, first 2 shown]
	ds_bpermute_b32 v73, v99, v73
	v_cndmask_b32_e64 v2, v2, v74, s[30:31]
	v_cmp_ne_u32_e64 s[30:31], 0, v83
	v_cndmask_b32_e64 v32, v32, v48, s[36:37]
	v_cndmask_b32_e64 v38, v38, v48, s[46:47]
	;; [unrolled: 1-line block ×6, first 2 shown]
	v_cmp_eq_u32_e64 s[40:41], 0, v85
	v_cndmask_b32_e32 v48, v32, v33, vcc
	v_cndmask_b32_e64 v0, v0, v74, s[36:37]
	s_waitcnt lgkmcnt(0)
	v_cndmask_b32_e64 v49, v49, v73, s[44:45]
	v_cndmask_b32_e64 v50, v50, v73, s[42:43]
	;; [unrolled: 1-line block ×17, first 2 shown]
	v_cndmask_b32_e32 v73, v0, v1, vcc
	v_cndmask_b32_e64 v48, v48, v35, s[8:9]
	v_cndmask_b32_e64 v73, v73, v2, s[6:7]
	;; [unrolled: 1-line block ×22, first 2 shown]
	v_cndmask_b32_e32 v71, v16, v17, vcc
	v_cndmask_b32_e64 v73, v73, v11, s[80:81]
	v_cndmask_b32_e64 v48, v48, v45, s[28:29]
	;; [unrolled: 1-line block ×10, first 2 shown]
	ds_bpermute_b32 v48, v99, v48
	v_cndmask_b32_e64 v71, v71, v21, s[12:13]
	v_cndmask_b32_e64 v73, v73, v15, s[38:39]
	v_cndmask_b32_e64 v71, v71, v22, s[14:15]
	ds_bpermute_b32 v73, v99, v73
	v_cndmask_b32_e64 v71, v71, v23, s[16:17]
	v_cndmask_b32_e64 v71, v71, v24, s[18:19]
	;; [unrolled: 1-line block ×4, first 2 shown]
	s_waitcnt lgkmcnt(1)
	v_cndmask_b32_e32 v33, v33, v48, vcc
	v_cndmask_b32_e64 v32, v32, v48, s[68:69]
	v_cndmask_b32_e64 v71, v71, v27, s[80:81]
	;; [unrolled: 1-line block ×16, first 2 shown]
	s_waitcnt lgkmcnt(0)
	v_cndmask_b32_e32 v1, v1, v73, vcc
	v_cndmask_b32_e64 v48, v32, v33, s[70:71]
	v_cndmask_b32_e64 v0, v0, v73, s[68:69]
	v_cndmask_b32_e64 v71, v71, v28, s[82:83]
	v_cndmask_b32_e64 v15, v15, v73, s[38:39]
	v_cndmask_b32_e64 v14, v14, v73, s[34:35]
	v_cndmask_b32_e64 v13, v13, v73, s[28:29]
	v_cndmask_b32_e64 v12, v12, v73, s[82:83]
	v_cndmask_b32_e64 v11, v11, v73, s[80:81]
	v_cndmask_b32_e64 v10, v10, v73, s[78:79]
	v_cndmask_b32_e64 v9, v9, v73, s[76:77]
	v_cndmask_b32_e64 v8, v8, v73, s[18:19]
	v_cndmask_b32_e64 v7, v7, v73, s[16:17]
	v_cndmask_b32_e64 v6, v6, v73, s[14:15]
	v_cndmask_b32_e64 v5, v5, v73, s[12:13]
	v_cndmask_b32_e64 v4, v4, v73, s[10:11]
	v_cndmask_b32_e64 v3, v3, v73, s[8:9]
	v_cndmask_b32_e64 v2, v2, v73, s[6:7]
	v_cndmask_b32_e64 v48, v48, v34, s[64:65]
	v_cndmask_b32_e64 v73, v0, v1, s[70:71]
	v_cndmask_b32_e64 v71, v71, v29, s[28:29]
	v_cndmask_b32_e64 v48, v48, v35, s[66:67]
	v_cndmask_b32_e64 v73, v73, v2, s[64:65]
	v_cndmask_b32_e64 v71, v71, v30, s[34:35]
	v_cndmask_b32_e64 v48, v48, v36, s[62:63]
	v_cndmask_b32_e64 v73, v73, v3, s[66:67]
	v_cndmask_b32_e64 v71, v71, v31, s[38:39]
	v_cndmask_b32_e64 v48, v48, v37, s[60:61]
	v_cndmask_b32_e64 v73, v73, v4, s[62:63]
	ds_bpermute_b32 v71, v99, v71
	v_cndmask_b32_e64 v48, v48, v38, s[58:59]
	v_cndmask_b32_e64 v73, v73, v5, s[60:61]
	;; [unrolled: 1-line block ×8, first 2 shown]
	v_cmp_eq_u32_e64 s[30:31], 1, v86
	v_cndmask_b32_e64 v48, v48, v42, s[50:51]
	v_cndmask_b32_e64 v73, v73, v9, s[52:53]
	;; [unrolled: 1-line block ×3, first 2 shown]
	v_cmp_eq_u32_e64 s[36:37], 2, v86
	s_waitcnt lgkmcnt(0)
	v_cndmask_b32_e32 v17, v17, v71, vcc
	v_cndmask_b32_e64 v48, v48, v43, s[54:55]
	v_cndmask_b32_e64 v16, v16, v71, s[68:69]
	;; [unrolled: 1-line block ×6, first 2 shown]
	v_cmp_eq_u32_e64 s[38:39], 3, v86
	v_cndmask_b32_e64 v29, v29, v71, s[28:29]
	v_cndmask_b32_e64 v28, v28, v71, s[82:83]
	;; [unrolled: 1-line block ×16, first 2 shown]
	v_cmp_eq_u32_e64 s[28:29], 4, v86
	v_cndmask_b32_e64 v48, v48, v45, s[74:75]
	v_cndmask_b32_e64 v71, v71, v18, s[64:65]
	v_cndmask_b32_e64 v73, v73, v12, s[48:49]
	v_cndmask_b32_e64 v74, v74, v60, s[28:29]
	v_cmp_eq_u32_e64 s[84:85], 5, v86
	v_cndmask_b32_e64 v48, v48, v46, s[42:43]
	v_cndmask_b32_e64 v71, v71, v19, s[66:67]
	v_cndmask_b32_e64 v73, v73, v13, s[74:75]
	v_cndmask_b32_e64 v74, v74, v59, s[84:85]
	;; [unrolled: 5-line block ×3, first 2 shown]
	v_cmp_eq_u32_e64 s[88:89], 7, v86
	ds_bpermute_b32 v48, v99, v48
	v_cndmask_b32_e64 v71, v71, v21, s[60:61]
	v_cndmask_b32_e64 v73, v73, v15, s[44:45]
	;; [unrolled: 1-line block ×3, first 2 shown]
	v_cmp_eq_u32_e64 s[92:93], 8, v86
	v_cndmask_b32_e64 v71, v71, v22, s[58:59]
	ds_bpermute_b32 v73, v99, v73
	v_cndmask_b32_e64 v74, v74, v56, s[92:93]
	v_cmp_eq_u32_e64 s[18:19], 9, v86
	v_cndmask_b32_e64 v71, v71, v23, s[56:57]
	v_cmp_eq_u32_e64 s[16:17], 10, v86
	v_cndmask_b32_e64 v74, v74, v55, s[18:19]
	v_cndmask_b32_e64 v71, v71, v24, s[72:73]
	;; [unrolled: 1-line block ×3, first 2 shown]
	v_cmp_eq_u32_e64 s[14:15], 11, v86
	v_cndmask_b32_e64 v71, v71, v25, s[52:53]
	v_cmp_eq_u32_e64 s[12:13], 12, v86
	v_cndmask_b32_e64 v74, v74, v53, s[14:15]
	v_cndmask_b32_e64 v71, v71, v26, s[50:51]
	s_waitcnt lgkmcnt(1)
	v_cndmask_b32_e64 v33, v33, v48, s[70:71]
	v_cndmask_b32_e64 v32, v32, v48, s[40:41]
	;; [unrolled: 1-line block ×3, first 2 shown]
	v_cmp_eq_u32_e64 s[76:77], 13, v86
	v_cndmask_b32_e64 v71, v71, v27, s[54:55]
	v_cndmask_b32_e64 v47, v47, v48, s[44:45]
	;; [unrolled: 1-line block ×15, first 2 shown]
	s_waitcnt lgkmcnt(0)
	v_cndmask_b32_e64 v1, v1, v73, s[70:71]
	v_cndmask_b32_e64 v48, v32, v33, s[30:31]
	;; [unrolled: 1-line block ×4, first 2 shown]
	v_cmp_eq_u32_e64 s[10:11], 14, v86
	v_cndmask_b32_e64 v71, v71, v28, s[48:49]
	v_cndmask_b32_e64 v15, v15, v73, s[44:45]
	;; [unrolled: 1-line block ×18, first 2 shown]
	v_cmp_eq_u32_e64 s[6:7], 15, v86
	v_cndmask_b32_e64 v71, v71, v29, s[74:75]
	v_cndmask_b32_e64 v48, v48, v35, s[38:39]
	;; [unrolled: 1-line block ×7, first 2 shown]
	ds_bpermute_b32 v74, v99, v74
	v_cndmask_b32_e64 v71, v71, v31, s[44:45]
	v_cndmask_b32_e64 v48, v48, v37, s[84:85]
	;; [unrolled: 1-line block ×3, first 2 shown]
	ds_bpermute_b32 v71, v99, v71
	v_cndmask_b32_e64 v48, v48, v38, s[80:81]
	v_cndmask_b32_e64 v73, v73, v5, s[84:85]
	;; [unrolled: 1-line block ×6, first 2 shown]
	v_cmp_eq_u32_e64 s[8:9], 0, v86
	v_cndmask_b32_e64 v48, v48, v41, s[18:19]
	v_cndmask_b32_e64 v73, v73, v8, s[92:93]
	s_waitcnt lgkmcnt(1)
	v_cndmask_b32_e64 v63, v63, v74, s[30:31]
	v_cndmask_b32_e64 v70, v70, v74, s[8:9]
	v_cmp_eq_u32_e64 s[34:35], 1, v87
	v_cndmask_b32_e64 v48, v48, v42, s[16:17]
	v_cndmask_b32_e64 v73, v73, v9, s[18:19]
	;; [unrolled: 1-line block ×17, first 2 shown]
	s_waitcnt lgkmcnt(0)
	v_cndmask_b32_e64 v31, v31, v71, s[44:45]
	v_cmp_eq_u32_e64 s[44:45], 2, v87
	v_cndmask_b32_e64 v17, v17, v71, s[70:71]
	v_cndmask_b32_e64 v48, v48, v43, s[14:15]
	;; [unrolled: 1-line block ×6, first 2 shown]
	v_cmp_eq_u32_e64 s[46:47], 3, v87
	v_cndmask_b32_e64 v29, v29, v71, s[74:75]
	v_cndmask_b32_e64 v28, v28, v71, s[48:49]
	;; [unrolled: 1-line block ×16, first 2 shown]
	v_cmp_eq_u32_e64 s[42:43], 4, v87
	v_cndmask_b32_e64 v48, v48, v45, s[76:77]
	v_cndmask_b32_e64 v71, v71, v18, s[36:37]
	v_cndmask_b32_e64 v73, v73, v12, s[12:13]
	v_cndmask_b32_e64 v74, v74, v60, s[42:43]
	v_cmp_eq_u32_e64 s[48:49], 5, v87
	v_cndmask_b32_e64 v48, v48, v46, s[10:11]
	v_cndmask_b32_e64 v71, v71, v19, s[38:39]
	v_cndmask_b32_e64 v73, v73, v13, s[76:77]
	v_cndmask_b32_e64 v74, v74, v59, s[48:49]
	;; [unrolled: 5-line block ×3, first 2 shown]
	v_cmp_eq_u32_e64 s[68:69], 7, v87
	ds_bpermute_b32 v48, v99, v48
	v_cndmask_b32_e64 v71, v71, v21, s[84:85]
	v_cndmask_b32_e64 v73, v73, v15, s[6:7]
	;; [unrolled: 1-line block ×3, first 2 shown]
	v_cmp_eq_u32_e64 s[74:75], 8, v87
	v_cndmask_b32_e64 v71, v71, v22, s[80:81]
	ds_bpermute_b32 v73, v99, v73
	v_cndmask_b32_e64 v74, v74, v56, s[74:75]
	v_cmp_eq_u32_e64 s[72:73], 9, v87
	v_cndmask_b32_e64 v71, v71, v23, s[88:89]
	v_cmp_eq_u32_e64 s[56:57], 10, v87
	v_cndmask_b32_e64 v74, v74, v55, s[72:73]
	v_cndmask_b32_e64 v71, v71, v24, s[92:93]
	;; [unrolled: 1-line block ×3, first 2 shown]
	v_cmp_eq_u32_e64 s[78:79], 11, v87
	v_cndmask_b32_e64 v71, v71, v25, s[18:19]
	v_cmp_eq_u32_e64 s[60:61], 12, v87
	v_cndmask_b32_e64 v74, v74, v53, s[78:79]
	v_cndmask_b32_e64 v71, v71, v26, s[16:17]
	s_waitcnt lgkmcnt(1)
	v_cndmask_b32_e64 v33, v33, v48, s[30:31]
	v_cndmask_b32_e64 v32, v32, v48, s[8:9]
	;; [unrolled: 1-line block ×3, first 2 shown]
	v_cmp_eq_u32_e64 s[82:83], 13, v87
	v_cndmask_b32_e64 v71, v71, v27, s[14:15]
	v_cndmask_b32_e64 v34, v34, v48, s[36:37]
	s_waitcnt lgkmcnt(0)
	v_cndmask_b32_e64 v76, v1, v73, s[30:31]
	v_cndmask_b32_e64 v1, v32, v33, s[34:35]
	;; [unrolled: 1-line block ×3, first 2 shown]
	v_cmp_eq_u32_e64 s[86:87], 14, v87
	v_cndmask_b32_e64 v71, v71, v28, s[12:13]
	v_cndmask_b32_e64 v35, v35, v48, s[38:39]
	;; [unrolled: 1-line block ×4, first 2 shown]
	v_cmp_eq_u32_e64 s[90:91], 15, v87
	v_cndmask_b32_e64 v71, v71, v29, s[76:77]
	v_cndmask_b32_e64 v36, v36, v48, s[28:29]
	;; [unrolled: 1-line block ×7, first 2 shown]
	ds_bpermute_b32 v74, v99, v74
	v_cndmask_b32_e64 v71, v71, v31, s[6:7]
	v_cndmask_b32_e64 v38, v38, v48, s[80:81]
	;; [unrolled: 1-line block ×3, first 2 shown]
	ds_bpermute_b32 v71, v99, v71
	v_cndmask_b32_e64 v39, v39, v48, s[88:89]
	v_cndmask_b32_e64 v1, v1, v38, s[54:55]
	;; [unrolled: 1-line block ×6, first 2 shown]
	v_cmp_eq_u32_e64 s[50:51], 0, v87
	v_cndmask_b32_e64 v42, v42, v48, s[16:17]
	v_cndmask_b32_e64 v1, v1, v41, s[72:73]
	s_waitcnt lgkmcnt(1)
	v_cndmask_b32_e64 v63, v63, v74, s[34:35]
	v_cndmask_b32_e64 v70, v70, v74, s[50:51]
	v_cmp_eq_u32_e32 vcc, 1, v88
	v_cndmask_b32_e64 v43, v43, v48, s[14:15]
	v_cndmask_b32_e64 v1, v1, v42, s[56:57]
	;; [unrolled: 1-line block ×16, first 2 shown]
	v_cndmask_b32_e32 v74, v70, v63, vcc
	v_cndmask_b32_e64 v47, v47, v48, s[6:7]
	s_waitcnt lgkmcnt(0)
	v_cndmask_b32_e64 v31, v31, v71, s[6:7]
	v_cndmask_b32_e64 v15, v15, v73, s[6:7]
	v_cmp_eq_u32_e64 s[6:7], 2, v88
	v_cndmask_b32_e64 v44, v44, v48, s[12:13]
	v_cndmask_b32_e64 v1, v1, v43, s[78:79]
	;; [unrolled: 1-line block ×6, first 2 shown]
	v_cmp_eq_u32_e64 s[10:11], 3, v88
	v_cndmask_b32_e64 v45, v45, v48, s[76:77]
	v_cndmask_b32_e64 v1, v1, v44, s[60:61]
	;; [unrolled: 1-line block ×3, first 2 shown]
	v_cmp_eq_u32_e64 s[40:41], 4, v88
	v_cndmask_b32_e64 v1, v1, v45, s[82:83]
	v_cmp_eq_u32_e64 s[52:53], 5, v88
	v_cndmask_b32_e64 v74, v74, v60, s[40:41]
	v_cndmask_b32_e64 v1, v1, v46, s[86:87]
	;; [unrolled: 1-line block ×6, first 2 shown]
	v_cmp_eq_u32_e64 s[58:59], 6, v88
	v_cndmask_b32_e64 v10, v10, v73, s[16:17]
	v_cndmask_b32_e64 v9, v9, v73, s[18:19]
	;; [unrolled: 1-line block ×14, first 2 shown]
	v_cmp_eq_u32_e64 s[62:63], 7, v88
	v_cndmask_b32_e64 v18, v18, v71, s[36:37]
	ds_bpermute_b32 v48, v99, v1
	v_cndmask_b32_e64 v1, v16, v75, s[34:35]
	v_cndmask_b32_e64 v0, v73, v76, s[34:35]
	;; [unrolled: 1-line block ×3, first 2 shown]
	v_cmp_eq_u32_e64 s[70:71], 8, v88
	v_cndmask_b32_e64 v19, v19, v71, s[38:39]
	v_cndmask_b32_e64 v1, v1, v18, s[44:45]
	;; [unrolled: 1-line block ×5, first 2 shown]
	v_cmp_eq_u32_e64 s[76:77], 9, v88
	v_cndmask_b32_e64 v20, v20, v71, s[28:29]
	v_cndmask_b32_e64 v1, v1, v19, s[46:47]
	;; [unrolled: 1-line block ×4, first 2 shown]
	v_cmp_eq_u32_e64 s[66:67], 10, v88
	v_cndmask_b32_e64 v21, v21, v71, s[84:85]
	v_cndmask_b32_e64 v1, v1, v20, s[42:43]
	;; [unrolled: 1-line block ×5, first 2 shown]
	v_cmp_eq_u32_e64 s[64:65], 11, v88
	v_cndmask_b32_e64 v1, v1, v21, s[48:49]
	v_cndmask_b32_e64 v0, v0, v5, s[48:49]
	v_cndmask_b32_e64 v23, v23, v71, s[88:89]
	v_cndmask_b32_e64 v74, v74, v53, s[64:65]
	v_cmp_eq_u32_e64 s[80:81], 12, v88
	v_cndmask_b32_e64 v1, v1, v22, s[54:55]
	v_cndmask_b32_e64 v0, v0, v6, s[54:55]
	v_cndmask_b32_e64 v24, v24, v71, s[92:93]
	v_cndmask_b32_e64 v74, v74, v52, s[80:81]
	;; [unrolled: 5-line block ×5, first 2 shown]
	v_cndmask_b32_e64 v1, v1, v26, s[56:57]
	v_cndmask_b32_e64 v0, v0, v10, s[56:57]
	;; [unrolled: 1-line block ×3, first 2 shown]
	ds_bpermute_b32 v74, v99, v74
	v_cndmask_b32_e64 v1, v1, v27, s[78:79]
	v_cndmask_b32_e64 v0, v0, v11, s[78:79]
	;; [unrolled: 1-line block ×8, first 2 shown]
	v_cmp_eq_u32_e64 s[94:95], 0, v88
	v_cndmask_b32_e64 v1, v1, v31, s[90:91]
	v_cndmask_b32_e64 v0, v0, v15, s[90:91]
	s_waitcnt lgkmcnt(0)
	v_cndmask_b32_e64 v49, v49, v74, s[92:93]
	v_cndmask_b32_e64 v50, v50, v74, s[88:89]
	;; [unrolled: 1-line block ×14, first 2 shown]
	v_cndmask_b32_e32 v63, v63, v74, vcc
	v_cndmask_b32_e64 v70, v70, v74, s[94:95]
	ds_bpermute_b32 v71, v99, v1
	ds_bpermute_b32 v74, v99, v0
	v_cndmask_b32_e64 v93, v35, v48, s[46:47]
	v_cndmask_b32_e64 v126, v36, v48, s[42:43]
	;; [unrolled: 1-line block ×3, first 2 shown]
	s_waitcnt lgkmcnt(1)
	v_cndmask_b32_e64 v104, v29, v71, s[82:83]
	s_waitcnt lgkmcnt(0)
	v_cndmask_b32_e64 v107, v12, v74, s[60:61]
	v_cndmask_b32_e64 v12, v33, v48, s[34:35]
	;; [unrolled: 1-line block ×7, first 2 shown]
	v_cndmask_b32_e32 v19, v29, v12, vcc
	v_cndmask_b32_e64 v19, v19, v4, s[6:7]
	v_cndmask_b32_e64 v19, v19, v93, s[10:11]
	;; [unrolled: 1-line block ×30, first 2 shown]
	ds_bpermute_b32 v30, v99, v19
	v_cndmask_b32_e32 v19, v16, v13, vcc
	v_cndmask_b32_e64 v19, v19, v5, s[6:7]
	v_cndmask_b32_e64 v91, v20, v71, s[42:43]
	;; [unrolled: 1-line block ×15, first 2 shown]
	v_cmp_eq_u32_e64 s[8:9], 1, v89
	v_cndmask_b32_e64 v108, v27, v71, s[78:79]
	v_cndmask_b32_e64 v19, v19, v110, s[66:67]
	;; [unrolled: 1-line block ×3, first 2 shown]
	v_cmp_eq_u32_e64 s[12:13], 2, v89
	v_cndmask_b32_e64 v106, v28, v71, s[60:61]
	v_cndmask_b32_e64 v19, v19, v108, s[64:65]
	v_cndmask_b32_e64 v0, v0, v62, s[12:13]
	v_cmp_eq_u32_e64 s[14:15], 3, v89
	v_cndmask_b32_e64 v19, v19, v106, s[80:81]
	v_cmp_eq_u32_e64 s[16:17], 4, v89
	v_cndmask_b32_e64 v0, v0, v61, s[14:15]
	v_cndmask_b32_e64 v19, v19, v104, s[84:85]
	v_cndmask_b32_e64 v77, v31, v71, s[90:91]
	v_cndmask_b32_e64 v0, v0, v60, s[16:17]
	v_cmp_eq_u32_e64 s[18:19], 5, v89
	v_cndmask_b32_e64 v19, v19, v102, s[88:89]
	v_cndmask_b32_e64 v103, v14, v74, s[86:87]
	v_cndmask_b32_e64 v0, v0, v59, s[18:19]
	;; [unrolled: 5-line block ×3, first 2 shown]
	v_cndmask_b32_e64 v0, v0, v58, s[78:79]
	v_cmp_eq_u32_e64 s[82:83], 7, v89
	v_cndmask_b32_e64 v122, v6, v74, s[54:55]
	v_cndmask_b32_e64 v6, v2, v74, s[44:45]
	ds_bpermute_b32 v20, v99, v19
	v_cndmask_b32_e32 v19, v21, v14, vcc
	v_cndmask_b32_e64 v0, v0, v57, s[82:83]
	v_cndmask_b32_e64 v113, v9, v74, s[72:73]
	v_cmp_eq_u32_e64 s[72:73], 8, v89
	v_cndmask_b32_e64 v3, v3, v74, s[46:47]
	v_cndmask_b32_e64 v19, v19, v6, s[6:7]
	;; [unrolled: 1-line block ×3, first 2 shown]
	v_cmp_eq_u32_e64 s[28:29], 9, v89
	v_cndmask_b32_e64 v19, v19, v3, s[10:11]
	v_cmp_eq_u32_e64 s[30:31], 10, v89
	v_cndmask_b32_e64 v0, v0, v55, s[28:29]
	v_cndmask_b32_e64 v19, v19, v92, s[40:41]
	v_cndmask_b32_e64 v0, v0, v54, s[30:31]
	v_cmp_eq_u32_e64 s[36:37], 11, v89
	v_cndmask_b32_e64 v19, v19, v125, s[52:53]
	v_cndmask_b32_e64 v119, v7, v74, s[68:69]
	;; [unrolled: 4-line block ×3, first 2 shown]
	v_cndmask_b32_e64 v0, v0, v52, s[38:39]
	v_cmp_eq_u32_e64 s[42:43], 13, v89
	v_cndmask_b32_e64 v19, v19, v119, s[62:63]
	v_cmp_eq_u32_e64 s[46:47], 14, v89
	v_cndmask_b32_e64 v0, v0, v51, s[42:43]
	v_cndmask_b32_e64 v19, v19, v116, s[70:71]
	v_cndmask_b32_e64 v111, v10, v74, s[56:57]
	v_cndmask_b32_e64 v0, v0, v50, s[46:47]
	v_cmp_eq_u32_e64 s[44:45], 15, v89
	v_cndmask_b32_e64 v19, v19, v113, s[76:77]
	v_cndmask_b32_e64 v19, v19, v111, s[66:67]
	;; [unrolled: 1-line block ×3, first 2 shown]
	ds_bpermute_b32 v0, v99, v0
	v_cndmask_b32_e64 v19, v19, v109, s[64:65]
	v_cndmask_b32_e64 v19, v19, v107, s[80:81]
	;; [unrolled: 1-line block ×4, first 2 shown]
	v_cmp_eq_u32_e64 s[34:35], 0, v89
	v_cndmask_b32_e64 v19, v19, v101, s[92:93]
	s_waitcnt lgkmcnt(0)
	v_cndmask_b32_e64 v7, v49, v0, s[44:45]
	v_cndmask_b32_e64 v8, v50, v0, s[46:47]
	;; [unrolled: 1-line block ×16, first 2 shown]
	ds_bpermute_b32 v28, v99, v19
	v_cmp_eq_u32_e64 s[48:49], 1, v90
	v_cmp_eq_u32_e64 s[50:51], 2, v90
	;; [unrolled: 1-line block ×3, first 2 shown]
	v_cndmask_b32_e64 v33, v0, v18, s[48:49]
	v_cndmask_b32_e64 v34, v33, v17, s[50:51]
	;; [unrolled: 1-line block ×3, first 2 shown]
	v_cmp_eq_u32_e64 s[56:57], 4, v90
	v_cmp_eq_u32_e64 s[60:61], 5, v90
	v_cndmask_b32_e64 v57, v43, v30, s[64:65]
	v_cndmask_b32_e64 v39, v35, v1, s[56:57]
	;; [unrolled: 1-line block ×4, first 2 shown]
	s_waitcnt lgkmcnt(0)
	v_cndmask_b32_e64 v48, v109, v28, s[64:65]
	v_cmp_eq_u32_e64 s[64:65], 6, v90
	v_cndmask_b32_e64 v58, v42, v30, s[66:67]
	v_cndmask_b32_e64 v49, v111, v28, s[66:67]
	;; [unrolled: 1-line block ×4, first 2 shown]
	v_cmp_eq_u32_e64 s[66:67], 7, v90
	v_cmp_eq_u32_e64 s[68:69], 8, v90
	v_cndmask_b32_e64 v60, v114, v30, s[70:71]
	v_cndmask_b32_e64 v42, v43, v25, s[66:67]
	v_cndmask_b32_e64 v43, v42, v24, s[68:69]
	v_cndmask_b32_e64 v42, v115, v20, s[70:71]
	v_cndmask_b32_e64 v51, v116, v28, s[70:71]
	v_cmp_eq_u32_e64 s[70:71], 9, v90
	v_cndmask_b32_e64 v56, v44, v30, s[80:81]
	v_cndmask_b32_e64 v61, v117, v30, s[62:63]
	v_cndmask_b32_e64 v44, v43, v23, s[70:71]
	v_cndmask_b32_e64 v43, v118, v20, s[62:63]
	v_cndmask_b32_e64 v52, v119, v28, s[62:63]
	;; [unrolled: 6-line block ×3, first 2 shown]
	v_cndmask_b32_e64 v53, v122, v28, s[58:59]
	v_cmp_eq_u32_e64 s[58:59], 11, v90
	v_cndmask_b32_e64 v63, v123, v30, s[52:53]
	v_cndmask_b32_e64 v54, v125, v28, s[52:53]
	v_cndmask_b32_e64 v55, v45, v11, s[58:59]
	v_cndmask_b32_e64 v45, v124, v20, s[52:53]
	v_cmp_eq_u32_e64 s[52:53], 12, v90
	v_cndmask_b32_e64 v71, v126, v30, s[40:41]
	v_cndmask_b32_e64 v73, v91, v20, s[40:41]
	v_cndmask_b32_e64 v70, v55, v10, s[52:53]
	;; [unrolled: 5-line block ×4, first 2 shown]
	v_cndmask_b32_e64 v70, v4, v30, s[6:7]
	v_cndmask_b32_e64 v91, v6, v28, s[6:7]
	v_cmp_eq_u32_e64 s[6:7], 15, v90
	v_cndmask_b32_e32 v93, v12, v30, vcc
	v_cndmask_b32_e64 v59, v41, v30, s[76:77]
	v_cndmask_b32_e64 v3, v3, v7, s[6:7]
	ds_bpermute_b32 v92, v99, v3
	v_cndmask_b32_e64 v46, v46, v30, s[88:89]
	v_cndmask_b32_e64 v32, v101, v28, s[92:93]
	v_cndmask_b32_e32 v101, v13, v20, vcc
	v_cndmask_b32_e64 v36, v102, v20, s[88:89]
	s_waitcnt lgkmcnt(0)
	v_cndmask_b32_e64 v12, v10, v92, s[52:53]
	v_cndmask_b32_e64 v10, v22, v92, s[62:63]
	;; [unrolled: 1-line block ×20, first 2 shown]
	ds_bpermute_b32 v23, v99, v3
	v_cndmask_b32_e32 v102, v14, v28, vcc
	v_cndmask_b32_e64 v14, v8, v92, s[10:11]
	v_cndmask_b32_e64 v8, v24, v92, s[68:69]
	;; [unrolled: 1-line block ×4, first 2 shown]
	s_waitcnt lgkmcnt(0)
	v_cndmask_b32_e64 v18, v46, v23, s[46:47]
	v_cndmask_b32_e64 v24, v47, v23, s[42:43]
	;; [unrolled: 1-line block ×36, first 2 shown]
	ds_bpermute_b32 v71, v99, v22
	v_cndmask_b32_e64 v16, v16, v20, s[94:95]
	v_cndmask_b32_e64 v41, v112, v20, s[76:77]
	;; [unrolled: 1-line block ×4, first 2 shown]
	s_waitcnt lgkmcnt(0)
	v_cndmask_b32_e64 v31, v17, v71, s[6:7]
	v_cndmask_b32_e64 v17, v16, v101, s[8:9]
	;; [unrolled: 1-line block ×16, first 2 shown]
	ds_bpermute_b32 v17, v99, v17
	v_cmp_eq_u32_e32 vcc, 0, v90
	v_cndmask_b32_e64 v11, v11, v92, s[58:59]
	v_cndmask_b32_e64 v5, v27, v92, s[60:61]
	v_cndmask_b32_e32 v0, v0, v92, vcc
	v_cndmask_b32_e64 v20, v60, v71, s[56:57]
	s_waitcnt lgkmcnt(0)
	v_cndmask_b32_e64 v60, v73, v17, s[16:17]
	v_cndmask_b32_e64 v73, v75, v17, s[14:15]
	;; [unrolled: 1-line block ×39, first 2 shown]
	ds_bpermute_b32 v93, v99, v16
	v_cndmask_b32_e64 v33, v103, v28, s[88:89]
	v_cndmask_b32_e64 v34, v105, v28, s[84:85]
	v_cndmask_b32_e64 v35, v107, v28, s[80:81]
	v_cndmask_b32_e64 v50, v113, v28, s[76:77]
	v_cndmask_b32_e64 v28, v25, v71, s[52:53]
	v_cndmask_b32_e64 v25, v47, v71, s[70:71]
	s_waitcnt lgkmcnt(0)
	v_cndmask_b32_e64 v47, v46, v93, s[6:7]
	v_cndmask_b32_e64 v46, v36, v93, s[10:11]
	;; [unrolled: 1-line block ×19, first 2 shown]
	ds_bpermute_b32 v56, v99, v36
	v_cndmask_b32_e64 v43, v39, v93, s[58:59]
	v_cndmask_b32_e64 v39, v57, v93, s[66:67]
	;; [unrolled: 1-line block ×4, first 2 shown]
	s_waitcnt lgkmcnt(0)
	v_cndmask_b32_e64 v101, v102, v56, s[8:9]
	v_cndmask_b32_e64 v74, v74, v56, s[34:35]
	;; [unrolled: 1-line block ×9, first 2 shown]
	v_cndmask_b32_e32 v16, v70, v71, vcc
	v_cndmask_b32_e64 v71, v55, v56, s[16:17]
	v_cndmask_b32_e64 v32, v32, v76, s[54:55]
	;; [unrolled: 1-line block ×29, first 2 shown]
	ds_bpermute_b32 v102, v99, v32
	v_cndmask_b32_e64 v33, v77, v93, s[48:49]
	v_readlane_b32 s18, v127, 10
	v_readlane_b32 s28, v127, 12
	;; [unrolled: 1-line block ×3, first 2 shown]
	s_waitcnt lgkmcnt(0)
	v_cndmask_b32_e64 v63, v57, v102, s[6:7]
	v_readlane_b32 s6, v127, 28
	v_cndmask_b32_e64 v62, v58, v102, s[10:11]
	v_cndmask_b32_e64 v58, v49, v102, s[62:63]
	;; [unrolled: 1-line block ×3, first 2 shown]
	v_readlane_b32 s7, v127, 29
	v_readlane_b32 s46, v127, 25
	;; [unrolled: 1-line block ×3, first 2 shown]
	v_subrev_u32_e32 v100, s4, v100
	s_mov_b32 s1, 0
	v_cndmask_b32_e64 v41, v41, v93, s[70:71]
	v_cndmask_b32_e64 v35, v73, v93, s[54:55]
	;; [unrolled: 1-line block ×3, first 2 shown]
	v_cndmask_b32_e32 v32, v92, v93, vcc
	v_cndmask_b32_e64 v61, v59, v102, s[40:41]
	v_cndmask_b32_e64 v60, v60, v102, s[52:53]
	;; [unrolled: 1-line block ×11, first 2 shown]
	v_cndmask_b32_e32 v48, v74, v102, vcc
	v_lshl_add_u64 v[70:71], s[6:7], 0, v[64:65]
	s_mov_b64 s[6:7], 0
	s_mov_b32 s5, 0
	v_readlane_b32 s19, v127, 11
	v_readlane_b32 s29, v127, 13
	;; [unrolled: 1-line block ×9, first 2 shown]
	s_mov_b64 s[40:41], 0x80
	s_mov_b64 s[42:43], 0xc0
	v_readlane_b32 s44, v127, 27
	v_readlane_b32 s47, v127, 26
	;; [unrolled: 1-line block ×3, first 2 shown]
                                        ; implicit-def: $sgpr8_sgpr9
	s_branch .LBB204_32
.LBB204_30:                             ;   in Loop: Header=BB204_32 Depth=2
	s_or_b64 exec, exec, s[12:13]
	s_andn2_b64 s[8:9], s[8:9], exec
	s_and_b64 s[12:13], s[14:15], exec
	s_or_b64 s[8:9], s[8:9], s[12:13]
.LBB204_31:                             ;   in Loop: Header=BB204_32 Depth=2
	s_or_b64 exec, exec, s[10:11]
	s_and_b64 s[10:11], exec, s[8:9]
	s_or_b64 s[6:7], s[10:11], s[6:7]
	s_andn2_b64 exec, exec, s[6:7]
	s_cbranch_execz .LBB204_35
.LBB204_32:                             ;   Parent Loop BB204_7 Depth=1
                                        ; =>  This Inner Loop Header: Depth=2
	s_and_b32 s12, s1, 24
	v_or_b32_e32 v73, s12, v97
	v_add_u32_e32 v74, s96, v73
	v_cmp_gt_u32_e32 vcc, 32, v74
	s_or_b64 s[8:9], s[8:9], exec
	s_and_saveexec_b64 s[10:11], vcc
	s_cbranch_execz .LBB204_31
; %bb.33:                               ;   in Loop: Header=BB204_32 Depth=2
	s_add_i32 s13, s5, 1
	s_set_gpr_idx_on s5, gpr_idx(SRC0)
	v_mov_b32_e32 v74, v0
	s_set_gpr_idx_off
	v_cvt_f16_f32_e32 v76, v74
	s_set_gpr_idx_on s13, gpr_idx(SRC0)
	v_mov_b32_e32 v74, v0
	s_set_gpr_idx_off
	v_cvt_f16_f32_sdwa v77, v74 dst_sel:WORD_1 dst_unused:UNUSED_PAD src0_sel:DWORD
	v_mul_lo_u32 v74, v73, s21
	v_ashrrev_i32_e32 v75, 31, v74
	v_lshl_add_u64 v[74:75], v[74:75], 1, v[70:71]
	v_or_b32_e32 v73, v77, v76
	;;#ASMSTART
	global_atomic_pk_add_f16 v[74:75], v73, off
	
	;;#ASMEND
	s_set_gpr_idx_on s5, gpr_idx(SRC0)
	v_mov_b32_e32 v73, v16
	s_set_gpr_idx_off
	v_cvt_f16_f32_e32 v73, v73
	s_set_gpr_idx_on s13, gpr_idx(SRC0)
	v_mov_b32_e32 v76, v16
	s_set_gpr_idx_off
	v_cvt_f16_f32_sdwa v91, v76 dst_sel:WORD_1 dst_unused:UNUSED_PAD src0_sel:DWORD
	v_lshl_add_u64 v[76:77], v[74:75], 0, 64
	s_mov_b64 s[14:15], -1
	v_or_b32_e32 v73, v91, v73
	;;#ASMSTART
	global_atomic_pk_add_f16 v[76:77], v73, off
	
	;;#ASMEND
	s_set_gpr_idx_on s5, gpr_idx(SRC0)
	v_mov_b32_e32 v73, v32
	s_set_gpr_idx_off
	v_cvt_f16_f32_e32 v73, v73
	s_set_gpr_idx_on s13, gpr_idx(SRC0)
	v_mov_b32_e32 v76, v32
	s_set_gpr_idx_off
	v_cvt_f16_f32_sdwa v91, v76 dst_sel:WORD_1 dst_unused:UNUSED_PAD src0_sel:DWORD
	v_lshl_add_u64 v[76:77], v[74:75], 0, s[40:41]
	v_lshl_add_u64 v[74:75], v[74:75], 0, s[42:43]
	v_or_b32_e32 v73, v91, v73
	;;#ASMSTART
	global_atomic_pk_add_f16 v[76:77], v73, off
	
	;;#ASMEND
	s_set_gpr_idx_on s5, gpr_idx(SRC0)
	v_mov_b32_e32 v73, v48
	s_set_gpr_idx_off
	v_cvt_f16_f32_e32 v73, v73
	s_set_gpr_idx_on s13, gpr_idx(SRC0)
	v_mov_b32_e32 v76, v48
	s_set_gpr_idx_off
	v_cvt_f16_f32_sdwa v76, v76 dst_sel:WORD_1 dst_unused:UNUSED_PAD src0_sel:DWORD
	s_nop 0
	v_or_b32_e32 v73, v76, v73
	;;#ASMSTART
	global_atomic_pk_add_f16 v[74:75], v73, off
	
	;;#ASMEND
	v_or_b32_e32 v73, s12, v98
	v_add_u32_e32 v74, s96, v73
	v_cmp_gt_u32_e32 vcc, 32, v74
	s_and_saveexec_b64 s[12:13], vcc
	s_cbranch_execz .LBB204_30
; %bb.34:                               ;   in Loop: Header=BB204_32 Depth=2
	s_add_i32 s14, s5, 2
	s_add_i32 s15, s5, 3
	s_set_gpr_idx_on s14, gpr_idx(SRC0)
	v_mov_b32_e32 v74, v0
	s_set_gpr_idx_off
	v_cvt_f16_f32_e32 v76, v74
	s_set_gpr_idx_on s15, gpr_idx(SRC0)
	v_mov_b32_e32 v74, v0
	s_set_gpr_idx_off
	v_cvt_f16_f32_sdwa v77, v74 dst_sel:WORD_1 dst_unused:UNUSED_PAD src0_sel:DWORD
	v_mul_lo_u32 v74, v73, s21
	v_ashrrev_i32_e32 v75, 31, v74
	v_lshl_add_u64 v[74:75], v[74:75], 1, v[70:71]
	v_or_b32_e32 v73, v77, v76
	;;#ASMSTART
	global_atomic_pk_add_f16 v[74:75], v73, off
	
	;;#ASMEND
	s_set_gpr_idx_on s14, gpr_idx(SRC0)
	v_mov_b32_e32 v73, v16
	s_set_gpr_idx_off
	v_cvt_f16_f32_e32 v73, v73
	s_set_gpr_idx_on s15, gpr_idx(SRC0)
	v_mov_b32_e32 v76, v16
	s_set_gpr_idx_off
	v_cvt_f16_f32_sdwa v91, v76 dst_sel:WORD_1 dst_unused:UNUSED_PAD src0_sel:DWORD
	v_lshl_add_u64 v[76:77], v[74:75], 0, 64
	s_add_i32 s5, s5, 4
	s_add_i32 s1, s1, 8
	v_or_b32_e32 v73, v91, v73
	;;#ASMSTART
	global_atomic_pk_add_f16 v[76:77], v73, off
	
	;;#ASMEND
	s_set_gpr_idx_on s14, gpr_idx(SRC0)
	v_mov_b32_e32 v73, v32
	s_set_gpr_idx_off
	v_cvt_f16_f32_e32 v73, v73
	s_set_gpr_idx_on s15, gpr_idx(SRC0)
	v_mov_b32_e32 v76, v32
	s_set_gpr_idx_off
	v_cvt_f16_f32_sdwa v91, v76 dst_sel:WORD_1 dst_unused:UNUSED_PAD src0_sel:DWORD
	v_lshl_add_u64 v[76:77], v[74:75], 0, s[40:41]
	s_cmp_eq_u32 s5, 16
	v_lshl_add_u64 v[74:75], v[74:75], 0, s[42:43]
	v_or_b32_e32 v73, v91, v73
	;;#ASMSTART
	global_atomic_pk_add_f16 v[76:77], v73, off
	
	;;#ASMEND
	s_set_gpr_idx_on s14, gpr_idx(SRC0)
	v_mov_b32_e32 v73, v48
	s_set_gpr_idx_off
	v_cvt_f16_f32_e32 v73, v73
	s_set_gpr_idx_on s15, gpr_idx(SRC0)
	v_mov_b32_e32 v76, v48
	s_set_gpr_idx_off
	v_cvt_f16_f32_sdwa v76, v76 dst_sel:WORD_1 dst_unused:UNUSED_PAD src0_sel:DWORD
	s_cselect_b64 s[14:15], -1, 0
	s_orn2_b64 s[14:15], s[14:15], exec
	v_or_b32_e32 v73, v76, v73
	;;#ASMSTART
	global_atomic_pk_add_f16 v[74:75], v73, off
	
	;;#ASMEND
	s_branch .LBB204_30
.LBB204_35:                             ;   in Loop: Header=BB204_7 Depth=1
	s_or_b64 exec, exec, s[6:7]
	v_readlane_b32 s72, v127, 2
	v_readlane_b32 s12, v127, 0
	;; [unrolled: 1-line block ×11, first 2 shown]
.LBB204_36:                             ;   in Loop: Header=BB204_7 Depth=1
	s_or_b64 exec, exec, s[48:49]
.LBB204_37:                             ;   in Loop: Header=BB204_7 Depth=1
	s_andn2_saveexec_b64 s[2:3], s[2:3]
	s_cbranch_execz .LBB204_46
; %bb.38:                               ;   in Loop: Header=BB204_7 Depth=1
	s_lshl_b32 s5, s4, 2
	v_cmp_gt_i32_e32 vcc, s5, v100
	s_and_saveexec_b64 s[6:7], vcc
	s_cbranch_execz .LBB204_45
; %bb.39:                               ;   in Loop: Header=BB204_7 Depth=1
	s_mul_i32 s0, s0, s23
	s_ashr_i32 s1, s0, 31
	s_add_u32 s0, s74, s0
	s_addc_u32 s1, s75, s1
	s_ashr_i32 s8, s44, 31
	s_add_u32 s0, s0, s44
	s_addc_u32 s1, s1, s8
	v_lshl_add_u64 v[0:1], s[0:1], 0, v[68:69]
	v_lshl_add_u64 v[8:9], v[0:1], 0, v[66:67]
	s_mov_b64 s[0:1], 0
	s_branch .LBB204_41
.LBB204_40:                             ;   in Loop: Header=BB204_41 Depth=2
	s_or_b64 exec, exec, s[8:9]
	v_lshl_or_b32 v12, v10, 11, v94
	;;#ASMSTART
	s_waitcnt vmcnt(1)
	;;#ASMEND
	ds_write2_b32 v12, v4, v5 offset1:32
	ds_write2_b32 v12, v6, v7 offset0:64 offset1:96
	v_add_u32_e32 v4, 0x400, v12
	v_add_u32_e32 v100, s26, v100
	;;#ASMSTART
	s_waitcnt vmcnt(0)
	;;#ASMEND
	ds_write2_b32 v4, v0, v1 offset1:32
	ds_write2_b32 v4, v2, v3 offset0:64 offset1:96
	v_add_u32_e32 v0, 1, v79
	v_add_u32_e32 v72, s26, v10
	v_cmp_le_i32_e32 vcc, s5, v100
	ds_write_b32 v11, v0 offset:8
	v_add_u32_e32 v0, 2, v79
	s_or_b64 s[0:1], vcc, s[0:1]
	v_cmp_lt_i32_e32 vcc, 3, v72
	s_nop 1
	v_cndmask_b32_e32 v79, v79, v0, vcc
	s_andn2_b64 exec, exec, s[0:1]
	s_cbranch_execz .LBB204_44
.LBB204_41:                             ;   Parent Loop BB204_7 Depth=1
                                        ; =>  This Loop Header: Depth=2
                                        ;       Child Loop BB204_43 Depth 3
	v_cmp_gt_i32_e32 vcc, 4, v72
	s_nop 1
	v_cndmask_b32_e64 v0, -4, 0, vcc
	v_add_u32_e32 v10, v0, v72
	v_ashrrev_i32_e32 v0, 31, v100
	v_lshrrev_b32_e32 v0, 30, v0
	v_add_u32_e32 v0, v100, v0
	v_and_b32_e32 v1, -4, v0
	v_lshlrev_b32_e32 v0, 4, v0
	v_sub_u32_e32 v2, v100, v1
	v_and_b32_e32 v0, 0xffffffc0, v0
	v_ashrrev_i32_e32 v1, 31, v0
	v_mul_lo_u32 v2, s24, v2
	v_lshl_add_u64 v[0:1], v[8:9], 0, v[0:1]
	v_ashrrev_i32_e32 v3, 31, v2
	v_lshl_add_u64 v[0:1], v[0:1], 0, v[2:3]
	v_lshlrev_b32_e32 v11, 2, v10
	;;#ASMSTART
	global_load_dwordx4 v[4:7], v[0:1], off offset:0   sc0 sc1 nt  
	global_load_dwordx4 v[0:3], v[0:1], off offset:32  sc0 sc1 nt  
	
	;;#ASMEND
	ds_read_b32 v12, v11 offset:12296
	v_add_u32_e32 v11, 0x3000, v11
	s_waitcnt lgkmcnt(0)
	v_cmp_ne_u32_e32 vcc, v12, v79
	s_and_saveexec_b64 s[8:9], vcc
	s_cbranch_execz .LBB204_40
; %bb.42:                               ;   in Loop: Header=BB204_41 Depth=2
	s_mov_b64 s[10:11], 0
.LBB204_43:                             ;   Parent Loop BB204_7 Depth=1
                                        ;     Parent Loop BB204_41 Depth=2
                                        ; =>    This Inner Loop Header: Depth=3
	;;#ASMSTART
	s_sleep 0
	;;#ASMEND
	ds_read_b32 v12, v11 offset:8
	s_waitcnt lgkmcnt(0)
	v_cmp_eq_u32_e32 vcc, v12, v79
	s_or_b64 s[10:11], vcc, s[10:11]
	s_andn2_b64 exec, exec, s[10:11]
	s_cbranch_execnz .LBB204_43
	s_branch .LBB204_40
.LBB204_44:                             ;   in Loop: Header=BB204_7 Depth=1
	s_or_b64 exec, exec, s[0:1]
.LBB204_45:                             ;   in Loop: Header=BB204_7 Depth=1
	s_or_b64 exec, exec, s[6:7]
	v_subrev_u32_e32 v100, s5, v100
.LBB204_46:                             ;   in Loop: Header=BB204_7 Depth=1
	s_or_b64 exec, exec, s[2:3]
.LBB204_47:                             ;   in Loop: Header=BB204_7 Depth=1
	s_andn2_saveexec_b64 s[0:1], s[46:47]
	s_cbranch_execz .LBB204_6
; %bb.48:                               ;   in Loop: Header=BB204_7 Depth=1
	s_lshl_b32 s10, s4, 1
	v_cmp_gt_i32_e32 vcc, s10, v100
	s_and_saveexec_b64 s[2:3], vcc
	s_cbranch_execz .LBB204_5
; %bb.49:                               ;   in Loop: Header=BB204_7 Depth=1
	s_mul_i32 s99, s99, s22
	s_ashr_i32 s4, s99, 31
	s_add_u32 s5, s72, s99
	v_add_u32_e32 v2, s96, v80
	s_addc_u32 s6, s73, s4
	s_ashr_i32 s7, s44, 31
	v_cmp_gt_u32_e32 vcc, 64, v2
	s_add_u32 s4, s5, s44
	s_addc_u32 s5, s6, s7
	v_cndmask_b32_e32 v0, 0, v95, vcc
	v_ashrrev_i32_e32 v1, 31, v0
	v_lshl_add_u64 v[0:1], s[4:5], 0, v[0:1]
	v_lshl_add_u64 v[8:9], v[0:1], 0, v[66:67]
	v_sub_u32_e32 v10, 63, v2
	s_mov_b64 s[4:5], 0
	s_branch .LBB204_51
.LBB204_50:                             ;   in Loop: Header=BB204_51 Depth=2
	s_or_b64 exec, exec, s[6:7]
	v_lshl_add_u32 v13, v11, 11, v96
	;;#ASMSTART
	s_waitcnt vmcnt(1)
	;;#ASMEND
	ds_write2_b32 v13, v4, v5 offset1:32
	ds_write2_b32 v13, v6, v7 offset0:64 offset1:96
	v_add_u32_e32 v4, 0x400, v13
	v_add_u32_e32 v100, s25, v100
	;;#ASMSTART
	s_waitcnt vmcnt(0)
	;;#ASMEND
	ds_write2_b32 v4, v0, v1 offset1:32
	ds_write2_b32 v4, v2, v3 offset0:64 offset1:96
	v_add_u32_e32 v0, 1, v79
	v_add_u32_e32 v72, s25, v11
	v_cmp_le_i32_e32 vcc, s10, v100
	ds_write_b32 v12, v0
	v_add_u32_e32 v0, 2, v79
	s_or_b64 s[4:5], vcc, s[4:5]
	v_cmp_lt_i32_e32 vcc, 1, v72
	s_nop 1
	v_cndmask_b32_e32 v79, v79, v0, vcc
	s_andn2_b64 exec, exec, s[4:5]
	s_cbranch_execz .LBB204_4
.LBB204_51:                             ;   Parent Loop BB204_7 Depth=1
                                        ; =>  This Loop Header: Depth=2
                                        ;       Child Loop BB204_53 Depth 3
	v_cmp_gt_i32_e32 vcc, 2, v72
	s_nop 1
	v_cndmask_b32_e64 v0, -2, 0, vcc
	v_add_u32_e32 v11, v0, v72
	v_lshrrev_b32_e32 v0, 31, v100
	v_add_u32_e32 v0, v100, v0
	v_and_b32_e32 v1, 0x7fffffe, v0
	v_sub_u32_e32 v1, v100, v1
	v_lshlrev_b32_e32 v1, 5, v1
	v_cmp_le_i32_e32 vcc, v1, v10
	v_lshlrev_b32_e32 v0, 5, v0
	v_and_b32_e32 v0, 0xffffffc0, v0
	v_cndmask_b32_e32 v2, 0, v1, vcc
	v_ashrrev_i32_e32 v1, 31, v0
	v_mul_lo_u32 v2, v2, s22
	v_lshl_add_u64 v[0:1], v[8:9], 0, v[0:1]
	v_ashrrev_i32_e32 v3, 31, v2
	v_lshl_add_u64 v[0:1], v[0:1], 0, v[2:3]
	v_lshlrev_b32_e32 v12, 2, v11
	;;#ASMSTART
	global_load_dwordx4 v[4:7], v[0:1], off offset:0   
	global_load_dwordx4 v[0:3], v[0:1], off offset:32  
	
	;;#ASMEND
	ds_read_b32 v13, v12 offset:12288
	v_add_u32_e32 v12, 0x3000, v12
	s_waitcnt lgkmcnt(0)
	v_cmp_ne_u32_e32 vcc, v13, v79
	s_and_saveexec_b64 s[6:7], vcc
	s_cbranch_execz .LBB204_50
; %bb.52:                               ;   in Loop: Header=BB204_51 Depth=2
	s_mov_b64 s[8:9], 0
.LBB204_53:                             ;   Parent Loop BB204_7 Depth=1
                                        ;     Parent Loop BB204_51 Depth=2
                                        ; =>    This Inner Loop Header: Depth=3
	;;#ASMSTART
	s_sleep 0
	;;#ASMEND
	ds_read_b32 v13, v12
	s_waitcnt lgkmcnt(0)
	v_cmp_eq_u32_e32 vcc, v13, v79
	s_or_b64 s[8:9], vcc, s[8:9]
	s_andn2_b64 exec, exec, s[8:9]
	s_cbranch_execnz .LBB204_53
	s_branch .LBB204_50
.LBB204_54:
	s_endpgm
	.section	.rodata,"a",@progbits
	.p2align	6, 0x0
	.amdhsa_kernel _Z19_skinny_gemm_kernelILi2ELi4ELi1ELi32ELi4EEvPKhS1_P6__halfPKfiiiiiiii
		.amdhsa_group_segment_fixed_size 12312
		.amdhsa_private_segment_fixed_size 0
		.amdhsa_kernarg_size 64
		.amdhsa_user_sgpr_count 2
		.amdhsa_user_sgpr_dispatch_ptr 0
		.amdhsa_user_sgpr_queue_ptr 0
		.amdhsa_user_sgpr_kernarg_segment_ptr 1
		.amdhsa_user_sgpr_dispatch_id 0
		.amdhsa_user_sgpr_kernarg_preload_length 0
		.amdhsa_user_sgpr_kernarg_preload_offset 0
		.amdhsa_user_sgpr_private_segment_size 0
		.amdhsa_uses_dynamic_stack 0
		.amdhsa_enable_private_segment 0
		.amdhsa_system_sgpr_workgroup_id_x 1
		.amdhsa_system_sgpr_workgroup_id_y 0
		.amdhsa_system_sgpr_workgroup_id_z 0
		.amdhsa_system_sgpr_workgroup_info 0
		.amdhsa_system_vgpr_workitem_id 0
		.amdhsa_next_free_vgpr 128
		.amdhsa_next_free_sgpr 100
		.amdhsa_accum_offset 128
		.amdhsa_reserve_vcc 1
		.amdhsa_float_round_mode_32 0
		.amdhsa_float_round_mode_16_64 0
		.amdhsa_float_denorm_mode_32 3
		.amdhsa_float_denorm_mode_16_64 3
		.amdhsa_dx10_clamp 1
		.amdhsa_ieee_mode 1
		.amdhsa_fp16_overflow 0
		.amdhsa_tg_split 0
		.amdhsa_exception_fp_ieee_invalid_op 0
		.amdhsa_exception_fp_denorm_src 0
		.amdhsa_exception_fp_ieee_div_zero 0
		.amdhsa_exception_fp_ieee_overflow 0
		.amdhsa_exception_fp_ieee_underflow 0
		.amdhsa_exception_fp_ieee_inexact 0
		.amdhsa_exception_int_div_zero 0
	.end_amdhsa_kernel
	.section	.text._Z19_skinny_gemm_kernelILi2ELi4ELi1ELi32ELi4EEvPKhS1_P6__halfPKfiiiiiiii,"axG",@progbits,_Z19_skinny_gemm_kernelILi2ELi4ELi1ELi32ELi4EEvPKhS1_P6__halfPKfiiiiiiii,comdat
.Lfunc_end204:
	.size	_Z19_skinny_gemm_kernelILi2ELi4ELi1ELi32ELi4EEvPKhS1_P6__halfPKfiiiiiiii, .Lfunc_end204-_Z19_skinny_gemm_kernelILi2ELi4ELi1ELi32ELi4EEvPKhS1_P6__halfPKfiiiiiiii
                                        ; -- End function
	.set _Z19_skinny_gemm_kernelILi2ELi4ELi1ELi32ELi4EEvPKhS1_P6__halfPKfiiiiiiii.num_vgpr, 128
	.set _Z19_skinny_gemm_kernelILi2ELi4ELi1ELi32ELi4EEvPKhS1_P6__halfPKfiiiiiiii.num_agpr, 0
	.set _Z19_skinny_gemm_kernelILi2ELi4ELi1ELi32ELi4EEvPKhS1_P6__halfPKfiiiiiiii.numbered_sgpr, 100
	.set _Z19_skinny_gemm_kernelILi2ELi4ELi1ELi32ELi4EEvPKhS1_P6__halfPKfiiiiiiii.num_named_barrier, 0
	.set _Z19_skinny_gemm_kernelILi2ELi4ELi1ELi32ELi4EEvPKhS1_P6__halfPKfiiiiiiii.private_seg_size, 0
	.set _Z19_skinny_gemm_kernelILi2ELi4ELi1ELi32ELi4EEvPKhS1_P6__halfPKfiiiiiiii.uses_vcc, 1
	.set _Z19_skinny_gemm_kernelILi2ELi4ELi1ELi32ELi4EEvPKhS1_P6__halfPKfiiiiiiii.uses_flat_scratch, 0
	.set _Z19_skinny_gemm_kernelILi2ELi4ELi1ELi32ELi4EEvPKhS1_P6__halfPKfiiiiiiii.has_dyn_sized_stack, 0
	.set _Z19_skinny_gemm_kernelILi2ELi4ELi1ELi32ELi4EEvPKhS1_P6__halfPKfiiiiiiii.has_recursion, 0
	.set _Z19_skinny_gemm_kernelILi2ELi4ELi1ELi32ELi4EEvPKhS1_P6__halfPKfiiiiiiii.has_indirect_call, 0
	.section	.AMDGPU.csdata,"",@progbits
; Kernel info:
; codeLenInByte = 14136
; TotalNumSgprs: 106
; NumVgprs: 128
; NumAgprs: 0
; TotalNumVgprs: 128
; ScratchSize: 0
; MemoryBound: 0
; FloatMode: 240
; IeeeMode: 1
; LDSByteSize: 12312 bytes/workgroup (compile time only)
; SGPRBlocks: 13
; VGPRBlocks: 15
; NumSGPRsForWavesPerEU: 106
; NumVGPRsForWavesPerEU: 128
; AccumOffset: 128
; Occupancy: 4
; WaveLimiterHint : 0
; COMPUTE_PGM_RSRC2:SCRATCH_EN: 0
; COMPUTE_PGM_RSRC2:USER_SGPR: 2
; COMPUTE_PGM_RSRC2:TRAP_HANDLER: 0
; COMPUTE_PGM_RSRC2:TGID_X_EN: 1
; COMPUTE_PGM_RSRC2:TGID_Y_EN: 0
; COMPUTE_PGM_RSRC2:TGID_Z_EN: 0
; COMPUTE_PGM_RSRC2:TIDIG_COMP_CNT: 0
; COMPUTE_PGM_RSRC3_GFX90A:ACCUM_OFFSET: 31
; COMPUTE_PGM_RSRC3_GFX90A:TG_SPLIT: 0
	.section	.text._Z19_skinny_gemm_kernelILi2ELi4ELi1ELi32ELi8EEvPKhS1_P6__halfPKfiiiiiiii,"axG",@progbits,_Z19_skinny_gemm_kernelILi2ELi4ELi1ELi32ELi8EEvPKhS1_P6__halfPKfiiiiiiii,comdat
	.protected	_Z19_skinny_gemm_kernelILi2ELi4ELi1ELi32ELi8EEvPKhS1_P6__halfPKfiiiiiiii ; -- Begin function _Z19_skinny_gemm_kernelILi2ELi4ELi1ELi32ELi8EEvPKhS1_P6__halfPKfiiiiiiii
	.globl	_Z19_skinny_gemm_kernelILi2ELi4ELi1ELi32ELi8EEvPKhS1_P6__halfPKfiiiiiiii
	.p2align	8
	.type	_Z19_skinny_gemm_kernelILi2ELi4ELi1ELi32ELi8EEvPKhS1_P6__halfPKfiiiiiiii,@function
_Z19_skinny_gemm_kernelILi2ELi4ELi1ELi32ELi8EEvPKhS1_P6__halfPKfiiiiiiii: ; @_Z19_skinny_gemm_kernelILi2ELi4ELi1ELi32ELi8EEvPKhS1_P6__halfPKfiiiiiiii
; %bb.0:
	v_cmp_gt_u32_e32 vcc, 6, v0
	s_and_saveexec_b64 s[4:5], vcc
; %bb.1:
	v_lshlrev_b32_e32 v1, 2, v0
	v_mov_b32_e32 v2, 0
	ds_write_b32 v1, v2 offset:24576
; %bb.2:
	s_or_b64 exec, exec, s[4:5]
	s_load_dwordx8 s[20:27], s[0:1], 0x20
	s_waitcnt lgkmcnt(0)
	s_barrier
	s_add_i32 s3, s20, 63
	s_ashr_i32 s5, s3, 31
	s_add_i32 s4, s21, 0x7f
	s_lshr_b32 s5, s5, 26
	s_ashr_i32 s6, s4, 31
	s_add_i32 s3, s3, s5
	s_ashr_i32 s12, s3, 6
	s_lshr_b32 s3, s6, 25
	s_add_i32 s4, s4, s3
	s_ashr_i32 s14, s4, 7
	s_mul_i32 s3, s14, s12
	s_mul_i32 s3, s3, s24
	s_add_i32 s4, s3, 0x12f
	s_mul_hi_i32 s4, s4, 0x6bca1af3
	s_lshr_b32 s5, s4, 31
	s_ashr_i32 s4, s4, 7
	s_add_i32 s4, s4, s5
	s_add_i32 s5, s2, 1
	s_mul_i32 s5, s4, s5
	v_cvt_f64_i32_e32 v[2:3], s3
	v_cvt_f64_u32_e32 v[4:5], s5
	v_min_f64 v[2:3], v[2:3], v[4:5]
	v_cvt_i32_f64_e32 v86, v[2:3]
	s_mul_i32 s33, s4, s2
	v_cmp_ge_i32_e32 vcc, s33, v86
	s_cbranch_vccnz .LBB205_54
; %bb.3:
	s_load_dwordx8 s[72:79], s[0:1], 0x0
	v_lshrrev_b32_e32 v1, 6, v0
	s_add_i32 s0, s26, s25
	v_cmp_le_i32_e64 s[18:19], s0, v1
	v_mov_b32_e32 v2, s25
	v_cmp_le_i32_e64 s[28:29], s25, v1
	v_mov_b32_e32 v3, s26
	v_cndmask_b32_e64 v3, 0, v3, s[18:19]
	v_cndmask_b32_e64 v2, 0, v2, s[28:29]
	s_abs_i32 s1, s24
	v_add_u32_e32 v2, v2, v3
	v_cvt_f32_u32_e32 v3, s1
	v_sub_u32_e32 v72, v1, v2
	s_ashr_i32 s2, s22, 31
	s_lshr_b32 s2, s2, 25
	v_rcp_iflag_f32_e32 v2, v3
	s_sub_i32 s5, 0, s1
	s_add_i32 s2, s22, s2
	s_ashr_i32 s2, s2, 7
	v_mul_f32_e32 v2, 0x4f7ffffe, v2
	v_cvt_u32_f32_e32 v2, v2
	s_abs_i32 s4, s2
	s_xor_b32 s3, s2, s24
	s_ashr_i32 s3, s3, 31
	v_readfirstlane_b32 s6, v2
	s_mul_i32 s5, s5, s6
	s_mul_hi_u32 s5, s6, s5
	s_add_i32 s6, s6, s5
	s_mul_hi_u32 s5, s4, s6
	s_mul_i32 s6, s5, s1
	s_sub_i32 s4, s4, s6
	s_add_i32 s6, s5, 1
	s_sub_i32 s7, s4, s1
	s_cmp_ge_u32 s4, s1
	s_cselect_b32 s5, s6, s5
	s_cselect_b32 s4, s7, s4
	s_add_i32 s6, s5, 1
	s_cmp_ge_u32 s4, s1
	s_cselect_b32 s1, s6, s5
	s_add_i32 s0, s0, s27
	v_and_b32_e32 v88, 31, v0
	v_lshrrev_b32_e32 v2, 3, v0
	v_cmp_gt_i32_e64 s[34:35], s0, v1
	v_lshlrev_b32_e32 v1, 2, v88
	v_and_b32_e32 v3, 4, v2
	v_lshlrev_b32_e32 v2, 6, v3
	v_or_b32_e32 v4, 0x4000, v1
	v_and_b32_e32 v5, 1, v0
	v_or_b32_e32 v89, v4, v2
	v_or_b32_e32 v90, v1, v2
	v_lshlrev_b32_e32 v2, 1, v5
	v_lshrrev_b32_e32 v7, 1, v0
	s_abs_i32 s97, s12
	v_sub_u32_e32 v2, v0, v2
	v_and_b32_e32 v66, 16, v7
	v_cvt_f32_u32_e32 v7, s97
	v_add_u32_e32 v2, 1, v2
	v_and_b32_e32 v6, 63, v2
	v_bitop3_b32 v91, v0, 1, v0 bitop3:0xc
	v_bitop3_b32 v92, v0, 3, 1 bitop3:0x6c
	;; [unrolled: 1-line block ×8, first 2 shown]
	v_and_b32_e32 v2, 30, v0
	v_lshlrev_b32_e32 v0, 4, v0
                                        ; implicit-def: $vgpr127 : SGPR spill to VGPR lane
	v_and_b32_e32 v0, 0x200, v0
	v_writelane_b32 v127, s12, 0
	v_or_b32_e32 v102, v1, v0
	v_rcp_iflag_f32_e32 v1, v7
	v_writelane_b32 v127, s14, 1
	s_waitcnt lgkmcnt(0)
	v_writelane_b32 v127, s72, 2
	s_abs_i32 s98, s14
	v_or_b32_e32 v104, v4, v0
	v_writelane_b32 v127, s73, 3
	v_writelane_b32 v127, s74, 4
	v_mul_f32_e32 v0, 0x4f7ffffe, v1
	v_cvt_f32_u32_e32 v1, s98
	v_writelane_b32 v127, s75, 5
	v_writelane_b32 v127, s76, 6
	;; [unrolled: 1-line block ×4, first 2 shown]
	v_cvt_u32_f32_e32 v0, v0
	v_rcp_iflag_f32_e32 v1, v1
	v_writelane_b32 v127, s79, 9
	v_cndmask_b32_e64 v87, 0, 1, s[18:19]
	s_xor_b32 s1, s1, s3
	v_writelane_b32 v127, s18, 10
	s_sub_i32 s15, s1, s3
	s_add_i32 s30, s24, -1
	v_writelane_b32 v127, s19, 11
	s_mul_i32 s1, s15, s30
	v_writelane_b32 v127, s28, 12
	s_sub_i32 s31, s2, s1
	v_readfirstlane_b32 s1, v0
	v_mul_f32_e32 v0, 0x4f7ffffe, v1
	v_writelane_b32 v127, s29, 13
	v_cvt_u32_f32_e32 v0, v0
	v_writelane_b32 v127, s15, 14
	s_sub_i32 s0, 0, s97
	v_writelane_b32 v127, s30, 15
	s_mul_i32 s0, s0, s1
	v_writelane_b32 v127, s31, 16
	s_mul_hi_u32 s0, s1, s0
	v_writelane_b32 v127, s34, 17
	s_ashr_i32 s36, s12, 31
	s_add_i32 s37, s1, s0
	s_sub_i32 s0, 0, s98
	v_readfirstlane_b32 s1, v0
	v_writelane_b32 v127, s35, 18
	s_mul_i32 s0, s0, s1
	v_mbcnt_lo_u32_b32 v0, -1, 0
	v_writelane_b32 v127, s36, 19
	s_ashr_i32 s38, s14, 31
	s_mul_hi_u32 s0, s1, s0
	v_mbcnt_hi_u32_b32 v0, -1, v0
	v_writelane_b32 v127, s37, 20
	v_mov_b32_e32 v65, 0
	v_mul_lo_u32 v68, s23, v88
	v_or_b32_e32 v105, v5, v3
	s_add_i32 s39, s1, s0
	v_and_or_b32 v0, v0, 64, v6
	v_writelane_b32 v127, s38, 21
	v_ashrrev_i32_e32 v69, 31, v68
	v_mov_b32_e32 v67, v65
	s_lshl_b32 s24, s23, 5
	v_mul_lo_u32 v103, s22, v88
	v_or_b32_e32 v106, 2, v105
	v_lshlrev_b32_e32 v64, 1, v2
	v_lshlrev_b32_e32 v107, 2, v0
	v_mov_b32_e32 v108, v72
	v_writelane_b32 v127, s39, 22
	s_branch .LBB205_7
.LBB205_4:                              ;   in Loop: Header=BB205_7 Depth=1
	s_or_b64 exec, exec, s[4:5]
.LBB205_5:                              ;   in Loop: Header=BB205_7 Depth=1
	s_or_b64 exec, exec, s[2:3]
	v_subrev_u32_e32 v108, s10, v108
.LBB205_6:                              ;   in Loop: Header=BB205_7 Depth=1
	s_or_b64 exec, exec, s[0:1]
	s_add_i32 s33, s33, 1
	v_cmp_ge_i32_e32 vcc, s33, v86
	s_cbranch_vccnz .LBB205_54
.LBB205_7:                              ; =>This Loop Header: Depth=1
                                        ;     Child Loop BB205_13 Depth 2
                                        ;       Child Loop BB205_15 Depth 3
                                        ;       Child Loop BB205_18 Depth 3
	;; [unrolled: 1-line block ×5, first 2 shown]
                                        ;     Child Loop BB205_32 Depth 2
                                        ;     Child Loop BB205_41 Depth 2
                                        ;       Child Loop BB205_43 Depth 3
                                        ;     Child Loop BB205_51 Depth 2
                                        ;       Child Loop BB205_53 Depth 3
	s_abs_i32 s1, s33
	s_mul_hi_u32 s2, s1, s37
	s_mul_i32 s3, s2, s97
	s_ashr_i32 s0, s33, 31
	s_sub_i32 s1, s1, s3
	s_xor_b32 s0, s0, s36
	s_add_i32 s3, s2, 1
	s_sub_i32 s4, s1, s97
	s_cmp_ge_u32 s1, s97
	s_cselect_b32 s2, s3, s2
	s_cselect_b32 s1, s4, s1
	s_add_i32 s3, s2, 1
	s_cmp_ge_u32 s1, s97
	s_cselect_b32 s1, s3, s2
	s_xor_b32 s1, s1, s0
	s_sub_i32 s0, s1, s0
	s_abs_i32 s2, s0
	s_mul_i32 s1, s0, s12
	s_mul_hi_u32 s3, s2, s39
	s_sub_i32 s1, s33, s1
	s_mul_i32 s4, s3, s98
	s_lshl_b32 s99, s1, 6
	s_ashr_i32 s1, s0, 31
	s_sub_i32 s2, s2, s4
	s_xor_b32 s1, s1, s38
	s_add_i32 s4, s3, 1
	s_sub_i32 s5, s2, s98
	s_cmp_ge_u32 s2, s98
	s_cselect_b32 s3, s4, s3
	s_cselect_b32 s2, s5, s2
	s_add_i32 s4, s3, 1
	s_cmp_ge_u32 s2, s98
	s_cselect_b32 s2, s4, s3
	s_xor_b32 s2, s2, s1
	s_sub_i32 s1, s2, s1
	s_mul_i32 s2, s1, s15
	s_lshl_b32 s44, s2, 7
	s_cmp_eq_u32 s1, s30
	s_cselect_b32 s4, s31, s15
	s_sub_i32 s2, s99, s20
	s_add_i32 s2, s2, 64
	s_max_i32 s96, s2, 0
	s_and_saveexec_b64 s[2:3], s[28:29]
	s_xor_b64 s[46:47], exec, s[2:3]
	s_cbranch_execz .LBB205_47
; %bb.8:                                ;   in Loop: Header=BB205_7 Depth=1
	s_mul_i32 s1, s1, s14
	s_sub_i32 s0, s0, s1
	s_lshl_b32 s0, s0, 7
	s_sub_i32 s5, s0, s21
	s_addk_i32 s5, 0x80
	s_max_i32 s1, s5, 0
	s_sub_i32 s0, s0, s1
	s_and_saveexec_b64 s[2:3], s[18:19]
	s_xor_b64 s[2:3], exec, s[2:3]
	s_cbranch_execz .LBB205_37
; %bb.9:                                ;   in Loop: Header=BB205_7 Depth=1
	s_and_saveexec_b64 s[48:49], s[34:35]
	s_cbranch_execz .LBB205_36
; %bb.10:                               ;   in Loop: Header=BB205_7 Depth=1
	global_load_dword v109, v65, s[78:79]
	v_mov_b32_e32 v63, 0
	v_cmp_gt_i32_e32 vcc, s4, v108
	v_mov_b32_e32 v62, v63
	v_mov_b32_e32 v61, v63
	;; [unrolled: 1-line block ×63, first 2 shown]
	s_and_saveexec_b64 s[6:7], vcc
	s_cbranch_execz .LBB205_29
; %bb.11:                               ;   in Loop: Header=BB205_7 Depth=1
	v_mov_b32_e32 v0, 0
	s_mov_b64 s[8:9], 0
	v_mov_b32_e32 v1, v0
	v_mov_b32_e32 v2, v0
	;; [unrolled: 1-line block ×63, first 2 shown]
	s_branch .LBB205_13
.LBB205_12:                             ;   in Loop: Header=BB205_13 Depth=2
	s_or_b64 exec, exec, s[10:11]
	v_add_u32_e32 v116, 0x3000, v113
	ds_read2_b32 v[114:115], v116 offset1:32
	v_add_u32_e32 v108, s27, v108
	s_waitcnt lgkmcnt(0)
	v_mfma_f32_32x32x16_fp8_fp8 v[0:15], v[84:85], v[114:115], v[0:15]
	ds_read2_b32 v[84:85], v116 offset0:128 offset1:160
	s_waitcnt lgkmcnt(0)
	v_mfma_f32_32x32x16_fp8_fp8 v[0:15], v[82:83], v[84:85], v[0:15]
	v_add_u32_e32 v84, 0x3400, v113
	ds_read2_b32 v[82:83], v84 offset1:32
	s_waitcnt lgkmcnt(0)
	v_mfma_f32_32x32x16_fp8_fp8 v[0:15], v[80:81], v[82:83], v[0:15]
	ds_read2_b32 v[80:81], v84 offset0:128 offset1:160
	s_waitcnt lgkmcnt(0)
	v_mfma_f32_32x32x16_fp8_fp8 v[0:15], v[78:79], v[80:81], v[0:15]
	v_add_u32_e32 v80, 0x3800, v113
	ds_read2_b32 v[78:79], v80 offset1:32
	;; [unrolled: 7-line block ×3, first 2 shown]
	ds_read2_b32 v[76:77], v76 offset0:128 offset1:160
	ds_write_b32 v111, v112 offset:24604
	s_waitcnt lgkmcnt(2)
	v_mfma_f32_32x32x16_fp8_fp8 v[0:15], v[72:73], v[74:75], v[0:15]
	v_add_u32_e32 v72, s27, v110
	v_add_u32_e32 v73, 2, v87
	v_cmp_lt_i32_e32 vcc, 0, v72
	s_nop 1
	v_cndmask_b32_e32 v87, v87, v73, vcc
	v_cmp_le_i32_e32 vcc, s4, v108
	s_waitcnt lgkmcnt(1)
	v_mfma_f32_32x32x16_fp8_fp8 v[0:15], v[70:71], v[76:77], v[0:15]
	s_or_b64 s[8:9], vcc, s[8:9]
	s_andn2_b64 exec, exec, s[8:9]
	s_cbranch_execz .LBB205_28
.LBB205_13:                             ;   Parent Loop BB205_7 Depth=1
                                        ; =>  This Loop Header: Depth=2
                                        ;       Child Loop BB205_15 Depth 3
                                        ;       Child Loop BB205_18 Depth 3
	;; [unrolled: 1-line block ×5, first 2 shown]
	v_cmp_lt_i32_e32 vcc, 0, v72
	s_nop 1
	v_subbrev_co_u32_e32 v110, vcc, 0, v72, vcc
	v_lshlrev_b32_e32 v111, 5, v110
	ds_read_b32 v70, v111 offset:24576
	s_waitcnt lgkmcnt(0)
	v_cmp_ne_u32_e32 vcc, v70, v87
	s_and_saveexec_b64 s[10:11], vcc
	s_cbranch_execz .LBB205_16
; %bb.14:                               ;   in Loop: Header=BB205_13 Depth=2
	s_mov_b64 s[12:13], 0
.LBB205_15:                             ;   Parent Loop BB205_7 Depth=1
                                        ;     Parent Loop BB205_13 Depth=2
                                        ; =>    This Inner Loop Header: Depth=3
	;;#ASMSTART
	s_sleep 0
	;;#ASMEND
	ds_read_b32 v70, v111 offset:24576
	s_waitcnt lgkmcnt(0)
	v_cmp_eq_u32_e32 vcc, v70, v87
	s_or_b64 s[12:13], vcc, s[12:13]
	s_andn2_b64 exec, exec, s[12:13]
	s_cbranch_execnz .LBB205_15
.LBB205_16:                             ;   in Loop: Header=BB205_13 Depth=2
	s_or_b64 exec, exec, s[10:11]
	v_lshl_add_u32 v70, v110, 12, v89
	v_add_u32_e32 v71, 0x400, v70
	ds_read2_b32 v[84:85], v70 offset1:32
	ds_read2_b32 v[82:83], v70 offset0:128 offset1:160
	ds_read2_b32 v[80:81], v71 offset1:32
	ds_read2_b32 v[78:79], v71 offset0:128 offset1:160
	v_add_u32_e32 v71, 0x800, v70
	v_add_u32_e32 v70, 0xc00, v70
	ds_read2_b32 v[76:77], v71 offset1:32
	ds_read2_b32 v[74:75], v71 offset0:128 offset1:160
	ds_read2_b32 v[72:73], v70 offset1:32
	ds_read_b32 v113, v111 offset:24580
	ds_read2_b32 v[70:71], v70 offset0:128 offset1:160
	v_add_u32_e32 v112, 1, v87
	ds_write_b32 v111, v112 offset:24576
	s_waitcnt lgkmcnt(2)
	v_cmp_ne_u32_e32 vcc, v113, v87
	s_and_saveexec_b64 s[10:11], vcc
	s_cbranch_execz .LBB205_19
; %bb.17:                               ;   in Loop: Header=BB205_13 Depth=2
	s_mov_b64 s[12:13], 0
.LBB205_18:                             ;   Parent Loop BB205_7 Depth=1
                                        ;     Parent Loop BB205_13 Depth=2
                                        ; =>    This Inner Loop Header: Depth=3
	;;#ASMSTART
	s_sleep 0
	;;#ASMEND
	ds_read_b32 v113, v111 offset:24580
	s_waitcnt lgkmcnt(0)
	v_cmp_eq_u32_e32 vcc, v113, v87
	s_or_b64 s[12:13], vcc, s[12:13]
	s_andn2_b64 exec, exec, s[12:13]
	s_cbranch_execnz .LBB205_18
.LBB205_19:                             ;   in Loop: Header=BB205_13 Depth=2
	s_or_b64 exec, exec, s[10:11]
	v_lshl_or_b32 v113, v110, 14, v90
	ds_read2_b32 v[114:115], v113 offset1:32
	v_add_u32_e32 v116, 0x400, v113
	s_waitcnt lgkmcnt(0)
	v_mfma_f32_32x32x16_fp8_fp8 v[48:63], v[84:85], v[114:115], v[48:63]
	ds_read2_b32 v[114:115], v113 offset0:128 offset1:160
	s_waitcnt lgkmcnt(0)
	v_mfma_f32_32x32x16_fp8_fp8 v[48:63], v[82:83], v[114:115], v[48:63]
	ds_read2_b32 v[114:115], v116 offset1:32
	s_waitcnt lgkmcnt(0)
	v_mfma_f32_32x32x16_fp8_fp8 v[48:63], v[80:81], v[114:115], v[48:63]
	ds_read2_b32 v[114:115], v116 offset0:128 offset1:160
	v_add_u32_e32 v116, 0x800, v113
	s_waitcnt lgkmcnt(0)
	v_mfma_f32_32x32x16_fp8_fp8 v[48:63], v[78:79], v[114:115], v[48:63]
	ds_read2_b32 v[114:115], v116 offset1:32
	s_waitcnt lgkmcnt(0)
	v_mfma_f32_32x32x16_fp8_fp8 v[48:63], v[76:77], v[114:115], v[48:63]
	ds_read2_b32 v[114:115], v116 offset0:128 offset1:160
	v_add_u32_e32 v116, 0xc00, v113
	s_waitcnt lgkmcnt(0)
	v_mfma_f32_32x32x16_fp8_fp8 v[48:63], v[74:75], v[114:115], v[48:63]
	ds_read2_b32 v[114:115], v116 offset1:32
	s_waitcnt lgkmcnt(0)
	v_mfma_f32_32x32x16_fp8_fp8 v[48:63], v[72:73], v[114:115], v[48:63]
	ds_read_b32 v117, v111 offset:24588
	ds_read2_b32 v[114:115], v116 offset0:128 offset1:160
	ds_write_b32 v111, v112 offset:24580
	s_waitcnt lgkmcnt(2)
	v_cmp_ne_u32_e32 vcc, v117, v87
	s_waitcnt lgkmcnt(1)
	v_mfma_f32_32x32x16_fp8_fp8 v[48:63], v[70:71], v[114:115], v[48:63]
	s_and_saveexec_b64 s[10:11], vcc
	s_cbranch_execz .LBB205_22
; %bb.20:                               ;   in Loop: Header=BB205_13 Depth=2
	s_mov_b64 s[12:13], 0
.LBB205_21:                             ;   Parent Loop BB205_7 Depth=1
                                        ;     Parent Loop BB205_13 Depth=2
                                        ; =>    This Inner Loop Header: Depth=3
	;;#ASMSTART
	s_sleep 0
	;;#ASMEND
	ds_read_b32 v114, v111 offset:24588
	s_waitcnt lgkmcnt(0)
	v_cmp_eq_u32_e32 vcc, v114, v87
	s_or_b64 s[12:13], vcc, s[12:13]
	s_andn2_b64 exec, exec, s[12:13]
	s_cbranch_execnz .LBB205_21
.LBB205_22:                             ;   in Loop: Header=BB205_13 Depth=2
	s_or_b64 exec, exec, s[10:11]
	v_add_u32_e32 v116, 0x1000, v113
	ds_read2_b32 v[114:115], v116 offset1:32
	s_waitcnt lgkmcnt(0)
	v_mfma_f32_32x32x16_fp8_fp8 v[32:47], v[84:85], v[114:115], v[32:47]
	ds_read2_b32 v[114:115], v116 offset0:128 offset1:160
	v_add_u32_e32 v116, 0x1400, v113
	s_waitcnt lgkmcnt(0)
	v_mfma_f32_32x32x16_fp8_fp8 v[32:47], v[82:83], v[114:115], v[32:47]
	ds_read2_b32 v[114:115], v116 offset1:32
	s_waitcnt lgkmcnt(0)
	v_mfma_f32_32x32x16_fp8_fp8 v[32:47], v[80:81], v[114:115], v[32:47]
	ds_read2_b32 v[114:115], v116 offset0:128 offset1:160
	v_add_u32_e32 v116, 0x1800, v113
	s_waitcnt lgkmcnt(0)
	v_mfma_f32_32x32x16_fp8_fp8 v[32:47], v[78:79], v[114:115], v[32:47]
	;; [unrolled: 7-line block ×3, first 2 shown]
	ds_read2_b32 v[114:115], v116 offset1:32
	s_waitcnt lgkmcnt(0)
	v_mfma_f32_32x32x16_fp8_fp8 v[32:47], v[72:73], v[114:115], v[32:47]
	ds_read_b32 v117, v111 offset:24596
	ds_read2_b32 v[114:115], v116 offset0:128 offset1:160
	ds_write_b32 v111, v112 offset:24588
	s_waitcnt lgkmcnt(2)
	v_cmp_ne_u32_e32 vcc, v117, v87
	s_waitcnt lgkmcnt(1)
	v_mfma_f32_32x32x16_fp8_fp8 v[32:47], v[70:71], v[114:115], v[32:47]
	s_and_saveexec_b64 s[10:11], vcc
	s_cbranch_execz .LBB205_25
; %bb.23:                               ;   in Loop: Header=BB205_13 Depth=2
	s_mov_b64 s[12:13], 0
.LBB205_24:                             ;   Parent Loop BB205_7 Depth=1
                                        ;     Parent Loop BB205_13 Depth=2
                                        ; =>    This Inner Loop Header: Depth=3
	;;#ASMSTART
	s_sleep 0
	;;#ASMEND
	ds_read_b32 v114, v111 offset:24596
	s_waitcnt lgkmcnt(0)
	v_cmp_eq_u32_e32 vcc, v114, v87
	s_or_b64 s[12:13], vcc, s[12:13]
	s_andn2_b64 exec, exec, s[12:13]
	s_cbranch_execnz .LBB205_24
.LBB205_25:                             ;   in Loop: Header=BB205_13 Depth=2
	s_or_b64 exec, exec, s[10:11]
	v_add_u32_e32 v116, 0x2000, v113
	ds_read2_b32 v[114:115], v116 offset1:32
	s_waitcnt lgkmcnt(0)
	v_mfma_f32_32x32x16_fp8_fp8 v[16:31], v[84:85], v[114:115], v[16:31]
	ds_read2_b32 v[114:115], v116 offset0:128 offset1:160
	v_add_u32_e32 v116, 0x2400, v113
	s_waitcnt lgkmcnt(0)
	v_mfma_f32_32x32x16_fp8_fp8 v[16:31], v[82:83], v[114:115], v[16:31]
	ds_read2_b32 v[114:115], v116 offset1:32
	s_waitcnt lgkmcnt(0)
	v_mfma_f32_32x32x16_fp8_fp8 v[16:31], v[80:81], v[114:115], v[16:31]
	ds_read2_b32 v[114:115], v116 offset0:128 offset1:160
	v_add_u32_e32 v116, 0x2800, v113
	s_waitcnt lgkmcnt(0)
	v_mfma_f32_32x32x16_fp8_fp8 v[16:31], v[78:79], v[114:115], v[16:31]
	;; [unrolled: 7-line block ×3, first 2 shown]
	ds_read2_b32 v[114:115], v116 offset1:32
	s_waitcnt lgkmcnt(0)
	v_mfma_f32_32x32x16_fp8_fp8 v[16:31], v[72:73], v[114:115], v[16:31]
	ds_read_b32 v117, v111 offset:24604
	ds_read2_b32 v[114:115], v116 offset0:128 offset1:160
	ds_write_b32 v111, v112 offset:24596
	s_waitcnt lgkmcnt(2)
	v_cmp_ne_u32_e32 vcc, v117, v87
	s_waitcnt lgkmcnt(1)
	v_mfma_f32_32x32x16_fp8_fp8 v[16:31], v[70:71], v[114:115], v[16:31]
	s_and_saveexec_b64 s[10:11], vcc
	s_cbranch_execz .LBB205_12
; %bb.26:                               ;   in Loop: Header=BB205_13 Depth=2
	s_mov_b64 s[12:13], 0
.LBB205_27:                             ;   Parent Loop BB205_7 Depth=1
                                        ;     Parent Loop BB205_13 Depth=2
                                        ; =>    This Inner Loop Header: Depth=3
	;;#ASMSTART
	s_sleep 0
	;;#ASMEND
	ds_read_b32 v114, v111 offset:24604
	s_waitcnt lgkmcnt(0)
	v_cmp_eq_u32_e32 vcc, v114, v87
	s_or_b64 s[12:13], vcc, s[12:13]
	s_andn2_b64 exec, exec, s[12:13]
	s_cbranch_execnz .LBB205_27
	s_branch .LBB205_12
.LBB205_28:                             ;   in Loop: Header=BB205_7 Depth=1
	s_or_b64 exec, exec, s[8:9]
.LBB205_29:                             ;   in Loop: Header=BB205_7 Depth=1
	v_writelane_b32 v127, s48, 23
	s_nop 1
	v_writelane_b32 v127, s49, 24
	v_writelane_b32 v127, s46, 25
	s_nop 1
	v_writelane_b32 v127, s47, 26
	v_writelane_b32 v127, s44, 27
	s_or_b64 exec, exec, s[6:7]
	v_cmp_le_i32_e32 vcc, s5, v88
	v_cmp_eq_u32_e64 s[64:65], 1, v91
	v_cmp_eq_u32_e64 s[30:31], 2, v91
	s_waitcnt vmcnt(0)
	v_cndmask_b32_e32 v70, 0, v109, vcc
	v_pk_mul_f32 v[48:49], v[70:71], v[48:49] op_sel_hi:[0,1]
	v_pk_mul_f32 v[62:63], v[70:71], v[62:63] op_sel_hi:[0,1]
	;; [unrolled: 1-line block ×8, first 2 shown]
	v_cndmask_b32_e64 v70, v48, v49, s[64:65]
	v_cndmask_b32_e64 v70, v70, v50, s[30:31]
	v_cmp_eq_u32_e64 s[40:41], 3, v91
	v_cmp_eq_u32_e64 s[42:43], 4, v91
	v_cmp_eq_u32_e64 s[44:45], 5, v91
	v_cndmask_b32_e64 v70, v70, v51, s[40:41]
	v_cndmask_b32_e64 v70, v70, v52, s[42:43]
	v_cndmask_b32_e64 v70, v70, v53, s[44:45]
	v_cmp_eq_u32_e64 s[46:47], 6, v91
	v_cmp_eq_u32_e64 s[48:49], 7, v91
	v_cmp_eq_u32_e64 s[50:51], 8, v91
	v_cndmask_b32_e64 v70, v70, v54, s[46:47]
	;; [unrolled: 6-line block ×4, first 2 shown]
	v_cndmask_b32_e64 v70, v70, v61, s[60:61]
	v_cndmask_b32_e64 v70, v70, v62, s[62:63]
	v_cmp_eq_u32_e64 s[66:67], 15, v91
	s_mul_i32 s6, s99, s21
	s_ashr_i32 s7, s6, 31
	v_cndmask_b32_e64 v70, v70, v63, s[66:67]
	ds_bpermute_b32 v70, v107, v70
	s_lshl_b64 s[6:7], s[6:7], 1
	v_cmp_eq_u32_e64 s[36:37], 0, v91
	s_add_u32 s70, s76, s6
	v_cmp_eq_u32_e32 vcc, 1, v92
	s_waitcnt lgkmcnt(0)
	v_cndmask_b32_e64 v63, v63, v70, s[66:67]
	v_cndmask_b32_e64 v62, v62, v70, s[62:63]
	;; [unrolled: 1-line block ×16, first 2 shown]
	s_addc_u32 s71, s77, s7
	v_cndmask_b32_e32 v48, v70, v79, vcc
	v_cmp_eq_u32_e64 s[6:7], 2, v92
	v_cmp_eq_u32_e64 s[8:9], 3, v92
	v_cmp_eq_u32_e64 s[10:11], 4, v92
	v_cndmask_b32_e64 v48, v48, v78, s[6:7]
	v_cndmask_b32_e64 v48, v48, v77, s[8:9]
	v_cndmask_b32_e64 v48, v48, v76, s[10:11]
	v_cmp_eq_u32_e64 s[12:13], 5, v92
	v_cmp_eq_u32_e64 s[14:15], 6, v92
	v_cmp_eq_u32_e64 s[16:17], 7, v92
	v_cndmask_b32_e64 v48, v48, v75, s[12:13]
	v_cndmask_b32_e64 v48, v48, v74, s[14:15]
	v_cndmask_b32_e64 v48, v48, v73, s[16:17]
	;; [unrolled: 6-line block ×4, first 2 shown]
	v_cmp_eq_u32_e64 s[34:35], 14, v92
	v_cmp_eq_u32_e64 s[38:39], 15, v92
	s_ashr_i32 s1, s0, 31
	v_cndmask_b32_e64 v48, v48, v62, s[34:35]
	v_cndmask_b32_e64 v48, v48, v63, s[38:39]
	ds_bpermute_b32 v71, v107, v48
	s_lshl_b64 s[68:69], s[0:1], 1
	s_add_u32 s68, s70, s68
	s_addc_u32 s69, s71, s69
	v_writelane_b32 v127, s68, 28
	v_or_b32_e32 v48, 32, v88
	s_waitcnt lgkmcnt(0)
	v_cndmask_b32_e64 v55, v57, v71, s[76:77]
	v_writelane_b32 v127, s69, 29
	v_cndmask_b32_e64 v57, v73, v71, s[16:17]
	v_cmp_le_i32_e64 s[68:69], s5, v48
	v_or_b32_e32 v73, 64, v88
	v_cndmask_b32_e64 v49, v63, v71, s[38:39]
	v_cndmask_b32_e64 v48, 0, v109, s[68:69]
	v_cmp_le_i32_e64 s[68:69], s5, v73
	v_or_b32_e32 v73, 0x60, v88
	v_cndmask_b32_e64 v54, v58, v71, s[78:79]
	v_cndmask_b32_e64 v58, v74, v71, s[14:15]
	;; [unrolled: 1-line block ×3, first 2 shown]
	v_cmp_le_i32_e64 s[70:71], s5, v73
	v_cmp_eq_u32_e64 s[68:69], 0, v92
	v_pk_mul_f32 v[32:33], v[48:49], v[32:33] op_sel_hi:[0,1]
	v_pk_mul_f32 v[30:31], v[74:75], v[30:31] op_sel_hi:[0,1]
	;; [unrolled: 1-line block ×9, first 2 shown]
	v_cndmask_b32_e64 v74, 0, v109, s[70:71]
	v_cndmask_b32_e64 v50, v62, v71, s[34:35]
	;; [unrolled: 1-line block ×10, first 2 shown]
	v_cndmask_b32_e32 v63, v79, v71, vcc
	v_cndmask_b32_e64 v70, v70, v71, s[68:69]
	v_pk_mul_f32 v[46:47], v[48:49], v[46:47] op_sel_hi:[0,1]
	v_pk_mul_f32 v[44:45], v[48:49], v[44:45] op_sel_hi:[0,1]
	;; [unrolled: 1-line block ×7, first 2 shown]
	v_cndmask_b32_e64 v48, v32, v33, s[64:65]
	v_cndmask_b32_e64 v71, v16, v17, s[64:65]
	v_pk_mul_f32 v[0:1], v[74:75], v[0:1] op_sel_hi:[0,1]
	v_cndmask_b32_e64 v48, v48, v34, s[30:31]
	v_cndmask_b32_e64 v71, v71, v18, s[30:31]
	v_pk_mul_f32 v[14:15], v[74:75], v[14:15] op_sel_hi:[0,1]
	v_pk_mul_f32 v[12:13], v[74:75], v[12:13] op_sel_hi:[0,1]
	;; [unrolled: 1-line block ×7, first 2 shown]
	v_cndmask_b32_e64 v74, v0, v1, s[64:65]
	v_cndmask_b32_e64 v48, v48, v35, s[40:41]
	;; [unrolled: 1-line block ×40, first 2 shown]
	ds_bpermute_b32 v48, v107, v48
	ds_bpermute_b32 v71, v107, v71
	v_cndmask_b32_e64 v74, v74, v15, s[66:67]
	ds_bpermute_b32 v74, v107, v74
	v_cmp_eq_u32_e64 s[70:71], 1, v93
	s_waitcnt lgkmcnt(2)
	v_cndmask_b32_e64 v33, v33, v48, s[64:65]
	s_waitcnt lgkmcnt(1)
	v_cndmask_b32_e64 v17, v17, v71, s[64:65]
	v_cndmask_b32_e64 v73, v70, v63, s[70:71]
	v_cmp_eq_u32_e64 s[64:65], 2, v93
	v_cndmask_b32_e64 v47, v47, v48, s[66:67]
	v_cndmask_b32_e64 v31, v31, v71, s[66:67]
	;; [unrolled: 1-line block ×3, first 2 shown]
	s_waitcnt lgkmcnt(0)
	v_cndmask_b32_e64 v15, v15, v74, s[66:67]
	v_cmp_eq_u32_e64 s[66:67], 3, v93
	v_cndmask_b32_e64 v46, v46, v48, s[62:63]
	v_cndmask_b32_e64 v30, v30, v71, s[62:63]
	v_cndmask_b32_e64 v73, v73, v61, s[66:67]
	v_cndmask_b32_e64 v14, v14, v74, s[62:63]
	v_cmp_eq_u32_e64 s[62:63], 4, v93
	v_cndmask_b32_e64 v45, v45, v48, s[60:61]
	v_cndmask_b32_e64 v29, v29, v71, s[60:61]
	v_cndmask_b32_e64 v73, v73, v60, s[62:63]
	;; [unrolled: 5-line block ×4, first 2 shown]
	v_cndmask_b32_e64 v11, v11, v74, s[56:57]
	v_cmp_eq_u32_e64 s[56:57], 7, v93
	v_cmp_eq_u32_e64 s[72:73], 8, v93
	v_cndmask_b32_e64 v41, v41, v48, s[52:53]
	v_cndmask_b32_e64 v73, v73, v57, s[56:57]
	;; [unrolled: 1-line block ×5, first 2 shown]
	v_cmp_eq_u32_e64 s[52:53], 9, v93
	v_cndmask_b32_e64 v40, v40, v48, s[50:51]
	v_cndmask_b32_e64 v24, v24, v71, s[50:51]
	v_cndmask_b32_e64 v73, v73, v55, s[52:53]
	v_cndmask_b32_e64 v8, v8, v74, s[50:51]
	v_cmp_eq_u32_e64 s[50:51], 10, v93
	v_cndmask_b32_e64 v42, v42, v48, s[54:55]
	v_cndmask_b32_e64 v26, v26, v71, s[54:55]
	v_cndmask_b32_e64 v10, v10, v74, s[54:55]
	v_cndmask_b32_e64 v73, v73, v54, s[50:51]
	;; [unrolled: 5-line block ×3, first 2 shown]
	v_cmp_eq_u32_e64 s[48:49], 12, v93
	v_cmp_eq_u32_e64 s[74:75], 13, v93
	v_cndmask_b32_e64 v36, v36, v48, s[42:43]
	v_cndmask_b32_e64 v73, v73, v52, s[48:49]
	;; [unrolled: 1-line block ×5, first 2 shown]
	v_cmp_eq_u32_e64 s[42:43], 14, v93
	v_cndmask_b32_e64 v37, v37, v48, s[44:45]
	v_cndmask_b32_e64 v21, v21, v71, s[44:45]
	;; [unrolled: 1-line block ×4, first 2 shown]
	v_cmp_eq_u32_e64 s[44:45], 15, v93
	v_cndmask_b32_e64 v34, v34, v48, s[30:31]
	v_cndmask_b32_e64 v18, v18, v71, s[30:31]
	;; [unrolled: 1-line block ×3, first 2 shown]
	ds_bpermute_b32 v73, v107, v73
	v_cndmask_b32_e64 v2, v2, v74, s[30:31]
	v_cmp_ne_u32_e64 s[30:31], 0, v91
	v_cndmask_b32_e64 v32, v32, v48, s[36:37]
	v_cndmask_b32_e64 v38, v38, v48, s[46:47]
	;; [unrolled: 1-line block ×6, first 2 shown]
	v_cmp_eq_u32_e64 s[40:41], 0, v93
	v_cndmask_b32_e32 v48, v32, v33, vcc
	v_cndmask_b32_e64 v0, v0, v74, s[36:37]
	s_waitcnt lgkmcnt(0)
	v_cndmask_b32_e64 v49, v49, v73, s[44:45]
	v_cndmask_b32_e64 v50, v50, v73, s[42:43]
	;; [unrolled: 1-line block ×17, first 2 shown]
	v_cndmask_b32_e32 v73, v0, v1, vcc
	v_cndmask_b32_e64 v48, v48, v35, s[8:9]
	v_cndmask_b32_e64 v73, v73, v2, s[6:7]
	;; [unrolled: 1-line block ×22, first 2 shown]
	v_cndmask_b32_e32 v71, v16, v17, vcc
	v_cndmask_b32_e64 v73, v73, v11, s[80:81]
	v_cndmask_b32_e64 v48, v48, v45, s[28:29]
	;; [unrolled: 1-line block ×10, first 2 shown]
	ds_bpermute_b32 v48, v107, v48
	v_cndmask_b32_e64 v71, v71, v21, s[12:13]
	v_cndmask_b32_e64 v73, v73, v15, s[38:39]
	;; [unrolled: 1-line block ×3, first 2 shown]
	ds_bpermute_b32 v73, v107, v73
	v_cndmask_b32_e64 v71, v71, v23, s[16:17]
	v_cndmask_b32_e64 v71, v71, v24, s[18:19]
	;; [unrolled: 1-line block ×4, first 2 shown]
	s_waitcnt lgkmcnt(1)
	v_cndmask_b32_e32 v33, v33, v48, vcc
	v_cndmask_b32_e64 v32, v32, v48, s[68:69]
	v_cndmask_b32_e64 v71, v71, v27, s[80:81]
	;; [unrolled: 1-line block ×16, first 2 shown]
	s_waitcnt lgkmcnt(0)
	v_cndmask_b32_e32 v1, v1, v73, vcc
	v_cndmask_b32_e64 v48, v32, v33, s[70:71]
	v_cndmask_b32_e64 v0, v0, v73, s[68:69]
	;; [unrolled: 1-line block ×28, first 2 shown]
	ds_bpermute_b32 v71, v107, v71
	v_cndmask_b32_e64 v48, v48, v38, s[58:59]
	v_cndmask_b32_e64 v73, v73, v5, s[60:61]
	;; [unrolled: 1-line block ×8, first 2 shown]
	v_cmp_eq_u32_e64 s[30:31], 1, v94
	v_cndmask_b32_e64 v48, v48, v42, s[50:51]
	v_cndmask_b32_e64 v73, v73, v9, s[52:53]
	;; [unrolled: 1-line block ×3, first 2 shown]
	v_cmp_eq_u32_e64 s[36:37], 2, v94
	s_waitcnt lgkmcnt(0)
	v_cndmask_b32_e32 v17, v17, v71, vcc
	v_cndmask_b32_e64 v48, v48, v43, s[54:55]
	v_cndmask_b32_e64 v16, v16, v71, s[68:69]
	;; [unrolled: 1-line block ×6, first 2 shown]
	v_cmp_eq_u32_e64 s[38:39], 3, v94
	v_cndmask_b32_e64 v29, v29, v71, s[28:29]
	v_cndmask_b32_e64 v28, v28, v71, s[82:83]
	;; [unrolled: 1-line block ×16, first 2 shown]
	v_cmp_eq_u32_e64 s[28:29], 4, v94
	v_cndmask_b32_e64 v48, v48, v45, s[74:75]
	v_cndmask_b32_e64 v71, v71, v18, s[64:65]
	v_cndmask_b32_e64 v73, v73, v12, s[48:49]
	v_cndmask_b32_e64 v74, v74, v60, s[28:29]
	v_cmp_eq_u32_e64 s[84:85], 5, v94
	v_cndmask_b32_e64 v48, v48, v46, s[42:43]
	v_cndmask_b32_e64 v71, v71, v19, s[66:67]
	v_cndmask_b32_e64 v73, v73, v13, s[74:75]
	v_cndmask_b32_e64 v74, v74, v59, s[84:85]
	;; [unrolled: 5-line block ×3, first 2 shown]
	v_cmp_eq_u32_e64 s[88:89], 7, v94
	ds_bpermute_b32 v48, v107, v48
	v_cndmask_b32_e64 v71, v71, v21, s[60:61]
	v_cndmask_b32_e64 v73, v73, v15, s[44:45]
	;; [unrolled: 1-line block ×3, first 2 shown]
	v_cmp_eq_u32_e64 s[92:93], 8, v94
	v_cndmask_b32_e64 v71, v71, v22, s[58:59]
	ds_bpermute_b32 v73, v107, v73
	v_cndmask_b32_e64 v74, v74, v56, s[92:93]
	v_cmp_eq_u32_e64 s[18:19], 9, v94
	v_cndmask_b32_e64 v71, v71, v23, s[56:57]
	v_cmp_eq_u32_e64 s[16:17], 10, v94
	v_cndmask_b32_e64 v74, v74, v55, s[18:19]
	v_cndmask_b32_e64 v71, v71, v24, s[72:73]
	;; [unrolled: 1-line block ×3, first 2 shown]
	v_cmp_eq_u32_e64 s[14:15], 11, v94
	v_cndmask_b32_e64 v71, v71, v25, s[52:53]
	v_cmp_eq_u32_e64 s[12:13], 12, v94
	v_cndmask_b32_e64 v74, v74, v53, s[14:15]
	v_cndmask_b32_e64 v71, v71, v26, s[50:51]
	s_waitcnt lgkmcnt(1)
	v_cndmask_b32_e64 v33, v33, v48, s[70:71]
	v_cndmask_b32_e64 v32, v32, v48, s[40:41]
	;; [unrolled: 1-line block ×3, first 2 shown]
	v_cmp_eq_u32_e64 s[76:77], 13, v94
	v_cndmask_b32_e64 v71, v71, v27, s[54:55]
	v_cndmask_b32_e64 v47, v47, v48, s[44:45]
	;; [unrolled: 1-line block ×15, first 2 shown]
	s_waitcnt lgkmcnt(0)
	v_cndmask_b32_e64 v1, v1, v73, s[70:71]
	v_cndmask_b32_e64 v48, v32, v33, s[30:31]
	;; [unrolled: 1-line block ×4, first 2 shown]
	v_cmp_eq_u32_e64 s[10:11], 14, v94
	v_cndmask_b32_e64 v71, v71, v28, s[48:49]
	v_cndmask_b32_e64 v15, v15, v73, s[44:45]
	v_cndmask_b32_e64 v14, v14, v73, s[42:43]
	v_cndmask_b32_e64 v13, v13, v73, s[74:75]
	v_cndmask_b32_e64 v12, v12, v73, s[48:49]
	v_cndmask_b32_e64 v11, v11, v73, s[54:55]
	v_cndmask_b32_e64 v10, v10, v73, s[50:51]
	v_cndmask_b32_e64 v9, v9, v73, s[52:53]
	v_cndmask_b32_e64 v8, v8, v73, s[72:73]
	v_cndmask_b32_e64 v7, v7, v73, s[56:57]
	v_cndmask_b32_e64 v6, v6, v73, s[58:59]
	v_cndmask_b32_e64 v5, v5, v73, s[60:61]
	v_cndmask_b32_e64 v4, v4, v73, s[62:63]
	v_cndmask_b32_e64 v3, v3, v73, s[66:67]
	v_cndmask_b32_e64 v2, v2, v73, s[64:65]
	v_cndmask_b32_e64 v48, v48, v34, s[36:37]
	v_cndmask_b32_e64 v73, v0, v1, s[30:31]
	v_cndmask_b32_e64 v74, v74, v50, s[10:11]
	v_cmp_eq_u32_e64 s[6:7], 15, v94
	v_cndmask_b32_e64 v71, v71, v29, s[74:75]
	v_cndmask_b32_e64 v48, v48, v35, s[38:39]
	;; [unrolled: 1-line block ×7, first 2 shown]
	ds_bpermute_b32 v74, v107, v74
	v_cndmask_b32_e64 v71, v71, v31, s[44:45]
	v_cndmask_b32_e64 v48, v48, v37, s[84:85]
	;; [unrolled: 1-line block ×3, first 2 shown]
	ds_bpermute_b32 v71, v107, v71
	v_cndmask_b32_e64 v48, v48, v38, s[80:81]
	v_cndmask_b32_e64 v73, v73, v5, s[84:85]
	;; [unrolled: 1-line block ×6, first 2 shown]
	v_cmp_eq_u32_e64 s[8:9], 0, v94
	v_cndmask_b32_e64 v48, v48, v41, s[18:19]
	v_cndmask_b32_e64 v73, v73, v8, s[92:93]
	s_waitcnt lgkmcnt(1)
	v_cndmask_b32_e64 v63, v63, v74, s[30:31]
	v_cndmask_b32_e64 v70, v70, v74, s[8:9]
	v_cmp_eq_u32_e64 s[34:35], 1, v95
	v_cndmask_b32_e64 v48, v48, v42, s[16:17]
	v_cndmask_b32_e64 v73, v73, v9, s[18:19]
	;; [unrolled: 1-line block ×17, first 2 shown]
	s_waitcnt lgkmcnt(0)
	v_cndmask_b32_e64 v31, v31, v71, s[44:45]
	v_cmp_eq_u32_e64 s[44:45], 2, v95
	v_cndmask_b32_e64 v17, v17, v71, s[70:71]
	v_cndmask_b32_e64 v48, v48, v43, s[14:15]
	;; [unrolled: 1-line block ×6, first 2 shown]
	v_cmp_eq_u32_e64 s[46:47], 3, v95
	v_cndmask_b32_e64 v29, v29, v71, s[74:75]
	v_cndmask_b32_e64 v28, v28, v71, s[48:49]
	;; [unrolled: 1-line block ×16, first 2 shown]
	v_cmp_eq_u32_e64 s[42:43], 4, v95
	v_cndmask_b32_e64 v48, v48, v45, s[76:77]
	v_cndmask_b32_e64 v71, v71, v18, s[36:37]
	v_cndmask_b32_e64 v73, v73, v12, s[12:13]
	v_cndmask_b32_e64 v74, v74, v60, s[42:43]
	v_cmp_eq_u32_e64 s[48:49], 5, v95
	v_cndmask_b32_e64 v48, v48, v46, s[10:11]
	v_cndmask_b32_e64 v71, v71, v19, s[38:39]
	v_cndmask_b32_e64 v73, v73, v13, s[76:77]
	v_cndmask_b32_e64 v74, v74, v59, s[48:49]
	;; [unrolled: 5-line block ×3, first 2 shown]
	v_cmp_eq_u32_e64 s[68:69], 7, v95
	ds_bpermute_b32 v48, v107, v48
	v_cndmask_b32_e64 v71, v71, v21, s[84:85]
	v_cndmask_b32_e64 v73, v73, v15, s[6:7]
	;; [unrolled: 1-line block ×3, first 2 shown]
	v_cmp_eq_u32_e64 s[74:75], 8, v95
	v_cndmask_b32_e64 v71, v71, v22, s[80:81]
	ds_bpermute_b32 v73, v107, v73
	v_cndmask_b32_e64 v74, v74, v56, s[74:75]
	v_cmp_eq_u32_e64 s[72:73], 9, v95
	v_cndmask_b32_e64 v71, v71, v23, s[88:89]
	v_cmp_eq_u32_e64 s[56:57], 10, v95
	v_cndmask_b32_e64 v74, v74, v55, s[72:73]
	v_cndmask_b32_e64 v71, v71, v24, s[92:93]
	;; [unrolled: 1-line block ×3, first 2 shown]
	v_cmp_eq_u32_e64 s[78:79], 11, v95
	v_cndmask_b32_e64 v71, v71, v25, s[18:19]
	v_cmp_eq_u32_e64 s[60:61], 12, v95
	v_cndmask_b32_e64 v74, v74, v53, s[78:79]
	v_cndmask_b32_e64 v71, v71, v26, s[16:17]
	s_waitcnt lgkmcnt(1)
	v_cndmask_b32_e64 v33, v33, v48, s[30:31]
	v_cndmask_b32_e64 v32, v32, v48, s[8:9]
	;; [unrolled: 1-line block ×3, first 2 shown]
	v_cmp_eq_u32_e64 s[82:83], 13, v95
	v_cndmask_b32_e64 v71, v71, v27, s[14:15]
	v_cndmask_b32_e64 v34, v34, v48, s[36:37]
	s_waitcnt lgkmcnt(0)
	v_cndmask_b32_e64 v76, v1, v73, s[30:31]
	v_cndmask_b32_e64 v1, v32, v33, s[34:35]
	;; [unrolled: 1-line block ×3, first 2 shown]
	v_cmp_eq_u32_e64 s[86:87], 14, v95
	v_cndmask_b32_e64 v71, v71, v28, s[12:13]
	v_cndmask_b32_e64 v35, v35, v48, s[38:39]
	;; [unrolled: 1-line block ×4, first 2 shown]
	v_cmp_eq_u32_e64 s[90:91], 15, v95
	v_cndmask_b32_e64 v71, v71, v29, s[76:77]
	v_cndmask_b32_e64 v36, v36, v48, s[28:29]
	;; [unrolled: 1-line block ×7, first 2 shown]
	ds_bpermute_b32 v74, v107, v74
	v_cndmask_b32_e64 v71, v71, v31, s[6:7]
	v_cndmask_b32_e64 v38, v38, v48, s[80:81]
	;; [unrolled: 1-line block ×3, first 2 shown]
	ds_bpermute_b32 v71, v107, v71
	v_cndmask_b32_e64 v39, v39, v48, s[88:89]
	v_cndmask_b32_e64 v1, v1, v38, s[54:55]
	;; [unrolled: 1-line block ×6, first 2 shown]
	v_cmp_eq_u32_e64 s[50:51], 0, v95
	v_cndmask_b32_e64 v42, v42, v48, s[16:17]
	v_cndmask_b32_e64 v1, v1, v41, s[72:73]
	s_waitcnt lgkmcnt(1)
	v_cndmask_b32_e64 v63, v63, v74, s[34:35]
	v_cndmask_b32_e64 v70, v70, v74, s[50:51]
	v_cmp_eq_u32_e32 vcc, 1, v96
	v_cndmask_b32_e64 v43, v43, v48, s[14:15]
	v_cndmask_b32_e64 v1, v1, v42, s[56:57]
	;; [unrolled: 1-line block ×16, first 2 shown]
	v_cndmask_b32_e32 v74, v70, v63, vcc
	v_cndmask_b32_e64 v47, v47, v48, s[6:7]
	s_waitcnt lgkmcnt(0)
	v_cndmask_b32_e64 v31, v31, v71, s[6:7]
	v_cndmask_b32_e64 v15, v15, v73, s[6:7]
	v_cmp_eq_u32_e64 s[6:7], 2, v96
	v_cndmask_b32_e64 v44, v44, v48, s[12:13]
	v_cndmask_b32_e64 v1, v1, v43, s[78:79]
	;; [unrolled: 1-line block ×6, first 2 shown]
	v_cmp_eq_u32_e64 s[10:11], 3, v96
	v_cndmask_b32_e64 v45, v45, v48, s[76:77]
	v_cndmask_b32_e64 v1, v1, v44, s[60:61]
	;; [unrolled: 1-line block ×3, first 2 shown]
	v_cmp_eq_u32_e64 s[40:41], 4, v96
	v_cndmask_b32_e64 v1, v1, v45, s[82:83]
	v_cmp_eq_u32_e64 s[52:53], 5, v96
	v_cndmask_b32_e64 v74, v74, v60, s[40:41]
	v_cndmask_b32_e64 v1, v1, v46, s[86:87]
	;; [unrolled: 1-line block ×6, first 2 shown]
	v_cmp_eq_u32_e64 s[58:59], 6, v96
	v_cndmask_b32_e64 v10, v10, v73, s[16:17]
	v_cndmask_b32_e64 v9, v9, v73, s[18:19]
	;; [unrolled: 1-line block ×14, first 2 shown]
	v_cmp_eq_u32_e64 s[62:63], 7, v96
	v_cndmask_b32_e64 v18, v18, v71, s[36:37]
	ds_bpermute_b32 v48, v107, v1
	v_cndmask_b32_e64 v1, v16, v75, s[34:35]
	v_cndmask_b32_e64 v0, v73, v76, s[34:35]
	;; [unrolled: 1-line block ×3, first 2 shown]
	v_cmp_eq_u32_e64 s[70:71], 8, v96
	v_cndmask_b32_e64 v19, v19, v71, s[38:39]
	v_cndmask_b32_e64 v1, v1, v18, s[44:45]
	;; [unrolled: 1-line block ×5, first 2 shown]
	v_cmp_eq_u32_e64 s[76:77], 9, v96
	v_cndmask_b32_e64 v20, v20, v71, s[28:29]
	v_cndmask_b32_e64 v1, v1, v19, s[46:47]
	;; [unrolled: 1-line block ×4, first 2 shown]
	v_cmp_eq_u32_e64 s[66:67], 10, v96
	v_cndmask_b32_e64 v21, v21, v71, s[84:85]
	v_cndmask_b32_e64 v1, v1, v20, s[42:43]
	;; [unrolled: 1-line block ×5, first 2 shown]
	v_cmp_eq_u32_e64 s[64:65], 11, v96
	v_cndmask_b32_e64 v1, v1, v21, s[48:49]
	v_cndmask_b32_e64 v0, v0, v5, s[48:49]
	v_cndmask_b32_e64 v23, v23, v71, s[88:89]
	v_cndmask_b32_e64 v74, v74, v53, s[64:65]
	v_cmp_eq_u32_e64 s[80:81], 12, v96
	v_cndmask_b32_e64 v1, v1, v22, s[54:55]
	v_cndmask_b32_e64 v0, v0, v6, s[54:55]
	v_cndmask_b32_e64 v24, v24, v71, s[92:93]
	v_cndmask_b32_e64 v74, v74, v52, s[80:81]
	;; [unrolled: 5-line block ×5, first 2 shown]
	v_cndmask_b32_e64 v1, v1, v26, s[56:57]
	v_cndmask_b32_e64 v0, v0, v10, s[56:57]
	;; [unrolled: 1-line block ×3, first 2 shown]
	ds_bpermute_b32 v74, v107, v74
	v_cndmask_b32_e64 v1, v1, v27, s[78:79]
	v_cndmask_b32_e64 v0, v0, v11, s[78:79]
	;; [unrolled: 1-line block ×8, first 2 shown]
	v_cmp_eq_u32_e64 s[94:95], 0, v96
	v_cndmask_b32_e64 v1, v1, v31, s[90:91]
	v_cndmask_b32_e64 v0, v0, v15, s[90:91]
	s_waitcnt lgkmcnt(0)
	v_cndmask_b32_e64 v49, v49, v74, s[92:93]
	v_cndmask_b32_e64 v50, v50, v74, s[88:89]
	;; [unrolled: 1-line block ×14, first 2 shown]
	v_cndmask_b32_e32 v63, v63, v74, vcc
	v_cndmask_b32_e64 v70, v70, v74, s[94:95]
	ds_bpermute_b32 v71, v107, v1
	ds_bpermute_b32 v74, v107, v0
	v_cndmask_b32_e64 v101, v35, v48, s[46:47]
	v_cndmask_b32_e64 v126, v36, v48, s[42:43]
	v_cndmask_b32_e64 v123, v37, v48, s[48:49]
	s_waitcnt lgkmcnt(1)
	v_cndmask_b32_e64 v81, v29, v71, s[82:83]
	s_waitcnt lgkmcnt(0)
	v_cndmask_b32_e64 v84, v12, v74, s[60:61]
	v_cndmask_b32_e64 v12, v33, v48, s[34:35]
	v_cndmask_b32_e64 v29, v32, v48, s[50:51]
	v_cndmask_b32_e64 v78, v15, v74, s[90:91]
	v_cndmask_b32_e64 v100, v4, v74, s[42:43]
	v_cndmask_b32_e64 v15, v19, v71, s[46:47]
	v_cndmask_b32_e64 v4, v34, v48, s[44:45]
	v_cndmask_b32_e32 v19, v29, v12, vcc
	v_cndmask_b32_e64 v19, v19, v4, s[6:7]
	v_cndmask_b32_e64 v19, v19, v101, s[10:11]
	;; [unrolled: 1-line block ×30, first 2 shown]
	ds_bpermute_b32 v30, v107, v19
	v_cndmask_b32_e32 v19, v16, v13, vcc
	v_cndmask_b32_e64 v19, v19, v5, s[6:7]
	v_cndmask_b32_e64 v99, v20, v71, s[42:43]
	v_cndmask_b32_e64 v19, v19, v15, s[10:11]
	v_cndmask_b32_e64 v124, v21, v71, s[48:49]
	v_cndmask_b32_e64 v19, v19, v99, s[40:41]
	v_cndmask_b32_e64 v121, v22, v71, s[54:55]
	v_cndmask_b32_e64 v19, v19, v124, s[52:53]
	v_cndmask_b32_e64 v118, v23, v71, s[68:69]
	v_cndmask_b32_e64 v19, v19, v121, s[58:59]
	v_cndmask_b32_e64 v115, v24, v71, s[74:75]
	v_cndmask_b32_e64 v19, v19, v118, s[62:63]
	v_cndmask_b32_e64 v112, v25, v71, s[72:73]
	v_cndmask_b32_e64 v19, v19, v115, s[70:71]
	v_cndmask_b32_e64 v110, v26, v71, s[56:57]
	v_cndmask_b32_e64 v19, v19, v112, s[76:77]
	v_cmp_eq_u32_e64 s[8:9], 1, v97
	v_cndmask_b32_e64 v85, v27, v71, s[78:79]
	v_cndmask_b32_e64 v19, v19, v110, s[66:67]
	;; [unrolled: 1-line block ×3, first 2 shown]
	v_cmp_eq_u32_e64 s[12:13], 2, v97
	v_cndmask_b32_e64 v83, v28, v71, s[60:61]
	v_cndmask_b32_e64 v19, v19, v85, s[64:65]
	;; [unrolled: 1-line block ×3, first 2 shown]
	v_cmp_eq_u32_e64 s[14:15], 3, v97
	v_cndmask_b32_e64 v19, v19, v83, s[80:81]
	v_cmp_eq_u32_e64 s[16:17], 4, v97
	v_cndmask_b32_e64 v0, v0, v61, s[14:15]
	v_cndmask_b32_e64 v19, v19, v81, s[84:85]
	v_cndmask_b32_e64 v77, v31, v71, s[90:91]
	v_cndmask_b32_e64 v0, v0, v60, s[16:17]
	v_cmp_eq_u32_e64 s[18:19], 5, v97
	v_cndmask_b32_e64 v19, v19, v79, s[88:89]
	v_cndmask_b32_e64 v80, v14, v74, s[86:87]
	v_cndmask_b32_e64 v0, v0, v59, s[18:19]
	;; [unrolled: 5-line block ×3, first 2 shown]
	v_cndmask_b32_e64 v0, v0, v58, s[78:79]
	v_cmp_eq_u32_e64 s[82:83], 7, v97
	v_cndmask_b32_e64 v122, v6, v74, s[54:55]
	v_cndmask_b32_e64 v6, v2, v74, s[44:45]
	ds_bpermute_b32 v20, v107, v19
	v_cndmask_b32_e32 v19, v21, v14, vcc
	v_cndmask_b32_e64 v0, v0, v57, s[82:83]
	v_cndmask_b32_e64 v113, v9, v74, s[72:73]
	v_cmp_eq_u32_e64 s[72:73], 8, v97
	v_cndmask_b32_e64 v3, v3, v74, s[46:47]
	v_cndmask_b32_e64 v19, v19, v6, s[6:7]
	;; [unrolled: 1-line block ×3, first 2 shown]
	v_cmp_eq_u32_e64 s[28:29], 9, v97
	v_cndmask_b32_e64 v19, v19, v3, s[10:11]
	v_cmp_eq_u32_e64 s[30:31], 10, v97
	v_cndmask_b32_e64 v0, v0, v55, s[28:29]
	v_cndmask_b32_e64 v19, v19, v100, s[40:41]
	v_cndmask_b32_e64 v0, v0, v54, s[30:31]
	v_cmp_eq_u32_e64 s[36:37], 11, v97
	v_cndmask_b32_e64 v19, v19, v125, s[52:53]
	v_cndmask_b32_e64 v119, v7, v74, s[68:69]
	;; [unrolled: 4-line block ×3, first 2 shown]
	v_cndmask_b32_e64 v0, v0, v52, s[38:39]
	v_cmp_eq_u32_e64 s[42:43], 13, v97
	v_cndmask_b32_e64 v19, v19, v119, s[62:63]
	v_cmp_eq_u32_e64 s[46:47], 14, v97
	v_cndmask_b32_e64 v0, v0, v51, s[42:43]
	v_cndmask_b32_e64 v19, v19, v116, s[70:71]
	;; [unrolled: 1-line block ×4, first 2 shown]
	v_cmp_eq_u32_e64 s[44:45], 15, v97
	v_cndmask_b32_e64 v19, v19, v113, s[76:77]
	v_cndmask_b32_e64 v19, v19, v111, s[66:67]
	;; [unrolled: 1-line block ×3, first 2 shown]
	ds_bpermute_b32 v0, v107, v0
	v_cndmask_b32_e64 v19, v19, v109, s[64:65]
	v_cndmask_b32_e64 v19, v19, v84, s[80:81]
	;; [unrolled: 1-line block ×4, first 2 shown]
	v_cmp_eq_u32_e64 s[34:35], 0, v97
	v_cndmask_b32_e64 v19, v19, v78, s[92:93]
	s_waitcnt lgkmcnt(0)
	v_cndmask_b32_e64 v7, v49, v0, s[44:45]
	v_cndmask_b32_e64 v8, v50, v0, s[46:47]
	;; [unrolled: 1-line block ×16, first 2 shown]
	ds_bpermute_b32 v28, v107, v19
	v_cmp_eq_u32_e64 s[48:49], 1, v98
	v_cmp_eq_u32_e64 s[50:51], 2, v98
	v_cmp_eq_u32_e64 s[54:55], 3, v98
	v_cndmask_b32_e64 v33, v0, v18, s[48:49]
	v_cndmask_b32_e64 v34, v33, v17, s[50:51]
	;; [unrolled: 1-line block ×3, first 2 shown]
	v_cmp_eq_u32_e64 s[56:57], 4, v98
	v_cmp_eq_u32_e64 s[60:61], 5, v98
	v_cndmask_b32_e64 v57, v43, v30, s[64:65]
	v_cndmask_b32_e64 v39, v35, v1, s[56:57]
	;; [unrolled: 1-line block ×4, first 2 shown]
	s_waitcnt lgkmcnt(0)
	v_cndmask_b32_e64 v48, v109, v28, s[64:65]
	v_cmp_eq_u32_e64 s[64:65], 6, v98
	v_cndmask_b32_e64 v58, v42, v30, s[66:67]
	v_cndmask_b32_e64 v49, v111, v28, s[66:67]
	;; [unrolled: 1-line block ×4, first 2 shown]
	v_cmp_eq_u32_e64 s[66:67], 7, v98
	v_cmp_eq_u32_e64 s[68:69], 8, v98
	v_cndmask_b32_e64 v60, v114, v30, s[70:71]
	v_cndmask_b32_e64 v42, v43, v25, s[66:67]
	v_cndmask_b32_e64 v43, v42, v24, s[68:69]
	v_cndmask_b32_e64 v42, v115, v20, s[70:71]
	v_cndmask_b32_e64 v51, v116, v28, s[70:71]
	v_cmp_eq_u32_e64 s[70:71], 9, v98
	v_cndmask_b32_e64 v56, v44, v30, s[80:81]
	v_cndmask_b32_e64 v61, v117, v30, s[62:63]
	v_cndmask_b32_e64 v44, v43, v23, s[70:71]
	v_cndmask_b32_e64 v43, v118, v20, s[62:63]
	v_cndmask_b32_e64 v52, v119, v28, s[62:63]
	;; [unrolled: 6-line block ×3, first 2 shown]
	v_cndmask_b32_e64 v53, v122, v28, s[58:59]
	v_cmp_eq_u32_e64 s[58:59], 11, v98
	v_cndmask_b32_e64 v63, v123, v30, s[52:53]
	v_cndmask_b32_e64 v54, v125, v28, s[52:53]
	v_cndmask_b32_e64 v55, v45, v11, s[58:59]
	v_cndmask_b32_e64 v45, v124, v20, s[52:53]
	v_cmp_eq_u32_e64 s[52:53], 12, v98
	v_cndmask_b32_e64 v71, v126, v30, s[40:41]
	v_cndmask_b32_e64 v73, v99, v20, s[40:41]
	v_cndmask_b32_e64 v70, v55, v10, s[52:53]
	;; [unrolled: 5-line block ×4, first 2 shown]
	v_cndmask_b32_e64 v70, v4, v30, s[6:7]
	v_cndmask_b32_e64 v77, v5, v20, s[6:7]
	;; [unrolled: 1-line block ×3, first 2 shown]
	v_cmp_eq_u32_e64 s[6:7], 15, v98
	v_cndmask_b32_e64 v36, v79, v20, s[88:89]
	v_cndmask_b32_e64 v33, v80, v28, s[88:89]
	;; [unrolled: 1-line block ×3, first 2 shown]
	ds_bpermute_b32 v79, v107, v3
	v_cndmask_b32_e32 v80, v12, v30, vcc
	v_cndmask_b32_e64 v59, v41, v30, s[76:77]
	v_cndmask_b32_e64 v46, v46, v30, s[88:89]
	;; [unrolled: 1-line block ×3, first 2 shown]
	s_waitcnt lgkmcnt(0)
	v_cndmask_b32_e64 v12, v10, v79, s[52:53]
	v_cndmask_b32_e64 v10, v22, v79, s[62:63]
	;; [unrolled: 1-line block ×18, first 2 shown]
	v_cndmask_b32_e32 v81, v13, v20, vcc
	v_cndmask_b32_e64 v13, v9, v79, s[40:41]
	v_cndmask_b32_e64 v9, v23, v79, s[70:71]
	ds_bpermute_b32 v23, v107, v3
	v_cndmask_b32_e64 v34, v82, v28, s[84:85]
	v_cndmask_b32_e32 v82, v14, v28, vcc
	v_cndmask_b32_e64 v14, v8, v79, s[10:11]
	v_cndmask_b32_e64 v8, v24, v79, s[68:69]
	;; [unrolled: 1-line block ×4, first 2 shown]
	s_waitcnt lgkmcnt(0)
	v_cndmask_b32_e64 v18, v46, v23, s[46:47]
	v_cndmask_b32_e64 v24, v47, v23, s[42:43]
	;; [unrolled: 1-line block ×36, first 2 shown]
	ds_bpermute_b32 v71, v107, v22
	v_cndmask_b32_e64 v16, v16, v20, s[94:95]
	v_cndmask_b32_e64 v41, v112, v20, s[76:77]
	;; [unrolled: 1-line block ×3, first 2 shown]
	v_cmp_eq_u32_e32 vcc, 0, v98
	s_waitcnt lgkmcnt(0)
	v_cndmask_b32_e64 v31, v17, v71, s[6:7]
	v_cndmask_b32_e64 v17, v16, v81, s[8:9]
	;; [unrolled: 1-line block ×16, first 2 shown]
	ds_bpermute_b32 v17, v107, v17
	v_cndmask_b32_e64 v11, v11, v79, s[58:59]
	v_cndmask_b32_e64 v5, v27, v79, s[60:61]
	v_cndmask_b32_e32 v0, v0, v79, vcc
	v_cndmask_b32_e64 v20, v60, v71, s[56:57]
	s_waitcnt lgkmcnt(0)
	v_cndmask_b32_e64 v60, v73, v17, s[16:17]
	v_cndmask_b32_e64 v73, v75, v17, s[14:15]
	;; [unrolled: 1-line block ×39, first 2 shown]
	ds_bpermute_b32 v80, v107, v16
	v_cndmask_b32_e64 v35, v84, v28, s[80:81]
	v_cndmask_b32_e64 v50, v113, v28, s[76:77]
	;; [unrolled: 1-line block ×4, first 2 shown]
	s_waitcnt lgkmcnt(0)
	v_cndmask_b32_e64 v47, v46, v80, s[6:7]
	v_cndmask_b32_e64 v46, v36, v80, s[10:11]
	;; [unrolled: 1-line block ×19, first 2 shown]
	ds_bpermute_b32 v56, v107, v36
	v_cndmask_b32_e64 v43, v39, v80, s[58:59]
	v_cndmask_b32_e64 v39, v57, v80, s[66:67]
	;; [unrolled: 1-line block ×4, first 2 shown]
	s_waitcnt lgkmcnt(0)
	v_cndmask_b32_e64 v81, v82, v56, s[8:9]
	v_cndmask_b32_e64 v74, v74, v56, s[34:35]
	;; [unrolled: 1-line block ×9, first 2 shown]
	v_cndmask_b32_e32 v16, v70, v71, vcc
	v_cndmask_b32_e64 v71, v55, v56, s[16:17]
	v_cndmask_b32_e64 v32, v32, v76, s[54:55]
	;; [unrolled: 1-line block ×29, first 2 shown]
	ds_bpermute_b32 v82, v107, v32
	v_cndmask_b32_e64 v33, v77, v80, s[48:49]
	v_readlane_b32 s18, v127, 10
	v_readlane_b32 s28, v127, 12
	;; [unrolled: 1-line block ×3, first 2 shown]
	s_waitcnt lgkmcnt(0)
	v_cndmask_b32_e64 v63, v57, v82, s[6:7]
	v_readlane_b32 s6, v127, 28
	v_cndmask_b32_e64 v62, v58, v82, s[10:11]
	v_cndmask_b32_e64 v58, v49, v82, s[62:63]
	;; [unrolled: 1-line block ×3, first 2 shown]
	v_readlane_b32 s7, v127, 29
	v_readlane_b32 s46, v127, 25
	;; [unrolled: 1-line block ×3, first 2 shown]
	v_subrev_u32_e32 v108, s4, v108
	s_mov_b32 s1, 0
	v_cndmask_b32_e64 v41, v41, v80, s[70:71]
	v_cndmask_b32_e64 v35, v73, v80, s[54:55]
	;; [unrolled: 1-line block ×3, first 2 shown]
	v_cndmask_b32_e32 v32, v79, v80, vcc
	v_cndmask_b32_e64 v61, v59, v82, s[40:41]
	v_cndmask_b32_e64 v60, v60, v82, s[52:53]
	;; [unrolled: 1-line block ×11, first 2 shown]
	v_cndmask_b32_e32 v48, v74, v82, vcc
	v_lshl_add_u64 v[70:71], s[6:7], 0, v[64:65]
	s_mov_b64 s[6:7], 0
	s_mov_b32 s5, 0
	v_readlane_b32 s19, v127, 11
	v_readlane_b32 s29, v127, 13
	;; [unrolled: 1-line block ×9, first 2 shown]
	s_mov_b64 s[40:41], 0x80
	s_mov_b64 s[42:43], 0xc0
	v_readlane_b32 s44, v127, 27
	v_readlane_b32 s47, v127, 26
	;; [unrolled: 1-line block ×3, first 2 shown]
                                        ; implicit-def: $sgpr8_sgpr9
	s_branch .LBB205_32
.LBB205_30:                             ;   in Loop: Header=BB205_32 Depth=2
	s_or_b64 exec, exec, s[12:13]
	s_andn2_b64 s[8:9], s[8:9], exec
	s_and_b64 s[12:13], s[14:15], exec
	s_or_b64 s[8:9], s[8:9], s[12:13]
.LBB205_31:                             ;   in Loop: Header=BB205_32 Depth=2
	s_or_b64 exec, exec, s[10:11]
	s_and_b64 s[10:11], exec, s[8:9]
	s_or_b64 s[6:7], s[10:11], s[6:7]
	s_andn2_b64 exec, exec, s[6:7]
	s_cbranch_execz .LBB205_35
.LBB205_32:                             ;   Parent Loop BB205_7 Depth=1
                                        ; =>  This Inner Loop Header: Depth=2
	s_and_b32 s12, s1, 24
	v_or_b32_e32 v73, s12, v105
	v_add_u32_e32 v74, s96, v73
	v_cmp_gt_u32_e32 vcc, 32, v74
	s_or_b64 s[8:9], s[8:9], exec
	s_and_saveexec_b64 s[10:11], vcc
	s_cbranch_execz .LBB205_31
; %bb.33:                               ;   in Loop: Header=BB205_32 Depth=2
	s_add_i32 s13, s5, 1
	s_set_gpr_idx_on s5, gpr_idx(SRC0)
	v_mov_b32_e32 v74, v0
	s_set_gpr_idx_off
	v_cvt_f16_f32_e32 v76, v74
	s_set_gpr_idx_on s13, gpr_idx(SRC0)
	v_mov_b32_e32 v74, v0
	s_set_gpr_idx_off
	v_cvt_f16_f32_sdwa v77, v74 dst_sel:WORD_1 dst_unused:UNUSED_PAD src0_sel:DWORD
	v_mul_lo_u32 v74, v73, s21
	v_ashrrev_i32_e32 v75, 31, v74
	v_lshl_add_u64 v[74:75], v[74:75], 1, v[70:71]
	v_or_b32_e32 v73, v77, v76
	;;#ASMSTART
	global_atomic_pk_add_f16 v[74:75], v73, off
	
	;;#ASMEND
	s_set_gpr_idx_on s5, gpr_idx(SRC0)
	v_mov_b32_e32 v73, v16
	s_set_gpr_idx_off
	v_cvt_f16_f32_e32 v73, v73
	s_set_gpr_idx_on s13, gpr_idx(SRC0)
	v_mov_b32_e32 v76, v16
	s_set_gpr_idx_off
	v_cvt_f16_f32_sdwa v78, v76 dst_sel:WORD_1 dst_unused:UNUSED_PAD src0_sel:DWORD
	v_lshl_add_u64 v[76:77], v[74:75], 0, 64
	s_mov_b64 s[14:15], -1
	v_or_b32_e32 v73, v78, v73
	;;#ASMSTART
	global_atomic_pk_add_f16 v[76:77], v73, off
	
	;;#ASMEND
	s_set_gpr_idx_on s5, gpr_idx(SRC0)
	v_mov_b32_e32 v73, v32
	s_set_gpr_idx_off
	v_cvt_f16_f32_e32 v73, v73
	s_set_gpr_idx_on s13, gpr_idx(SRC0)
	v_mov_b32_e32 v76, v32
	s_set_gpr_idx_off
	v_cvt_f16_f32_sdwa v78, v76 dst_sel:WORD_1 dst_unused:UNUSED_PAD src0_sel:DWORD
	v_lshl_add_u64 v[76:77], v[74:75], 0, s[40:41]
	v_lshl_add_u64 v[74:75], v[74:75], 0, s[42:43]
	v_or_b32_e32 v73, v78, v73
	;;#ASMSTART
	global_atomic_pk_add_f16 v[76:77], v73, off
	
	;;#ASMEND
	s_set_gpr_idx_on s5, gpr_idx(SRC0)
	v_mov_b32_e32 v73, v48
	s_set_gpr_idx_off
	v_cvt_f16_f32_e32 v73, v73
	s_set_gpr_idx_on s13, gpr_idx(SRC0)
	v_mov_b32_e32 v76, v48
	s_set_gpr_idx_off
	v_cvt_f16_f32_sdwa v76, v76 dst_sel:WORD_1 dst_unused:UNUSED_PAD src0_sel:DWORD
	s_nop 0
	v_or_b32_e32 v73, v76, v73
	;;#ASMSTART
	global_atomic_pk_add_f16 v[74:75], v73, off
	
	;;#ASMEND
	v_or_b32_e32 v73, s12, v106
	v_add_u32_e32 v74, s96, v73
	v_cmp_gt_u32_e32 vcc, 32, v74
	s_and_saveexec_b64 s[12:13], vcc
	s_cbranch_execz .LBB205_30
; %bb.34:                               ;   in Loop: Header=BB205_32 Depth=2
	s_add_i32 s14, s5, 2
	s_add_i32 s15, s5, 3
	s_set_gpr_idx_on s14, gpr_idx(SRC0)
	v_mov_b32_e32 v74, v0
	s_set_gpr_idx_off
	v_cvt_f16_f32_e32 v76, v74
	s_set_gpr_idx_on s15, gpr_idx(SRC0)
	v_mov_b32_e32 v74, v0
	s_set_gpr_idx_off
	v_cvt_f16_f32_sdwa v77, v74 dst_sel:WORD_1 dst_unused:UNUSED_PAD src0_sel:DWORD
	v_mul_lo_u32 v74, v73, s21
	v_ashrrev_i32_e32 v75, 31, v74
	v_lshl_add_u64 v[74:75], v[74:75], 1, v[70:71]
	v_or_b32_e32 v73, v77, v76
	;;#ASMSTART
	global_atomic_pk_add_f16 v[74:75], v73, off
	
	;;#ASMEND
	s_set_gpr_idx_on s14, gpr_idx(SRC0)
	v_mov_b32_e32 v73, v16
	s_set_gpr_idx_off
	v_cvt_f16_f32_e32 v73, v73
	s_set_gpr_idx_on s15, gpr_idx(SRC0)
	v_mov_b32_e32 v76, v16
	s_set_gpr_idx_off
	v_cvt_f16_f32_sdwa v78, v76 dst_sel:WORD_1 dst_unused:UNUSED_PAD src0_sel:DWORD
	v_lshl_add_u64 v[76:77], v[74:75], 0, 64
	s_add_i32 s5, s5, 4
	s_add_i32 s1, s1, 8
	v_or_b32_e32 v73, v78, v73
	;;#ASMSTART
	global_atomic_pk_add_f16 v[76:77], v73, off
	
	;;#ASMEND
	s_set_gpr_idx_on s14, gpr_idx(SRC0)
	v_mov_b32_e32 v73, v32
	s_set_gpr_idx_off
	v_cvt_f16_f32_e32 v73, v73
	s_set_gpr_idx_on s15, gpr_idx(SRC0)
	v_mov_b32_e32 v76, v32
	s_set_gpr_idx_off
	v_cvt_f16_f32_sdwa v78, v76 dst_sel:WORD_1 dst_unused:UNUSED_PAD src0_sel:DWORD
	v_lshl_add_u64 v[76:77], v[74:75], 0, s[40:41]
	s_cmp_eq_u32 s5, 16
	v_lshl_add_u64 v[74:75], v[74:75], 0, s[42:43]
	v_or_b32_e32 v73, v78, v73
	;;#ASMSTART
	global_atomic_pk_add_f16 v[76:77], v73, off
	
	;;#ASMEND
	s_set_gpr_idx_on s14, gpr_idx(SRC0)
	v_mov_b32_e32 v73, v48
	s_set_gpr_idx_off
	v_cvt_f16_f32_e32 v73, v73
	s_set_gpr_idx_on s15, gpr_idx(SRC0)
	v_mov_b32_e32 v76, v48
	s_set_gpr_idx_off
	v_cvt_f16_f32_sdwa v76, v76 dst_sel:WORD_1 dst_unused:UNUSED_PAD src0_sel:DWORD
	s_cselect_b64 s[14:15], -1, 0
	s_orn2_b64 s[14:15], s[14:15], exec
	v_or_b32_e32 v73, v76, v73
	;;#ASMSTART
	global_atomic_pk_add_f16 v[74:75], v73, off
	
	;;#ASMEND
	s_branch .LBB205_30
.LBB205_35:                             ;   in Loop: Header=BB205_7 Depth=1
	s_or_b64 exec, exec, s[6:7]
	v_readlane_b32 s72, v127, 2
	v_readlane_b32 s12, v127, 0
	;; [unrolled: 1-line block ×11, first 2 shown]
.LBB205_36:                             ;   in Loop: Header=BB205_7 Depth=1
	s_or_b64 exec, exec, s[48:49]
.LBB205_37:                             ;   in Loop: Header=BB205_7 Depth=1
	s_andn2_saveexec_b64 s[2:3], s[2:3]
	s_cbranch_execz .LBB205_46
; %bb.38:                               ;   in Loop: Header=BB205_7 Depth=1
	s_lshl_b32 s5, s4, 2
	v_cmp_gt_i32_e32 vcc, s5, v108
	s_and_saveexec_b64 s[6:7], vcc
	s_cbranch_execz .LBB205_45
; %bb.39:                               ;   in Loop: Header=BB205_7 Depth=1
	s_mul_i32 s0, s0, s23
	s_ashr_i32 s1, s0, 31
	s_add_u32 s0, s74, s0
	s_addc_u32 s1, s75, s1
	s_ashr_i32 s8, s44, 31
	s_add_u32 s0, s0, s44
	s_addc_u32 s1, s1, s8
	v_lshl_add_u64 v[0:1], s[0:1], 0, v[68:69]
	v_lshl_add_u64 v[16:17], v[0:1], 0, v[66:67]
	s_mov_b64 s[0:1], 0
	s_branch .LBB205_41
.LBB205_40:                             ;   in Loop: Header=BB205_41 Depth=2
	s_or_b64 exec, exec, s[8:9]
	v_lshl_or_b32 v20, v18, 12, v102
	;;#ASMSTART
	s_waitcnt vmcnt(3)
	;;#ASMEND
	ds_write2_b32 v20, v12, v13 offset1:32
	ds_write2_b32 v20, v14, v15 offset0:64 offset1:96
	v_add_u32_e32 v12, 0x400, v20
	;;#ASMSTART
	s_waitcnt vmcnt(2)
	;;#ASMEND
	ds_write2_b32 v12, v8, v9 offset1:32
	ds_write2_b32 v12, v10, v11 offset0:64 offset1:96
	v_add_u32_e32 v8, 0x800, v20
	;; [unrolled: 6-line block ×3, first 2 shown]
	v_add_u32_e32 v108, s26, v108
	;;#ASMSTART
	s_waitcnt vmcnt(0)
	;;#ASMEND
	ds_write2_b32 v4, v0, v1 offset1:32
	ds_write2_b32 v4, v2, v3 offset0:64 offset1:96
	v_add_u32_e32 v0, 1, v87
	v_add_u32_e32 v72, s26, v18
	v_cmp_le_i32_e32 vcc, s5, v108
	ds_write_b32 v19, v0 offset:8
	v_add_u32_e32 v0, 2, v87
	s_or_b64 s[0:1], vcc, s[0:1]
	v_cmp_lt_i32_e32 vcc, 3, v72
	s_nop 1
	v_cndmask_b32_e32 v87, v87, v0, vcc
	s_andn2_b64 exec, exec, s[0:1]
	s_cbranch_execz .LBB205_44
.LBB205_41:                             ;   Parent Loop BB205_7 Depth=1
                                        ; =>  This Loop Header: Depth=2
                                        ;       Child Loop BB205_43 Depth 3
	v_cmp_gt_i32_e32 vcc, 4, v72
	s_nop 1
	v_cndmask_b32_e64 v0, -4, 0, vcc
	v_add_u32_e32 v18, v0, v72
	v_ashrrev_i32_e32 v0, 31, v108
	v_lshrrev_b32_e32 v0, 30, v0
	v_add_u32_e32 v0, v108, v0
	v_and_b32_e32 v1, -4, v0
	v_lshlrev_b32_e32 v0, 5, v0
	v_sub_u32_e32 v2, v108, v1
	v_and_b32_e32 v0, 0xffffff80, v0
	v_ashrrev_i32_e32 v1, 31, v0
	v_mul_lo_u32 v2, s24, v2
	v_lshl_add_u64 v[0:1], v[16:17], 0, v[0:1]
	v_ashrrev_i32_e32 v3, 31, v2
	v_lshl_add_u64 v[0:1], v[0:1], 0, v[2:3]
	v_lshlrev_b32_e32 v19, 2, v18
	;;#ASMSTART
	global_load_dwordx4 v[12:15], v[0:1], off offset:0   sc0 sc1 nt  
	global_load_dwordx4 v[8:11], v[0:1], off offset:32  sc0 sc1 nt  
	global_load_dwordx4 v[4:7], v[0:1], off offset:64  sc0 sc1 nt  
	;; [unrolled: 1-line block ×3, first 2 shown]
	
	;;#ASMEND
	ds_read_b32 v20, v19 offset:24584
	v_add_u32_e32 v19, 0x6000, v19
	s_waitcnt lgkmcnt(0)
	v_cmp_ne_u32_e32 vcc, v20, v87
	s_and_saveexec_b64 s[8:9], vcc
	s_cbranch_execz .LBB205_40
; %bb.42:                               ;   in Loop: Header=BB205_41 Depth=2
	s_mov_b64 s[10:11], 0
.LBB205_43:                             ;   Parent Loop BB205_7 Depth=1
                                        ;     Parent Loop BB205_41 Depth=2
                                        ; =>    This Inner Loop Header: Depth=3
	;;#ASMSTART
	s_sleep 0
	;;#ASMEND
	ds_read_b32 v20, v19 offset:8
	s_waitcnt lgkmcnt(0)
	v_cmp_eq_u32_e32 vcc, v20, v87
	s_or_b64 s[10:11], vcc, s[10:11]
	s_andn2_b64 exec, exec, s[10:11]
	s_cbranch_execnz .LBB205_43
	s_branch .LBB205_40
.LBB205_44:                             ;   in Loop: Header=BB205_7 Depth=1
	s_or_b64 exec, exec, s[0:1]
.LBB205_45:                             ;   in Loop: Header=BB205_7 Depth=1
	s_or_b64 exec, exec, s[6:7]
	v_subrev_u32_e32 v108, s5, v108
.LBB205_46:                             ;   in Loop: Header=BB205_7 Depth=1
	s_or_b64 exec, exec, s[2:3]
.LBB205_47:                             ;   in Loop: Header=BB205_7 Depth=1
	s_andn2_saveexec_b64 s[0:1], s[46:47]
	s_cbranch_execz .LBB205_6
; %bb.48:                               ;   in Loop: Header=BB205_7 Depth=1
	s_lshl_b32 s10, s4, 1
	v_cmp_gt_i32_e32 vcc, s10, v108
	s_and_saveexec_b64 s[2:3], vcc
	s_cbranch_execz .LBB205_5
; %bb.49:                               ;   in Loop: Header=BB205_7 Depth=1
	s_mul_i32 s99, s99, s22
	s_ashr_i32 s4, s99, 31
	s_add_u32 s5, s72, s99
	v_add_u32_e32 v2, s96, v88
	s_addc_u32 s6, s73, s4
	s_ashr_i32 s7, s44, 31
	v_cmp_gt_u32_e32 vcc, 64, v2
	s_add_u32 s4, s5, s44
	s_addc_u32 s5, s6, s7
	v_cndmask_b32_e32 v0, 0, v103, vcc
	v_ashrrev_i32_e32 v1, 31, v0
	v_lshl_add_u64 v[0:1], s[4:5], 0, v[0:1]
	v_lshl_add_u64 v[16:17], v[0:1], 0, v[66:67]
	v_sub_u32_e32 v18, 63, v2
	s_mov_b64 s[4:5], 0
	s_branch .LBB205_51
.LBB205_50:                             ;   in Loop: Header=BB205_51 Depth=2
	s_or_b64 exec, exec, s[6:7]
	v_lshl_add_u32 v21, v19, 12, v104
	;;#ASMSTART
	s_waitcnt vmcnt(3)
	;;#ASMEND
	ds_write2_b32 v21, v12, v13 offset1:32
	ds_write2_b32 v21, v14, v15 offset0:64 offset1:96
	v_add_u32_e32 v12, 0x400, v21
	;;#ASMSTART
	s_waitcnt vmcnt(2)
	;;#ASMEND
	ds_write2_b32 v12, v8, v9 offset1:32
	ds_write2_b32 v12, v10, v11 offset0:64 offset1:96
	v_add_u32_e32 v8, 0x800, v21
	;;#ASMSTART
	s_waitcnt vmcnt(1)
	;;#ASMEND
	ds_write2_b32 v8, v4, v5 offset1:32
	ds_write2_b32 v8, v6, v7 offset0:64 offset1:96
	v_add_u32_e32 v4, 0xc00, v21
	v_add_u32_e32 v108, s25, v108
	;;#ASMSTART
	s_waitcnt vmcnt(0)
	;;#ASMEND
	ds_write2_b32 v4, v0, v1 offset1:32
	ds_write2_b32 v4, v2, v3 offset0:64 offset1:96
	v_add_u32_e32 v0, 1, v87
	v_add_u32_e32 v72, s25, v19
	v_cmp_le_i32_e32 vcc, s10, v108
	ds_write_b32 v20, v0
	v_add_u32_e32 v0, 2, v87
	s_or_b64 s[4:5], vcc, s[4:5]
	v_cmp_lt_i32_e32 vcc, 1, v72
	s_nop 1
	v_cndmask_b32_e32 v87, v87, v0, vcc
	s_andn2_b64 exec, exec, s[4:5]
	s_cbranch_execz .LBB205_4
.LBB205_51:                             ;   Parent Loop BB205_7 Depth=1
                                        ; =>  This Loop Header: Depth=2
                                        ;       Child Loop BB205_53 Depth 3
	v_cmp_gt_i32_e32 vcc, 2, v72
	s_nop 1
	v_cndmask_b32_e64 v0, -2, 0, vcc
	v_add_u32_e32 v19, v0, v72
	v_lshrrev_b32_e32 v0, 31, v108
	v_add_u32_e32 v0, v108, v0
	v_and_b32_e32 v1, 0x7fffffe, v0
	v_sub_u32_e32 v1, v108, v1
	v_lshlrev_b32_e32 v1, 5, v1
	v_cmp_le_i32_e32 vcc, v1, v18
	v_lshlrev_b32_e32 v0, 6, v0
	v_and_b32_e32 v0, 0xffffff80, v0
	v_cndmask_b32_e32 v2, 0, v1, vcc
	v_ashrrev_i32_e32 v1, 31, v0
	v_mul_lo_u32 v2, v2, s22
	v_lshl_add_u64 v[0:1], v[16:17], 0, v[0:1]
	v_ashrrev_i32_e32 v3, 31, v2
	v_lshl_add_u64 v[0:1], v[0:1], 0, v[2:3]
	v_lshlrev_b32_e32 v20, 2, v19
	;;#ASMSTART
	global_load_dwordx4 v[12:15], v[0:1], off offset:0   
	global_load_dwordx4 v[8:11], v[0:1], off offset:32  
	;; [unrolled: 1-line block ×4, first 2 shown]
	
	;;#ASMEND
	ds_read_b32 v21, v20 offset:24576
	v_add_u32_e32 v20, 0x6000, v20
	s_waitcnt lgkmcnt(0)
	v_cmp_ne_u32_e32 vcc, v21, v87
	s_and_saveexec_b64 s[6:7], vcc
	s_cbranch_execz .LBB205_50
; %bb.52:                               ;   in Loop: Header=BB205_51 Depth=2
	s_mov_b64 s[8:9], 0
.LBB205_53:                             ;   Parent Loop BB205_7 Depth=1
                                        ;     Parent Loop BB205_51 Depth=2
                                        ; =>    This Inner Loop Header: Depth=3
	;;#ASMSTART
	s_sleep 0
	;;#ASMEND
	ds_read_b32 v21, v20
	s_waitcnt lgkmcnt(0)
	v_cmp_eq_u32_e32 vcc, v21, v87
	s_or_b64 s[8:9], vcc, s[8:9]
	s_andn2_b64 exec, exec, s[8:9]
	s_cbranch_execnz .LBB205_53
	s_branch .LBB205_50
.LBB205_54:
	s_endpgm
	.section	.rodata,"a",@progbits
	.p2align	6, 0x0
	.amdhsa_kernel _Z19_skinny_gemm_kernelILi2ELi4ELi1ELi32ELi8EEvPKhS1_P6__halfPKfiiiiiiii
		.amdhsa_group_segment_fixed_size 24600
		.amdhsa_private_segment_fixed_size 0
		.amdhsa_kernarg_size 64
		.amdhsa_user_sgpr_count 2
		.amdhsa_user_sgpr_dispatch_ptr 0
		.amdhsa_user_sgpr_queue_ptr 0
		.amdhsa_user_sgpr_kernarg_segment_ptr 1
		.amdhsa_user_sgpr_dispatch_id 0
		.amdhsa_user_sgpr_kernarg_preload_length 0
		.amdhsa_user_sgpr_kernarg_preload_offset 0
		.amdhsa_user_sgpr_private_segment_size 0
		.amdhsa_uses_dynamic_stack 0
		.amdhsa_enable_private_segment 0
		.amdhsa_system_sgpr_workgroup_id_x 1
		.amdhsa_system_sgpr_workgroup_id_y 0
		.amdhsa_system_sgpr_workgroup_id_z 0
		.amdhsa_system_sgpr_workgroup_info 0
		.amdhsa_system_vgpr_workitem_id 0
		.amdhsa_next_free_vgpr 128
		.amdhsa_next_free_sgpr 100
		.amdhsa_accum_offset 128
		.amdhsa_reserve_vcc 1
		.amdhsa_float_round_mode_32 0
		.amdhsa_float_round_mode_16_64 0
		.amdhsa_float_denorm_mode_32 3
		.amdhsa_float_denorm_mode_16_64 3
		.amdhsa_dx10_clamp 1
		.amdhsa_ieee_mode 1
		.amdhsa_fp16_overflow 0
		.amdhsa_tg_split 0
		.amdhsa_exception_fp_ieee_invalid_op 0
		.amdhsa_exception_fp_denorm_src 0
		.amdhsa_exception_fp_ieee_div_zero 0
		.amdhsa_exception_fp_ieee_overflow 0
		.amdhsa_exception_fp_ieee_underflow 0
		.amdhsa_exception_fp_ieee_inexact 0
		.amdhsa_exception_int_div_zero 0
	.end_amdhsa_kernel
	.section	.text._Z19_skinny_gemm_kernelILi2ELi4ELi1ELi32ELi8EEvPKhS1_P6__halfPKfiiiiiiii,"axG",@progbits,_Z19_skinny_gemm_kernelILi2ELi4ELi1ELi32ELi8EEvPKhS1_P6__halfPKfiiiiiiii,comdat
.Lfunc_end205:
	.size	_Z19_skinny_gemm_kernelILi2ELi4ELi1ELi32ELi8EEvPKhS1_P6__halfPKfiiiiiiii, .Lfunc_end205-_Z19_skinny_gemm_kernelILi2ELi4ELi1ELi32ELi8EEvPKhS1_P6__halfPKfiiiiiiii
                                        ; -- End function
	.set _Z19_skinny_gemm_kernelILi2ELi4ELi1ELi32ELi8EEvPKhS1_P6__halfPKfiiiiiiii.num_vgpr, 128
	.set _Z19_skinny_gemm_kernelILi2ELi4ELi1ELi32ELi8EEvPKhS1_P6__halfPKfiiiiiiii.num_agpr, 0
	.set _Z19_skinny_gemm_kernelILi2ELi4ELi1ELi32ELi8EEvPKhS1_P6__halfPKfiiiiiiii.numbered_sgpr, 100
	.set _Z19_skinny_gemm_kernelILi2ELi4ELi1ELi32ELi8EEvPKhS1_P6__halfPKfiiiiiiii.num_named_barrier, 0
	.set _Z19_skinny_gemm_kernelILi2ELi4ELi1ELi32ELi8EEvPKhS1_P6__halfPKfiiiiiiii.private_seg_size, 0
	.set _Z19_skinny_gemm_kernelILi2ELi4ELi1ELi32ELi8EEvPKhS1_P6__halfPKfiiiiiiii.uses_vcc, 1
	.set _Z19_skinny_gemm_kernelILi2ELi4ELi1ELi32ELi8EEvPKhS1_P6__halfPKfiiiiiiii.uses_flat_scratch, 0
	.set _Z19_skinny_gemm_kernelILi2ELi4ELi1ELi32ELi8EEvPKhS1_P6__halfPKfiiiiiiii.has_dyn_sized_stack, 0
	.set _Z19_skinny_gemm_kernelILi2ELi4ELi1ELi32ELi8EEvPKhS1_P6__halfPKfiiiiiiii.has_recursion, 0
	.set _Z19_skinny_gemm_kernelILi2ELi4ELi1ELi32ELi8EEvPKhS1_P6__halfPKfiiiiiiii.has_indirect_call, 0
	.section	.AMDGPU.csdata,"",@progbits
; Kernel info:
; codeLenInByte = 14796
; TotalNumSgprs: 106
; NumVgprs: 128
; NumAgprs: 0
; TotalNumVgprs: 128
; ScratchSize: 0
; MemoryBound: 0
; FloatMode: 240
; IeeeMode: 1
; LDSByteSize: 24600 bytes/workgroup (compile time only)
; SGPRBlocks: 13
; VGPRBlocks: 15
; NumSGPRsForWavesPerEU: 106
; NumVGPRsForWavesPerEU: 128
; AccumOffset: 128
; Occupancy: 4
; WaveLimiterHint : 0
; COMPUTE_PGM_RSRC2:SCRATCH_EN: 0
; COMPUTE_PGM_RSRC2:USER_SGPR: 2
; COMPUTE_PGM_RSRC2:TRAP_HANDLER: 0
; COMPUTE_PGM_RSRC2:TGID_X_EN: 1
; COMPUTE_PGM_RSRC2:TGID_Y_EN: 0
; COMPUTE_PGM_RSRC2:TGID_Z_EN: 0
; COMPUTE_PGM_RSRC2:TIDIG_COMP_CNT: 0
; COMPUTE_PGM_RSRC3_GFX90A:ACCUM_OFFSET: 31
; COMPUTE_PGM_RSRC3_GFX90A:TG_SPLIT: 0
	.section	.text._Z19_skinny_gemm_kernelILi2ELi4ELi2ELi16ELi4EEvPKhS1_P6__halfPKfiiiiiiii,"axG",@progbits,_Z19_skinny_gemm_kernelILi2ELi4ELi2ELi16ELi4EEvPKhS1_P6__halfPKfiiiiiiii,comdat
	.protected	_Z19_skinny_gemm_kernelILi2ELi4ELi2ELi16ELi4EEvPKhS1_P6__halfPKfiiiiiiii ; -- Begin function _Z19_skinny_gemm_kernelILi2ELi4ELi2ELi16ELi4EEvPKhS1_P6__halfPKfiiiiiiii
	.globl	_Z19_skinny_gemm_kernelILi2ELi4ELi2ELi16ELi4EEvPKhS1_P6__halfPKfiiiiiiii
	.p2align	8
	.type	_Z19_skinny_gemm_kernelILi2ELi4ELi2ELi16ELi4EEvPKhS1_P6__halfPKfiiiiiiii,@function
_Z19_skinny_gemm_kernelILi2ELi4ELi2ELi16ELi4EEvPKhS1_P6__halfPKfiiiiiiii: ; @_Z19_skinny_gemm_kernelILi2ELi4ELi2ELi16ELi4EEvPKhS1_P6__halfPKfiiiiiiii
; %bb.0:
	v_cmp_gt_u32_e32 vcc, 12, v0
	v_lshlrev_b32_e32 v1, 2, v0
	s_and_saveexec_b64 s[4:5], vcc
; %bb.1:
	v_mov_b32_e32 v2, 0
	ds_write_b32 v1, v2 offset:24576
; %bb.2:
	s_or_b64 exec, exec, s[4:5]
	s_load_dwordx8 s[20:27], s[0:1], 0x20
	s_waitcnt lgkmcnt(0)
	s_barrier
	s_add_i32 s3, s20, 31
	s_ashr_i32 s5, s3, 31
	s_add_i32 s4, s21, 63
	s_lshr_b32 s5, s5, 27
	s_ashr_i32 s6, s4, 31
	s_add_i32 s3, s3, s5
	s_ashr_i32 s33, s3, 5
	s_lshr_b32 s3, s6, 26
	s_add_i32 s4, s4, s3
	s_ashr_i32 s52, s4, 6
	s_mul_i32 s3, s52, s33
	s_mul_i32 s3, s3, s24
	s_add_i32 s4, s3, 0x12f
	s_mul_hi_i32 s4, s4, 0x6bca1af3
	s_lshr_b32 s5, s4, 31
	s_ashr_i32 s4, s4, 7
	s_add_i32 s4, s4, s5
	s_add_i32 s5, s2, 1
	s_mul_i32 s5, s4, s5
	v_cvt_f64_i32_e32 v[2:3], s3
	v_cvt_f64_u32_e32 v[4:5], s5
	v_min_f64 v[2:3], v[2:3], v[4:5]
	v_cvt_i32_f64_e32 v33, v[2:3]
	s_mul_i32 s53, s4, s2
	v_cmp_ge_i32_e32 vcc, s53, v33
	s_cbranch_vccnz .LBB206_56
; %bb.3:
	v_lshrrev_b32_e32 v2, 6, v0
	s_add_i32 s4, s26, s25
	s_load_dwordx8 s[36:43], s[0:1], 0x0
	v_cmp_le_i32_e64 s[0:1], s4, v2
	v_mov_b32_e32 v3, s25
	v_cmp_le_i32_e64 s[2:3], s25, v2
	v_mov_b32_e32 v4, s26
	v_cndmask_b32_e64 v4, 0, v4, s[0:1]
	v_cndmask_b32_e64 v3, 0, v3, s[2:3]
	s_abs_i32 s5, s24
	v_add_u32_e32 v3, v3, v4
	v_cvt_f32_u32_e32 v4, s5
	v_sub_u32_e32 v44, v2, v3
	s_ashr_i32 s6, s22, 31
	s_lshr_b32 s6, s6, 25
	v_rcp_iflag_f32_e32 v3, v4
	s_sub_i32 s9, 0, s5
	s_add_i32 s6, s22, s6
	s_ashr_i32 s6, s6, 7
	v_mul_f32_e32 v3, 0x4f7ffffe, v3
	v_cvt_u32_f32_e32 v3, v3
	s_abs_i32 s8, s6
	s_xor_b32 s7, s6, s24
	s_ashr_i32 s7, s7, 31
	v_readfirstlane_b32 s10, v3
	s_mul_i32 s9, s9, s10
	s_mul_hi_u32 s9, s10, s9
	s_add_i32 s10, s10, s9
	s_mul_hi_u32 s9, s8, s10
	s_mul_i32 s10, s9, s5
	s_sub_i32 s8, s8, s10
	s_add_i32 s10, s9, 1
	s_sub_i32 s11, s8, s5
	s_cmp_ge_u32 s8, s5
	s_cselect_b32 s9, s10, s9
	s_cselect_b32 s8, s11, s8
	s_add_i32 s10, s9, 1
	s_cmp_ge_u32 s8, s5
	s_cselect_b32 s5, s10, s9
	s_xor_b32 s5, s5, s7
	s_sub_i32 s54, s5, s7
	s_add_i32 s24, s24, -1
	s_mul_i32 s5, s54, s24
	s_add_i32 s4, s4, s27
	s_sub_i32 s55, s6, s5
	v_cmp_gt_i32_e64 s[4:5], s4, v2
	v_lshlrev_b32_e32 v2, 1, v0
	v_lshlrev_b32_e32 v3, 4, v0
	v_and_b32_e32 v1, 60, v1
	v_and_b32_e32 v2, 64, v2
	v_and_b32_e32 v4, 0x100, v3
	v_or3_b32 v65, v1, v2, v4
	v_and_b32_e32 v1, 1, v0
	v_lshrrev_b32_e32 v4, 2, v0
	s_abs_i32 s56, s33
	v_and_or_b32 v72, v4, 12, v1
	v_cvt_f32_u32_e32 v4, s56
	v_lshlrev_b32_e32 v2, 1, v1
	v_and_b32_e32 v32, 14, v0
	v_sub_u32_e32 v2, v0, v2
	v_bitop3_b32 v67, v0, 1, v0 bitop3:0xc
	v_bitop3_b32 v68, v0, 3, 1 bitop3:0x6c
	v_and_b32_e32 v38, 48, v3
	v_bfe_u32 v74, v0, 2, 4
	v_and_b32_e32 v1, 60, v0
	v_lshlrev_b32_e32 v3, 8, v0
	v_lshlrev_b32_e32 v0, 6, v0
	v_and_b32_e32 v3, 0x200, v3
	v_and_b32_e32 v0, 64, v0
	v_or3_b32 v75, v1, v3, v0
	v_rcp_iflag_f32_e32 v0, v4
	s_abs_i32 s58, s52
	v_cvt_f32_u32_e32 v1, s58
	v_mad_u64_u32 v[34:35], s[6:7], s21, v72, v[32:33]
	v_mul_f32_e32 v0, 0x4f7ffffe, v0
	v_cvt_u32_f32_e32 v0, v0
	v_rcp_iflag_f32_e32 v1, v1
	s_sub_i32 s6, 0, s56
	v_add_u32_e32 v2, 1, v2
	v_readfirstlane_b32 s7, v0
	v_mul_f32_e32 v0, 0x4f7ffffe, v1
	v_cvt_u32_f32_e32 v0, v0
	s_mul_i32 s6, s6, s7
	s_mul_hi_u32 s6, s7, s6
	s_add_i32 s60, s7, s6
	s_sub_i32 s6, 0, s58
	v_readfirstlane_b32 s7, v0
	v_mbcnt_lo_u32_b32 v0, -1, 0
	v_and_b32_e32 v2, 63, v2
	s_mul_i32 s6, s6, s7
	v_mbcnt_hi_u32_b32 v0, -1, v0
	v_lshl_add_u32 v36, s21, 4, v34
	v_mul_lo_u32 v40, s23, v74
	s_mul_hi_u32 s6, s7, s6
	v_and_or_b32 v0, v0, 64, v2
	v_cndmask_b32_e64 v64, 0, 1, s[0:1]
	v_or_b32_e32 v66, 0x4000, v65
	s_ashr_i32 s29, s21, 31
	s_mov_b32 s28, s21
	v_or_b32_e32 v69, 16, v32
	v_or_b32_e32 v70, 32, v32
	;; [unrolled: 1-line block ×3, first 2 shown]
	v_ashrrev_i32_e32 v35, 31, v34
	v_or_b32_e32 v73, 16, v72
	v_ashrrev_i32_e32 v37, 31, v36
	v_ashrrev_i32_e32 v41, 31, v40
	v_mov_b32_e32 v39, 0
	s_lshl_b32 s57, s23, 4
	v_mul_lo_u32 v76, s22, v74
	v_or_b32_e32 v77, 0x4000, v75
	s_ashr_i32 s59, s33, 31
	s_ashr_i32 s61, s52, 31
	s_add_i32 s62, s7, s6
	s_mov_b64 s[30:31], 0x60
	v_lshlrev_b32_e32 v78, 2, v0
	v_mov_b32_e32 v79, v44
	s_branch .LBB206_7
.LBB206_4:                              ;   in Loop: Header=BB206_7 Depth=1
	s_or_b64 exec, exec, s[10:11]
.LBB206_5:                              ;   in Loop: Header=BB206_7 Depth=1
	s_or_b64 exec, exec, s[8:9]
	v_subrev_u32_e32 v79, s16, v79
.LBB206_6:                              ;   in Loop: Header=BB206_7 Depth=1
	s_or_b64 exec, exec, s[6:7]
	s_add_i32 s53, s53, 1
	v_cmp_ge_i32_e32 vcc, s53, v33
	s_cbranch_vccnz .LBB206_56
.LBB206_7:                              ; =>This Loop Header: Depth=1
                                        ;     Child Loop BB206_13 Depth 2
                                        ;       Child Loop BB206_15 Depth 3
                                        ;       Child Loop BB206_18 Depth 3
	;; [unrolled: 1-line block ×6, first 2 shown]
                                        ;     Child Loop BB206_43 Depth 2
                                        ;       Child Loop BB206_45 Depth 3
                                        ;     Child Loop BB206_53 Depth 2
                                        ;       Child Loop BB206_55 Depth 3
	s_abs_i32 s7, s53
	s_mul_hi_u32 s8, s7, s60
	s_mul_i32 s9, s8, s56
	s_ashr_i32 s6, s53, 31
	s_sub_i32 s7, s7, s9
	s_xor_b32 s6, s6, s59
	s_add_i32 s9, s8, 1
	s_sub_i32 s10, s7, s56
	s_cmp_ge_u32 s7, s56
	s_cselect_b32 s8, s9, s8
	s_cselect_b32 s7, s10, s7
	s_add_i32 s9, s8, 1
	s_cmp_ge_u32 s7, s56
	s_cselect_b32 s7, s9, s8
	s_xor_b32 s7, s7, s6
	s_sub_i32 s6, s7, s6
	s_abs_i32 s8, s6
	s_mul_i32 s7, s6, s33
	s_mul_hi_u32 s9, s8, s62
	s_sub_i32 s7, s53, s7
	s_mul_i32 s10, s9, s58
	s_lshl_b32 s63, s7, 5
	s_ashr_i32 s7, s6, 31
	s_sub_i32 s8, s8, s10
	s_xor_b32 s7, s7, s61
	s_add_i32 s10, s9, 1
	s_sub_i32 s11, s8, s58
	s_cmp_ge_u32 s8, s58
	s_cselect_b32 s9, s10, s9
	s_cselect_b32 s8, s11, s8
	s_add_i32 s10, s9, 1
	s_cmp_ge_u32 s8, s58
	s_cselect_b32 s8, s10, s9
	s_xor_b32 s8, s8, s7
	s_sub_i32 s7, s8, s7
	s_mul_i32 s8, s7, s54
	s_lshl_b32 s64, s8, 7
	s_cmp_eq_u32 s7, s24
	s_cselect_b32 s66, s55, s54
	s_sub_i32 s8, s63, s20
	s_add_i32 s8, s8, 32
	s_max_i32 s65, s8, 0
	s_and_saveexec_b64 s[8:9], s[2:3]
	s_xor_b64 s[34:35], exec, s[8:9]
	s_cbranch_execz .LBB206_49
; %bb.8:                                ;   in Loop: Header=BB206_7 Depth=1
	s_mul_i32 s7, s7, s52
	s_sub_i32 s6, s6, s7
	s_lshl_b32 s6, s6, 6
	s_sub_i32 s45, s6, s21
	s_add_i32 s45, s45, 64
	s_max_i32 s7, s45, 0
	s_sub_i32 s44, s6, s7
	s_and_saveexec_b64 s[6:7], s[0:1]
	s_xor_b64 s[46:47], exec, s[6:7]
	s_cbranch_execz .LBB206_39
; %bb.9:                                ;   in Loop: Header=BB206_7 Depth=1
	s_and_saveexec_b64 s[48:49], s[4:5]
	s_cbranch_execz .LBB206_38
; %bb.10:                               ;   in Loop: Header=BB206_7 Depth=1
	s_waitcnt lgkmcnt(0)
	global_load_dword v80, v39, s[42:43]
	v_mov_b32_e32 v31, 0
	v_cmp_gt_i32_e32 vcc, s66, v79
	v_mov_b32_e32 v30, v31
	v_mov_b32_e32 v29, v31
	;; [unrolled: 1-line block ×31, first 2 shown]
	s_and_saveexec_b64 s[6:7], vcc
	s_cbranch_execz .LBB206_32
; %bb.11:                               ;   in Loop: Header=BB206_7 Depth=1
	v_mov_b32_e32 v4, 0
	s_mov_b64 s[8:9], 0
	v_mov_b32_e32 v5, v4
	v_mov_b32_e32 v6, v4
	;; [unrolled: 1-line block ×31, first 2 shown]
	s_branch .LBB206_13
.LBB206_12:                             ;   in Loop: Header=BB206_13 Depth=2
	s_or_b64 exec, exec, s[10:11]
	v_add_u32_e32 v59, 0x1800, v58
	ds_read2_b32 v[60:61], v59 offset1:32
	v_add_u32_e32 v62, 0x1c00, v58
	v_add_u32_e32 v79, s27, v79
	s_waitcnt lgkmcnt(0)
	v_mfma_f32_16x16x32_fp8_fp8 v[16:19], v[42:43], v[60:61], v[16:19]
	ds_read2_b32 v[42:43], v59 offset0:128 offset1:160
	ds_read2_b32 v[58:59], v62 offset1:32
	v_mfma_f32_16x16x32_fp8_fp8 v[4:7], v[52:53], v[60:61], v[4:7]
	s_waitcnt lgkmcnt(1)
	v_mfma_f32_16x16x32_fp8_fp8 v[16:19], v[44:45], v[42:43], v[16:19]
	v_add_u32_e32 v44, s27, v81
	v_cmp_lt_i32_e32 vcc, 1, v44
	v_mfma_f32_16x16x32_fp8_fp8 v[4:7], v[54:55], v[42:43], v[4:7]
	v_add_u32_e32 v42, 2, v64
	v_cndmask_b32_e32 v64, v64, v42, vcc
	v_cmp_le_i32_e32 vcc, s66, v79
	s_waitcnt lgkmcnt(0)
	v_mfma_f32_16x16x32_fp8_fp8 v[16:19], v[46:47], v[58:59], v[16:19]
	ds_read2_b32 v[46:47], v62 offset0:128 offset1:160
	s_or_b64 s[8:9], vcc, s[8:9]
	;;#ASMSTART
	s_waitcnt lgkmcnt(0)
	;;#ASMEND
	v_mfma_f32_16x16x32_fp8_fp8 v[4:7], v[56:57], v[58:59], v[4:7]
	ds_write_b32 v82, v83 offset:24604
	s_waitcnt lgkmcnt(1)
	v_mfma_f32_16x16x32_fp8_fp8 v[16:19], v[48:49], v[46:47], v[16:19]
	v_mfma_f32_16x16x32_fp8_fp8 v[4:7], v[50:51], v[46:47], v[4:7]
	s_andn2_b64 exec, exec, s[8:9]
	s_cbranch_execz .LBB206_31
.LBB206_13:                             ;   Parent Loop BB206_7 Depth=1
                                        ; =>  This Loop Header: Depth=2
                                        ;       Child Loop BB206_15 Depth 3
                                        ;       Child Loop BB206_18 Depth 3
	;; [unrolled: 1-line block ×6, first 2 shown]
	v_cmp_gt_i32_e32 vcc, 2, v44
	s_nop 1
	v_cndmask_b32_e64 v42, -2, 0, vcc
	v_add_u32_e32 v81, v42, v44
	v_lshlrev_b32_e32 v82, 4, v81
	ds_read_b32 v42, v82 offset:24592
	s_waitcnt lgkmcnt(0)
	v_cmp_ne_u32_e32 vcc, v42, v64
	s_and_saveexec_b64 s[10:11], vcc
	s_cbranch_execz .LBB206_16
; %bb.14:                               ;   in Loop: Header=BB206_13 Depth=2
	s_mov_b64 s[12:13], 0
.LBB206_15:                             ;   Parent Loop BB206_7 Depth=1
                                        ;     Parent Loop BB206_13 Depth=2
                                        ; =>    This Inner Loop Header: Depth=3
	;;#ASMSTART
	s_sleep 0
	;;#ASMEND
	ds_read_b32 v42, v82 offset:24592
	s_waitcnt lgkmcnt(0)
	v_cmp_eq_u32_e32 vcc, v42, v64
	s_or_b64 s[12:13], vcc, s[12:13]
	s_andn2_b64 exec, exec, s[12:13]
	s_cbranch_execnz .LBB206_15
.LBB206_16:                             ;   in Loop: Header=BB206_13 Depth=2
	s_or_b64 exec, exec, s[10:11]
	v_lshlrev_b32_e32 v84, 13, v81
	v_or_b32_e32 v42, v65, v84
	ds_read2_b32 v[50:51], v42 offset1:32
	ds_read2_b32 v[58:59], v42 offset0:128 offset1:160
	v_add_u32_e32 v42, 0x400, v42
	v_add_u32_e32 v83, 1, v64
	ds_read2_b32 v[62:63], v42 offset1:32
	ds_read2_b32 v[60:61], v42 offset0:128 offset1:160
	;;#ASMSTART
	s_waitcnt lgkmcnt(0)
	;;#ASMEND
	ds_write_b32 v82, v83 offset:24592
	v_lshlrev_b32_e32 v85, 3, v81
	ds_read_b32 v42, v85 offset:24576
	s_waitcnt lgkmcnt(0)
	v_cmp_ne_u32_e32 vcc, v42, v64
	s_and_saveexec_b64 s[10:11], vcc
	s_cbranch_execz .LBB206_19
; %bb.17:                               ;   in Loop: Header=BB206_13 Depth=2
	s_mov_b64 s[12:13], 0
.LBB206_18:                             ;   Parent Loop BB206_7 Depth=1
                                        ;     Parent Loop BB206_13 Depth=2
                                        ; =>    This Inner Loop Header: Depth=3
	;;#ASMSTART
	s_sleep 0
	;;#ASMEND
	ds_read_b32 v42, v85 offset:24576
	s_waitcnt lgkmcnt(0)
	v_cmp_eq_u32_e32 vcc, v42, v64
	s_or_b64 s[12:13], vcc, s[12:13]
	s_andn2_b64 exec, exec, s[12:13]
	s_cbranch_execnz .LBB206_18
.LBB206_19:                             ;   in Loop: Header=BB206_13 Depth=2
	s_or_b64 exec, exec, s[10:11]
	v_lshlrev_b32_e32 v42, 12, v81
	v_add_u32_e32 v56, v66, v42
	ds_read2_b32 v[42:43], v56 offset1:32
	ds_read2_b32 v[44:45], v56 offset0:128 offset1:160
	v_add_u32_e32 v48, 0x400, v56
	ds_read2_b32 v[46:47], v48 offset1:32
	ds_read2_b32 v[48:49], v48 offset0:128 offset1:160
	ds_read_b32 v52, v85 offset:24580
	ds_write_b32 v85, v83 offset:24576
	s_waitcnt lgkmcnt(5)
	v_mfma_f32_16x16x32_fp8_fp8 v[28:31], v[42:43], v[50:51], v[28:31]
	s_waitcnt lgkmcnt(1)
	v_cmp_ne_u32_e32 vcc, v52, v64
	v_mfma_f32_16x16x32_fp8_fp8 v[28:31], v[44:45], v[58:59], v[28:31]
	v_mfma_f32_16x16x32_fp8_fp8 v[28:31], v[46:47], v[62:63], v[28:31]
	;; [unrolled: 1-line block ×3, first 2 shown]
	s_and_saveexec_b64 s[10:11], vcc
	s_cbranch_execz .LBB206_22
; %bb.20:                               ;   in Loop: Header=BB206_13 Depth=2
	s_mov_b64 s[12:13], 0
.LBB206_21:                             ;   Parent Loop BB206_7 Depth=1
                                        ;     Parent Loop BB206_13 Depth=2
                                        ; =>    This Inner Loop Header: Depth=3
	;;#ASMSTART
	s_sleep 0
	;;#ASMEND
	ds_read_b32 v52, v85 offset:24580
	s_waitcnt lgkmcnt(0)
	v_cmp_eq_u32_e32 vcc, v52, v64
	s_or_b64 s[12:13], vcc, s[12:13]
	s_andn2_b64 exec, exec, s[12:13]
	s_cbranch_execnz .LBB206_21
.LBB206_22:                             ;   in Loop: Header=BB206_13 Depth=2
	s_or_b64 exec, exec, s[10:11]
	v_add_u32_e32 v54, 0x800, v56
	ds_read2_b32 v[52:53], v54 offset1:32
	ds_read2_b32 v[54:55], v54 offset0:128 offset1:160
	v_add_u32_e32 v86, 0xc00, v56
	ds_read2_b32 v[56:57], v86 offset1:32
	ds_write_b32 v85, v83 offset:24580
	s_waitcnt lgkmcnt(3)
	v_mfma_f32_16x16x32_fp8_fp8 v[12:15], v[52:53], v[50:51], v[12:15]
	ds_read2_b32 v[50:51], v86 offset0:128 offset1:160
	s_waitcnt lgkmcnt(3)
	v_mfma_f32_16x16x32_fp8_fp8 v[12:15], v[54:55], v[58:59], v[12:15]
	ds_read_b32 v58, v82 offset:24596
	s_waitcnt lgkmcnt(0)
	v_cmp_ne_u32_e32 vcc, v58, v64
	v_mfma_f32_16x16x32_fp8_fp8 v[12:15], v[56:57], v[62:63], v[12:15]
	v_mfma_f32_16x16x32_fp8_fp8 v[12:15], v[50:51], v[60:61], v[12:15]
	s_and_saveexec_b64 s[10:11], vcc
	s_cbranch_execz .LBB206_25
; %bb.23:                               ;   in Loop: Header=BB206_13 Depth=2
	s_mov_b64 s[12:13], 0
.LBB206_24:                             ;   Parent Loop BB206_7 Depth=1
                                        ;     Parent Loop BB206_13 Depth=2
                                        ; =>    This Inner Loop Header: Depth=3
	;;#ASMSTART
	s_sleep 0
	;;#ASMEND
	ds_read_b32 v58, v82 offset:24596
	s_waitcnt lgkmcnt(0)
	v_cmp_eq_u32_e32 vcc, v58, v64
	s_or_b64 s[12:13], vcc, s[12:13]
	s_andn2_b64 exec, exec, s[12:13]
	s_cbranch_execnz .LBB206_24
.LBB206_25:                             ;   in Loop: Header=BB206_13 Depth=2
	s_or_b64 exec, exec, s[10:11]
	v_add_u32_e32 v58, v65, v84
	v_add_u32_e32 v59, 0x800, v58
	ds_read2_b32 v[60:61], v59 offset1:32
	s_waitcnt lgkmcnt(0)
	v_mfma_f32_16x16x32_fp8_fp8 v[24:27], v[42:43], v[60:61], v[24:27]
	v_mfma_f32_16x16x32_fp8_fp8 v[8:11], v[52:53], v[60:61], v[8:11]
	ds_read2_b32 v[60:61], v59 offset0:128 offset1:160
	v_add_u32_e32 v59, 0xc00, v58
	ds_read2_b32 v[62:63], v59 offset1:32
	s_waitcnt lgkmcnt(1)
	v_mfma_f32_16x16x32_fp8_fp8 v[24:27], v[44:45], v[60:61], v[24:27]
	ds_read2_b32 v[84:85], v59 offset0:128 offset1:160
	;;#ASMSTART
	s_waitcnt lgkmcnt(0)
	;;#ASMEND
	ds_read_b32 v59, v82 offset:24600
	v_mfma_f32_16x16x32_fp8_fp8 v[8:11], v[54:55], v[60:61], v[8:11]
	ds_write_b32 v82, v83 offset:24596
	s_waitcnt lgkmcnt(1)
	v_cmp_ne_u32_e32 vcc, v59, v64
	v_mfma_f32_16x16x32_fp8_fp8 v[24:27], v[46:47], v[62:63], v[24:27]
	v_mfma_f32_16x16x32_fp8_fp8 v[8:11], v[56:57], v[62:63], v[8:11]
	;; [unrolled: 1-line block ×4, first 2 shown]
	s_and_saveexec_b64 s[10:11], vcc
	s_cbranch_execz .LBB206_28
; %bb.26:                               ;   in Loop: Header=BB206_13 Depth=2
	s_mov_b64 s[12:13], 0
.LBB206_27:                             ;   Parent Loop BB206_7 Depth=1
                                        ;     Parent Loop BB206_13 Depth=2
                                        ; =>    This Inner Loop Header: Depth=3
	;;#ASMSTART
	s_sleep 0
	;;#ASMEND
	ds_read_b32 v59, v82 offset:24600
	s_waitcnt lgkmcnt(0)
	v_cmp_eq_u32_e32 vcc, v59, v64
	s_or_b64 s[12:13], vcc, s[12:13]
	s_andn2_b64 exec, exec, s[12:13]
	s_cbranch_execnz .LBB206_27
.LBB206_28:                             ;   in Loop: Header=BB206_13 Depth=2
	s_or_b64 exec, exec, s[10:11]
	v_add_u32_e32 v59, 0x1000, v58
	ds_read2_b32 v[60:61], v59 offset1:32
	ds_read2_b32 v[62:63], v59 offset0:128 offset1:160
	v_add_u32_e32 v59, 0x1400, v58
	ds_read2_b32 v[84:85], v59 offset1:32
	ds_read2_b32 v[86:87], v59 offset0:128 offset1:160
	s_waitcnt lgkmcnt(3)
	v_mfma_f32_16x16x32_fp8_fp8 v[20:23], v[42:43], v[60:61], v[20:23]
	;;#ASMSTART
	s_waitcnt lgkmcnt(0)
	;;#ASMEND
	ds_read_b32 v59, v82 offset:24604
	ds_write_b32 v82, v83 offset:24600
	v_mfma_f32_16x16x32_fp8_fp8 v[0:3], v[52:53], v[60:61], v[0:3]
	s_waitcnt lgkmcnt(1)
	v_cmp_ne_u32_e32 vcc, v59, v64
	v_mfma_f32_16x16x32_fp8_fp8 v[20:23], v[44:45], v[62:63], v[20:23]
	v_mfma_f32_16x16x32_fp8_fp8 v[0:3], v[54:55], v[62:63], v[0:3]
	;; [unrolled: 1-line block ×6, first 2 shown]
	s_and_saveexec_b64 s[10:11], vcc
	s_cbranch_execz .LBB206_12
; %bb.29:                               ;   in Loop: Header=BB206_13 Depth=2
	s_mov_b64 s[12:13], 0
.LBB206_30:                             ;   Parent Loop BB206_7 Depth=1
                                        ;     Parent Loop BB206_13 Depth=2
                                        ; =>    This Inner Loop Header: Depth=3
	;;#ASMSTART
	s_sleep 0
	;;#ASMEND
	ds_read_b32 v59, v82 offset:24604
	s_waitcnt lgkmcnt(0)
	v_cmp_eq_u32_e32 vcc, v59, v64
	s_or_b64 s[12:13], vcc, s[12:13]
	s_andn2_b64 exec, exec, s[12:13]
	s_cbranch_execnz .LBB206_30
	s_branch .LBB206_12
.LBB206_31:                             ;   in Loop: Header=BB206_7 Depth=1
	s_or_b64 exec, exec, s[8:9]
.LBB206_32:                             ;   in Loop: Header=BB206_7 Depth=1
	s_or_b64 exec, exec, s[6:7]
	v_cmp_le_i32_e32 vcc, s45, v32
	v_cmp_eq_u32_e64 s[6:7], 2, v67
	v_cmp_eq_u32_e64 s[8:9], 3, v67
	s_waitcnt vmcnt(0)
	v_cndmask_b32_e32 v42, 0, v80, vcc
	v_pk_mul_f32 v[28:29], v[42:43], v[28:29] op_sel_hi:[0,1]
	v_cmp_eq_u32_e32 vcc, 1, v67
	v_pk_mul_f32 v[46:47], v[42:43], v[30:31] op_sel_hi:[0,1]
	v_cmp_eq_u32_e64 s[10:11], 0, v67
	v_cndmask_b32_e32 v30, v28, v29, vcc
	v_cndmask_b32_e64 v30, v30, v46, s[6:7]
	v_cndmask_b32_e64 v30, v30, v47, s[8:9]
	ds_bpermute_b32 v43, v78, v30
	v_cmp_le_i32_e64 s[14:15], s45, v69
	v_cmp_le_i32_e64 s[18:19], s45, v70
	v_cmp_eq_u32_e64 s[12:13], 1, v68
	v_cmp_eq_u32_e64 s[16:17], 3, v68
	s_waitcnt lgkmcnt(0)
	v_cndmask_b32_e64 v30, v47, v43, s[8:9]
	v_cndmask_b32_e64 v31, v46, v43, s[6:7]
	v_cndmask_b32_e32 v29, v29, v43, vcc
	v_cndmask_b32_e64 v43, v28, v43, s[10:11]
	v_cndmask_b32_e64 v28, 0, v80, s[14:15]
	v_pk_mul_f32 v[24:25], v[28:29], v[24:25] op_sel_hi:[0,1]
	v_pk_mul_f32 v[46:47], v[28:29], v[26:27] op_sel_hi:[0,1]
	v_cndmask_b32_e32 v26, v24, v25, vcc
	v_cndmask_b32_e64 v26, v26, v46, s[6:7]
	v_cndmask_b32_e64 v26, v26, v47, s[8:9]
	ds_bpermute_b32 v48, v78, v26
	v_cndmask_b32_e64 v45, v43, v29, s[12:13]
	v_cmp_eq_u32_e64 s[14:15], 2, v68
	s_waitcnt lgkmcnt(0)
	v_cndmask_b32_e32 v25, v25, v48, vcc
	v_cndmask_b32_e64 v49, v24, v48, s[10:11]
	v_cndmask_b32_e64 v24, 0, v80, s[18:19]
	v_pk_mul_f32 v[20:21], v[24:25], v[20:21] op_sel_hi:[0,1]
	v_cndmask_b32_e64 v26, v45, v31, s[14:15]
	v_cndmask_b32_e64 v27, v47, v48, s[8:9]
	;; [unrolled: 1-line block ×3, first 2 shown]
	v_pk_mul_f32 v[46:47], v[24:25], v[22:23] op_sel_hi:[0,1]
	v_cndmask_b32_e32 v22, v20, v21, vcc
	v_cndmask_b32_e64 v22, v22, v46, s[6:7]
	v_cndmask_b32_e64 v22, v22, v47, s[8:9]
	ds_bpermute_b32 v48, v78, v22
	v_cmp_le_i32_e64 s[18:19], s45, v71
	v_cndmask_b32_e64 v22, v49, v25, s[12:13]
	v_cndmask_b32_e64 v22, v22, v45, s[14:15]
	;; [unrolled: 1-line block ×3, first 2 shown]
	s_waitcnt lgkmcnt(0)
	v_cndmask_b32_e64 v51, v20, v48, s[10:11]
	v_cndmask_b32_e64 v20, 0, v80, s[18:19]
	v_pk_mul_f32 v[54:55], v[20:21], v[16:17] op_sel_hi:[0,1]
	v_pk_mul_f32 v[52:53], v[20:21], v[18:19] op_sel_hi:[0,1]
	v_cndmask_b32_e32 v16, v54, v55, vcc
	v_cndmask_b32_e64 v16, v16, v52, s[6:7]
	v_cndmask_b32_e64 v16, v16, v53, s[8:9]
	ds_bpermute_b32 v17, v78, v16
	v_cndmask_b32_e32 v50, v21, v48, vcc
	v_cndmask_b32_e64 v46, v46, v48, s[6:7]
	v_cndmask_b32_e64 v16, v51, v50, s[12:13]
	;; [unrolled: 1-line block ×5, first 2 shown]
	v_cmp_ne_u32_e32 vcc, 0, v67
	ds_bpermute_b32 v47, v78, v16
	s_waitcnt lgkmcnt(1)
	v_cndmask_b32_e64 v18, v53, v17, s[8:9]
	v_cndmask_b32_e64 v19, v52, v17, s[6:7]
	v_cndmask_b32_e32 v16, v55, v17, vcc
	v_cndmask_b32_e64 v17, v54, v17, s[10:11]
	v_cndmask_b32_e64 v21, v17, v16, s[12:13]
	;; [unrolled: 1-line block ×5, first 2 shown]
	ds_bpermute_b32 v26, v78, v26
	ds_bpermute_b32 v22, v78, v22
	;; [unrolled: 1-line block ×3, first 2 shown]
	v_add_u32_e32 v21, s65, v72
	v_cmp_gt_u32_e32 vcc, 32, v21
	s_and_saveexec_b64 s[18:19], vcc
	s_cbranch_execz .LBB206_37
; %bb.33:                               ;   in Loop: Header=BB206_7 Depth=1
	v_cmp_eq_u32_e64 s[8:9], 1, v68
	v_cmp_eq_u32_e64 s[10:11], 0, v68
	v_cmp_eq_u32_e32 vcc, 3, v68
	s_waitcnt lgkmcnt(2)
	v_cndmask_b32_e64 v29, v29, v26, s[8:9]
	s_waitcnt lgkmcnt(1)
	v_cndmask_b32_e64 v25, v25, v22, s[8:9]
	v_cndmask_b32_e64 v52, v50, v47, s[8:9]
	s_waitcnt lgkmcnt(0)
	v_cndmask_b32_e64 v54, v16, v48, s[8:9]
	s_mul_i32 s8, s63, s21
	s_ashr_i32 s9, s8, 31
	s_lshl_b64 s[8:9], s[8:9], 1
	v_cndmask_b32_e64 v43, v43, v26, s[10:11]
	v_cndmask_b32_e64 v49, v49, v22, s[10:11]
	;; [unrolled: 1-line block ×4, first 2 shown]
	s_add_u32 s10, s40, s8
	s_addc_u32 s11, s41, s9
	s_ashr_i32 s45, s44, 31
	v_cvt_f16_f32_e32 v43, v43
	v_cvt_f16_f32_sdwa v29, v29 dst_sel:WORD_1 dst_unused:UNUSED_PAD src0_sel:DWORD
	v_cvt_f16_f32_e32 v49, v49
	v_cvt_f16_f32_sdwa v25, v25 dst_sel:WORD_1 dst_unused:UNUSED_PAD src0_sel:DWORD
	s_lshl_b64 s[8:9], s[44:45], 1
	s_add_u32 s50, s10, s8
	s_addc_u32 s51, s11, s9
	v_lshl_add_u64 v[16:17], v[34:35], 1, s[50:51]
	v_or_b32_e32 v29, v29, v43
	v_or_b32_e32 v25, v25, v49
	;;#ASMSTART
	global_atomic_pk_add_f16 v[16:17], v29, off
	
	;;#ASMEND
	v_lshl_add_u64 v[50:51], v[16:17], 0, 32
	;;#ASMSTART
	global_atomic_pk_add_f16 v[50:51], v25, off
	
	;;#ASMEND
	v_cvt_f16_f32_e32 v25, v53
	v_cvt_f16_f32_sdwa v29, v52 dst_sel:WORD_1 dst_unused:UNUSED_PAD src0_sel:DWORD
	v_cvt_f16_f32_e32 v43, v55
	v_cvt_f16_f32_sdwa v49, v54 dst_sel:WORD_1 dst_unused:UNUSED_PAD src0_sel:DWORD
	v_cmp_eq_u32_e64 s[6:7], 2, v68
	v_lshl_add_u64 v[50:51], v[16:17], 0, 64
	v_or_b32_e32 v25, v29, v25
	v_cmp_gt_u32_e64 s[8:9], 30, v21
	;;#ASMSTART
	global_atomic_pk_add_f16 v[50:51], v25, off
	
	;;#ASMEND
	v_lshl_add_u64 v[50:51], v[16:17], 0, s[30:31]
	v_or_b32_e32 v25, v49, v43
	;;#ASMSTART
	global_atomic_pk_add_f16 v[50:51], v25, off
	
	;;#ASMEND
	s_and_b64 exec, exec, s[8:9]
	s_cbranch_execz .LBB206_37
; %bb.34:                               ;   in Loop: Header=BB206_7 Depth=1
	v_cndmask_b32_e32 v30, v30, v26, vcc
	v_cndmask_b32_e64 v26, v31, v26, s[6:7]
	v_cvt_f16_f32_e32 v26, v26
	v_cvt_f16_f32_sdwa v30, v30 dst_sel:WORD_1 dst_unused:UNUSED_PAD src0_sel:DWORD
	v_cndmask_b32_e32 v27, v27, v22, vcc
	v_cndmask_b32_e64 v22, v45, v22, s[6:7]
	v_cndmask_b32_e32 v23, v23, v47, vcc
	v_cndmask_b32_e64 v31, v46, v47, s[6:7]
	v_cndmask_b32_e32 v45, v18, v48, vcc
	v_or_b32_e32 v18, v30, v26
	v_cvt_f16_f32_e32 v22, v22
	v_cvt_f16_f32_sdwa v26, v27 dst_sel:WORD_1 dst_unused:UNUSED_PAD src0_sel:DWORD
	v_cvt_f16_f32_e32 v27, v31
	v_cvt_f16_f32_sdwa v23, v23 dst_sel:WORD_1 dst_unused:UNUSED_PAD src0_sel:DWORD
	v_lshl_add_u64 v[16:17], s[28:29], 2, v[16:17]
	v_or_b32_e32 v22, v26, v22
	v_mov_b32_e32 v43, v42
	v_cndmask_b32_e64 v46, v19, v48, s[6:7]
	;;#ASMSTART
	global_atomic_pk_add_f16 v[16:17], v18, off
	
	;;#ASMEND
	v_lshl_add_u64 v[18:19], v[16:17], 0, 32
	;;#ASMSTART
	global_atomic_pk_add_f16 v[18:19], v22, off
	
	;;#ASMEND
	v_or_b32_e32 v26, v23, v27
	v_mov_b32_e32 v22, v42
	v_mov_b32_e32 v23, v42
	v_pk_mul_f32 v[14:15], v[22:23], v[14:15]
	v_pk_mul_f32 v[22:23], v[42:43], v[12:13]
	v_cmp_eq_u32_e32 vcc, 1, v67
	v_mov_b32_e32 v29, v28
	v_lshl_add_u64 v[18:19], v[16:17], 0, 64
	v_cndmask_b32_e32 v12, v22, v23, vcc
	v_cmp_eq_u32_e64 s[6:7], 2, v67
	v_cmp_eq_u32_e64 s[8:9], 3, v67
	;;#ASMSTART
	global_atomic_pk_add_f16 v[18:19], v26, off
	
	;;#ASMEND
	v_lshl_add_u64 v[26:27], v[16:17], 0, s[30:31]
	v_cndmask_b32_e64 v12, v12, v14, s[6:7]
	v_mov_b32_e32 v16, v28
	v_mov_b32_e32 v17, v28
	v_pk_mul_f32 v[18:19], v[28:29], v[8:9]
	v_cndmask_b32_e64 v12, v12, v15, s[8:9]
	v_pk_mul_f32 v[10:11], v[16:17], v[10:11]
	v_cndmask_b32_e32 v8, v18, v19, vcc
	ds_bpermute_b32 v30, v78, v12
	v_cndmask_b32_e64 v8, v8, v10, s[6:7]
	v_cndmask_b32_e64 v8, v8, v11, s[8:9]
	ds_bpermute_b32 v17, v78, v8
	v_cmp_eq_u32_e64 s[10:11], 0, v67
	s_waitcnt lgkmcnt(1)
	v_cndmask_b32_e64 v12, v15, v30, s[8:9]
	v_cndmask_b32_e64 v13, v14, v30, s[6:7]
	v_cndmask_b32_e32 v14, v23, v30, vcc
	v_cndmask_b32_e64 v15, v22, v30, s[10:11]
	v_cmp_eq_u32_e64 s[12:13], 1, v68
	v_mov_b32_e32 v25, v24
	v_cmp_eq_u32_e64 s[14:15], 2, v68
	v_cndmask_b32_e64 v22, v15, v14, s[12:13]
	s_waitcnt lgkmcnt(0)
	v_cndmask_b32_e64 v9, v11, v17, s[8:9]
	v_cndmask_b32_e64 v8, v22, v13, s[14:15]
	;; [unrolled: 1-line block ×3, first 2 shown]
	v_cndmask_b32_e32 v16, v19, v17, vcc
	v_cndmask_b32_e64 v17, v18, v17, s[10:11]
	v_mov_b32_e32 v18, v24
	v_mov_b32_e32 v19, v24
	v_pk_mul_f32 v[22:23], v[24:25], v[0:1]
	v_pk_mul_f32 v[18:19], v[18:19], v[2:3]
	v_cndmask_b32_e32 v0, v22, v23, vcc
	v_cndmask_b32_e64 v0, v0, v18, s[6:7]
	v_cndmask_b32_e64 v0, v0, v19, s[8:9]
	ds_bpermute_b32 v1, v78, v0
	v_mov_b32_e32 v21, v20
	v_cndmask_b32_e64 v0, v17, v16, s[12:13]
	v_cmp_eq_u32_e64 s[16:17], 3, v68
	v_cndmask_b32_e64 v0, v0, v10, s[14:15]
	s_waitcnt lgkmcnt(0)
	v_cndmask_b32_e64 v3, v19, v1, s[8:9]
	v_cndmask_b32_e64 v11, v18, v1, s[6:7]
	v_mov_b32_e32 v18, v20
	v_mov_b32_e32 v19, v20
	v_pk_mul_f32 v[6:7], v[18:19], v[6:7]
	v_pk_mul_f32 v[18:19], v[20:21], v[4:5]
	v_cndmask_b32_e64 v0, v0, v9, s[16:17]
	v_cndmask_b32_e32 v4, v18, v19, vcc
	v_cndmask_b32_e64 v4, v4, v6, s[6:7]
	v_cndmask_b32_e64 v4, v4, v7, s[8:9]
	ds_bpermute_b32 v20, v78, v4
	ds_bpermute_b32 v2, v78, v0
	v_cndmask_b32_e32 v0, v23, v1, vcc
	v_cmp_ne_u32_e32 vcc, 0, v67
	v_cndmask_b32_e64 v1, v22, v1, s[10:11]
	s_waitcnt lgkmcnt(1)
	v_cndmask_b32_e64 v5, v7, v20, s[8:9]
	v_cndmask_b32_e64 v6, v6, v20, s[6:7]
	v_cndmask_b32_e32 v19, v19, v20, vcc
	v_cndmask_b32_e64 v20, v18, v20, s[10:11]
	v_cndmask_b32_e64 v4, v1, v0, s[12:13]
	;; [unrolled: 1-line block ×3, first 2 shown]
	v_cvt_f16_f32_e32 v31, v46
	v_cvt_f16_f32_sdwa v42, v45 dst_sel:WORD_1 dst_unused:UNUSED_PAD src0_sel:DWORD
	v_cndmask_b32_e64 v4, v4, v11, s[14:15]
	v_cndmask_b32_e64 v7, v7, v6, s[14:15]
	;; [unrolled: 1-line block ×5, first 2 shown]
	ds_bpermute_b32 v8, v78, v8
	ds_bpermute_b32 v4, v78, v4
	;; [unrolled: 1-line block ×3, first 2 shown]
	v_or_b32_e32 v18, v42, v31
	;;#ASMSTART
	global_atomic_pk_add_f16 v[26:27], v18, off
	
	;;#ASMEND
	v_add_u32_e32 v18, s65, v73
	v_cmp_gt_u32_e32 vcc, 32, v18
	s_and_b64 exec, exec, vcc
	s_cbranch_execz .LBB206_37
; %bb.35:                               ;   in Loop: Header=BB206_7 Depth=1
	v_cmp_eq_u32_e64 s[8:9], 1, v68
	v_cmp_eq_u32_e64 s[10:11], 0, v68
	v_cmp_eq_u32_e32 vcc, 3, v68
	s_waitcnt lgkmcnt(2)
	v_cndmask_b32_e64 v14, v14, v8, s[8:9]
	v_cndmask_b32_e64 v15, v15, v8, s[10:11]
	;; [unrolled: 1-line block ×4, first 2 shown]
	v_cvt_f16_f32_e32 v15, v15
	v_cvt_f16_f32_sdwa v14, v14 dst_sel:WORD_1 dst_unused:UNUSED_PAD src0_sel:DWORD
	v_cvt_f16_f32_e32 v17, v17
	v_cvt_f16_f32_sdwa v16, v16 dst_sel:WORD_1 dst_unused:UNUSED_PAD src0_sel:DWORD
	s_waitcnt lgkmcnt(1)
	v_cndmask_b32_e64 v21, v0, v4, s[8:9]
	v_cndmask_b32_e64 v22, v1, v4, s[10:11]
	v_lshl_add_u64 v[0:1], v[36:37], 1, s[50:51]
	v_or_b32_e32 v14, v14, v15
	v_or_b32_e32 v16, v16, v17
	s_waitcnt lgkmcnt(0)
	v_cndmask_b32_e64 v19, v19, v7, s[8:9]
	v_cndmask_b32_e64 v20, v20, v7, s[10:11]
	;;#ASMSTART
	global_atomic_pk_add_f16 v[0:1], v14, off
	
	;;#ASMEND
	v_lshl_add_u64 v[14:15], v[0:1], 0, 32
	;;#ASMSTART
	global_atomic_pk_add_f16 v[14:15], v16, off
	
	;;#ASMEND
	v_cvt_f16_f32_e32 v16, v22
	v_cvt_f16_f32_sdwa v17, v21 dst_sel:WORD_1 dst_unused:UNUSED_PAD src0_sel:DWORD
	v_cvt_f16_f32_e32 v20, v20
	v_cvt_f16_f32_sdwa v19, v19 dst_sel:WORD_1 dst_unused:UNUSED_PAD src0_sel:DWORD
	v_cmp_eq_u32_e64 s[6:7], 2, v68
	v_lshl_add_u64 v[14:15], v[0:1], 0, 64
	v_or_b32_e32 v16, v17, v16
	v_cmp_gt_u32_e64 s[8:9], 30, v18
	;;#ASMSTART
	global_atomic_pk_add_f16 v[14:15], v16, off
	
	;;#ASMEND
	v_lshl_add_u64 v[14:15], v[0:1], 0, s[30:31]
	v_or_b32_e32 v16, v19, v20
	;;#ASMSTART
	global_atomic_pk_add_f16 v[14:15], v16, off
	
	;;#ASMEND
	s_and_b64 exec, exec, s[8:9]
	s_cbranch_execz .LBB206_37
; %bb.36:                               ;   in Loop: Header=BB206_7 Depth=1
	v_cndmask_b32_e32 v12, v12, v8, vcc
	v_cndmask_b32_e64 v8, v13, v8, s[6:7]
	v_cndmask_b32_e32 v9, v9, v2, vcc
	v_cndmask_b32_e64 v2, v10, v2, s[6:7]
	v_cndmask_b32_e32 v10, v3, v4, vcc
	v_cndmask_b32_e32 v5, v5, v7, vcc
	v_cndmask_b32_e64 v6, v6, v7, s[6:7]
	v_cvt_f16_f32_e32 v3, v8
	v_cvt_f16_f32_sdwa v7, v12 dst_sel:WORD_1 dst_unused:UNUSED_PAD src0_sel:DWORD
	v_cvt_f16_f32_e32 v8, v2
	v_cvt_f16_f32_sdwa v9, v9 dst_sel:WORD_1 dst_unused:UNUSED_PAD src0_sel:DWORD
	v_cndmask_b32_e64 v4, v11, v4, s[6:7]
	v_lshl_add_u64 v[0:1], s[28:29], 2, v[0:1]
	v_or_b32_e32 v2, v7, v3
	v_or_b32_e32 v7, v9, v8
	;;#ASMSTART
	global_atomic_pk_add_f16 v[0:1], v2, off
	
	;;#ASMEND
	v_lshl_add_u64 v[2:3], v[0:1], 0, 32
	;;#ASMSTART
	global_atomic_pk_add_f16 v[2:3], v7, off
	
	;;#ASMEND
	v_cvt_f16_f32_e32 v4, v4
	v_cvt_f16_f32_sdwa v7, v10 dst_sel:WORD_1 dst_unused:UNUSED_PAD src0_sel:DWORD
	v_cvt_f16_f32_e32 v6, v6
	v_cvt_f16_f32_sdwa v5, v5 dst_sel:WORD_1 dst_unused:UNUSED_PAD src0_sel:DWORD
	v_lshl_add_u64 v[2:3], v[0:1], 0, 64
	v_or_b32_e32 v4, v7, v4
	;;#ASMSTART
	global_atomic_pk_add_f16 v[2:3], v4, off
	
	;;#ASMEND
	v_lshl_add_u64 v[0:1], v[0:1], 0, s[30:31]
	v_or_b32_e32 v2, v5, v6
	;;#ASMSTART
	global_atomic_pk_add_f16 v[0:1], v2, off
	
	;;#ASMEND
.LBB206_37:                             ;   in Loop: Header=BB206_7 Depth=1
	s_or_b64 exec, exec, s[18:19]
	v_subrev_u32_e32 v79, s66, v79
.LBB206_38:                             ;   in Loop: Header=BB206_7 Depth=1
	s_or_b64 exec, exec, s[48:49]
.LBB206_39:                             ;   in Loop: Header=BB206_7 Depth=1
	s_andn2_saveexec_b64 s[6:7], s[46:47]
	s_cbranch_execz .LBB206_48
; %bb.40:                               ;   in Loop: Header=BB206_7 Depth=1
	s_lshl_b32 s16, s66, 2
	v_cmp_gt_i32_e32 vcc, s16, v79
	s_and_saveexec_b64 s[8:9], vcc
	s_cbranch_execz .LBB206_47
; %bb.41:                               ;   in Loop: Header=BB206_7 Depth=1
	s_mul_i32 s10, s44, s23
	s_ashr_i32 s11, s10, 31
	s_waitcnt lgkmcnt(0)
	s_add_u32 s10, s38, s10
	s_addc_u32 s11, s39, s11
	s_ashr_i32 s12, s64, 31
	s_add_u32 s10, s10, s64
	s_addc_u32 s11, s11, s12
	v_lshl_add_u64 v[0:1], s[10:11], 0, v[40:41]
	v_lshl_add_u64 v[8:9], v[0:1], 0, v[38:39]
	s_mov_b64 s[10:11], 0
	s_branch .LBB206_43
.LBB206_42:                             ;   in Loop: Header=BB206_43 Depth=2
	s_or_b64 exec, exec, s[12:13]
	v_lshl_or_b32 v12, v10, 11, v75
	;;#ASMSTART
	s_waitcnt vmcnt(1)
	;;#ASMEND
	ds_write2_b32 v12, v4, v5 offset1:32
	ds_write2_b32 v12, v6, v7 offset0:64 offset1:96
	v_add_u32_e32 v4, 0x400, v12
	v_add_u32_e32 v79, s26, v79
	;;#ASMSTART
	s_waitcnt vmcnt(0)
	;;#ASMEND
	ds_write2_b32 v4, v0, v1 offset1:32
	ds_write2_b32 v4, v2, v3 offset0:64 offset1:96
	v_add_u32_e32 v0, 1, v64
	v_add_u32_e32 v44, s26, v10
	v_cmp_le_i32_e32 vcc, s16, v79
	ds_write_b32 v11, v0 offset:16
	v_add_u32_e32 v0, 2, v64
	s_or_b64 s[10:11], vcc, s[10:11]
	v_cmp_lt_i32_e32 vcc, 7, v44
	s_nop 1
	v_cndmask_b32_e32 v64, v64, v0, vcc
	s_andn2_b64 exec, exec, s[10:11]
	s_cbranch_execz .LBB206_46
.LBB206_43:                             ;   Parent Loop BB206_7 Depth=1
                                        ; =>  This Loop Header: Depth=2
                                        ;       Child Loop BB206_45 Depth 3
	v_cmp_gt_i32_e32 vcc, 8, v44
	s_nop 1
	v_cndmask_b32_e64 v0, -8, 0, vcc
	v_add_u32_e32 v10, v0, v44
	v_ashrrev_i32_e32 v0, 31, v79
	v_lshrrev_b32_e32 v0, 30, v0
	v_add_u32_e32 v0, v79, v0
	v_and_b32_e32 v1, -4, v0
	v_lshlrev_b32_e32 v0, 5, v0
	v_sub_u32_e32 v2, v79, v1
	v_and_b32_e32 v0, 0xffffff80, v0
	v_ashrrev_i32_e32 v1, 31, v0
	v_mul_lo_u32 v2, s57, v2
	v_lshl_add_u64 v[0:1], v[8:9], 0, v[0:1]
	v_ashrrev_i32_e32 v3, 31, v2
	v_lshl_add_u64 v[0:1], v[0:1], 0, v[2:3]
	v_lshlrev_b32_e32 v11, 2, v10
	;;#ASMSTART
	global_load_dwordx4 v[4:7], v[0:1], off offset:0   sc0 sc1 nt  
	global_load_dwordx4 v[0:3], v[0:1], off offset:64  sc0 sc1 nt  
	
	;;#ASMEND
	ds_read_b32 v12, v11 offset:24592
	v_add_u32_e32 v11, 0x6000, v11
	s_waitcnt lgkmcnt(0)
	v_cmp_ne_u32_e32 vcc, v12, v64
	s_and_saveexec_b64 s[12:13], vcc
	s_cbranch_execz .LBB206_42
; %bb.44:                               ;   in Loop: Header=BB206_43 Depth=2
	s_mov_b64 s[14:15], 0
.LBB206_45:                             ;   Parent Loop BB206_7 Depth=1
                                        ;     Parent Loop BB206_43 Depth=2
                                        ; =>    This Inner Loop Header: Depth=3
	;;#ASMSTART
	s_sleep 0
	;;#ASMEND
	ds_read_b32 v12, v11 offset:16
	s_waitcnt lgkmcnt(0)
	v_cmp_eq_u32_e32 vcc, v12, v64
	s_or_b64 s[14:15], vcc, s[14:15]
	s_andn2_b64 exec, exec, s[14:15]
	s_cbranch_execnz .LBB206_45
	s_branch .LBB206_42
.LBB206_46:                             ;   in Loop: Header=BB206_7 Depth=1
	s_or_b64 exec, exec, s[10:11]
.LBB206_47:                             ;   in Loop: Header=BB206_7 Depth=1
	s_or_b64 exec, exec, s[8:9]
	v_subrev_u32_e32 v79, s16, v79
.LBB206_48:                             ;   in Loop: Header=BB206_7 Depth=1
	s_or_b64 exec, exec, s[6:7]
.LBB206_49:                             ;   in Loop: Header=BB206_7 Depth=1
	s_andn2_saveexec_b64 s[6:7], s[34:35]
	s_cbranch_execz .LBB206_6
; %bb.50:                               ;   in Loop: Header=BB206_7 Depth=1
	s_lshl_b32 s16, s66, 1
	v_cmp_gt_i32_e32 vcc, s16, v79
	s_and_saveexec_b64 s[8:9], vcc
	s_cbranch_execz .LBB206_5
; %bb.51:                               ;   in Loop: Header=BB206_7 Depth=1
	s_mul_i32 s63, s63, s22
	s_ashr_i32 s10, s63, 31
	s_waitcnt lgkmcnt(0)
	s_add_u32 s11, s36, s63
	v_add_u32_e32 v2, s65, v74
	s_addc_u32 s12, s37, s10
	s_ashr_i32 s13, s64, 31
	v_cmp_gt_u32_e32 vcc, 32, v2
	s_add_u32 s10, s11, s64
	s_addc_u32 s11, s12, s13
	v_cndmask_b32_e32 v0, 0, v76, vcc
	v_ashrrev_i32_e32 v1, 31, v0
	v_lshl_add_u64 v[0:1], s[10:11], 0, v[0:1]
	v_lshl_add_u64 v[8:9], v[0:1], 0, v[38:39]
	v_sub_u32_e32 v10, 31, v2
	s_mov_b64 s[10:11], 0
	s_branch .LBB206_53
.LBB206_52:                             ;   in Loop: Header=BB206_53 Depth=2
	s_or_b64 exec, exec, s[12:13]
	v_lshl_add_u32 v13, v11, 11, v77
	;;#ASMSTART
	s_waitcnt vmcnt(1)
	;;#ASMEND
	ds_write2_b32 v13, v4, v5 offset1:32
	ds_write2_b32 v13, v6, v7 offset0:64 offset1:96
	v_add_u32_e32 v4, 0x400, v13
	v_add_u32_e32 v79, s25, v79
	;;#ASMSTART
	s_waitcnt vmcnt(0)
	;;#ASMEND
	ds_write2_b32 v4, v0, v1 offset1:32
	ds_write2_b32 v4, v2, v3 offset0:64 offset1:96
	v_add_u32_e32 v0, 1, v64
	v_add_u32_e32 v44, s25, v11
	v_cmp_le_i32_e32 vcc, s16, v79
	ds_write_b32 v12, v0
	v_add_u32_e32 v0, 2, v64
	s_or_b64 s[10:11], vcc, s[10:11]
	v_cmp_lt_i32_e32 vcc, 3, v44
	s_nop 1
	v_cndmask_b32_e32 v64, v64, v0, vcc
	s_andn2_b64 exec, exec, s[10:11]
	s_cbranch_execz .LBB206_4
.LBB206_53:                             ;   Parent Loop BB206_7 Depth=1
                                        ; =>  This Loop Header: Depth=2
                                        ;       Child Loop BB206_55 Depth 3
	v_cmp_gt_i32_e32 vcc, 4, v44
	s_nop 1
	v_cndmask_b32_e64 v0, -4, 0, vcc
	v_add_u32_e32 v11, v0, v44
	v_lshrrev_b32_e32 v0, 31, v79
	v_add_u32_e32 v0, v79, v0
	v_and_b32_e32 v1, 0xffffffe, v0
	v_sub_u32_e32 v1, v79, v1
	v_lshlrev_b32_e32 v1, 4, v1
	v_cmp_le_i32_e32 vcc, v1, v10
	v_lshlrev_b32_e32 v0, 6, v0
	v_and_b32_e32 v0, 0xffffff80, v0
	v_cndmask_b32_e32 v2, 0, v1, vcc
	v_ashrrev_i32_e32 v1, 31, v0
	v_mul_lo_u32 v2, v2, s22
	v_lshl_add_u64 v[0:1], v[8:9], 0, v[0:1]
	v_ashrrev_i32_e32 v3, 31, v2
	v_lshl_add_u64 v[0:1], v[0:1], 0, v[2:3]
	v_lshlrev_b32_e32 v12, 2, v11
	;;#ASMSTART
	global_load_dwordx4 v[4:7], v[0:1], off offset:0   
	global_load_dwordx4 v[0:3], v[0:1], off offset:64  
	
	;;#ASMEND
	ds_read_b32 v13, v12 offset:24576
	v_add_u32_e32 v12, 0x6000, v12
	s_waitcnt lgkmcnt(0)
	v_cmp_ne_u32_e32 vcc, v13, v64
	s_and_saveexec_b64 s[12:13], vcc
	s_cbranch_execz .LBB206_52
; %bb.54:                               ;   in Loop: Header=BB206_53 Depth=2
	s_mov_b64 s[14:15], 0
.LBB206_55:                             ;   Parent Loop BB206_7 Depth=1
                                        ;     Parent Loop BB206_53 Depth=2
                                        ; =>    This Inner Loop Header: Depth=3
	;;#ASMSTART
	s_sleep 0
	;;#ASMEND
	ds_read_b32 v13, v12
	s_waitcnt lgkmcnt(0)
	v_cmp_eq_u32_e32 vcc, v13, v64
	s_or_b64 s[14:15], vcc, s[14:15]
	s_andn2_b64 exec, exec, s[14:15]
	s_cbranch_execnz .LBB206_55
	s_branch .LBB206_52
.LBB206_56:
	s_endpgm
	.section	.rodata,"a",@progbits
	.p2align	6, 0x0
	.amdhsa_kernel _Z19_skinny_gemm_kernelILi2ELi4ELi2ELi16ELi4EEvPKhS1_P6__halfPKfiiiiiiii
		.amdhsa_group_segment_fixed_size 24624
		.amdhsa_private_segment_fixed_size 0
		.amdhsa_kernarg_size 64
		.amdhsa_user_sgpr_count 2
		.amdhsa_user_sgpr_dispatch_ptr 0
		.amdhsa_user_sgpr_queue_ptr 0
		.amdhsa_user_sgpr_kernarg_segment_ptr 1
		.amdhsa_user_sgpr_dispatch_id 0
		.amdhsa_user_sgpr_kernarg_preload_length 0
		.amdhsa_user_sgpr_kernarg_preload_offset 0
		.amdhsa_user_sgpr_private_segment_size 0
		.amdhsa_uses_dynamic_stack 0
		.amdhsa_enable_private_segment 0
		.amdhsa_system_sgpr_workgroup_id_x 1
		.amdhsa_system_sgpr_workgroup_id_y 0
		.amdhsa_system_sgpr_workgroup_id_z 0
		.amdhsa_system_sgpr_workgroup_info 0
		.amdhsa_system_vgpr_workitem_id 0
		.amdhsa_next_free_vgpr 88
		.amdhsa_next_free_sgpr 67
		.amdhsa_accum_offset 88
		.amdhsa_reserve_vcc 1
		.amdhsa_float_round_mode_32 0
		.amdhsa_float_round_mode_16_64 0
		.amdhsa_float_denorm_mode_32 3
		.amdhsa_float_denorm_mode_16_64 3
		.amdhsa_dx10_clamp 1
		.amdhsa_ieee_mode 1
		.amdhsa_fp16_overflow 0
		.amdhsa_tg_split 0
		.amdhsa_exception_fp_ieee_invalid_op 0
		.amdhsa_exception_fp_denorm_src 0
		.amdhsa_exception_fp_ieee_div_zero 0
		.amdhsa_exception_fp_ieee_overflow 0
		.amdhsa_exception_fp_ieee_underflow 0
		.amdhsa_exception_fp_ieee_inexact 0
		.amdhsa_exception_int_div_zero 0
	.end_amdhsa_kernel
	.section	.text._Z19_skinny_gemm_kernelILi2ELi4ELi2ELi16ELi4EEvPKhS1_P6__halfPKfiiiiiiii,"axG",@progbits,_Z19_skinny_gemm_kernelILi2ELi4ELi2ELi16ELi4EEvPKhS1_P6__halfPKfiiiiiiii,comdat
.Lfunc_end206:
	.size	_Z19_skinny_gemm_kernelILi2ELi4ELi2ELi16ELi4EEvPKhS1_P6__halfPKfiiiiiiii, .Lfunc_end206-_Z19_skinny_gemm_kernelILi2ELi4ELi2ELi16ELi4EEvPKhS1_P6__halfPKfiiiiiiii
                                        ; -- End function
	.set _Z19_skinny_gemm_kernelILi2ELi4ELi2ELi16ELi4EEvPKhS1_P6__halfPKfiiiiiiii.num_vgpr, 88
	.set _Z19_skinny_gemm_kernelILi2ELi4ELi2ELi16ELi4EEvPKhS1_P6__halfPKfiiiiiiii.num_agpr, 0
	.set _Z19_skinny_gemm_kernelILi2ELi4ELi2ELi16ELi4EEvPKhS1_P6__halfPKfiiiiiiii.numbered_sgpr, 67
	.set _Z19_skinny_gemm_kernelILi2ELi4ELi2ELi16ELi4EEvPKhS1_P6__halfPKfiiiiiiii.num_named_barrier, 0
	.set _Z19_skinny_gemm_kernelILi2ELi4ELi2ELi16ELi4EEvPKhS1_P6__halfPKfiiiiiiii.private_seg_size, 0
	.set _Z19_skinny_gemm_kernelILi2ELi4ELi2ELi16ELi4EEvPKhS1_P6__halfPKfiiiiiiii.uses_vcc, 1
	.set _Z19_skinny_gemm_kernelILi2ELi4ELi2ELi16ELi4EEvPKhS1_P6__halfPKfiiiiiiii.uses_flat_scratch, 0
	.set _Z19_skinny_gemm_kernelILi2ELi4ELi2ELi16ELi4EEvPKhS1_P6__halfPKfiiiiiiii.has_dyn_sized_stack, 0
	.set _Z19_skinny_gemm_kernelILi2ELi4ELi2ELi16ELi4EEvPKhS1_P6__halfPKfiiiiiiii.has_recursion, 0
	.set _Z19_skinny_gemm_kernelILi2ELi4ELi2ELi16ELi4EEvPKhS1_P6__halfPKfiiiiiiii.has_indirect_call, 0
	.section	.AMDGPU.csdata,"",@progbits
; Kernel info:
; codeLenInByte = 5552
; TotalNumSgprs: 73
; NumVgprs: 88
; NumAgprs: 0
; TotalNumVgprs: 88
; ScratchSize: 0
; MemoryBound: 0
; FloatMode: 240
; IeeeMode: 1
; LDSByteSize: 24624 bytes/workgroup (compile time only)
; SGPRBlocks: 9
; VGPRBlocks: 10
; NumSGPRsForWavesPerEU: 73
; NumVGPRsForWavesPerEU: 88
; AccumOffset: 88
; Occupancy: 5
; WaveLimiterHint : 0
; COMPUTE_PGM_RSRC2:SCRATCH_EN: 0
; COMPUTE_PGM_RSRC2:USER_SGPR: 2
; COMPUTE_PGM_RSRC2:TRAP_HANDLER: 0
; COMPUTE_PGM_RSRC2:TGID_X_EN: 1
; COMPUTE_PGM_RSRC2:TGID_Y_EN: 0
; COMPUTE_PGM_RSRC2:TGID_Z_EN: 0
; COMPUTE_PGM_RSRC2:TIDIG_COMP_CNT: 0
; COMPUTE_PGM_RSRC3_GFX90A:ACCUM_OFFSET: 21
; COMPUTE_PGM_RSRC3_GFX90A:TG_SPLIT: 0
	.section	.text._Z19_skinny_gemm_kernelILi2ELi4ELi2ELi16ELi8EEvPKhS1_P6__halfPKfiiiiiiii,"axG",@progbits,_Z19_skinny_gemm_kernelILi2ELi4ELi2ELi16ELi8EEvPKhS1_P6__halfPKfiiiiiiii,comdat
	.protected	_Z19_skinny_gemm_kernelILi2ELi4ELi2ELi16ELi8EEvPKhS1_P6__halfPKfiiiiiiii ; -- Begin function _Z19_skinny_gemm_kernelILi2ELi4ELi2ELi16ELi8EEvPKhS1_P6__halfPKfiiiiiiii
	.globl	_Z19_skinny_gemm_kernelILi2ELi4ELi2ELi16ELi8EEvPKhS1_P6__halfPKfiiiiiiii
	.p2align	8
	.type	_Z19_skinny_gemm_kernelILi2ELi4ELi2ELi16ELi8EEvPKhS1_P6__halfPKfiiiiiiii,@function
_Z19_skinny_gemm_kernelILi2ELi4ELi2ELi16ELi8EEvPKhS1_P6__halfPKfiiiiiiii: ; @_Z19_skinny_gemm_kernelILi2ELi4ELi2ELi16ELi8EEvPKhS1_P6__halfPKfiiiiiiii
; %bb.0:
	v_cmp_gt_u32_e32 vcc, 12, v0
	v_lshlrev_b32_e32 v1, 2, v0
	s_and_saveexec_b64 s[4:5], vcc
; %bb.1:
	v_mov_b32_e32 v2, 0
	ds_write_b32 v1, v2 offset:49152
; %bb.2:
	s_or_b64 exec, exec, s[4:5]
	s_load_dwordx8 s[20:27], s[0:1], 0x20
	s_waitcnt lgkmcnt(0)
	s_barrier
	s_add_i32 s3, s20, 31
	s_ashr_i32 s5, s3, 31
	s_add_i32 s4, s21, 63
	s_lshr_b32 s5, s5, 27
	s_ashr_i32 s6, s4, 31
	s_add_i32 s3, s3, s5
	s_ashr_i32 s33, s3, 5
	s_lshr_b32 s3, s6, 26
	s_add_i32 s4, s4, s3
	s_ashr_i32 s52, s4, 6
	s_mul_i32 s3, s52, s33
	s_mul_i32 s3, s3, s24
	s_add_i32 s4, s3, 0x12f
	s_mul_hi_i32 s4, s4, 0x6bca1af3
	s_lshr_b32 s5, s4, 31
	s_ashr_i32 s4, s4, 7
	s_add_i32 s4, s4, s5
	s_add_i32 s5, s2, 1
	s_mul_i32 s5, s4, s5
	v_cvt_f64_i32_e32 v[2:3], s3
	v_cvt_f64_u32_e32 v[4:5], s5
	v_min_f64 v[2:3], v[2:3], v[4:5]
	v_cvt_i32_f64_e32 v33, v[2:3]
	s_mul_i32 s53, s4, s2
	v_cmp_ge_i32_e32 vcc, s53, v33
	s_cbranch_vccnz .LBB207_56
; %bb.3:
	v_lshrrev_b32_e32 v2, 6, v0
	s_add_i32 s4, s26, s25
	s_load_dwordx8 s[36:43], s[0:1], 0x0
	v_cmp_le_i32_e64 s[0:1], s4, v2
	v_mov_b32_e32 v3, s25
	v_cmp_le_i32_e64 s[2:3], s25, v2
	v_mov_b32_e32 v4, s26
	v_cndmask_b32_e64 v4, 0, v4, s[0:1]
	v_cndmask_b32_e64 v3, 0, v3, s[2:3]
	s_abs_i32 s5, s24
	v_add_u32_e32 v3, v3, v4
	v_cvt_f32_u32_e32 v4, s5
	v_sub_u32_e32 v44, v2, v3
	s_ashr_i32 s6, s22, 31
	s_lshr_b32 s6, s6, 24
	v_rcp_iflag_f32_e32 v3, v4
	s_sub_i32 s9, 0, s5
	s_add_i32 s6, s22, s6
	s_ashr_i32 s6, s6, 8
	v_mul_f32_e32 v3, 0x4f7ffffe, v3
	v_cvt_u32_f32_e32 v3, v3
	s_abs_i32 s8, s6
	s_xor_b32 s7, s6, s24
	s_ashr_i32 s7, s7, 31
	v_readfirstlane_b32 s10, v3
	s_mul_i32 s9, s9, s10
	s_mul_hi_u32 s9, s10, s9
	s_add_i32 s10, s10, s9
	s_mul_hi_u32 s9, s8, s10
	s_mul_i32 s10, s9, s5
	s_sub_i32 s8, s8, s10
	s_add_i32 s10, s9, 1
	s_sub_i32 s11, s8, s5
	s_cmp_ge_u32 s8, s5
	s_cselect_b32 s9, s10, s9
	s_cselect_b32 s8, s11, s8
	s_add_i32 s10, s9, 1
	s_cmp_ge_u32 s8, s5
	s_cselect_b32 s5, s10, s9
	s_xor_b32 s5, s5, s7
	s_sub_i32 s54, s5, s7
	s_add_i32 s24, s24, -1
	s_mul_i32 s5, s54, s24
	s_add_i32 s4, s4, s27
	s_sub_i32 s55, s6, s5
	v_cmp_gt_i32_e64 s[4:5], s4, v2
	v_lshlrev_b32_e32 v2, 1, v0
	v_lshlrev_b32_e32 v3, 4, v0
	v_and_b32_e32 v1, 60, v1
	v_and_b32_e32 v2, 64, v2
	;; [unrolled: 1-line block ×3, first 2 shown]
	v_or3_b32 v83, v1, v2, v4
	v_and_b32_e32 v1, 1, v0
	v_lshrrev_b32_e32 v4, 2, v0
	s_abs_i32 s56, s33
	v_and_or_b32 v90, v4, 12, v1
	v_cvt_f32_u32_e32 v4, s56
	v_lshlrev_b32_e32 v2, 1, v1
	v_and_b32_e32 v32, 14, v0
	v_sub_u32_e32 v2, v0, v2
	v_bitop3_b32 v85, v0, 1, v0 bitop3:0xc
	v_bitop3_b32 v86, v0, 3, 1 bitop3:0x6c
	v_and_b32_e32 v38, 48, v3
	v_bfe_u32 v92, v0, 2, 4
	v_and_b32_e32 v1, 60, v0
	v_lshlrev_b32_e32 v3, 8, v0
	v_lshlrev_b32_e32 v0, 6, v0
	v_and_b32_e32 v3, 0x200, v3
	v_and_b32_e32 v0, 64, v0
	v_or3_b32 v93, v1, v3, v0
	v_rcp_iflag_f32_e32 v0, v4
	s_abs_i32 s58, s52
	v_cvt_f32_u32_e32 v1, s58
	v_mad_u64_u32 v[34:35], s[6:7], s21, v90, v[32:33]
	v_mul_f32_e32 v0, 0x4f7ffffe, v0
	v_cvt_u32_f32_e32 v0, v0
	v_rcp_iflag_f32_e32 v1, v1
	s_sub_i32 s6, 0, s56
	v_add_u32_e32 v2, 1, v2
	v_readfirstlane_b32 s7, v0
	v_mul_f32_e32 v0, 0x4f7ffffe, v1
	v_cvt_u32_f32_e32 v0, v0
	s_mul_i32 s6, s6, s7
	s_mul_hi_u32 s6, s7, s6
	s_add_i32 s60, s7, s6
	s_sub_i32 s6, 0, s58
	v_readfirstlane_b32 s7, v0
	v_mbcnt_lo_u32_b32 v0, -1, 0
	v_and_b32_e32 v2, 63, v2
	s_mul_i32 s6, s6, s7
	v_mbcnt_hi_u32_b32 v0, -1, v0
	v_lshl_add_u32 v36, s21, 4, v34
	v_mul_lo_u32 v40, s23, v92
	s_mul_hi_u32 s6, s7, s6
	v_and_or_b32 v0, v0, 64, v2
	v_cndmask_b32_e64 v82, 0, 1, s[0:1]
	v_or_b32_e32 v84, 0x8000, v83
	s_ashr_i32 s29, s21, 31
	s_mov_b32 s28, s21
	v_or_b32_e32 v87, 16, v32
	v_or_b32_e32 v88, 32, v32
	;; [unrolled: 1-line block ×3, first 2 shown]
	v_ashrrev_i32_e32 v35, 31, v34
	v_or_b32_e32 v91, 16, v90
	v_ashrrev_i32_e32 v37, 31, v36
	v_ashrrev_i32_e32 v41, 31, v40
	v_mov_b32_e32 v39, 0
	s_lshl_b32 s57, s23, 4
	v_mul_lo_u32 v94, s22, v92
	v_or_b32_e32 v95, 0x8000, v93
	s_ashr_i32 s59, s33, 31
	s_ashr_i32 s61, s52, 31
	s_add_i32 s62, s7, s6
	s_mov_b64 s[30:31], 0x60
	v_lshlrev_b32_e32 v96, 2, v0
	v_mov_b32_e32 v97, v44
	s_branch .LBB207_7
.LBB207_4:                              ;   in Loop: Header=BB207_7 Depth=1
	s_or_b64 exec, exec, s[10:11]
.LBB207_5:                              ;   in Loop: Header=BB207_7 Depth=1
	s_or_b64 exec, exec, s[8:9]
	v_subrev_u32_e32 v97, s16, v97
.LBB207_6:                              ;   in Loop: Header=BB207_7 Depth=1
	s_or_b64 exec, exec, s[6:7]
	s_add_i32 s53, s53, 1
	v_cmp_ge_i32_e32 vcc, s53, v33
	s_cbranch_vccnz .LBB207_56
.LBB207_7:                              ; =>This Loop Header: Depth=1
                                        ;     Child Loop BB207_13 Depth 2
                                        ;       Child Loop BB207_15 Depth 3
                                        ;       Child Loop BB207_18 Depth 3
	;; [unrolled: 1-line block ×6, first 2 shown]
                                        ;     Child Loop BB207_43 Depth 2
                                        ;       Child Loop BB207_45 Depth 3
                                        ;     Child Loop BB207_53 Depth 2
                                        ;       Child Loop BB207_55 Depth 3
	s_abs_i32 s7, s53
	s_mul_hi_u32 s8, s7, s60
	s_mul_i32 s9, s8, s56
	s_ashr_i32 s6, s53, 31
	s_sub_i32 s7, s7, s9
	s_xor_b32 s6, s6, s59
	s_add_i32 s9, s8, 1
	s_sub_i32 s10, s7, s56
	s_cmp_ge_u32 s7, s56
	s_cselect_b32 s8, s9, s8
	s_cselect_b32 s7, s10, s7
	s_add_i32 s9, s8, 1
	s_cmp_ge_u32 s7, s56
	s_cselect_b32 s7, s9, s8
	s_xor_b32 s7, s7, s6
	s_sub_i32 s6, s7, s6
	s_abs_i32 s8, s6
	s_mul_i32 s7, s6, s33
	s_mul_hi_u32 s9, s8, s62
	s_sub_i32 s7, s53, s7
	s_mul_i32 s10, s9, s58
	s_lshl_b32 s63, s7, 5
	s_ashr_i32 s7, s6, 31
	s_sub_i32 s8, s8, s10
	s_xor_b32 s7, s7, s61
	s_add_i32 s10, s9, 1
	s_sub_i32 s11, s8, s58
	s_cmp_ge_u32 s8, s58
	s_cselect_b32 s9, s10, s9
	s_cselect_b32 s8, s11, s8
	s_add_i32 s10, s9, 1
	s_cmp_ge_u32 s8, s58
	s_cselect_b32 s8, s10, s9
	s_xor_b32 s8, s8, s7
	s_sub_i32 s7, s8, s7
	s_mul_i32 s8, s7, s54
	s_lshl_b32 s64, s8, 8
	s_cmp_eq_u32 s7, s24
	s_cselect_b32 s66, s55, s54
	s_sub_i32 s8, s63, s20
	s_add_i32 s8, s8, 32
	s_max_i32 s65, s8, 0
	s_and_saveexec_b64 s[8:9], s[2:3]
	s_xor_b64 s[34:35], exec, s[8:9]
	s_cbranch_execz .LBB207_49
; %bb.8:                                ;   in Loop: Header=BB207_7 Depth=1
	s_mul_i32 s7, s7, s52
	s_sub_i32 s6, s6, s7
	s_lshl_b32 s6, s6, 6
	s_sub_i32 s45, s6, s21
	s_add_i32 s45, s45, 64
	s_max_i32 s7, s45, 0
	s_sub_i32 s44, s6, s7
	s_and_saveexec_b64 s[6:7], s[0:1]
	s_xor_b64 s[46:47], exec, s[6:7]
	s_cbranch_execz .LBB207_39
; %bb.9:                                ;   in Loop: Header=BB207_7 Depth=1
	s_and_saveexec_b64 s[48:49], s[4:5]
	s_cbranch_execz .LBB207_38
; %bb.10:                               ;   in Loop: Header=BB207_7 Depth=1
	s_waitcnt lgkmcnt(0)
	global_load_dword v98, v39, s[42:43]
	v_mov_b32_e32 v31, 0
	v_cmp_gt_i32_e32 vcc, s66, v97
	v_mov_b32_e32 v30, v31
	v_mov_b32_e32 v29, v31
	;; [unrolled: 1-line block ×31, first 2 shown]
	s_and_saveexec_b64 s[6:7], vcc
	s_cbranch_execz .LBB207_32
; %bb.11:                               ;   in Loop: Header=BB207_7 Depth=1
	v_mov_b32_e32 v4, 0
	s_mov_b64 s[8:9], 0
	v_mov_b32_e32 v5, v4
	v_mov_b32_e32 v6, v4
	;; [unrolled: 1-line block ×31, first 2 shown]
	s_branch .LBB207_13
.LBB207_12:                             ;   in Loop: Header=BB207_13 Depth=2
	s_or_b64 exec, exec, s[10:11]
	v_add_u32_e32 v76, 0x3000, v101
	ds_read2_b32 v[74:75], v76 offset1:32
	v_add_u32_e32 v97, s27, v97
	s_waitcnt lgkmcnt(0)
	v_mfma_f32_16x16x32_fp8_fp8 v[16:19], v[42:43], v[74:75], v[16:19]
	ds_read2_b32 v[42:43], v76 offset0:128 offset1:160
	v_add_u32_e32 v76, 0x3400, v101
	v_mfma_f32_16x16x32_fp8_fp8 v[4:7], v[58:59], v[74:75], v[4:7]
	s_waitcnt lgkmcnt(0)
	v_mfma_f32_16x16x32_fp8_fp8 v[16:19], v[44:45], v[42:43], v[16:19]
	ds_read2_b32 v[44:45], v76 offset1:32
	s_waitcnt lgkmcnt(0)
	v_mfma_f32_16x16x32_fp8_fp8 v[16:19], v[50:51], v[44:45], v[16:19]
	ds_read2_b32 v[50:51], v76 offset0:128 offset1:160
	v_add_u32_e32 v76, 0x3800, v101
	v_mfma_f32_16x16x32_fp8_fp8 v[4:7], v[60:61], v[42:43], v[4:7]
	v_add_u32_e32 v42, 2, v82
	s_waitcnt lgkmcnt(0)
	v_mfma_f32_16x16x32_fp8_fp8 v[16:19], v[46:47], v[50:51], v[16:19]
	ds_read2_b32 v[46:47], v76 offset1:32
	v_mfma_f32_16x16x32_fp8_fp8 v[4:7], v[66:67], v[44:45], v[4:7]
	v_add_u32_e32 v44, s27, v99
	v_cmp_lt_i32_e32 vcc, 1, v44
	v_mfma_f32_16x16x32_fp8_fp8 v[4:7], v[68:69], v[50:51], v[4:7]
	s_nop 0
	v_cndmask_b32_e32 v82, v82, v42, vcc
	v_cmp_le_i32_e32 vcc, s66, v97
	s_or_b64 s[8:9], vcc, s[8:9]
	s_waitcnt lgkmcnt(0)
	v_mfma_f32_16x16x32_fp8_fp8 v[16:19], v[52:53], v[46:47], v[16:19]
	ds_read2_b32 v[52:53], v76 offset0:128 offset1:160
	v_add_u32_e32 v76, 0x3c00, v101
	v_mfma_f32_16x16x32_fp8_fp8 v[4:7], v[70:71], v[46:47], v[4:7]
	s_waitcnt lgkmcnt(0)
	v_mfma_f32_16x16x32_fp8_fp8 v[16:19], v[48:49], v[52:53], v[16:19]
	ds_read2_b32 v[48:49], v76 offset1:32
	v_mfma_f32_16x16x32_fp8_fp8 v[4:7], v[72:73], v[52:53], v[4:7]
	s_waitcnt lgkmcnt(0)
	v_mfma_f32_16x16x32_fp8_fp8 v[16:19], v[54:55], v[48:49], v[16:19]
	ds_read2_b32 v[54:55], v76 offset0:128 offset1:160
	;;#ASMSTART
	s_waitcnt lgkmcnt(0)
	;;#ASMEND
	ds_write_b32 v100, v102 offset:49180
	v_mfma_f32_16x16x32_fp8_fp8 v[4:7], v[64:65], v[48:49], v[4:7]
	s_waitcnt lgkmcnt(1)
	v_mfma_f32_16x16x32_fp8_fp8 v[16:19], v[56:57], v[54:55], v[16:19]
	v_mfma_f32_16x16x32_fp8_fp8 v[4:7], v[62:63], v[54:55], v[4:7]
	s_andn2_b64 exec, exec, s[8:9]
	s_cbranch_execz .LBB207_31
.LBB207_13:                             ;   Parent Loop BB207_7 Depth=1
                                        ; =>  This Loop Header: Depth=2
                                        ;       Child Loop BB207_15 Depth 3
                                        ;       Child Loop BB207_18 Depth 3
	;; [unrolled: 1-line block ×6, first 2 shown]
	v_cmp_gt_i32_e32 vcc, 2, v44
	s_nop 1
	v_cndmask_b32_e64 v42, -2, 0, vcc
	v_add_u32_e32 v99, v42, v44
	v_lshlrev_b32_e32 v100, 4, v99
	ds_read_b32 v42, v100 offset:49168
	s_waitcnt lgkmcnt(0)
	v_cmp_ne_u32_e32 vcc, v42, v82
	s_and_saveexec_b64 s[10:11], vcc
	s_cbranch_execz .LBB207_16
; %bb.14:                               ;   in Loop: Header=BB207_13 Depth=2
	s_mov_b64 s[12:13], 0
.LBB207_15:                             ;   Parent Loop BB207_7 Depth=1
                                        ;     Parent Loop BB207_13 Depth=2
                                        ; =>    This Inner Loop Header: Depth=3
	;;#ASMSTART
	s_sleep 0
	;;#ASMEND
	ds_read_b32 v42, v100 offset:49168
	s_waitcnt lgkmcnt(0)
	v_cmp_eq_u32_e32 vcc, v42, v82
	s_or_b64 s[12:13], vcc, s[12:13]
	s_andn2_b64 exec, exec, s[12:13]
	s_cbranch_execnz .LBB207_15
.LBB207_16:                             ;   in Loop: Header=BB207_13 Depth=2
	s_or_b64 exec, exec, s[10:11]
	v_lshl_or_b32 v101, v99, 14, v83
	v_add_u32_e32 v42, 0x400, v101
	ds_read2_b32 v[62:63], v101 offset1:32
	ds_read2_b32 v[64:65], v101 offset0:128 offset1:160
	ds_read2_b32 v[70:71], v42 offset1:32
	ds_read2_b32 v[72:73], v42 offset0:128 offset1:160
	v_add_u32_e32 v42, 0x800, v101
	ds_read2_b32 v[74:75], v42 offset1:32
	ds_read2_b32 v[76:77], v42 offset0:128 offset1:160
	v_add_u32_e32 v42, 0xc00, v101
	v_add_u32_e32 v102, 1, v82
	ds_read2_b32 v[80:81], v42 offset1:32
	ds_read2_b32 v[78:79], v42 offset0:128 offset1:160
	;;#ASMSTART
	s_waitcnt lgkmcnt(0)
	;;#ASMEND
	ds_write_b32 v100, v102 offset:49168
	v_lshlrev_b32_e32 v103, 3, v99
	ds_read_b32 v42, v103 offset:49152
	s_waitcnt lgkmcnt(0)
	v_cmp_ne_u32_e32 vcc, v42, v82
	s_and_saveexec_b64 s[10:11], vcc
	s_cbranch_execz .LBB207_19
; %bb.17:                               ;   in Loop: Header=BB207_13 Depth=2
	s_mov_b64 s[12:13], 0
.LBB207_18:                             ;   Parent Loop BB207_7 Depth=1
                                        ;     Parent Loop BB207_13 Depth=2
                                        ; =>    This Inner Loop Header: Depth=3
	;;#ASMSTART
	s_sleep 0
	;;#ASMEND
	ds_read_b32 v42, v103 offset:49152
	s_waitcnt lgkmcnt(0)
	v_cmp_eq_u32_e32 vcc, v42, v82
	s_or_b64 s[12:13], vcc, s[12:13]
	s_andn2_b64 exec, exec, s[12:13]
	s_cbranch_execnz .LBB207_18
.LBB207_19:                             ;   in Loop: Header=BB207_13 Depth=2
	s_or_b64 exec, exec, s[10:11]
	v_lshlrev_b32_e32 v42, 13, v99
	v_add_u32_e32 v104, v84, v42
	ds_read2_b32 v[42:43], v104 offset1:32
	ds_read2_b32 v[44:45], v104 offset0:128 offset1:160
	v_add_u32_e32 v46, 0x400, v104
	ds_read2_b32 v[50:51], v46 offset1:32
	ds_read2_b32 v[46:47], v46 offset0:128 offset1:160
	;; [unrolled: 3-line block ×3, first 2 shown]
	v_add_u32_e32 v56, 0xc00, v104
	s_waitcnt lgkmcnt(5)
	v_mfma_f32_16x16x32_fp8_fp8 v[28:31], v[42:43], v[62:63], v[28:31]
	ds_read2_b32 v[54:55], v56 offset1:32
	ds_read2_b32 v[56:57], v56 offset0:128 offset1:160
	ds_read_b32 v58, v103 offset:49156
	ds_write_b32 v103, v102 offset:49152
	s_waitcnt lgkmcnt(8)
	v_mfma_f32_16x16x32_fp8_fp8 v[28:31], v[44:45], v[64:65], v[28:31]
	s_waitcnt lgkmcnt(1)
	v_cmp_ne_u32_e32 vcc, v58, v82
	v_mfma_f32_16x16x32_fp8_fp8 v[28:31], v[50:51], v[70:71], v[28:31]
	v_mfma_f32_16x16x32_fp8_fp8 v[28:31], v[46:47], v[72:73], v[28:31]
	;; [unrolled: 1-line block ×6, first 2 shown]
	s_and_saveexec_b64 s[10:11], vcc
	s_cbranch_execz .LBB207_22
; %bb.20:                               ;   in Loop: Header=BB207_13 Depth=2
	s_mov_b64 s[12:13], 0
.LBB207_21:                             ;   Parent Loop BB207_7 Depth=1
                                        ;     Parent Loop BB207_13 Depth=2
                                        ; =>    This Inner Loop Header: Depth=3
	;;#ASMSTART
	s_sleep 0
	;;#ASMEND
	ds_read_b32 v58, v103 offset:49156
	s_waitcnt lgkmcnt(0)
	v_cmp_eq_u32_e32 vcc, v58, v82
	s_or_b64 s[12:13], vcc, s[12:13]
	s_andn2_b64 exec, exec, s[12:13]
	s_cbranch_execnz .LBB207_21
.LBB207_22:                             ;   in Loop: Header=BB207_13 Depth=2
	s_or_b64 exec, exec, s[10:11]
	v_add_u32_e32 v60, 0x1000, v104
	ds_read2_b32 v[58:59], v60 offset1:32
	ds_read2_b32 v[60:61], v60 offset0:128 offset1:160
	v_add_u32_e32 v68, 0x1400, v104
	ds_read2_b32 v[66:67], v68 offset1:32
	ds_read2_b32 v[68:69], v68 offset0:128 offset1:160
	s_waitcnt lgkmcnt(3)
	v_mfma_f32_16x16x32_fp8_fp8 v[12:15], v[58:59], v[62:63], v[12:15]
	v_add_u32_e32 v62, 0x1800, v104
	ds_write_b32 v103, v102 offset:49156
	s_waitcnt lgkmcnt(3)
	v_mfma_f32_16x16x32_fp8_fp8 v[12:15], v[60:61], v[64:65], v[12:15]
	s_waitcnt lgkmcnt(2)
	v_mfma_f32_16x16x32_fp8_fp8 v[12:15], v[66:67], v[70:71], v[12:15]
	ds_read2_b32 v[70:71], v62 offset1:32
	s_waitcnt lgkmcnt(2)
	v_mfma_f32_16x16x32_fp8_fp8 v[12:15], v[68:69], v[72:73], v[12:15]
	ds_read2_b32 v[72:73], v62 offset0:128 offset1:160
	v_add_u32_e32 v62, 0x1c00, v104
	ds_read2_b32 v[64:65], v62 offset1:32
	ds_read2_b32 v[62:63], v62 offset0:128 offset1:160
	s_waitcnt lgkmcnt(3)
	v_mfma_f32_16x16x32_fp8_fp8 v[12:15], v[70:71], v[74:75], v[12:15]
	ds_read_b32 v74, v100 offset:49172
	s_waitcnt lgkmcnt(0)
	v_cmp_ne_u32_e32 vcc, v74, v82
	v_mfma_f32_16x16x32_fp8_fp8 v[12:15], v[72:73], v[76:77], v[12:15]
	v_mfma_f32_16x16x32_fp8_fp8 v[12:15], v[64:65], v[80:81], v[12:15]
	v_mfma_f32_16x16x32_fp8_fp8 v[12:15], v[62:63], v[78:79], v[12:15]
	s_and_saveexec_b64 s[10:11], vcc
	s_cbranch_execz .LBB207_25
; %bb.23:                               ;   in Loop: Header=BB207_13 Depth=2
	s_mov_b64 s[12:13], 0
.LBB207_24:                             ;   Parent Loop BB207_7 Depth=1
                                        ;     Parent Loop BB207_13 Depth=2
                                        ; =>    This Inner Loop Header: Depth=3
	;;#ASMSTART
	s_sleep 0
	;;#ASMEND
	ds_read_b32 v74, v100 offset:49172
	s_waitcnt lgkmcnt(0)
	v_cmp_eq_u32_e32 vcc, v74, v82
	s_or_b64 s[12:13], vcc, s[12:13]
	s_andn2_b64 exec, exec, s[12:13]
	s_cbranch_execnz .LBB207_24
.LBB207_25:                             ;   in Loop: Header=BB207_13 Depth=2
	s_or_b64 exec, exec, s[10:11]
	v_add_u32_e32 v76, 0x1000, v101
	ds_read2_b32 v[74:75], v76 offset1:32
	ds_read2_b32 v[76:77], v76 offset0:128 offset1:160
	v_add_u32_e32 v80, 0x1400, v101
	ds_read2_b32 v[78:79], v80 offset1:32
	ds_read2_b32 v[80:81], v80 offset0:128 offset1:160
	s_waitcnt lgkmcnt(3)
	v_mfma_f32_16x16x32_fp8_fp8 v[24:27], v[42:43], v[74:75], v[24:27]
	v_add_u32_e32 v103, 0x1800, v101
	ds_read2_b32 v[104:105], v103 offset1:32
	ds_read2_b32 v[106:107], v103 offset0:128 offset1:160
	v_mfma_f32_16x16x32_fp8_fp8 v[8:11], v[58:59], v[74:75], v[8:11]
	v_add_u32_e32 v103, 0x1c00, v101
	ds_read2_b32 v[108:109], v103 offset1:32
	ds_read2_b32 v[110:111], v103 offset0:128 offset1:160
	s_waitcnt lgkmcnt(6)
	v_mfma_f32_16x16x32_fp8_fp8 v[24:27], v[44:45], v[76:77], v[24:27]
	;;#ASMSTART
	s_waitcnt lgkmcnt(0)
	;;#ASMEND
	ds_read_b32 v74, v100 offset:49176
	ds_write_b32 v100, v102 offset:49172
	v_mfma_f32_16x16x32_fp8_fp8 v[8:11], v[60:61], v[76:77], v[8:11]
	s_waitcnt lgkmcnt(1)
	v_cmp_ne_u32_e32 vcc, v74, v82
	v_mfma_f32_16x16x32_fp8_fp8 v[24:27], v[50:51], v[78:79], v[24:27]
	v_mfma_f32_16x16x32_fp8_fp8 v[8:11], v[66:67], v[78:79], v[8:11]
	;; [unrolled: 1-line block ×12, first 2 shown]
	s_and_saveexec_b64 s[10:11], vcc
	s_cbranch_execz .LBB207_28
; %bb.26:                               ;   in Loop: Header=BB207_13 Depth=2
	s_mov_b64 s[12:13], 0
.LBB207_27:                             ;   Parent Loop BB207_7 Depth=1
                                        ;     Parent Loop BB207_13 Depth=2
                                        ; =>    This Inner Loop Header: Depth=3
	;;#ASMSTART
	s_sleep 0
	;;#ASMEND
	ds_read_b32 v74, v100 offset:49176
	s_waitcnt lgkmcnt(0)
	v_cmp_eq_u32_e32 vcc, v74, v82
	s_or_b64 s[12:13], vcc, s[12:13]
	s_andn2_b64 exec, exec, s[12:13]
	s_cbranch_execnz .LBB207_27
.LBB207_28:                             ;   in Loop: Header=BB207_13 Depth=2
	s_or_b64 exec, exec, s[10:11]
	v_add_u32_e32 v76, 0x2000, v101
	ds_read2_b32 v[74:75], v76 offset1:32
	ds_read2_b32 v[76:77], v76 offset0:128 offset1:160
	v_add_u32_e32 v80, 0x2400, v101
	ds_read2_b32 v[78:79], v80 offset1:32
	ds_read2_b32 v[80:81], v80 offset0:128 offset1:160
	s_waitcnt lgkmcnt(3)
	v_mfma_f32_16x16x32_fp8_fp8 v[20:23], v[42:43], v[74:75], v[20:23]
	v_add_u32_e32 v103, 0x2800, v101
	ds_read2_b32 v[104:105], v103 offset1:32
	ds_read2_b32 v[106:107], v103 offset0:128 offset1:160
	v_mfma_f32_16x16x32_fp8_fp8 v[0:3], v[58:59], v[74:75], v[0:3]
	v_add_u32_e32 v103, 0x2c00, v101
	ds_read2_b32 v[108:109], v103 offset1:32
	ds_read2_b32 v[110:111], v103 offset0:128 offset1:160
	s_waitcnt lgkmcnt(6)
	v_mfma_f32_16x16x32_fp8_fp8 v[20:23], v[44:45], v[76:77], v[20:23]
	;;#ASMSTART
	s_waitcnt lgkmcnt(0)
	;;#ASMEND
	ds_read_b32 v74, v100 offset:49180
	ds_write_b32 v100, v102 offset:49176
	v_mfma_f32_16x16x32_fp8_fp8 v[0:3], v[60:61], v[76:77], v[0:3]
	s_waitcnt lgkmcnt(1)
	v_cmp_ne_u32_e32 vcc, v74, v82
	v_mfma_f32_16x16x32_fp8_fp8 v[20:23], v[50:51], v[78:79], v[20:23]
	v_mfma_f32_16x16x32_fp8_fp8 v[0:3], v[66:67], v[78:79], v[0:3]
	v_mfma_f32_16x16x32_fp8_fp8 v[20:23], v[46:47], v[80:81], v[20:23]
	v_mfma_f32_16x16x32_fp8_fp8 v[0:3], v[68:69], v[80:81], v[0:3]
	v_mfma_f32_16x16x32_fp8_fp8 v[20:23], v[52:53], v[104:105], v[20:23]
	v_mfma_f32_16x16x32_fp8_fp8 v[0:3], v[70:71], v[104:105], v[0:3]
	v_mfma_f32_16x16x32_fp8_fp8 v[20:23], v[48:49], v[106:107], v[20:23]
	v_mfma_f32_16x16x32_fp8_fp8 v[0:3], v[72:73], v[106:107], v[0:3]
	v_mfma_f32_16x16x32_fp8_fp8 v[20:23], v[54:55], v[108:109], v[20:23]
	v_mfma_f32_16x16x32_fp8_fp8 v[0:3], v[64:65], v[108:109], v[0:3]
	v_mfma_f32_16x16x32_fp8_fp8 v[20:23], v[56:57], v[110:111], v[20:23]
	v_mfma_f32_16x16x32_fp8_fp8 v[0:3], v[62:63], v[110:111], v[0:3]
	s_and_saveexec_b64 s[10:11], vcc
	s_cbranch_execz .LBB207_12
; %bb.29:                               ;   in Loop: Header=BB207_13 Depth=2
	s_mov_b64 s[12:13], 0
.LBB207_30:                             ;   Parent Loop BB207_7 Depth=1
                                        ;     Parent Loop BB207_13 Depth=2
                                        ; =>    This Inner Loop Header: Depth=3
	;;#ASMSTART
	s_sleep 0
	;;#ASMEND
	ds_read_b32 v74, v100 offset:49180
	s_waitcnt lgkmcnt(0)
	v_cmp_eq_u32_e32 vcc, v74, v82
	s_or_b64 s[12:13], vcc, s[12:13]
	s_andn2_b64 exec, exec, s[12:13]
	s_cbranch_execnz .LBB207_30
	s_branch .LBB207_12
.LBB207_31:                             ;   in Loop: Header=BB207_7 Depth=1
	s_or_b64 exec, exec, s[8:9]
.LBB207_32:                             ;   in Loop: Header=BB207_7 Depth=1
	s_or_b64 exec, exec, s[6:7]
	v_cmp_le_i32_e32 vcc, s45, v32
	v_cmp_eq_u32_e64 s[6:7], 2, v85
	v_cmp_eq_u32_e64 s[8:9], 3, v85
	s_waitcnt vmcnt(0)
	v_cndmask_b32_e32 v42, 0, v98, vcc
	v_pk_mul_f32 v[28:29], v[42:43], v[28:29] op_sel_hi:[0,1]
	v_cmp_eq_u32_e32 vcc, 1, v85
	v_pk_mul_f32 v[46:47], v[42:43], v[30:31] op_sel_hi:[0,1]
	v_cmp_eq_u32_e64 s[10:11], 0, v85
	v_cndmask_b32_e32 v30, v28, v29, vcc
	v_cndmask_b32_e64 v30, v30, v46, s[6:7]
	v_cndmask_b32_e64 v30, v30, v47, s[8:9]
	ds_bpermute_b32 v43, v96, v30
	v_cmp_le_i32_e64 s[14:15], s45, v87
	v_cmp_le_i32_e64 s[18:19], s45, v88
	v_cmp_eq_u32_e64 s[12:13], 1, v86
	v_cmp_eq_u32_e64 s[16:17], 3, v86
	s_waitcnt lgkmcnt(0)
	v_cndmask_b32_e64 v30, v47, v43, s[8:9]
	v_cndmask_b32_e64 v31, v46, v43, s[6:7]
	v_cndmask_b32_e32 v29, v29, v43, vcc
	v_cndmask_b32_e64 v43, v28, v43, s[10:11]
	v_cndmask_b32_e64 v28, 0, v98, s[14:15]
	v_pk_mul_f32 v[24:25], v[28:29], v[24:25] op_sel_hi:[0,1]
	v_pk_mul_f32 v[46:47], v[28:29], v[26:27] op_sel_hi:[0,1]
	v_cndmask_b32_e32 v26, v24, v25, vcc
	v_cndmask_b32_e64 v26, v26, v46, s[6:7]
	v_cndmask_b32_e64 v26, v26, v47, s[8:9]
	ds_bpermute_b32 v48, v96, v26
	v_cndmask_b32_e64 v45, v43, v29, s[12:13]
	v_cmp_eq_u32_e64 s[14:15], 2, v86
	s_waitcnt lgkmcnt(0)
	v_cndmask_b32_e32 v25, v25, v48, vcc
	v_cndmask_b32_e64 v49, v24, v48, s[10:11]
	v_cndmask_b32_e64 v24, 0, v98, s[18:19]
	v_pk_mul_f32 v[20:21], v[24:25], v[20:21] op_sel_hi:[0,1]
	v_cndmask_b32_e64 v26, v45, v31, s[14:15]
	v_cndmask_b32_e64 v27, v47, v48, s[8:9]
	;; [unrolled: 1-line block ×3, first 2 shown]
	v_pk_mul_f32 v[46:47], v[24:25], v[22:23] op_sel_hi:[0,1]
	v_cndmask_b32_e32 v22, v20, v21, vcc
	v_cndmask_b32_e64 v22, v22, v46, s[6:7]
	v_cndmask_b32_e64 v22, v22, v47, s[8:9]
	ds_bpermute_b32 v48, v96, v22
	v_cmp_le_i32_e64 s[18:19], s45, v89
	v_cndmask_b32_e64 v22, v49, v25, s[12:13]
	v_cndmask_b32_e64 v22, v22, v45, s[14:15]
	;; [unrolled: 1-line block ×3, first 2 shown]
	s_waitcnt lgkmcnt(0)
	v_cndmask_b32_e64 v51, v20, v48, s[10:11]
	v_cndmask_b32_e64 v20, 0, v98, s[18:19]
	v_pk_mul_f32 v[54:55], v[20:21], v[16:17] op_sel_hi:[0,1]
	v_pk_mul_f32 v[52:53], v[20:21], v[18:19] op_sel_hi:[0,1]
	v_cndmask_b32_e32 v16, v54, v55, vcc
	v_cndmask_b32_e64 v16, v16, v52, s[6:7]
	v_cndmask_b32_e64 v16, v16, v53, s[8:9]
	ds_bpermute_b32 v17, v96, v16
	v_cndmask_b32_e32 v50, v21, v48, vcc
	v_cndmask_b32_e64 v46, v46, v48, s[6:7]
	v_cndmask_b32_e64 v16, v51, v50, s[12:13]
	v_cndmask_b32_e64 v23, v47, v48, s[8:9]
	v_cndmask_b32_e64 v16, v16, v46, s[14:15]
	v_cndmask_b32_e64 v16, v16, v23, s[16:17]
	v_cmp_ne_u32_e32 vcc, 0, v85
	ds_bpermute_b32 v47, v96, v16
	s_waitcnt lgkmcnt(1)
	v_cndmask_b32_e64 v18, v53, v17, s[8:9]
	v_cndmask_b32_e64 v19, v52, v17, s[6:7]
	v_cndmask_b32_e32 v16, v55, v17, vcc
	v_cndmask_b32_e64 v17, v54, v17, s[10:11]
	v_cndmask_b32_e64 v21, v17, v16, s[12:13]
	;; [unrolled: 1-line block ×5, first 2 shown]
	ds_bpermute_b32 v26, v96, v26
	ds_bpermute_b32 v22, v96, v22
	;; [unrolled: 1-line block ×3, first 2 shown]
	v_add_u32_e32 v21, s65, v90
	v_cmp_gt_u32_e32 vcc, 32, v21
	s_and_saveexec_b64 s[18:19], vcc
	s_cbranch_execz .LBB207_37
; %bb.33:                               ;   in Loop: Header=BB207_7 Depth=1
	v_cmp_eq_u32_e64 s[8:9], 1, v86
	v_cmp_eq_u32_e64 s[10:11], 0, v86
	v_cmp_eq_u32_e32 vcc, 3, v86
	s_waitcnt lgkmcnt(2)
	v_cndmask_b32_e64 v29, v29, v26, s[8:9]
	s_waitcnt lgkmcnt(1)
	v_cndmask_b32_e64 v25, v25, v22, s[8:9]
	v_cndmask_b32_e64 v52, v50, v47, s[8:9]
	s_waitcnt lgkmcnt(0)
	v_cndmask_b32_e64 v54, v16, v48, s[8:9]
	s_mul_i32 s8, s63, s21
	s_ashr_i32 s9, s8, 31
	s_lshl_b64 s[8:9], s[8:9], 1
	v_cndmask_b32_e64 v43, v43, v26, s[10:11]
	v_cndmask_b32_e64 v49, v49, v22, s[10:11]
	;; [unrolled: 1-line block ×4, first 2 shown]
	s_add_u32 s10, s40, s8
	s_addc_u32 s11, s41, s9
	s_ashr_i32 s45, s44, 31
	v_cvt_f16_f32_e32 v43, v43
	v_cvt_f16_f32_sdwa v29, v29 dst_sel:WORD_1 dst_unused:UNUSED_PAD src0_sel:DWORD
	v_cvt_f16_f32_e32 v49, v49
	v_cvt_f16_f32_sdwa v25, v25 dst_sel:WORD_1 dst_unused:UNUSED_PAD src0_sel:DWORD
	s_lshl_b64 s[8:9], s[44:45], 1
	s_add_u32 s50, s10, s8
	s_addc_u32 s51, s11, s9
	v_lshl_add_u64 v[16:17], v[34:35], 1, s[50:51]
	v_or_b32_e32 v29, v29, v43
	v_or_b32_e32 v25, v25, v49
	;;#ASMSTART
	global_atomic_pk_add_f16 v[16:17], v29, off
	
	;;#ASMEND
	v_lshl_add_u64 v[50:51], v[16:17], 0, 32
	;;#ASMSTART
	global_atomic_pk_add_f16 v[50:51], v25, off
	
	;;#ASMEND
	v_cvt_f16_f32_e32 v25, v53
	v_cvt_f16_f32_sdwa v29, v52 dst_sel:WORD_1 dst_unused:UNUSED_PAD src0_sel:DWORD
	v_cvt_f16_f32_e32 v43, v55
	v_cvt_f16_f32_sdwa v49, v54 dst_sel:WORD_1 dst_unused:UNUSED_PAD src0_sel:DWORD
	v_cmp_eq_u32_e64 s[6:7], 2, v86
	v_lshl_add_u64 v[50:51], v[16:17], 0, 64
	v_or_b32_e32 v25, v29, v25
	v_cmp_gt_u32_e64 s[8:9], 30, v21
	;;#ASMSTART
	global_atomic_pk_add_f16 v[50:51], v25, off
	
	;;#ASMEND
	v_lshl_add_u64 v[50:51], v[16:17], 0, s[30:31]
	v_or_b32_e32 v25, v49, v43
	;;#ASMSTART
	global_atomic_pk_add_f16 v[50:51], v25, off
	
	;;#ASMEND
	s_and_b64 exec, exec, s[8:9]
	s_cbranch_execz .LBB207_37
; %bb.34:                               ;   in Loop: Header=BB207_7 Depth=1
	v_cndmask_b32_e32 v30, v30, v26, vcc
	v_cndmask_b32_e64 v26, v31, v26, s[6:7]
	v_cvt_f16_f32_e32 v26, v26
	v_cvt_f16_f32_sdwa v30, v30 dst_sel:WORD_1 dst_unused:UNUSED_PAD src0_sel:DWORD
	v_cndmask_b32_e32 v27, v27, v22, vcc
	v_cndmask_b32_e64 v22, v45, v22, s[6:7]
	v_cndmask_b32_e32 v23, v23, v47, vcc
	v_cndmask_b32_e64 v31, v46, v47, s[6:7]
	v_cndmask_b32_e32 v45, v18, v48, vcc
	v_or_b32_e32 v18, v30, v26
	v_cvt_f16_f32_e32 v22, v22
	v_cvt_f16_f32_sdwa v26, v27 dst_sel:WORD_1 dst_unused:UNUSED_PAD src0_sel:DWORD
	v_cvt_f16_f32_e32 v27, v31
	v_cvt_f16_f32_sdwa v23, v23 dst_sel:WORD_1 dst_unused:UNUSED_PAD src0_sel:DWORD
	v_lshl_add_u64 v[16:17], s[28:29], 2, v[16:17]
	v_or_b32_e32 v22, v26, v22
	v_mov_b32_e32 v43, v42
	v_cndmask_b32_e64 v46, v19, v48, s[6:7]
	;;#ASMSTART
	global_atomic_pk_add_f16 v[16:17], v18, off
	
	;;#ASMEND
	v_lshl_add_u64 v[18:19], v[16:17], 0, 32
	;;#ASMSTART
	global_atomic_pk_add_f16 v[18:19], v22, off
	
	;;#ASMEND
	v_or_b32_e32 v26, v23, v27
	v_mov_b32_e32 v22, v42
	v_mov_b32_e32 v23, v42
	v_pk_mul_f32 v[14:15], v[22:23], v[14:15]
	v_pk_mul_f32 v[22:23], v[42:43], v[12:13]
	v_cmp_eq_u32_e32 vcc, 1, v85
	v_mov_b32_e32 v29, v28
	v_lshl_add_u64 v[18:19], v[16:17], 0, 64
	v_cndmask_b32_e32 v12, v22, v23, vcc
	v_cmp_eq_u32_e64 s[6:7], 2, v85
	v_cmp_eq_u32_e64 s[8:9], 3, v85
	;;#ASMSTART
	global_atomic_pk_add_f16 v[18:19], v26, off
	
	;;#ASMEND
	v_lshl_add_u64 v[26:27], v[16:17], 0, s[30:31]
	v_cndmask_b32_e64 v12, v12, v14, s[6:7]
	v_mov_b32_e32 v16, v28
	v_mov_b32_e32 v17, v28
	v_pk_mul_f32 v[18:19], v[28:29], v[8:9]
	v_cndmask_b32_e64 v12, v12, v15, s[8:9]
	v_pk_mul_f32 v[10:11], v[16:17], v[10:11]
	v_cndmask_b32_e32 v8, v18, v19, vcc
	ds_bpermute_b32 v30, v96, v12
	v_cndmask_b32_e64 v8, v8, v10, s[6:7]
	v_cndmask_b32_e64 v8, v8, v11, s[8:9]
	ds_bpermute_b32 v17, v96, v8
	v_cmp_eq_u32_e64 s[10:11], 0, v85
	s_waitcnt lgkmcnt(1)
	v_cndmask_b32_e64 v12, v15, v30, s[8:9]
	v_cndmask_b32_e64 v13, v14, v30, s[6:7]
	v_cndmask_b32_e32 v14, v23, v30, vcc
	v_cndmask_b32_e64 v15, v22, v30, s[10:11]
	v_cmp_eq_u32_e64 s[12:13], 1, v86
	v_mov_b32_e32 v25, v24
	v_cmp_eq_u32_e64 s[14:15], 2, v86
	v_cndmask_b32_e64 v22, v15, v14, s[12:13]
	s_waitcnt lgkmcnt(0)
	v_cndmask_b32_e64 v9, v11, v17, s[8:9]
	v_cndmask_b32_e64 v8, v22, v13, s[14:15]
	;; [unrolled: 1-line block ×3, first 2 shown]
	v_cndmask_b32_e32 v16, v19, v17, vcc
	v_cndmask_b32_e64 v17, v18, v17, s[10:11]
	v_mov_b32_e32 v18, v24
	v_mov_b32_e32 v19, v24
	v_pk_mul_f32 v[22:23], v[24:25], v[0:1]
	v_pk_mul_f32 v[18:19], v[18:19], v[2:3]
	v_cndmask_b32_e32 v0, v22, v23, vcc
	v_cndmask_b32_e64 v0, v0, v18, s[6:7]
	v_cndmask_b32_e64 v0, v0, v19, s[8:9]
	ds_bpermute_b32 v1, v96, v0
	v_mov_b32_e32 v21, v20
	v_cndmask_b32_e64 v0, v17, v16, s[12:13]
	v_cmp_eq_u32_e64 s[16:17], 3, v86
	v_cndmask_b32_e64 v0, v0, v10, s[14:15]
	s_waitcnt lgkmcnt(0)
	v_cndmask_b32_e64 v3, v19, v1, s[8:9]
	v_cndmask_b32_e64 v11, v18, v1, s[6:7]
	v_mov_b32_e32 v18, v20
	v_mov_b32_e32 v19, v20
	v_pk_mul_f32 v[6:7], v[18:19], v[6:7]
	v_pk_mul_f32 v[18:19], v[20:21], v[4:5]
	v_cndmask_b32_e64 v0, v0, v9, s[16:17]
	v_cndmask_b32_e32 v4, v18, v19, vcc
	v_cndmask_b32_e64 v4, v4, v6, s[6:7]
	v_cndmask_b32_e64 v4, v4, v7, s[8:9]
	ds_bpermute_b32 v20, v96, v4
	ds_bpermute_b32 v2, v96, v0
	v_cndmask_b32_e32 v0, v23, v1, vcc
	v_cmp_ne_u32_e32 vcc, 0, v85
	v_cndmask_b32_e64 v1, v22, v1, s[10:11]
	s_waitcnt lgkmcnt(1)
	v_cndmask_b32_e64 v5, v7, v20, s[8:9]
	v_cndmask_b32_e64 v6, v6, v20, s[6:7]
	v_cndmask_b32_e32 v19, v19, v20, vcc
	v_cndmask_b32_e64 v20, v18, v20, s[10:11]
	v_cndmask_b32_e64 v4, v1, v0, s[12:13]
	;; [unrolled: 1-line block ×3, first 2 shown]
	v_cvt_f16_f32_e32 v31, v46
	v_cvt_f16_f32_sdwa v42, v45 dst_sel:WORD_1 dst_unused:UNUSED_PAD src0_sel:DWORD
	v_cndmask_b32_e64 v4, v4, v11, s[14:15]
	v_cndmask_b32_e64 v7, v7, v6, s[14:15]
	;; [unrolled: 1-line block ×5, first 2 shown]
	ds_bpermute_b32 v8, v96, v8
	ds_bpermute_b32 v4, v96, v4
	;; [unrolled: 1-line block ×3, first 2 shown]
	v_or_b32_e32 v18, v42, v31
	;;#ASMSTART
	global_atomic_pk_add_f16 v[26:27], v18, off
	
	;;#ASMEND
	v_add_u32_e32 v18, s65, v91
	v_cmp_gt_u32_e32 vcc, 32, v18
	s_and_b64 exec, exec, vcc
	s_cbranch_execz .LBB207_37
; %bb.35:                               ;   in Loop: Header=BB207_7 Depth=1
	v_cmp_eq_u32_e64 s[8:9], 1, v86
	v_cmp_eq_u32_e64 s[10:11], 0, v86
	v_cmp_eq_u32_e32 vcc, 3, v86
	s_waitcnt lgkmcnt(2)
	v_cndmask_b32_e64 v14, v14, v8, s[8:9]
	v_cndmask_b32_e64 v15, v15, v8, s[10:11]
	;; [unrolled: 1-line block ×4, first 2 shown]
	v_cvt_f16_f32_e32 v15, v15
	v_cvt_f16_f32_sdwa v14, v14 dst_sel:WORD_1 dst_unused:UNUSED_PAD src0_sel:DWORD
	v_cvt_f16_f32_e32 v17, v17
	v_cvt_f16_f32_sdwa v16, v16 dst_sel:WORD_1 dst_unused:UNUSED_PAD src0_sel:DWORD
	s_waitcnt lgkmcnt(1)
	v_cndmask_b32_e64 v21, v0, v4, s[8:9]
	v_cndmask_b32_e64 v22, v1, v4, s[10:11]
	v_lshl_add_u64 v[0:1], v[36:37], 1, s[50:51]
	v_or_b32_e32 v14, v14, v15
	v_or_b32_e32 v16, v16, v17
	s_waitcnt lgkmcnt(0)
	v_cndmask_b32_e64 v19, v19, v7, s[8:9]
	v_cndmask_b32_e64 v20, v20, v7, s[10:11]
	;;#ASMSTART
	global_atomic_pk_add_f16 v[0:1], v14, off
	
	;;#ASMEND
	v_lshl_add_u64 v[14:15], v[0:1], 0, 32
	;;#ASMSTART
	global_atomic_pk_add_f16 v[14:15], v16, off
	
	;;#ASMEND
	v_cvt_f16_f32_e32 v16, v22
	v_cvt_f16_f32_sdwa v17, v21 dst_sel:WORD_1 dst_unused:UNUSED_PAD src0_sel:DWORD
	v_cvt_f16_f32_e32 v20, v20
	v_cvt_f16_f32_sdwa v19, v19 dst_sel:WORD_1 dst_unused:UNUSED_PAD src0_sel:DWORD
	v_cmp_eq_u32_e64 s[6:7], 2, v86
	v_lshl_add_u64 v[14:15], v[0:1], 0, 64
	v_or_b32_e32 v16, v17, v16
	v_cmp_gt_u32_e64 s[8:9], 30, v18
	;;#ASMSTART
	global_atomic_pk_add_f16 v[14:15], v16, off
	
	;;#ASMEND
	v_lshl_add_u64 v[14:15], v[0:1], 0, s[30:31]
	v_or_b32_e32 v16, v19, v20
	;;#ASMSTART
	global_atomic_pk_add_f16 v[14:15], v16, off
	
	;;#ASMEND
	s_and_b64 exec, exec, s[8:9]
	s_cbranch_execz .LBB207_37
; %bb.36:                               ;   in Loop: Header=BB207_7 Depth=1
	v_cndmask_b32_e32 v12, v12, v8, vcc
	v_cndmask_b32_e64 v8, v13, v8, s[6:7]
	v_cndmask_b32_e32 v9, v9, v2, vcc
	v_cndmask_b32_e64 v2, v10, v2, s[6:7]
	v_cndmask_b32_e32 v10, v3, v4, vcc
	v_cndmask_b32_e32 v5, v5, v7, vcc
	v_cndmask_b32_e64 v6, v6, v7, s[6:7]
	v_cvt_f16_f32_e32 v3, v8
	v_cvt_f16_f32_sdwa v7, v12 dst_sel:WORD_1 dst_unused:UNUSED_PAD src0_sel:DWORD
	v_cvt_f16_f32_e32 v8, v2
	v_cvt_f16_f32_sdwa v9, v9 dst_sel:WORD_1 dst_unused:UNUSED_PAD src0_sel:DWORD
	v_cndmask_b32_e64 v4, v11, v4, s[6:7]
	v_lshl_add_u64 v[0:1], s[28:29], 2, v[0:1]
	v_or_b32_e32 v2, v7, v3
	v_or_b32_e32 v7, v9, v8
	;;#ASMSTART
	global_atomic_pk_add_f16 v[0:1], v2, off
	
	;;#ASMEND
	v_lshl_add_u64 v[2:3], v[0:1], 0, 32
	;;#ASMSTART
	global_atomic_pk_add_f16 v[2:3], v7, off
	
	;;#ASMEND
	v_cvt_f16_f32_e32 v4, v4
	v_cvt_f16_f32_sdwa v7, v10 dst_sel:WORD_1 dst_unused:UNUSED_PAD src0_sel:DWORD
	v_cvt_f16_f32_e32 v6, v6
	v_cvt_f16_f32_sdwa v5, v5 dst_sel:WORD_1 dst_unused:UNUSED_PAD src0_sel:DWORD
	v_lshl_add_u64 v[2:3], v[0:1], 0, 64
	v_or_b32_e32 v4, v7, v4
	;;#ASMSTART
	global_atomic_pk_add_f16 v[2:3], v4, off
	
	;;#ASMEND
	v_lshl_add_u64 v[0:1], v[0:1], 0, s[30:31]
	v_or_b32_e32 v2, v5, v6
	;;#ASMSTART
	global_atomic_pk_add_f16 v[0:1], v2, off
	
	;;#ASMEND
.LBB207_37:                             ;   in Loop: Header=BB207_7 Depth=1
	s_or_b64 exec, exec, s[18:19]
	v_subrev_u32_e32 v97, s66, v97
.LBB207_38:                             ;   in Loop: Header=BB207_7 Depth=1
	s_or_b64 exec, exec, s[48:49]
.LBB207_39:                             ;   in Loop: Header=BB207_7 Depth=1
	s_andn2_saveexec_b64 s[6:7], s[46:47]
	s_cbranch_execz .LBB207_48
; %bb.40:                               ;   in Loop: Header=BB207_7 Depth=1
	s_lshl_b32 s16, s66, 2
	v_cmp_gt_i32_e32 vcc, s16, v97
	s_and_saveexec_b64 s[8:9], vcc
	s_cbranch_execz .LBB207_47
; %bb.41:                               ;   in Loop: Header=BB207_7 Depth=1
	s_mul_i32 s10, s44, s23
	s_ashr_i32 s11, s10, 31
	s_waitcnt lgkmcnt(0)
	s_add_u32 s10, s38, s10
	s_addc_u32 s11, s39, s11
	s_ashr_i32 s12, s64, 31
	s_add_u32 s10, s10, s64
	s_addc_u32 s11, s11, s12
	v_lshl_add_u64 v[0:1], s[10:11], 0, v[40:41]
	v_lshl_add_u64 v[16:17], v[0:1], 0, v[38:39]
	s_mov_b64 s[10:11], 0
	s_branch .LBB207_43
.LBB207_42:                             ;   in Loop: Header=BB207_43 Depth=2
	s_or_b64 exec, exec, s[12:13]
	v_lshl_or_b32 v20, v18, 12, v93
	;;#ASMSTART
	s_waitcnt vmcnt(3)
	;;#ASMEND
	ds_write2_b32 v20, v12, v13 offset1:32
	ds_write2_b32 v20, v14, v15 offset0:64 offset1:96
	v_add_u32_e32 v12, 0x400, v20
	;;#ASMSTART
	s_waitcnt vmcnt(2)
	;;#ASMEND
	ds_write2_b32 v12, v8, v9 offset1:32
	ds_write2_b32 v12, v10, v11 offset0:64 offset1:96
	v_add_u32_e32 v8, 0x800, v20
	;; [unrolled: 6-line block ×3, first 2 shown]
	v_add_u32_e32 v97, s26, v97
	;;#ASMSTART
	s_waitcnt vmcnt(0)
	;;#ASMEND
	ds_write2_b32 v4, v0, v1 offset1:32
	ds_write2_b32 v4, v2, v3 offset0:64 offset1:96
	v_add_u32_e32 v0, 1, v82
	v_add_u32_e32 v44, s26, v18
	v_cmp_le_i32_e32 vcc, s16, v97
	ds_write_b32 v19, v0 offset:16
	v_add_u32_e32 v0, 2, v82
	s_or_b64 s[10:11], vcc, s[10:11]
	v_cmp_lt_i32_e32 vcc, 7, v44
	s_nop 1
	v_cndmask_b32_e32 v82, v82, v0, vcc
	s_andn2_b64 exec, exec, s[10:11]
	s_cbranch_execz .LBB207_46
.LBB207_43:                             ;   Parent Loop BB207_7 Depth=1
                                        ; =>  This Loop Header: Depth=2
                                        ;       Child Loop BB207_45 Depth 3
	v_cmp_gt_i32_e32 vcc, 8, v44
	s_nop 1
	v_cndmask_b32_e64 v0, -8, 0, vcc
	v_add_u32_e32 v18, v0, v44
	v_ashrrev_i32_e32 v0, 31, v97
	v_lshrrev_b32_e32 v0, 30, v0
	v_add_u32_e32 v0, v97, v0
	v_and_b32_e32 v1, -4, v0
	v_lshlrev_b32_e32 v0, 6, v0
	v_sub_u32_e32 v2, v97, v1
	v_and_b32_e32 v0, 0xffffff00, v0
	v_ashrrev_i32_e32 v1, 31, v0
	v_mul_lo_u32 v2, s57, v2
	v_lshl_add_u64 v[0:1], v[16:17], 0, v[0:1]
	v_ashrrev_i32_e32 v3, 31, v2
	v_lshl_add_u64 v[0:1], v[0:1], 0, v[2:3]
	v_lshlrev_b32_e32 v19, 2, v18
	;;#ASMSTART
	global_load_dwordx4 v[12:15], v[0:1], off offset:0    sc0 sc1 nt  
	global_load_dwordx4 v[8:11], v[0:1], off offset:64   sc0 sc1 nt  
	global_load_dwordx4 v[4:7], v[0:1], off offset:128  sc0 sc1 nt  
	global_load_dwordx4 v[0:3], v[0:1], off offset:192  sc0 sc1 nt  
	
	;;#ASMEND
	ds_read_b32 v20, v19 offset:49168
	v_add_u32_e32 v19, 0xc000, v19
	s_waitcnt lgkmcnt(0)
	v_cmp_ne_u32_e32 vcc, v20, v82
	s_and_saveexec_b64 s[12:13], vcc
	s_cbranch_execz .LBB207_42
; %bb.44:                               ;   in Loop: Header=BB207_43 Depth=2
	s_mov_b64 s[14:15], 0
.LBB207_45:                             ;   Parent Loop BB207_7 Depth=1
                                        ;     Parent Loop BB207_43 Depth=2
                                        ; =>    This Inner Loop Header: Depth=3
	;;#ASMSTART
	s_sleep 0
	;;#ASMEND
	ds_read_b32 v20, v19 offset:16
	s_waitcnt lgkmcnt(0)
	v_cmp_eq_u32_e32 vcc, v20, v82
	s_or_b64 s[14:15], vcc, s[14:15]
	s_andn2_b64 exec, exec, s[14:15]
	s_cbranch_execnz .LBB207_45
	s_branch .LBB207_42
.LBB207_46:                             ;   in Loop: Header=BB207_7 Depth=1
	s_or_b64 exec, exec, s[10:11]
.LBB207_47:                             ;   in Loop: Header=BB207_7 Depth=1
	s_or_b64 exec, exec, s[8:9]
	v_subrev_u32_e32 v97, s16, v97
.LBB207_48:                             ;   in Loop: Header=BB207_7 Depth=1
	s_or_b64 exec, exec, s[6:7]
.LBB207_49:                             ;   in Loop: Header=BB207_7 Depth=1
	s_andn2_saveexec_b64 s[6:7], s[34:35]
	s_cbranch_execz .LBB207_6
; %bb.50:                               ;   in Loop: Header=BB207_7 Depth=1
	s_lshl_b32 s16, s66, 1
	v_cmp_gt_i32_e32 vcc, s16, v97
	s_and_saveexec_b64 s[8:9], vcc
	s_cbranch_execz .LBB207_5
; %bb.51:                               ;   in Loop: Header=BB207_7 Depth=1
	s_mul_i32 s63, s63, s22
	s_ashr_i32 s10, s63, 31
	s_waitcnt lgkmcnt(0)
	s_add_u32 s11, s36, s63
	v_add_u32_e32 v2, s65, v92
	s_addc_u32 s12, s37, s10
	s_ashr_i32 s13, s64, 31
	v_cmp_gt_u32_e32 vcc, 32, v2
	s_add_u32 s10, s11, s64
	s_addc_u32 s11, s12, s13
	v_cndmask_b32_e32 v0, 0, v94, vcc
	v_ashrrev_i32_e32 v1, 31, v0
	v_lshl_add_u64 v[0:1], s[10:11], 0, v[0:1]
	v_lshl_add_u64 v[16:17], v[0:1], 0, v[38:39]
	v_sub_u32_e32 v18, 31, v2
	s_mov_b64 s[10:11], 0
	s_branch .LBB207_53
.LBB207_52:                             ;   in Loop: Header=BB207_53 Depth=2
	s_or_b64 exec, exec, s[12:13]
	v_lshl_add_u32 v21, v19, 12, v95
	;;#ASMSTART
	s_waitcnt vmcnt(3)
	;;#ASMEND
	ds_write2_b32 v21, v12, v13 offset1:32
	ds_write2_b32 v21, v14, v15 offset0:64 offset1:96
	v_add_u32_e32 v12, 0x400, v21
	;;#ASMSTART
	s_waitcnt vmcnt(2)
	;;#ASMEND
	ds_write2_b32 v12, v8, v9 offset1:32
	ds_write2_b32 v12, v10, v11 offset0:64 offset1:96
	v_add_u32_e32 v8, 0x800, v21
	;; [unrolled: 6-line block ×3, first 2 shown]
	v_add_u32_e32 v97, s25, v97
	;;#ASMSTART
	s_waitcnt vmcnt(0)
	;;#ASMEND
	ds_write2_b32 v4, v0, v1 offset1:32
	ds_write2_b32 v4, v2, v3 offset0:64 offset1:96
	v_add_u32_e32 v0, 1, v82
	v_add_u32_e32 v44, s25, v19
	v_cmp_le_i32_e32 vcc, s16, v97
	ds_write_b32 v20, v0
	v_add_u32_e32 v0, 2, v82
	s_or_b64 s[10:11], vcc, s[10:11]
	v_cmp_lt_i32_e32 vcc, 3, v44
	s_nop 1
	v_cndmask_b32_e32 v82, v82, v0, vcc
	s_andn2_b64 exec, exec, s[10:11]
	s_cbranch_execz .LBB207_4
.LBB207_53:                             ;   Parent Loop BB207_7 Depth=1
                                        ; =>  This Loop Header: Depth=2
                                        ;       Child Loop BB207_55 Depth 3
	v_cmp_gt_i32_e32 vcc, 4, v44
	s_nop 1
	v_cndmask_b32_e64 v0, -4, 0, vcc
	v_add_u32_e32 v19, v0, v44
	v_lshrrev_b32_e32 v0, 31, v97
	v_add_u32_e32 v0, v97, v0
	v_and_b32_e32 v1, 0xffffffe, v0
	v_sub_u32_e32 v1, v97, v1
	v_lshlrev_b32_e32 v1, 4, v1
	v_cmp_le_i32_e32 vcc, v1, v18
	v_lshlrev_b32_e32 v0, 7, v0
	v_and_b32_e32 v0, 0xffffff00, v0
	v_cndmask_b32_e32 v2, 0, v1, vcc
	v_ashrrev_i32_e32 v1, 31, v0
	v_mul_lo_u32 v2, v2, s22
	v_lshl_add_u64 v[0:1], v[16:17], 0, v[0:1]
	v_ashrrev_i32_e32 v3, 31, v2
	v_lshl_add_u64 v[0:1], v[0:1], 0, v[2:3]
	v_lshlrev_b32_e32 v20, 2, v19
	;;#ASMSTART
	global_load_dwordx4 v[12:15], v[0:1], off offset:0    
	global_load_dwordx4 v[8:11], v[0:1], off offset:64   
	;; [unrolled: 1-line block ×4, first 2 shown]
	
	;;#ASMEND
	ds_read_b32 v21, v20 offset:49152
	v_add_u32_e32 v20, 0xc000, v20
	s_waitcnt lgkmcnt(0)
	v_cmp_ne_u32_e32 vcc, v21, v82
	s_and_saveexec_b64 s[12:13], vcc
	s_cbranch_execz .LBB207_52
; %bb.54:                               ;   in Loop: Header=BB207_53 Depth=2
	s_mov_b64 s[14:15], 0
.LBB207_55:                             ;   Parent Loop BB207_7 Depth=1
                                        ;     Parent Loop BB207_53 Depth=2
                                        ; =>    This Inner Loop Header: Depth=3
	;;#ASMSTART
	s_sleep 0
	;;#ASMEND
	ds_read_b32 v21, v20
	s_waitcnt lgkmcnt(0)
	v_cmp_eq_u32_e32 vcc, v21, v82
	s_or_b64 s[14:15], vcc, s[14:15]
	s_andn2_b64 exec, exec, s[14:15]
	s_cbranch_execnz .LBB207_55
	s_branch .LBB207_52
.LBB207_56:
	s_endpgm
	.section	.rodata,"a",@progbits
	.p2align	6, 0x0
	.amdhsa_kernel _Z19_skinny_gemm_kernelILi2ELi4ELi2ELi16ELi8EEvPKhS1_P6__halfPKfiiiiiiii
		.amdhsa_group_segment_fixed_size 49200
		.amdhsa_private_segment_fixed_size 0
		.amdhsa_kernarg_size 64
		.amdhsa_user_sgpr_count 2
		.amdhsa_user_sgpr_dispatch_ptr 0
		.amdhsa_user_sgpr_queue_ptr 0
		.amdhsa_user_sgpr_kernarg_segment_ptr 1
		.amdhsa_user_sgpr_dispatch_id 0
		.amdhsa_user_sgpr_kernarg_preload_length 0
		.amdhsa_user_sgpr_kernarg_preload_offset 0
		.amdhsa_user_sgpr_private_segment_size 0
		.amdhsa_uses_dynamic_stack 0
		.amdhsa_enable_private_segment 0
		.amdhsa_system_sgpr_workgroup_id_x 1
		.amdhsa_system_sgpr_workgroup_id_y 0
		.amdhsa_system_sgpr_workgroup_id_z 0
		.amdhsa_system_sgpr_workgroup_info 0
		.amdhsa_system_vgpr_workitem_id 0
		.amdhsa_next_free_vgpr 112
		.amdhsa_next_free_sgpr 67
		.amdhsa_accum_offset 112
		.amdhsa_reserve_vcc 1
		.amdhsa_float_round_mode_32 0
		.amdhsa_float_round_mode_16_64 0
		.amdhsa_float_denorm_mode_32 3
		.amdhsa_float_denorm_mode_16_64 3
		.amdhsa_dx10_clamp 1
		.amdhsa_ieee_mode 1
		.amdhsa_fp16_overflow 0
		.amdhsa_tg_split 0
		.amdhsa_exception_fp_ieee_invalid_op 0
		.amdhsa_exception_fp_denorm_src 0
		.amdhsa_exception_fp_ieee_div_zero 0
		.amdhsa_exception_fp_ieee_overflow 0
		.amdhsa_exception_fp_ieee_underflow 0
		.amdhsa_exception_fp_ieee_inexact 0
		.amdhsa_exception_int_div_zero 0
	.end_amdhsa_kernel
	.section	.text._Z19_skinny_gemm_kernelILi2ELi4ELi2ELi16ELi8EEvPKhS1_P6__halfPKfiiiiiiii,"axG",@progbits,_Z19_skinny_gemm_kernelILi2ELi4ELi2ELi16ELi8EEvPKhS1_P6__halfPKfiiiiiiii,comdat
.Lfunc_end207:
	.size	_Z19_skinny_gemm_kernelILi2ELi4ELi2ELi16ELi8EEvPKhS1_P6__halfPKfiiiiiiii, .Lfunc_end207-_Z19_skinny_gemm_kernelILi2ELi4ELi2ELi16ELi8EEvPKhS1_P6__halfPKfiiiiiiii
                                        ; -- End function
	.set _Z19_skinny_gemm_kernelILi2ELi4ELi2ELi16ELi8EEvPKhS1_P6__halfPKfiiiiiiii.num_vgpr, 112
	.set _Z19_skinny_gemm_kernelILi2ELi4ELi2ELi16ELi8EEvPKhS1_P6__halfPKfiiiiiiii.num_agpr, 0
	.set _Z19_skinny_gemm_kernelILi2ELi4ELi2ELi16ELi8EEvPKhS1_P6__halfPKfiiiiiiii.numbered_sgpr, 67
	.set _Z19_skinny_gemm_kernelILi2ELi4ELi2ELi16ELi8EEvPKhS1_P6__halfPKfiiiiiiii.num_named_barrier, 0
	.set _Z19_skinny_gemm_kernelILi2ELi4ELi2ELi16ELi8EEvPKhS1_P6__halfPKfiiiiiiii.private_seg_size, 0
	.set _Z19_skinny_gemm_kernelILi2ELi4ELi2ELi16ELi8EEvPKhS1_P6__halfPKfiiiiiiii.uses_vcc, 1
	.set _Z19_skinny_gemm_kernelILi2ELi4ELi2ELi16ELi8EEvPKhS1_P6__halfPKfiiiiiiii.uses_flat_scratch, 0
	.set _Z19_skinny_gemm_kernelILi2ELi4ELi2ELi16ELi8EEvPKhS1_P6__halfPKfiiiiiiii.has_dyn_sized_stack, 0
	.set _Z19_skinny_gemm_kernelILi2ELi4ELi2ELi16ELi8EEvPKhS1_P6__halfPKfiiiiiiii.has_recursion, 0
	.set _Z19_skinny_gemm_kernelILi2ELi4ELi2ELi16ELi8EEvPKhS1_P6__halfPKfiiiiiiii.has_indirect_call, 0
	.section	.AMDGPU.csdata,"",@progbits
; Kernel info:
; codeLenInByte = 6356
; TotalNumSgprs: 73
; NumVgprs: 112
; NumAgprs: 0
; TotalNumVgprs: 112
; ScratchSize: 0
; MemoryBound: 0
; FloatMode: 240
; IeeeMode: 1
; LDSByteSize: 49200 bytes/workgroup (compile time only)
; SGPRBlocks: 9
; VGPRBlocks: 13
; NumSGPRsForWavesPerEU: 73
; NumVGPRsForWavesPerEU: 112
; AccumOffset: 112
; Occupancy: 4
; WaveLimiterHint : 0
; COMPUTE_PGM_RSRC2:SCRATCH_EN: 0
; COMPUTE_PGM_RSRC2:USER_SGPR: 2
; COMPUTE_PGM_RSRC2:TRAP_HANDLER: 0
; COMPUTE_PGM_RSRC2:TGID_X_EN: 1
; COMPUTE_PGM_RSRC2:TGID_Y_EN: 0
; COMPUTE_PGM_RSRC2:TGID_Z_EN: 0
; COMPUTE_PGM_RSRC2:TIDIG_COMP_CNT: 0
; COMPUTE_PGM_RSRC3_GFX90A:ACCUM_OFFSET: 27
; COMPUTE_PGM_RSRC3_GFX90A:TG_SPLIT: 0
	.section	.text._Z19_skinny_gemm_kernelILi2ELi4ELi2ELi32ELi4EEvPKhS1_P6__halfPKfiiiiiiii,"axG",@progbits,_Z19_skinny_gemm_kernelILi2ELi4ELi2ELi32ELi4EEvPKhS1_P6__halfPKfiiiiiiii,comdat
	.protected	_Z19_skinny_gemm_kernelILi2ELi4ELi2ELi32ELi4EEvPKhS1_P6__halfPKfiiiiiiii ; -- Begin function _Z19_skinny_gemm_kernelILi2ELi4ELi2ELi32ELi4EEvPKhS1_P6__halfPKfiiiiiiii
	.globl	_Z19_skinny_gemm_kernelILi2ELi4ELi2ELi32ELi4EEvPKhS1_P6__halfPKfiiiiiiii
	.p2align	8
	.type	_Z19_skinny_gemm_kernelILi2ELi4ELi2ELi32ELi4EEvPKhS1_P6__halfPKfiiiiiiii,@function
_Z19_skinny_gemm_kernelILi2ELi4ELi2ELi32ELi4EEvPKhS1_P6__halfPKfiiiiiiii: ; @_Z19_skinny_gemm_kernelILi2ELi4ELi2ELi32ELi4EEvPKhS1_P6__halfPKfiiiiiiii
; %bb.0:
	v_cmp_gt_u32_e32 vcc, 12, v0
	s_and_saveexec_b64 s[4:5], vcc
; %bb.1:
	v_lshlrev_b32_e32 v1, 2, v0
	v_mov_b32_e32 v2, 0
	ds_write_b32 v1, v2 offset:24576
; %bb.2:
	s_or_b64 exec, exec, s[4:5]
	s_load_dwordx8 s[20:27], s[0:1], 0x20
	s_waitcnt lgkmcnt(0)
	s_barrier
	s_add_i32 s3, s20, 63
	s_ashr_i32 s5, s3, 31
	s_add_i32 s4, s21, 0x7f
	s_lshr_b32 s5, s5, 26
	s_ashr_i32 s6, s4, 31
	s_add_i32 s3, s3, s5
	s_ashr_i32 s12, s3, 6
	s_lshr_b32 s3, s6, 25
	s_add_i32 s4, s4, s3
	s_ashr_i32 s14, s4, 7
	s_mul_i32 s3, s14, s12
	s_mul_i32 s3, s3, s24
	s_add_i32 s4, s3, 0x12f
	s_mul_hi_i32 s4, s4, 0x6bca1af3
	s_lshr_b32 s5, s4, 31
	s_ashr_i32 s4, s4, 7
	s_add_i32 s4, s4, s5
	s_add_i32 s5, s2, 1
	s_mul_i32 s5, s4, s5
	v_cvt_f64_i32_e32 v[2:3], s3
	v_cvt_f64_u32_e32 v[4:5], s5
	v_min_f64 v[2:3], v[2:3], v[4:5]
	v_cvt_i32_f64_e32 v78, v[2:3]
	s_mul_i32 s33, s4, s2
	v_cmp_ge_i32_e32 vcc, s33, v78
	s_cbranch_vccnz .LBB208_54
; %bb.3:
	s_load_dwordx8 s[72:79], s[0:1], 0x0
	v_lshrrev_b32_e32 v1, 6, v0
	s_add_i32 s0, s26, s25
	v_cmp_le_i32_e64 s[18:19], s0, v1
	v_mov_b32_e32 v2, s25
	v_cmp_le_i32_e64 s[28:29], s25, v1
	v_mov_b32_e32 v3, s26
	v_cndmask_b32_e64 v3, 0, v3, s[18:19]
	v_cndmask_b32_e64 v2, 0, v2, s[28:29]
	s_abs_i32 s1, s24
	v_add_u32_e32 v2, v2, v3
	v_cvt_f32_u32_e32 v3, s1
	v_sub_u32_e32 v72, v1, v2
	s_ashr_i32 s2, s22, 31
	s_lshr_b32 s2, s2, 26
	v_rcp_iflag_f32_e32 v2, v3
	s_sub_i32 s5, 0, s1
	s_add_i32 s2, s22, s2
	s_ashr_i32 s2, s2, 6
	v_mul_f32_e32 v2, 0x4f7ffffe, v2
	v_cvt_u32_f32_e32 v2, v2
	s_abs_i32 s4, s2
	s_xor_b32 s3, s2, s24
	s_ashr_i32 s3, s3, 31
	v_readfirstlane_b32 s6, v2
	s_mul_i32 s5, s5, s6
	s_mul_hi_u32 s5, s6, s5
	s_add_i32 s6, s6, s5
	s_mul_hi_u32 s5, s4, s6
	s_mul_i32 s6, s5, s1
	s_sub_i32 s4, s4, s6
	s_add_i32 s6, s5, 1
	s_sub_i32 s7, s4, s1
	s_cmp_ge_u32 s4, s1
	s_cselect_b32 s5, s6, s5
	s_cselect_b32 s4, s7, s4
	s_add_i32 s6, s5, 1
	s_cmp_ge_u32 s4, s1
	s_cselect_b32 s1, s6, s5
	s_add_i32 s0, s0, s27
	v_and_b32_e32 v80, 31, v0
	v_lshrrev_b32_e32 v2, 3, v0
	v_cmp_gt_i32_e64 s[34:35], s0, v1
	v_lshlrev_b32_e32 v1, 2, v80
	v_and_b32_e32 v3, 4, v2
	v_lshlrev_b32_e32 v2, 6, v3
	v_or_b32_e32 v4, 0x4000, v1
	v_and_b32_e32 v5, 1, v0
	v_or_b32_e32 v81, v4, v2
	v_or_b32_e32 v82, v1, v2
	v_lshlrev_b32_e32 v2, 1, v5
	v_lshrrev_b32_e32 v7, 1, v0
	s_abs_i32 s97, s12
	v_sub_u32_e32 v2, v0, v2
	v_and_b32_e32 v66, 16, v7
	v_cvt_f32_u32_e32 v7, s97
	v_add_u32_e32 v2, 1, v2
	v_and_b32_e32 v6, 63, v2
	v_bitop3_b32 v83, v0, 1, v0 bitop3:0xc
	v_bitop3_b32 v84, v0, 3, 1 bitop3:0x6c
	;; [unrolled: 1-line block ×8, first 2 shown]
	v_and_b32_e32 v2, 30, v0
	v_lshlrev_b32_e32 v0, 4, v0
                                        ; implicit-def: $vgpr127 : SGPR spill to VGPR lane
	v_and_b32_e32 v0, 0x200, v0
	v_writelane_b32 v127, s12, 0
	v_or_b32_e32 v94, v1, v0
	v_rcp_iflag_f32_e32 v1, v7
	v_writelane_b32 v127, s14, 1
	s_waitcnt lgkmcnt(0)
	v_writelane_b32 v127, s72, 2
	s_abs_i32 s98, s14
	v_or_b32_e32 v96, v4, v0
	v_writelane_b32 v127, s73, 3
	v_writelane_b32 v127, s74, 4
	v_mul_f32_e32 v0, 0x4f7ffffe, v1
	v_cvt_f32_u32_e32 v1, s98
	v_writelane_b32 v127, s75, 5
	v_writelane_b32 v127, s76, 6
	;; [unrolled: 1-line block ×4, first 2 shown]
	v_cvt_u32_f32_e32 v0, v0
	v_rcp_iflag_f32_e32 v1, v1
	v_writelane_b32 v127, s79, 9
	v_cndmask_b32_e64 v79, 0, 1, s[18:19]
	s_xor_b32 s1, s1, s3
	v_writelane_b32 v127, s18, 10
	s_sub_i32 s15, s1, s3
	s_add_i32 s30, s24, -1
	v_writelane_b32 v127, s19, 11
	s_mul_i32 s1, s15, s30
	v_writelane_b32 v127, s28, 12
	s_sub_i32 s31, s2, s1
	v_readfirstlane_b32 s1, v0
	v_mul_f32_e32 v0, 0x4f7ffffe, v1
	v_writelane_b32 v127, s29, 13
	v_cvt_u32_f32_e32 v0, v0
	v_writelane_b32 v127, s15, 14
	s_sub_i32 s0, 0, s97
	v_writelane_b32 v127, s30, 15
	s_mul_i32 s0, s0, s1
	v_writelane_b32 v127, s31, 16
	s_mul_hi_u32 s0, s1, s0
	v_writelane_b32 v127, s34, 17
	s_ashr_i32 s36, s12, 31
	s_add_i32 s37, s1, s0
	s_sub_i32 s0, 0, s98
	v_readfirstlane_b32 s1, v0
	v_writelane_b32 v127, s35, 18
	s_mul_i32 s0, s0, s1
	v_mbcnt_lo_u32_b32 v0, -1, 0
	v_writelane_b32 v127, s36, 19
	s_ashr_i32 s38, s14, 31
	s_mul_hi_u32 s0, s1, s0
	v_mbcnt_hi_u32_b32 v0, -1, v0
	v_writelane_b32 v127, s37, 20
	v_mov_b32_e32 v65, 0
	v_mul_lo_u32 v68, s23, v80
	v_or_b32_e32 v97, v5, v3
	s_add_i32 s39, s1, s0
	v_and_or_b32 v0, v0, 64, v6
	v_writelane_b32 v127, s38, 21
	v_ashrrev_i32_e32 v69, 31, v68
	v_mov_b32_e32 v67, v65
	s_lshl_b32 s24, s23, 5
	v_mul_lo_u32 v95, s22, v80
	v_or_b32_e32 v98, 2, v97
	v_lshlrev_b32_e32 v64, 1, v2
	v_lshlrev_b32_e32 v99, 2, v0
	v_mov_b32_e32 v100, v72
	v_writelane_b32 v127, s39, 22
	s_branch .LBB208_7
.LBB208_4:                              ;   in Loop: Header=BB208_7 Depth=1
	s_or_b64 exec, exec, s[4:5]
.LBB208_5:                              ;   in Loop: Header=BB208_7 Depth=1
	s_or_b64 exec, exec, s[2:3]
	v_subrev_u32_e32 v100, s10, v100
.LBB208_6:                              ;   in Loop: Header=BB208_7 Depth=1
	s_or_b64 exec, exec, s[0:1]
	s_add_i32 s33, s33, 1
	v_cmp_ge_i32_e32 vcc, s33, v78
	s_cbranch_vccnz .LBB208_54
.LBB208_7:                              ; =>This Loop Header: Depth=1
                                        ;     Child Loop BB208_13 Depth 2
                                        ;       Child Loop BB208_15 Depth 3
                                        ;       Child Loop BB208_18 Depth 3
	;; [unrolled: 1-line block ×5, first 2 shown]
                                        ;     Child Loop BB208_32 Depth 2
                                        ;     Child Loop BB208_41 Depth 2
                                        ;       Child Loop BB208_43 Depth 3
                                        ;     Child Loop BB208_51 Depth 2
                                        ;       Child Loop BB208_53 Depth 3
	s_abs_i32 s1, s33
	s_mul_hi_u32 s2, s1, s37
	s_mul_i32 s3, s2, s97
	s_ashr_i32 s0, s33, 31
	s_sub_i32 s1, s1, s3
	s_xor_b32 s0, s0, s36
	s_add_i32 s3, s2, 1
	s_sub_i32 s4, s1, s97
	s_cmp_ge_u32 s1, s97
	s_cselect_b32 s2, s3, s2
	s_cselect_b32 s1, s4, s1
	s_add_i32 s3, s2, 1
	s_cmp_ge_u32 s1, s97
	s_cselect_b32 s1, s3, s2
	s_xor_b32 s1, s1, s0
	s_sub_i32 s0, s1, s0
	s_abs_i32 s2, s0
	s_mul_i32 s1, s0, s12
	s_mul_hi_u32 s3, s2, s39
	s_sub_i32 s1, s33, s1
	s_mul_i32 s4, s3, s98
	s_lshl_b32 s99, s1, 6
	s_ashr_i32 s1, s0, 31
	s_sub_i32 s2, s2, s4
	s_xor_b32 s1, s1, s38
	s_add_i32 s4, s3, 1
	s_sub_i32 s5, s2, s98
	s_cmp_ge_u32 s2, s98
	s_cselect_b32 s3, s4, s3
	s_cselect_b32 s2, s5, s2
	s_add_i32 s4, s3, 1
	s_cmp_ge_u32 s2, s98
	s_cselect_b32 s2, s4, s3
	s_xor_b32 s2, s2, s1
	s_sub_i32 s1, s2, s1
	s_mul_i32 s2, s1, s15
	s_lshl_b32 s44, s2, 6
	s_cmp_eq_u32 s1, s30
	s_cselect_b32 s4, s31, s15
	s_sub_i32 s2, s99, s20
	s_add_i32 s2, s2, 64
	s_max_i32 s96, s2, 0
	s_and_saveexec_b64 s[2:3], s[28:29]
	s_xor_b64 s[46:47], exec, s[2:3]
	s_cbranch_execz .LBB208_47
; %bb.8:                                ;   in Loop: Header=BB208_7 Depth=1
	s_mul_i32 s1, s1, s14
	s_sub_i32 s0, s0, s1
	s_lshl_b32 s0, s0, 7
	s_sub_i32 s5, s0, s21
	s_addk_i32 s5, 0x80
	s_max_i32 s1, s5, 0
	s_sub_i32 s0, s0, s1
	s_and_saveexec_b64 s[2:3], s[18:19]
	s_xor_b64 s[2:3], exec, s[2:3]
	s_cbranch_execz .LBB208_37
; %bb.9:                                ;   in Loop: Header=BB208_7 Depth=1
	s_and_saveexec_b64 s[48:49], s[34:35]
	s_cbranch_execz .LBB208_36
; %bb.10:                               ;   in Loop: Header=BB208_7 Depth=1
	global_load_dword v101, v65, s[78:79]
	v_mov_b32_e32 v63, 0
	v_cmp_gt_i32_e32 vcc, s4, v100
	v_mov_b32_e32 v62, v63
	v_mov_b32_e32 v61, v63
	;; [unrolled: 1-line block ×63, first 2 shown]
	s_and_saveexec_b64 s[6:7], vcc
	s_cbranch_execz .LBB208_29
; %bb.11:                               ;   in Loop: Header=BB208_7 Depth=1
	v_mov_b32_e32 v0, 0
	s_mov_b64 s[8:9], 0
	v_mov_b32_e32 v1, v0
	v_mov_b32_e32 v2, v0
	v_mov_b32_e32 v3, v0
	v_mov_b32_e32 v4, v0
	v_mov_b32_e32 v5, v0
	v_mov_b32_e32 v6, v0
	v_mov_b32_e32 v7, v0
	v_mov_b32_e32 v8, v0
	v_mov_b32_e32 v9, v0
	v_mov_b32_e32 v10, v0
	v_mov_b32_e32 v11, v0
	v_mov_b32_e32 v12, v0
	v_mov_b32_e32 v13, v0
	v_mov_b32_e32 v14, v0
	v_mov_b32_e32 v15, v0
	v_mov_b32_e32 v16, v0
	v_mov_b32_e32 v17, v0
	v_mov_b32_e32 v18, v0
	v_mov_b32_e32 v19, v0
	v_mov_b32_e32 v20, v0
	v_mov_b32_e32 v21, v0
	v_mov_b32_e32 v22, v0
	v_mov_b32_e32 v23, v0
	v_mov_b32_e32 v24, v0
	v_mov_b32_e32 v25, v0
	v_mov_b32_e32 v26, v0
	v_mov_b32_e32 v27, v0
	v_mov_b32_e32 v28, v0
	v_mov_b32_e32 v29, v0
	v_mov_b32_e32 v30, v0
	v_mov_b32_e32 v31, v0
	v_mov_b32_e32 v32, v0
	v_mov_b32_e32 v33, v0
	v_mov_b32_e32 v34, v0
	v_mov_b32_e32 v35, v0
	v_mov_b32_e32 v36, v0
	v_mov_b32_e32 v37, v0
	v_mov_b32_e32 v38, v0
	v_mov_b32_e32 v39, v0
	v_mov_b32_e32 v40, v0
	v_mov_b32_e32 v41, v0
	v_mov_b32_e32 v42, v0
	v_mov_b32_e32 v43, v0
	v_mov_b32_e32 v44, v0
	v_mov_b32_e32 v45, v0
	v_mov_b32_e32 v46, v0
	v_mov_b32_e32 v47, v0
	v_mov_b32_e32 v48, v0
	v_mov_b32_e32 v49, v0
	v_mov_b32_e32 v50, v0
	v_mov_b32_e32 v51, v0
	v_mov_b32_e32 v52, v0
	v_mov_b32_e32 v53, v0
	v_mov_b32_e32 v54, v0
	v_mov_b32_e32 v55, v0
	v_mov_b32_e32 v56, v0
	v_mov_b32_e32 v57, v0
	v_mov_b32_e32 v58, v0
	v_mov_b32_e32 v59, v0
	v_mov_b32_e32 v60, v0
	v_mov_b32_e32 v61, v0
	v_mov_b32_e32 v62, v0
	v_mov_b32_e32 v63, v0
	s_branch .LBB208_13
.LBB208_12:                             ;   in Loop: Header=BB208_13 Depth=2
	s_or_b64 exec, exec, s[10:11]
	v_add_u32_e32 v108, 0x1800, v105
	ds_read2_b32 v[106:107], v108 offset1:32
	v_add_u32_e32 v100, s27, v100
	s_waitcnt lgkmcnt(0)
	v_mfma_f32_32x32x16_fp8_fp8 v[0:15], v[76:77], v[106:107], v[0:15]
	ds_read2_b32 v[76:77], v108 offset0:128 offset1:160
	s_waitcnt lgkmcnt(0)
	v_mfma_f32_32x32x16_fp8_fp8 v[0:15], v[74:75], v[76:77], v[0:15]
	v_add_u32_e32 v76, 0x1c00, v105
	ds_read2_b32 v[74:75], v76 offset1:32
	ds_read2_b32 v[76:77], v76 offset0:128 offset1:160
	ds_write_b32 v103, v104 offset:24604
	s_waitcnt lgkmcnt(2)
	v_mfma_f32_32x32x16_fp8_fp8 v[0:15], v[72:73], v[74:75], v[0:15]
	v_add_u32_e32 v72, s27, v102
	v_add_u32_e32 v73, 2, v79
	v_cmp_lt_i32_e32 vcc, 1, v72
	s_nop 1
	v_cndmask_b32_e32 v79, v79, v73, vcc
	v_cmp_le_i32_e32 vcc, s4, v100
	s_waitcnt lgkmcnt(1)
	v_mfma_f32_32x32x16_fp8_fp8 v[0:15], v[70:71], v[76:77], v[0:15]
	s_or_b64 s[8:9], vcc, s[8:9]
	s_andn2_b64 exec, exec, s[8:9]
	s_cbranch_execz .LBB208_28
.LBB208_13:                             ;   Parent Loop BB208_7 Depth=1
                                        ; =>  This Loop Header: Depth=2
                                        ;       Child Loop BB208_15 Depth 3
                                        ;       Child Loop BB208_18 Depth 3
                                        ;       Child Loop BB208_21 Depth 3
                                        ;       Child Loop BB208_24 Depth 3
                                        ;       Child Loop BB208_27 Depth 3
	v_cmp_gt_i32_e32 vcc, 2, v72
	s_nop 1
	v_cndmask_b32_e64 v70, -2, 0, vcc
	v_add_u32_e32 v102, v70, v72
	v_lshlrev_b32_e32 v103, 5, v102
	ds_read_b32 v70, v103 offset:24576
	s_waitcnt lgkmcnt(0)
	v_cmp_ne_u32_e32 vcc, v70, v79
	s_and_saveexec_b64 s[10:11], vcc
	s_cbranch_execz .LBB208_16
; %bb.14:                               ;   in Loop: Header=BB208_13 Depth=2
	s_mov_b64 s[12:13], 0
.LBB208_15:                             ;   Parent Loop BB208_7 Depth=1
                                        ;     Parent Loop BB208_13 Depth=2
                                        ; =>    This Inner Loop Header: Depth=3
	;;#ASMSTART
	s_sleep 0
	;;#ASMEND
	ds_read_b32 v70, v103 offset:24576
	s_waitcnt lgkmcnt(0)
	v_cmp_eq_u32_e32 vcc, v70, v79
	s_or_b64 s[12:13], vcc, s[12:13]
	s_andn2_b64 exec, exec, s[12:13]
	s_cbranch_execnz .LBB208_15
.LBB208_16:                             ;   in Loop: Header=BB208_13 Depth=2
	s_or_b64 exec, exec, s[10:11]
	v_lshl_add_u32 v70, v102, 11, v81
	ds_read2_b32 v[76:77], v70 offset1:32
	ds_read2_b32 v[74:75], v70 offset0:128 offset1:160
	v_add_u32_e32 v70, 0x400, v70
	ds_read2_b32 v[72:73], v70 offset1:32
	ds_read_b32 v105, v103 offset:24580
	ds_read2_b32 v[70:71], v70 offset0:128 offset1:160
	v_add_u32_e32 v104, 1, v79
	ds_write_b32 v103, v104 offset:24576
	s_waitcnt lgkmcnt(2)
	v_cmp_ne_u32_e32 vcc, v105, v79
	s_and_saveexec_b64 s[10:11], vcc
	s_cbranch_execz .LBB208_19
; %bb.17:                               ;   in Loop: Header=BB208_13 Depth=2
	s_mov_b64 s[12:13], 0
.LBB208_18:                             ;   Parent Loop BB208_7 Depth=1
                                        ;     Parent Loop BB208_13 Depth=2
                                        ; =>    This Inner Loop Header: Depth=3
	;;#ASMSTART
	s_sleep 0
	;;#ASMEND
	ds_read_b32 v105, v103 offset:24580
	s_waitcnt lgkmcnt(0)
	v_cmp_eq_u32_e32 vcc, v105, v79
	s_or_b64 s[12:13], vcc, s[12:13]
	s_andn2_b64 exec, exec, s[12:13]
	s_cbranch_execnz .LBB208_18
.LBB208_19:                             ;   in Loop: Header=BB208_13 Depth=2
	s_or_b64 exec, exec, s[10:11]
	v_lshlrev_b32_e32 v105, 13, v102
	v_or_b32_e32 v108, v82, v105
	ds_read2_b32 v[106:107], v108 offset1:32
	ds_write_b32 v103, v104 offset:24580
	s_waitcnt lgkmcnt(1)
	v_mfma_f32_32x32x16_fp8_fp8 v[48:63], v[76:77], v[106:107], v[48:63]
	ds_read2_b32 v[106:107], v108 offset0:128 offset1:160
	v_add_u32_e32 v108, 0x400, v108
	s_waitcnt lgkmcnt(0)
	v_mfma_f32_32x32x16_fp8_fp8 v[48:63], v[74:75], v[106:107], v[48:63]
	ds_read2_b32 v[106:107], v108 offset1:32
	s_waitcnt lgkmcnt(0)
	v_mfma_f32_32x32x16_fp8_fp8 v[48:63], v[72:73], v[106:107], v[48:63]
	ds_read2_b32 v[106:107], v108 offset0:128 offset1:160
	ds_read_b32 v108, v103 offset:24588
	s_waitcnt lgkmcnt(0)
	v_cmp_ne_u32_e32 vcc, v108, v79
	v_mfma_f32_32x32x16_fp8_fp8 v[48:63], v[70:71], v[106:107], v[48:63]
	s_and_saveexec_b64 s[10:11], vcc
	s_cbranch_execz .LBB208_22
; %bb.20:                               ;   in Loop: Header=BB208_13 Depth=2
	s_mov_b64 s[12:13], 0
.LBB208_21:                             ;   Parent Loop BB208_7 Depth=1
                                        ;     Parent Loop BB208_13 Depth=2
                                        ; =>    This Inner Loop Header: Depth=3
	;;#ASMSTART
	s_sleep 0
	;;#ASMEND
	ds_read_b32 v106, v103 offset:24588
	s_waitcnt lgkmcnt(0)
	v_cmp_eq_u32_e32 vcc, v106, v79
	s_or_b64 s[12:13], vcc, s[12:13]
	s_andn2_b64 exec, exec, s[12:13]
	s_cbranch_execnz .LBB208_21
.LBB208_22:                             ;   in Loop: Header=BB208_13 Depth=2
	s_or_b64 exec, exec, s[10:11]
	v_add_u32_e32 v105, v82, v105
	v_add_u32_e32 v108, 0x800, v105
	ds_read2_b32 v[106:107], v108 offset1:32
	ds_write_b32 v103, v104 offset:24588
	s_waitcnt lgkmcnt(1)
	v_mfma_f32_32x32x16_fp8_fp8 v[32:47], v[76:77], v[106:107], v[32:47]
	ds_read2_b32 v[106:107], v108 offset0:128 offset1:160
	v_add_u32_e32 v108, 0xc00, v105
	s_waitcnt lgkmcnt(0)
	v_mfma_f32_32x32x16_fp8_fp8 v[32:47], v[74:75], v[106:107], v[32:47]
	ds_read2_b32 v[106:107], v108 offset1:32
	s_waitcnt lgkmcnt(0)
	v_mfma_f32_32x32x16_fp8_fp8 v[32:47], v[72:73], v[106:107], v[32:47]
	ds_read2_b32 v[106:107], v108 offset0:128 offset1:160
	ds_read_b32 v108, v103 offset:24596
	s_waitcnt lgkmcnt(0)
	v_cmp_ne_u32_e32 vcc, v108, v79
	v_mfma_f32_32x32x16_fp8_fp8 v[32:47], v[70:71], v[106:107], v[32:47]
	s_and_saveexec_b64 s[10:11], vcc
	s_cbranch_execz .LBB208_25
; %bb.23:                               ;   in Loop: Header=BB208_13 Depth=2
	s_mov_b64 s[12:13], 0
.LBB208_24:                             ;   Parent Loop BB208_7 Depth=1
                                        ;     Parent Loop BB208_13 Depth=2
                                        ; =>    This Inner Loop Header: Depth=3
	;;#ASMSTART
	s_sleep 0
	;;#ASMEND
	ds_read_b32 v106, v103 offset:24596
	s_waitcnt lgkmcnt(0)
	v_cmp_eq_u32_e32 vcc, v106, v79
	s_or_b64 s[12:13], vcc, s[12:13]
	s_andn2_b64 exec, exec, s[12:13]
	s_cbranch_execnz .LBB208_24
.LBB208_25:                             ;   in Loop: Header=BB208_13 Depth=2
	s_or_b64 exec, exec, s[10:11]
	v_add_u32_e32 v108, 0x1000, v105
	ds_read2_b32 v[106:107], v108 offset1:32
	s_waitcnt lgkmcnt(0)
	v_mfma_f32_32x32x16_fp8_fp8 v[16:31], v[76:77], v[106:107], v[16:31]
	ds_read2_b32 v[106:107], v108 offset0:128 offset1:160
	v_add_u32_e32 v108, 0x1400, v105
	s_waitcnt lgkmcnt(0)
	v_mfma_f32_32x32x16_fp8_fp8 v[16:31], v[74:75], v[106:107], v[16:31]
	ds_read2_b32 v[106:107], v108 offset1:32
	s_waitcnt lgkmcnt(0)
	v_mfma_f32_32x32x16_fp8_fp8 v[16:31], v[72:73], v[106:107], v[16:31]
	ds_read_b32 v109, v103 offset:24604
	ds_read2_b32 v[106:107], v108 offset0:128 offset1:160
	ds_write_b32 v103, v104 offset:24596
	s_waitcnt lgkmcnt(2)
	v_cmp_ne_u32_e32 vcc, v109, v79
	s_waitcnt lgkmcnt(1)
	v_mfma_f32_32x32x16_fp8_fp8 v[16:31], v[70:71], v[106:107], v[16:31]
	s_and_saveexec_b64 s[10:11], vcc
	s_cbranch_execz .LBB208_12
; %bb.26:                               ;   in Loop: Header=BB208_13 Depth=2
	s_mov_b64 s[12:13], 0
.LBB208_27:                             ;   Parent Loop BB208_7 Depth=1
                                        ;     Parent Loop BB208_13 Depth=2
                                        ; =>    This Inner Loop Header: Depth=3
	;;#ASMSTART
	s_sleep 0
	;;#ASMEND
	ds_read_b32 v106, v103 offset:24604
	s_waitcnt lgkmcnt(0)
	v_cmp_eq_u32_e32 vcc, v106, v79
	s_or_b64 s[12:13], vcc, s[12:13]
	s_andn2_b64 exec, exec, s[12:13]
	s_cbranch_execnz .LBB208_27
	s_branch .LBB208_12
.LBB208_28:                             ;   in Loop: Header=BB208_7 Depth=1
	s_or_b64 exec, exec, s[8:9]
.LBB208_29:                             ;   in Loop: Header=BB208_7 Depth=1
	v_writelane_b32 v127, s48, 23
	s_nop 1
	v_writelane_b32 v127, s49, 24
	v_writelane_b32 v127, s46, 25
	s_nop 1
	v_writelane_b32 v127, s47, 26
	v_writelane_b32 v127, s44, 27
	s_or_b64 exec, exec, s[6:7]
	v_cmp_le_i32_e32 vcc, s5, v80
	v_cmp_eq_u32_e64 s[64:65], 1, v83
	v_cmp_eq_u32_e64 s[30:31], 2, v83
	s_waitcnt vmcnt(0)
	v_cndmask_b32_e32 v70, 0, v101, vcc
	v_pk_mul_f32 v[48:49], v[70:71], v[48:49] op_sel_hi:[0,1]
	v_pk_mul_f32 v[62:63], v[70:71], v[62:63] op_sel_hi:[0,1]
	;; [unrolled: 1-line block ×8, first 2 shown]
	v_cndmask_b32_e64 v70, v48, v49, s[64:65]
	v_cndmask_b32_e64 v70, v70, v50, s[30:31]
	v_cmp_eq_u32_e64 s[40:41], 3, v83
	v_cmp_eq_u32_e64 s[42:43], 4, v83
	v_cmp_eq_u32_e64 s[44:45], 5, v83
	v_cndmask_b32_e64 v70, v70, v51, s[40:41]
	v_cndmask_b32_e64 v70, v70, v52, s[42:43]
	v_cndmask_b32_e64 v70, v70, v53, s[44:45]
	v_cmp_eq_u32_e64 s[46:47], 6, v83
	v_cmp_eq_u32_e64 s[48:49], 7, v83
	v_cmp_eq_u32_e64 s[50:51], 8, v83
	v_cndmask_b32_e64 v70, v70, v54, s[46:47]
	;; [unrolled: 6-line block ×4, first 2 shown]
	v_cndmask_b32_e64 v70, v70, v61, s[60:61]
	v_cndmask_b32_e64 v70, v70, v62, s[62:63]
	v_cmp_eq_u32_e64 s[66:67], 15, v83
	s_mul_i32 s6, s99, s21
	s_ashr_i32 s7, s6, 31
	v_cndmask_b32_e64 v70, v70, v63, s[66:67]
	ds_bpermute_b32 v70, v99, v70
	s_lshl_b64 s[6:7], s[6:7], 1
	v_cmp_eq_u32_e64 s[36:37], 0, v83
	s_add_u32 s70, s76, s6
	v_cmp_eq_u32_e32 vcc, 1, v84
	s_waitcnt lgkmcnt(0)
	v_cndmask_b32_e64 v63, v63, v70, s[66:67]
	v_cndmask_b32_e64 v62, v62, v70, s[62:63]
	;; [unrolled: 1-line block ×16, first 2 shown]
	s_addc_u32 s71, s77, s7
	v_cndmask_b32_e32 v48, v70, v103, vcc
	v_cmp_eq_u32_e64 s[6:7], 2, v84
	v_cmp_eq_u32_e64 s[8:9], 3, v84
	v_cmp_eq_u32_e64 s[10:11], 4, v84
	v_cndmask_b32_e64 v48, v48, v102, s[6:7]
	v_cndmask_b32_e64 v48, v48, v77, s[8:9]
	v_cndmask_b32_e64 v48, v48, v76, s[10:11]
	v_cmp_eq_u32_e64 s[12:13], 5, v84
	v_cmp_eq_u32_e64 s[14:15], 6, v84
	v_cmp_eq_u32_e64 s[16:17], 7, v84
	v_cndmask_b32_e64 v48, v48, v75, s[12:13]
	v_cndmask_b32_e64 v48, v48, v74, s[14:15]
	v_cndmask_b32_e64 v48, v48, v73, s[16:17]
	;; [unrolled: 6-line block ×4, first 2 shown]
	v_cmp_eq_u32_e64 s[34:35], 14, v84
	v_cmp_eq_u32_e64 s[38:39], 15, v84
	s_ashr_i32 s1, s0, 31
	v_cndmask_b32_e64 v48, v48, v62, s[34:35]
	v_cndmask_b32_e64 v48, v48, v63, s[38:39]
	ds_bpermute_b32 v71, v99, v48
	s_lshl_b64 s[68:69], s[0:1], 1
	s_add_u32 s68, s70, s68
	s_addc_u32 s69, s71, s69
	v_writelane_b32 v127, s68, 28
	v_or_b32_e32 v48, 32, v80
	s_waitcnt lgkmcnt(0)
	v_cndmask_b32_e64 v55, v57, v71, s[76:77]
	v_writelane_b32 v127, s69, 29
	v_cndmask_b32_e64 v57, v73, v71, s[16:17]
	v_cmp_le_i32_e64 s[68:69], s5, v48
	v_or_b32_e32 v73, 64, v80
	v_cndmask_b32_e64 v49, v63, v71, s[38:39]
	v_cndmask_b32_e64 v48, 0, v101, s[68:69]
	v_cmp_le_i32_e64 s[68:69], s5, v73
	v_or_b32_e32 v73, 0x60, v80
	v_cndmask_b32_e64 v54, v58, v71, s[78:79]
	v_cndmask_b32_e64 v58, v74, v71, s[14:15]
	;; [unrolled: 1-line block ×3, first 2 shown]
	v_cmp_le_i32_e64 s[70:71], s5, v73
	v_cmp_eq_u32_e64 s[68:69], 0, v84
	v_pk_mul_f32 v[32:33], v[48:49], v[32:33] op_sel_hi:[0,1]
	v_pk_mul_f32 v[30:31], v[74:75], v[30:31] op_sel_hi:[0,1]
	;; [unrolled: 1-line block ×9, first 2 shown]
	v_cndmask_b32_e64 v74, 0, v101, s[70:71]
	v_cndmask_b32_e64 v50, v62, v71, s[34:35]
	;; [unrolled: 1-line block ×10, first 2 shown]
	v_cndmask_b32_e32 v63, v103, v71, vcc
	v_cndmask_b32_e64 v70, v70, v71, s[68:69]
	v_pk_mul_f32 v[46:47], v[48:49], v[46:47] op_sel_hi:[0,1]
	v_pk_mul_f32 v[44:45], v[48:49], v[44:45] op_sel_hi:[0,1]
	;; [unrolled: 1-line block ×7, first 2 shown]
	v_cndmask_b32_e64 v48, v32, v33, s[64:65]
	v_cndmask_b32_e64 v71, v16, v17, s[64:65]
	v_pk_mul_f32 v[0:1], v[74:75], v[0:1] op_sel_hi:[0,1]
	v_cndmask_b32_e64 v48, v48, v34, s[30:31]
	v_cndmask_b32_e64 v71, v71, v18, s[30:31]
	v_pk_mul_f32 v[14:15], v[74:75], v[14:15] op_sel_hi:[0,1]
	v_pk_mul_f32 v[12:13], v[74:75], v[12:13] op_sel_hi:[0,1]
	;; [unrolled: 1-line block ×7, first 2 shown]
	v_cndmask_b32_e64 v74, v0, v1, s[64:65]
	v_cndmask_b32_e64 v48, v48, v35, s[40:41]
	;; [unrolled: 1-line block ×40, first 2 shown]
	ds_bpermute_b32 v48, v99, v48
	ds_bpermute_b32 v71, v99, v71
	v_cndmask_b32_e64 v74, v74, v15, s[66:67]
	ds_bpermute_b32 v74, v99, v74
	v_cmp_eq_u32_e64 s[70:71], 1, v85
	s_waitcnt lgkmcnt(2)
	v_cndmask_b32_e64 v33, v33, v48, s[64:65]
	s_waitcnt lgkmcnt(1)
	v_cndmask_b32_e64 v17, v17, v71, s[64:65]
	v_cndmask_b32_e64 v73, v70, v63, s[70:71]
	v_cmp_eq_u32_e64 s[64:65], 2, v85
	v_cndmask_b32_e64 v47, v47, v48, s[66:67]
	v_cndmask_b32_e64 v31, v31, v71, s[66:67]
	v_cndmask_b32_e64 v73, v73, v62, s[64:65]
	s_waitcnt lgkmcnt(0)
	v_cndmask_b32_e64 v15, v15, v74, s[66:67]
	v_cmp_eq_u32_e64 s[66:67], 3, v85
	v_cndmask_b32_e64 v46, v46, v48, s[62:63]
	v_cndmask_b32_e64 v30, v30, v71, s[62:63]
	v_cndmask_b32_e64 v73, v73, v61, s[66:67]
	v_cndmask_b32_e64 v14, v14, v74, s[62:63]
	v_cmp_eq_u32_e64 s[62:63], 4, v85
	v_cndmask_b32_e64 v45, v45, v48, s[60:61]
	v_cndmask_b32_e64 v29, v29, v71, s[60:61]
	v_cndmask_b32_e64 v73, v73, v60, s[62:63]
	;; [unrolled: 5-line block ×4, first 2 shown]
	v_cndmask_b32_e64 v11, v11, v74, s[56:57]
	v_cmp_eq_u32_e64 s[56:57], 7, v85
	v_cmp_eq_u32_e64 s[72:73], 8, v85
	v_cndmask_b32_e64 v41, v41, v48, s[52:53]
	v_cndmask_b32_e64 v73, v73, v57, s[56:57]
	;; [unrolled: 1-line block ×5, first 2 shown]
	v_cmp_eq_u32_e64 s[52:53], 9, v85
	v_cndmask_b32_e64 v40, v40, v48, s[50:51]
	v_cndmask_b32_e64 v24, v24, v71, s[50:51]
	v_cndmask_b32_e64 v73, v73, v55, s[52:53]
	v_cndmask_b32_e64 v8, v8, v74, s[50:51]
	v_cmp_eq_u32_e64 s[50:51], 10, v85
	v_cndmask_b32_e64 v42, v42, v48, s[54:55]
	v_cndmask_b32_e64 v26, v26, v71, s[54:55]
	v_cndmask_b32_e64 v10, v10, v74, s[54:55]
	v_cndmask_b32_e64 v73, v73, v54, s[50:51]
	;; [unrolled: 5-line block ×3, first 2 shown]
	v_cmp_eq_u32_e64 s[48:49], 12, v85
	v_cmp_eq_u32_e64 s[74:75], 13, v85
	v_cndmask_b32_e64 v36, v36, v48, s[42:43]
	v_cndmask_b32_e64 v73, v73, v52, s[48:49]
	;; [unrolled: 1-line block ×5, first 2 shown]
	v_cmp_eq_u32_e64 s[42:43], 14, v85
	v_cndmask_b32_e64 v37, v37, v48, s[44:45]
	v_cndmask_b32_e64 v21, v21, v71, s[44:45]
	;; [unrolled: 1-line block ×4, first 2 shown]
	v_cmp_eq_u32_e64 s[44:45], 15, v85
	v_cndmask_b32_e64 v34, v34, v48, s[30:31]
	v_cndmask_b32_e64 v18, v18, v71, s[30:31]
	v_cndmask_b32_e64 v73, v73, v49, s[44:45]
	ds_bpermute_b32 v73, v99, v73
	v_cndmask_b32_e64 v2, v2, v74, s[30:31]
	v_cmp_ne_u32_e64 s[30:31], 0, v83
	v_cndmask_b32_e64 v32, v32, v48, s[36:37]
	v_cndmask_b32_e64 v38, v38, v48, s[46:47]
	;; [unrolled: 1-line block ×6, first 2 shown]
	v_cmp_eq_u32_e64 s[40:41], 0, v85
	v_cndmask_b32_e32 v48, v32, v33, vcc
	v_cndmask_b32_e64 v0, v0, v74, s[36:37]
	s_waitcnt lgkmcnt(0)
	v_cndmask_b32_e64 v49, v49, v73, s[44:45]
	v_cndmask_b32_e64 v50, v50, v73, s[42:43]
	;; [unrolled: 1-line block ×17, first 2 shown]
	v_cndmask_b32_e32 v73, v0, v1, vcc
	v_cndmask_b32_e64 v48, v48, v35, s[8:9]
	v_cndmask_b32_e64 v73, v73, v2, s[6:7]
	v_cndmask_b32_e64 v48, v48, v36, s[10:11]
	v_cndmask_b32_e64 v73, v73, v3, s[8:9]
	v_cndmask_b32_e64 v48, v48, v37, s[12:13]
	v_cndmask_b32_e64 v73, v73, v4, s[10:11]
	v_cndmask_b32_e64 v6, v6, v74, s[46:47]
	v_cndmask_b32_e64 v48, v48, v38, s[14:15]
	v_cndmask_b32_e64 v73, v73, v5, s[12:13]
	v_cndmask_b32_e64 v48, v48, v39, s[16:17]
	v_cndmask_b32_e64 v73, v73, v6, s[14:15]
	v_cndmask_b32_e64 v48, v48, v40, s[18:19]
	v_cndmask_b32_e64 v73, v73, v7, s[16:17]
	v_cndmask_b32_e64 v48, v48, v41, s[76:77]
	v_cndmask_b32_e64 v73, v73, v8, s[18:19]
	v_cndmask_b32_e64 v48, v48, v42, s[78:79]
	v_cndmask_b32_e64 v73, v73, v9, s[76:77]
	v_cndmask_b32_e64 v48, v48, v43, s[80:81]
	v_cndmask_b32_e64 v16, v16, v71, s[36:37]
	v_cndmask_b32_e64 v73, v73, v10, s[78:79]
	v_cndmask_b32_e64 v22, v22, v71, s[46:47]
	v_cndmask_b32_e64 v48, v48, v44, s[82:83]
	v_cndmask_b32_e32 v71, v16, v17, vcc
	v_cndmask_b32_e64 v73, v73, v11, s[80:81]
	v_cndmask_b32_e64 v48, v48, v45, s[28:29]
	;; [unrolled: 1-line block ×10, first 2 shown]
	ds_bpermute_b32 v48, v99, v48
	v_cndmask_b32_e64 v71, v71, v21, s[12:13]
	v_cndmask_b32_e64 v73, v73, v15, s[38:39]
	;; [unrolled: 1-line block ×3, first 2 shown]
	ds_bpermute_b32 v73, v99, v73
	v_cndmask_b32_e64 v71, v71, v23, s[16:17]
	v_cndmask_b32_e64 v71, v71, v24, s[18:19]
	;; [unrolled: 1-line block ×4, first 2 shown]
	s_waitcnt lgkmcnt(1)
	v_cndmask_b32_e32 v33, v33, v48, vcc
	v_cndmask_b32_e64 v32, v32, v48, s[68:69]
	v_cndmask_b32_e64 v71, v71, v27, s[80:81]
	;; [unrolled: 1-line block ×16, first 2 shown]
	s_waitcnt lgkmcnt(0)
	v_cndmask_b32_e32 v1, v1, v73, vcc
	v_cndmask_b32_e64 v48, v32, v33, s[70:71]
	v_cndmask_b32_e64 v0, v0, v73, s[68:69]
	;; [unrolled: 1-line block ×28, first 2 shown]
	ds_bpermute_b32 v71, v99, v71
	v_cndmask_b32_e64 v48, v48, v38, s[58:59]
	v_cndmask_b32_e64 v73, v73, v5, s[60:61]
	;; [unrolled: 1-line block ×8, first 2 shown]
	v_cmp_eq_u32_e64 s[30:31], 1, v86
	v_cndmask_b32_e64 v48, v48, v42, s[50:51]
	v_cndmask_b32_e64 v73, v73, v9, s[52:53]
	;; [unrolled: 1-line block ×3, first 2 shown]
	v_cmp_eq_u32_e64 s[36:37], 2, v86
	s_waitcnt lgkmcnt(0)
	v_cndmask_b32_e32 v17, v17, v71, vcc
	v_cndmask_b32_e64 v48, v48, v43, s[54:55]
	v_cndmask_b32_e64 v16, v16, v71, s[68:69]
	;; [unrolled: 1-line block ×6, first 2 shown]
	v_cmp_eq_u32_e64 s[38:39], 3, v86
	v_cndmask_b32_e64 v29, v29, v71, s[28:29]
	v_cndmask_b32_e64 v28, v28, v71, s[82:83]
	;; [unrolled: 1-line block ×16, first 2 shown]
	v_cmp_eq_u32_e64 s[28:29], 4, v86
	v_cndmask_b32_e64 v48, v48, v45, s[74:75]
	v_cndmask_b32_e64 v71, v71, v18, s[64:65]
	v_cndmask_b32_e64 v73, v73, v12, s[48:49]
	v_cndmask_b32_e64 v74, v74, v60, s[28:29]
	v_cmp_eq_u32_e64 s[84:85], 5, v86
	v_cndmask_b32_e64 v48, v48, v46, s[42:43]
	v_cndmask_b32_e64 v71, v71, v19, s[66:67]
	v_cndmask_b32_e64 v73, v73, v13, s[74:75]
	v_cndmask_b32_e64 v74, v74, v59, s[84:85]
	;; [unrolled: 5-line block ×3, first 2 shown]
	v_cmp_eq_u32_e64 s[88:89], 7, v86
	ds_bpermute_b32 v48, v99, v48
	v_cndmask_b32_e64 v71, v71, v21, s[60:61]
	v_cndmask_b32_e64 v73, v73, v15, s[44:45]
	;; [unrolled: 1-line block ×3, first 2 shown]
	v_cmp_eq_u32_e64 s[92:93], 8, v86
	v_cndmask_b32_e64 v71, v71, v22, s[58:59]
	ds_bpermute_b32 v73, v99, v73
	v_cndmask_b32_e64 v74, v74, v56, s[92:93]
	v_cmp_eq_u32_e64 s[18:19], 9, v86
	v_cndmask_b32_e64 v71, v71, v23, s[56:57]
	v_cmp_eq_u32_e64 s[16:17], 10, v86
	v_cndmask_b32_e64 v74, v74, v55, s[18:19]
	v_cndmask_b32_e64 v71, v71, v24, s[72:73]
	;; [unrolled: 1-line block ×3, first 2 shown]
	v_cmp_eq_u32_e64 s[14:15], 11, v86
	v_cndmask_b32_e64 v71, v71, v25, s[52:53]
	v_cmp_eq_u32_e64 s[12:13], 12, v86
	v_cndmask_b32_e64 v74, v74, v53, s[14:15]
	v_cndmask_b32_e64 v71, v71, v26, s[50:51]
	s_waitcnt lgkmcnt(1)
	v_cndmask_b32_e64 v33, v33, v48, s[70:71]
	v_cndmask_b32_e64 v32, v32, v48, s[40:41]
	;; [unrolled: 1-line block ×3, first 2 shown]
	v_cmp_eq_u32_e64 s[76:77], 13, v86
	v_cndmask_b32_e64 v71, v71, v27, s[54:55]
	v_cndmask_b32_e64 v47, v47, v48, s[44:45]
	;; [unrolled: 1-line block ×15, first 2 shown]
	s_waitcnt lgkmcnt(0)
	v_cndmask_b32_e64 v1, v1, v73, s[70:71]
	v_cndmask_b32_e64 v48, v32, v33, s[30:31]
	;; [unrolled: 1-line block ×4, first 2 shown]
	v_cmp_eq_u32_e64 s[10:11], 14, v86
	v_cndmask_b32_e64 v71, v71, v28, s[48:49]
	v_cndmask_b32_e64 v15, v15, v73, s[44:45]
	;; [unrolled: 1-line block ×18, first 2 shown]
	v_cmp_eq_u32_e64 s[6:7], 15, v86
	v_cndmask_b32_e64 v71, v71, v29, s[74:75]
	v_cndmask_b32_e64 v48, v48, v35, s[38:39]
	;; [unrolled: 1-line block ×7, first 2 shown]
	ds_bpermute_b32 v74, v99, v74
	v_cndmask_b32_e64 v71, v71, v31, s[44:45]
	v_cndmask_b32_e64 v48, v48, v37, s[84:85]
	;; [unrolled: 1-line block ×3, first 2 shown]
	ds_bpermute_b32 v71, v99, v71
	v_cndmask_b32_e64 v48, v48, v38, s[80:81]
	v_cndmask_b32_e64 v73, v73, v5, s[84:85]
	;; [unrolled: 1-line block ×6, first 2 shown]
	v_cmp_eq_u32_e64 s[8:9], 0, v86
	v_cndmask_b32_e64 v48, v48, v41, s[18:19]
	v_cndmask_b32_e64 v73, v73, v8, s[92:93]
	s_waitcnt lgkmcnt(1)
	v_cndmask_b32_e64 v63, v63, v74, s[30:31]
	v_cndmask_b32_e64 v70, v70, v74, s[8:9]
	v_cmp_eq_u32_e64 s[34:35], 1, v87
	v_cndmask_b32_e64 v48, v48, v42, s[16:17]
	v_cndmask_b32_e64 v73, v73, v9, s[18:19]
	;; [unrolled: 1-line block ×17, first 2 shown]
	s_waitcnt lgkmcnt(0)
	v_cndmask_b32_e64 v31, v31, v71, s[44:45]
	v_cmp_eq_u32_e64 s[44:45], 2, v87
	v_cndmask_b32_e64 v17, v17, v71, s[70:71]
	v_cndmask_b32_e64 v48, v48, v43, s[14:15]
	;; [unrolled: 1-line block ×6, first 2 shown]
	v_cmp_eq_u32_e64 s[46:47], 3, v87
	v_cndmask_b32_e64 v29, v29, v71, s[74:75]
	v_cndmask_b32_e64 v28, v28, v71, s[48:49]
	;; [unrolled: 1-line block ×16, first 2 shown]
	v_cmp_eq_u32_e64 s[42:43], 4, v87
	v_cndmask_b32_e64 v48, v48, v45, s[76:77]
	v_cndmask_b32_e64 v71, v71, v18, s[36:37]
	v_cndmask_b32_e64 v73, v73, v12, s[12:13]
	v_cndmask_b32_e64 v74, v74, v60, s[42:43]
	v_cmp_eq_u32_e64 s[48:49], 5, v87
	v_cndmask_b32_e64 v48, v48, v46, s[10:11]
	v_cndmask_b32_e64 v71, v71, v19, s[38:39]
	v_cndmask_b32_e64 v73, v73, v13, s[76:77]
	v_cndmask_b32_e64 v74, v74, v59, s[48:49]
	;; [unrolled: 5-line block ×3, first 2 shown]
	v_cmp_eq_u32_e64 s[68:69], 7, v87
	ds_bpermute_b32 v48, v99, v48
	v_cndmask_b32_e64 v71, v71, v21, s[84:85]
	v_cndmask_b32_e64 v73, v73, v15, s[6:7]
	;; [unrolled: 1-line block ×3, first 2 shown]
	v_cmp_eq_u32_e64 s[74:75], 8, v87
	v_cndmask_b32_e64 v71, v71, v22, s[80:81]
	ds_bpermute_b32 v73, v99, v73
	v_cndmask_b32_e64 v74, v74, v56, s[74:75]
	v_cmp_eq_u32_e64 s[72:73], 9, v87
	v_cndmask_b32_e64 v71, v71, v23, s[88:89]
	v_cmp_eq_u32_e64 s[56:57], 10, v87
	v_cndmask_b32_e64 v74, v74, v55, s[72:73]
	v_cndmask_b32_e64 v71, v71, v24, s[92:93]
	;; [unrolled: 1-line block ×3, first 2 shown]
	v_cmp_eq_u32_e64 s[78:79], 11, v87
	v_cndmask_b32_e64 v71, v71, v25, s[18:19]
	v_cmp_eq_u32_e64 s[60:61], 12, v87
	v_cndmask_b32_e64 v74, v74, v53, s[78:79]
	v_cndmask_b32_e64 v71, v71, v26, s[16:17]
	s_waitcnt lgkmcnt(1)
	v_cndmask_b32_e64 v33, v33, v48, s[30:31]
	v_cndmask_b32_e64 v32, v32, v48, s[8:9]
	;; [unrolled: 1-line block ×3, first 2 shown]
	v_cmp_eq_u32_e64 s[82:83], 13, v87
	v_cndmask_b32_e64 v71, v71, v27, s[14:15]
	v_cndmask_b32_e64 v34, v34, v48, s[36:37]
	s_waitcnt lgkmcnt(0)
	v_cndmask_b32_e64 v76, v1, v73, s[30:31]
	v_cndmask_b32_e64 v1, v32, v33, s[34:35]
	;; [unrolled: 1-line block ×3, first 2 shown]
	v_cmp_eq_u32_e64 s[86:87], 14, v87
	v_cndmask_b32_e64 v71, v71, v28, s[12:13]
	v_cndmask_b32_e64 v35, v35, v48, s[38:39]
	v_cndmask_b32_e64 v1, v1, v34, s[44:45]
	v_cndmask_b32_e64 v74, v74, v50, s[86:87]
	v_cmp_eq_u32_e64 s[90:91], 15, v87
	v_cndmask_b32_e64 v71, v71, v29, s[76:77]
	v_cndmask_b32_e64 v36, v36, v48, s[28:29]
	;; [unrolled: 1-line block ×7, first 2 shown]
	ds_bpermute_b32 v74, v99, v74
	v_cndmask_b32_e64 v71, v71, v31, s[6:7]
	v_cndmask_b32_e64 v38, v38, v48, s[80:81]
	;; [unrolled: 1-line block ×3, first 2 shown]
	ds_bpermute_b32 v71, v99, v71
	v_cndmask_b32_e64 v39, v39, v48, s[88:89]
	v_cndmask_b32_e64 v1, v1, v38, s[54:55]
	;; [unrolled: 1-line block ×6, first 2 shown]
	v_cmp_eq_u32_e64 s[50:51], 0, v87
	v_cndmask_b32_e64 v42, v42, v48, s[16:17]
	v_cndmask_b32_e64 v1, v1, v41, s[72:73]
	s_waitcnt lgkmcnt(1)
	v_cndmask_b32_e64 v63, v63, v74, s[34:35]
	v_cndmask_b32_e64 v70, v70, v74, s[50:51]
	v_cmp_eq_u32_e32 vcc, 1, v88
	v_cndmask_b32_e64 v43, v43, v48, s[14:15]
	v_cndmask_b32_e64 v1, v1, v42, s[56:57]
	;; [unrolled: 1-line block ×16, first 2 shown]
	v_cndmask_b32_e32 v74, v70, v63, vcc
	v_cndmask_b32_e64 v47, v47, v48, s[6:7]
	s_waitcnt lgkmcnt(0)
	v_cndmask_b32_e64 v31, v31, v71, s[6:7]
	v_cndmask_b32_e64 v15, v15, v73, s[6:7]
	v_cmp_eq_u32_e64 s[6:7], 2, v88
	v_cndmask_b32_e64 v44, v44, v48, s[12:13]
	v_cndmask_b32_e64 v1, v1, v43, s[78:79]
	;; [unrolled: 1-line block ×6, first 2 shown]
	v_cmp_eq_u32_e64 s[10:11], 3, v88
	v_cndmask_b32_e64 v45, v45, v48, s[76:77]
	v_cndmask_b32_e64 v1, v1, v44, s[60:61]
	;; [unrolled: 1-line block ×3, first 2 shown]
	v_cmp_eq_u32_e64 s[40:41], 4, v88
	v_cndmask_b32_e64 v1, v1, v45, s[82:83]
	v_cmp_eq_u32_e64 s[52:53], 5, v88
	v_cndmask_b32_e64 v74, v74, v60, s[40:41]
	v_cndmask_b32_e64 v1, v1, v46, s[86:87]
	;; [unrolled: 1-line block ×6, first 2 shown]
	v_cmp_eq_u32_e64 s[58:59], 6, v88
	v_cndmask_b32_e64 v10, v10, v73, s[16:17]
	v_cndmask_b32_e64 v9, v9, v73, s[18:19]
	;; [unrolled: 1-line block ×14, first 2 shown]
	v_cmp_eq_u32_e64 s[62:63], 7, v88
	v_cndmask_b32_e64 v18, v18, v71, s[36:37]
	ds_bpermute_b32 v48, v99, v1
	v_cndmask_b32_e64 v1, v16, v75, s[34:35]
	v_cndmask_b32_e64 v0, v73, v76, s[34:35]
	;; [unrolled: 1-line block ×3, first 2 shown]
	v_cmp_eq_u32_e64 s[70:71], 8, v88
	v_cndmask_b32_e64 v19, v19, v71, s[38:39]
	v_cndmask_b32_e64 v1, v1, v18, s[44:45]
	;; [unrolled: 1-line block ×5, first 2 shown]
	v_cmp_eq_u32_e64 s[76:77], 9, v88
	v_cndmask_b32_e64 v20, v20, v71, s[28:29]
	v_cndmask_b32_e64 v1, v1, v19, s[46:47]
	;; [unrolled: 1-line block ×4, first 2 shown]
	v_cmp_eq_u32_e64 s[66:67], 10, v88
	v_cndmask_b32_e64 v21, v21, v71, s[84:85]
	v_cndmask_b32_e64 v1, v1, v20, s[42:43]
	;; [unrolled: 1-line block ×5, first 2 shown]
	v_cmp_eq_u32_e64 s[64:65], 11, v88
	v_cndmask_b32_e64 v1, v1, v21, s[48:49]
	v_cndmask_b32_e64 v0, v0, v5, s[48:49]
	v_cndmask_b32_e64 v23, v23, v71, s[88:89]
	v_cndmask_b32_e64 v74, v74, v53, s[64:65]
	v_cmp_eq_u32_e64 s[80:81], 12, v88
	v_cndmask_b32_e64 v1, v1, v22, s[54:55]
	v_cndmask_b32_e64 v0, v0, v6, s[54:55]
	v_cndmask_b32_e64 v24, v24, v71, s[92:93]
	v_cndmask_b32_e64 v74, v74, v52, s[80:81]
	v_cmp_eq_u32_e64 s[84:85], 13, v88
	v_cndmask_b32_e64 v1, v1, v23, s[68:69]
	v_cndmask_b32_e64 v0, v0, v7, s[68:69]
	v_cndmask_b32_e64 v25, v25, v71, s[18:19]
	v_cndmask_b32_e64 v74, v74, v51, s[84:85]
	v_cmp_eq_u32_e64 s[88:89], 14, v88
	v_cndmask_b32_e64 v1, v1, v24, s[74:75]
	v_cndmask_b32_e64 v0, v0, v8, s[74:75]
	v_cndmask_b32_e64 v26, v26, v71, s[16:17]
	v_cndmask_b32_e64 v74, v74, v50, s[88:89]
	v_cmp_eq_u32_e64 s[92:93], 15, v88
	v_cndmask_b32_e64 v1, v1, v25, s[72:73]
	v_cndmask_b32_e64 v0, v0, v9, s[72:73]
	v_cndmask_b32_e64 v27, v27, v71, s[14:15]
	v_cndmask_b32_e64 v74, v74, v49, s[92:93]
	v_cndmask_b32_e64 v1, v1, v26, s[56:57]
	v_cndmask_b32_e64 v0, v0, v10, s[56:57]
	;; [unrolled: 1-line block ×3, first 2 shown]
	ds_bpermute_b32 v74, v99, v74
	v_cndmask_b32_e64 v1, v1, v27, s[78:79]
	v_cndmask_b32_e64 v0, v0, v11, s[78:79]
	;; [unrolled: 1-line block ×8, first 2 shown]
	v_cmp_eq_u32_e64 s[94:95], 0, v88
	v_cndmask_b32_e64 v1, v1, v31, s[90:91]
	v_cndmask_b32_e64 v0, v0, v15, s[90:91]
	s_waitcnt lgkmcnt(0)
	v_cndmask_b32_e64 v49, v49, v74, s[92:93]
	v_cndmask_b32_e64 v50, v50, v74, s[88:89]
	;; [unrolled: 1-line block ×14, first 2 shown]
	v_cndmask_b32_e32 v63, v63, v74, vcc
	v_cndmask_b32_e64 v70, v70, v74, s[94:95]
	ds_bpermute_b32 v71, v99, v1
	ds_bpermute_b32 v74, v99, v0
	v_cndmask_b32_e64 v93, v35, v48, s[46:47]
	v_cndmask_b32_e64 v126, v36, v48, s[42:43]
	;; [unrolled: 1-line block ×3, first 2 shown]
	s_waitcnt lgkmcnt(1)
	v_cndmask_b32_e64 v104, v29, v71, s[82:83]
	s_waitcnt lgkmcnt(0)
	v_cndmask_b32_e64 v107, v12, v74, s[60:61]
	v_cndmask_b32_e64 v12, v33, v48, s[34:35]
	;; [unrolled: 1-line block ×7, first 2 shown]
	v_cndmask_b32_e32 v19, v29, v12, vcc
	v_cndmask_b32_e64 v19, v19, v4, s[6:7]
	v_cndmask_b32_e64 v19, v19, v93, s[10:11]
	;; [unrolled: 1-line block ×30, first 2 shown]
	ds_bpermute_b32 v30, v99, v19
	v_cndmask_b32_e32 v19, v16, v13, vcc
	v_cndmask_b32_e64 v19, v19, v5, s[6:7]
	v_cndmask_b32_e64 v91, v20, v71, s[42:43]
	;; [unrolled: 1-line block ×15, first 2 shown]
	v_cmp_eq_u32_e64 s[8:9], 1, v89
	v_cndmask_b32_e64 v108, v27, v71, s[78:79]
	v_cndmask_b32_e64 v19, v19, v110, s[66:67]
	;; [unrolled: 1-line block ×3, first 2 shown]
	v_cmp_eq_u32_e64 s[12:13], 2, v89
	v_cndmask_b32_e64 v106, v28, v71, s[60:61]
	v_cndmask_b32_e64 v19, v19, v108, s[64:65]
	;; [unrolled: 1-line block ×3, first 2 shown]
	v_cmp_eq_u32_e64 s[14:15], 3, v89
	v_cndmask_b32_e64 v19, v19, v106, s[80:81]
	v_cmp_eq_u32_e64 s[16:17], 4, v89
	v_cndmask_b32_e64 v0, v0, v61, s[14:15]
	v_cndmask_b32_e64 v19, v19, v104, s[84:85]
	v_cndmask_b32_e64 v77, v31, v71, s[90:91]
	v_cndmask_b32_e64 v0, v0, v60, s[16:17]
	v_cmp_eq_u32_e64 s[18:19], 5, v89
	v_cndmask_b32_e64 v19, v19, v102, s[88:89]
	v_cndmask_b32_e64 v103, v14, v74, s[86:87]
	v_cndmask_b32_e64 v0, v0, v59, s[18:19]
	;; [unrolled: 5-line block ×3, first 2 shown]
	v_cndmask_b32_e64 v0, v0, v58, s[78:79]
	v_cmp_eq_u32_e64 s[82:83], 7, v89
	v_cndmask_b32_e64 v122, v6, v74, s[54:55]
	v_cndmask_b32_e64 v6, v2, v74, s[44:45]
	ds_bpermute_b32 v20, v99, v19
	v_cndmask_b32_e32 v19, v21, v14, vcc
	v_cndmask_b32_e64 v0, v0, v57, s[82:83]
	v_cndmask_b32_e64 v113, v9, v74, s[72:73]
	v_cmp_eq_u32_e64 s[72:73], 8, v89
	v_cndmask_b32_e64 v3, v3, v74, s[46:47]
	v_cndmask_b32_e64 v19, v19, v6, s[6:7]
	;; [unrolled: 1-line block ×3, first 2 shown]
	v_cmp_eq_u32_e64 s[28:29], 9, v89
	v_cndmask_b32_e64 v19, v19, v3, s[10:11]
	v_cmp_eq_u32_e64 s[30:31], 10, v89
	v_cndmask_b32_e64 v0, v0, v55, s[28:29]
	v_cndmask_b32_e64 v19, v19, v92, s[40:41]
	v_cndmask_b32_e64 v0, v0, v54, s[30:31]
	v_cmp_eq_u32_e64 s[36:37], 11, v89
	v_cndmask_b32_e64 v19, v19, v125, s[52:53]
	v_cndmask_b32_e64 v119, v7, v74, s[68:69]
	;; [unrolled: 4-line block ×3, first 2 shown]
	v_cndmask_b32_e64 v0, v0, v52, s[38:39]
	v_cmp_eq_u32_e64 s[42:43], 13, v89
	v_cndmask_b32_e64 v19, v19, v119, s[62:63]
	v_cmp_eq_u32_e64 s[46:47], 14, v89
	v_cndmask_b32_e64 v0, v0, v51, s[42:43]
	v_cndmask_b32_e64 v19, v19, v116, s[70:71]
	;; [unrolled: 1-line block ×4, first 2 shown]
	v_cmp_eq_u32_e64 s[44:45], 15, v89
	v_cndmask_b32_e64 v19, v19, v113, s[76:77]
	v_cndmask_b32_e64 v19, v19, v111, s[66:67]
	;; [unrolled: 1-line block ×3, first 2 shown]
	ds_bpermute_b32 v0, v99, v0
	v_cndmask_b32_e64 v19, v19, v109, s[64:65]
	v_cndmask_b32_e64 v19, v19, v107, s[80:81]
	v_cndmask_b32_e64 v19, v19, v105, s[84:85]
	v_cndmask_b32_e64 v19, v19, v103, s[88:89]
	v_cmp_eq_u32_e64 s[34:35], 0, v89
	v_cndmask_b32_e64 v19, v19, v101, s[92:93]
	s_waitcnt lgkmcnt(0)
	v_cndmask_b32_e64 v7, v49, v0, s[44:45]
	v_cndmask_b32_e64 v8, v50, v0, s[46:47]
	;; [unrolled: 1-line block ×16, first 2 shown]
	ds_bpermute_b32 v28, v99, v19
	v_cmp_eq_u32_e64 s[48:49], 1, v90
	v_cmp_eq_u32_e64 s[50:51], 2, v90
	;; [unrolled: 1-line block ×3, first 2 shown]
	v_cndmask_b32_e64 v33, v0, v18, s[48:49]
	v_cndmask_b32_e64 v34, v33, v17, s[50:51]
	;; [unrolled: 1-line block ×3, first 2 shown]
	v_cmp_eq_u32_e64 s[56:57], 4, v90
	v_cmp_eq_u32_e64 s[60:61], 5, v90
	v_cndmask_b32_e64 v57, v43, v30, s[64:65]
	v_cndmask_b32_e64 v39, v35, v1, s[56:57]
	;; [unrolled: 1-line block ×4, first 2 shown]
	s_waitcnt lgkmcnt(0)
	v_cndmask_b32_e64 v48, v109, v28, s[64:65]
	v_cmp_eq_u32_e64 s[64:65], 6, v90
	v_cndmask_b32_e64 v58, v42, v30, s[66:67]
	v_cndmask_b32_e64 v49, v111, v28, s[66:67]
	;; [unrolled: 1-line block ×4, first 2 shown]
	v_cmp_eq_u32_e64 s[66:67], 7, v90
	v_cmp_eq_u32_e64 s[68:69], 8, v90
	v_cndmask_b32_e64 v60, v114, v30, s[70:71]
	v_cndmask_b32_e64 v42, v43, v25, s[66:67]
	v_cndmask_b32_e64 v43, v42, v24, s[68:69]
	v_cndmask_b32_e64 v42, v115, v20, s[70:71]
	v_cndmask_b32_e64 v51, v116, v28, s[70:71]
	v_cmp_eq_u32_e64 s[70:71], 9, v90
	v_cndmask_b32_e64 v56, v44, v30, s[80:81]
	v_cndmask_b32_e64 v61, v117, v30, s[62:63]
	v_cndmask_b32_e64 v44, v43, v23, s[70:71]
	v_cndmask_b32_e64 v43, v118, v20, s[62:63]
	v_cndmask_b32_e64 v52, v119, v28, s[62:63]
	;; [unrolled: 6-line block ×3, first 2 shown]
	v_cndmask_b32_e64 v53, v122, v28, s[58:59]
	v_cmp_eq_u32_e64 s[58:59], 11, v90
	v_cndmask_b32_e64 v63, v123, v30, s[52:53]
	v_cndmask_b32_e64 v54, v125, v28, s[52:53]
	v_cndmask_b32_e64 v55, v45, v11, s[58:59]
	v_cndmask_b32_e64 v45, v124, v20, s[52:53]
	v_cmp_eq_u32_e64 s[52:53], 12, v90
	v_cndmask_b32_e64 v71, v126, v30, s[40:41]
	v_cndmask_b32_e64 v73, v91, v20, s[40:41]
	v_cndmask_b32_e64 v70, v55, v10, s[52:53]
	v_cndmask_b32_e64 v55, v92, v28, s[40:41]
	v_cmp_eq_u32_e64 s[40:41], 13, v90
	v_cndmask_b32_e64 v74, v93, v30, s[10:11]
	v_cndmask_b32_e64 v75, v15, v20, s[10:11]
	v_cndmask_b32_e64 v70, v70, v9, s[40:41]
	v_cndmask_b32_e64 v76, v3, v28, s[10:11]
	v_cmp_eq_u32_e64 s[10:11], 14, v90
	v_cndmask_b32_e64 v19, v77, v20, s[92:93]
	v_cndmask_b32_e64 v77, v5, v20, s[6:7]
	v_cndmask_b32_e64 v3, v70, v8, s[10:11]
	v_cndmask_b32_e64 v70, v4, v30, s[6:7]
	v_cndmask_b32_e64 v91, v6, v28, s[6:7]
	v_cmp_eq_u32_e64 s[6:7], 15, v90
	v_cndmask_b32_e32 v93, v12, v30, vcc
	v_cndmask_b32_e64 v59, v41, v30, s[76:77]
	v_cndmask_b32_e64 v3, v3, v7, s[6:7]
	ds_bpermute_b32 v92, v99, v3
	v_cndmask_b32_e64 v46, v46, v30, s[88:89]
	v_cndmask_b32_e64 v32, v101, v28, s[92:93]
	v_cndmask_b32_e32 v101, v13, v20, vcc
	v_cndmask_b32_e64 v36, v102, v20, s[88:89]
	s_waitcnt lgkmcnt(0)
	v_cndmask_b32_e64 v12, v10, v92, s[52:53]
	v_cndmask_b32_e64 v10, v22, v92, s[62:63]
	v_cndmask_b32_e64 v22, v29, v30, s[94:95]
	v_cndmask_b32_e64 v3, v22, v93, s[8:9]
	v_cndmask_b32_e64 v3, v3, v70, s[12:13]
	v_cndmask_b32_e64 v3, v3, v74, s[14:15]
	v_cndmask_b32_e64 v3, v3, v71, s[16:17]
	v_cndmask_b32_e64 v3, v3, v63, s[18:19]
	v_cndmask_b32_e64 v3, v3, v62, s[78:79]
	v_cndmask_b32_e64 v3, v3, v61, s[82:83]
	v_cndmask_b32_e64 v3, v3, v60, s[72:73]
	v_cndmask_b32_e64 v3, v3, v59, s[28:29]
	v_cndmask_b32_e64 v3, v3, v58, s[30:31]
	v_cndmask_b32_e64 v3, v3, v57, s[36:37]
	v_cndmask_b32_e64 v3, v3, v56, s[38:39]
	v_cndmask_b32_e64 v3, v3, v47, s[42:43]
	v_cndmask_b32_e64 v3, v3, v46, s[46:47]
	v_cndmask_b32_e64 v3, v3, v31, s[44:45]
	v_cndmask_b32_e64 v13, v9, v92, s[40:41]
	v_cndmask_b32_e64 v9, v23, v92, s[70:71]
	ds_bpermute_b32 v23, v99, v3
	v_cndmask_b32_e32 v102, v14, v28, vcc
	v_cndmask_b32_e64 v14, v8, v92, s[10:11]
	v_cndmask_b32_e64 v8, v24, v92, s[68:69]
	;; [unrolled: 1-line block ×4, first 2 shown]
	s_waitcnt lgkmcnt(0)
	v_cndmask_b32_e64 v18, v46, v23, s[46:47]
	v_cndmask_b32_e64 v24, v47, v23, s[42:43]
	v_cndmask_b32_e64 v46, v58, v23, s[30:31]
	v_cndmask_b32_e64 v47, v59, v23, s[28:29]
	v_cndmask_b32_e64 v58, v62, v23, s[78:79]
	v_cndmask_b32_e64 v59, v63, v23, s[18:19]
	v_cndmask_b32_e64 v62, v70, v23, s[12:13]
	v_cndmask_b32_e64 v63, v93, v23, s[8:9]
	v_cndmask_b32_e64 v70, v22, v23, s[34:35]
	v_cndmask_b32_e64 v22, v70, v63, s[48:49]
	v_cndmask_b32_e64 v6, v26, v92, s[64:65]
	v_cndmask_b32_e64 v26, v57, v23, s[36:37]
	v_cndmask_b32_e64 v57, v61, v23, s[82:83]
	v_cndmask_b32_e64 v61, v74, v23, s[14:15]
	v_cndmask_b32_e64 v22, v22, v62, s[50:51]
	v_cndmask_b32_e64 v15, v7, v92, s[6:7]
	v_cndmask_b32_e64 v7, v25, v92, s[66:67]
	v_cndmask_b32_e64 v25, v56, v23, s[38:39]
	v_cndmask_b32_e64 v56, v60, v23, s[72:73]
	v_cndmask_b32_e64 v60, v71, v23, s[16:17]
	v_cndmask_b32_e64 v22, v22, v61, s[54:55]
	v_cndmask_b32_e64 v22, v22, v60, s[56:57]
	v_cndmask_b32_e64 v22, v22, v59, s[60:61]
	v_cndmask_b32_e64 v22, v22, v58, s[64:65]
	v_cndmask_b32_e64 v22, v22, v57, s[66:67]
	v_cndmask_b32_e64 v22, v22, v56, s[68:69]
	v_cndmask_b32_e64 v22, v22, v47, s[70:71]
	v_cndmask_b32_e64 v22, v22, v46, s[62:63]
	v_cndmask_b32_e64 v22, v22, v26, s[58:59]
	v_cndmask_b32_e64 v22, v22, v25, s[52:53]
	v_cndmask_b32_e64 v22, v22, v24, s[40:41]
	v_cndmask_b32_e64 v3, v2, v92, s[54:55]
	v_cndmask_b32_e64 v2, v17, v92, s[50:51]
	v_cndmask_b32_e64 v17, v31, v23, s[44:45]
	v_cndmask_b32_e64 v22, v22, v18, s[10:11]
	v_cndmask_b32_e64 v22, v22, v17, s[6:7]
	ds_bpermute_b32 v71, v99, v22
	v_cndmask_b32_e64 v16, v16, v20, s[94:95]
	v_cndmask_b32_e64 v41, v112, v20, s[76:77]
	;; [unrolled: 1-line block ×4, first 2 shown]
	s_waitcnt lgkmcnt(0)
	v_cndmask_b32_e64 v31, v17, v71, s[6:7]
	v_cndmask_b32_e64 v17, v16, v101, s[8:9]
	;; [unrolled: 1-line block ×16, first 2 shown]
	ds_bpermute_b32 v17, v99, v17
	v_cmp_eq_u32_e32 vcc, 0, v90
	v_cndmask_b32_e64 v11, v11, v92, s[58:59]
	v_cndmask_b32_e64 v5, v27, v92, s[60:61]
	v_cndmask_b32_e32 v0, v0, v92, vcc
	v_cndmask_b32_e64 v20, v60, v71, s[56:57]
	s_waitcnt lgkmcnt(0)
	v_cndmask_b32_e64 v60, v73, v17, s[16:17]
	v_cndmask_b32_e64 v73, v75, v17, s[14:15]
	;; [unrolled: 1-line block ×39, first 2 shown]
	ds_bpermute_b32 v93, v99, v16
	v_cndmask_b32_e64 v33, v103, v28, s[88:89]
	v_cndmask_b32_e64 v34, v105, v28, s[84:85]
	;; [unrolled: 1-line block ×6, first 2 shown]
	s_waitcnt lgkmcnt(0)
	v_cndmask_b32_e64 v47, v46, v93, s[6:7]
	v_cndmask_b32_e64 v46, v36, v93, s[10:11]
	;; [unrolled: 1-line block ×19, first 2 shown]
	ds_bpermute_b32 v56, v99, v36
	v_cndmask_b32_e64 v43, v39, v93, s[58:59]
	v_cndmask_b32_e64 v39, v57, v93, s[66:67]
	;; [unrolled: 1-line block ×4, first 2 shown]
	s_waitcnt lgkmcnt(0)
	v_cndmask_b32_e64 v101, v102, v56, s[8:9]
	v_cndmask_b32_e64 v74, v74, v56, s[34:35]
	;; [unrolled: 1-line block ×9, first 2 shown]
	v_cndmask_b32_e32 v16, v70, v71, vcc
	v_cndmask_b32_e64 v71, v55, v56, s[16:17]
	v_cndmask_b32_e64 v32, v32, v76, s[54:55]
	;; [unrolled: 1-line block ×29, first 2 shown]
	ds_bpermute_b32 v102, v99, v32
	v_cndmask_b32_e64 v33, v77, v93, s[48:49]
	v_readlane_b32 s18, v127, 10
	v_readlane_b32 s28, v127, 12
	v_readlane_b32 s34, v127, 17
	s_waitcnt lgkmcnt(0)
	v_cndmask_b32_e64 v63, v57, v102, s[6:7]
	v_readlane_b32 s6, v127, 28
	v_cndmask_b32_e64 v62, v58, v102, s[10:11]
	v_cndmask_b32_e64 v58, v49, v102, s[62:63]
	v_cndmask_b32_e64 v49, v101, v102, s[48:49]
	v_readlane_b32 s7, v127, 29
	v_readlane_b32 s46, v127, 25
	;; [unrolled: 1-line block ×3, first 2 shown]
	v_subrev_u32_e32 v100, s4, v100
	s_mov_b32 s1, 0
	v_cndmask_b32_e64 v41, v41, v93, s[70:71]
	v_cndmask_b32_e64 v35, v73, v93, s[54:55]
	v_cndmask_b32_e64 v34, v75, v93, s[50:51]
	v_cndmask_b32_e32 v32, v92, v93, vcc
	v_cndmask_b32_e64 v61, v59, v102, s[40:41]
	v_cndmask_b32_e64 v60, v60, v102, s[52:53]
	;; [unrolled: 1-line block ×11, first 2 shown]
	v_cndmask_b32_e32 v48, v74, v102, vcc
	v_lshl_add_u64 v[70:71], s[6:7], 0, v[64:65]
	s_mov_b64 s[6:7], 0
	s_mov_b32 s5, 0
	v_readlane_b32 s19, v127, 11
	v_readlane_b32 s29, v127, 13
	;; [unrolled: 1-line block ×9, first 2 shown]
	s_mov_b64 s[40:41], 0x80
	s_mov_b64 s[42:43], 0xc0
	v_readlane_b32 s44, v127, 27
	v_readlane_b32 s47, v127, 26
	;; [unrolled: 1-line block ×3, first 2 shown]
                                        ; implicit-def: $sgpr8_sgpr9
	s_branch .LBB208_32
.LBB208_30:                             ;   in Loop: Header=BB208_32 Depth=2
	s_or_b64 exec, exec, s[12:13]
	s_andn2_b64 s[8:9], s[8:9], exec
	s_and_b64 s[12:13], s[14:15], exec
	s_or_b64 s[8:9], s[8:9], s[12:13]
.LBB208_31:                             ;   in Loop: Header=BB208_32 Depth=2
	s_or_b64 exec, exec, s[10:11]
	s_and_b64 s[10:11], exec, s[8:9]
	s_or_b64 s[6:7], s[10:11], s[6:7]
	s_andn2_b64 exec, exec, s[6:7]
	s_cbranch_execz .LBB208_35
.LBB208_32:                             ;   Parent Loop BB208_7 Depth=1
                                        ; =>  This Inner Loop Header: Depth=2
	s_and_b32 s12, s1, 24
	v_or_b32_e32 v73, s12, v97
	v_add_u32_e32 v74, s96, v73
	v_cmp_gt_u32_e32 vcc, 32, v74
	s_or_b64 s[8:9], s[8:9], exec
	s_and_saveexec_b64 s[10:11], vcc
	s_cbranch_execz .LBB208_31
; %bb.33:                               ;   in Loop: Header=BB208_32 Depth=2
	s_add_i32 s13, s5, 1
	s_set_gpr_idx_on s5, gpr_idx(SRC0)
	v_mov_b32_e32 v74, v0
	s_set_gpr_idx_off
	v_cvt_f16_f32_e32 v76, v74
	s_set_gpr_idx_on s13, gpr_idx(SRC0)
	v_mov_b32_e32 v74, v0
	s_set_gpr_idx_off
	v_cvt_f16_f32_sdwa v77, v74 dst_sel:WORD_1 dst_unused:UNUSED_PAD src0_sel:DWORD
	v_mul_lo_u32 v74, v73, s21
	v_ashrrev_i32_e32 v75, 31, v74
	v_lshl_add_u64 v[74:75], v[74:75], 1, v[70:71]
	v_or_b32_e32 v73, v77, v76
	;;#ASMSTART
	global_atomic_pk_add_f16 v[74:75], v73, off
	
	;;#ASMEND
	s_set_gpr_idx_on s5, gpr_idx(SRC0)
	v_mov_b32_e32 v73, v16
	s_set_gpr_idx_off
	v_cvt_f16_f32_e32 v73, v73
	s_set_gpr_idx_on s13, gpr_idx(SRC0)
	v_mov_b32_e32 v76, v16
	s_set_gpr_idx_off
	v_cvt_f16_f32_sdwa v91, v76 dst_sel:WORD_1 dst_unused:UNUSED_PAD src0_sel:DWORD
	v_lshl_add_u64 v[76:77], v[74:75], 0, 64
	s_mov_b64 s[14:15], -1
	v_or_b32_e32 v73, v91, v73
	;;#ASMSTART
	global_atomic_pk_add_f16 v[76:77], v73, off
	
	;;#ASMEND
	s_set_gpr_idx_on s5, gpr_idx(SRC0)
	v_mov_b32_e32 v73, v32
	s_set_gpr_idx_off
	v_cvt_f16_f32_e32 v73, v73
	s_set_gpr_idx_on s13, gpr_idx(SRC0)
	v_mov_b32_e32 v76, v32
	s_set_gpr_idx_off
	v_cvt_f16_f32_sdwa v91, v76 dst_sel:WORD_1 dst_unused:UNUSED_PAD src0_sel:DWORD
	v_lshl_add_u64 v[76:77], v[74:75], 0, s[40:41]
	v_lshl_add_u64 v[74:75], v[74:75], 0, s[42:43]
	v_or_b32_e32 v73, v91, v73
	;;#ASMSTART
	global_atomic_pk_add_f16 v[76:77], v73, off
	
	;;#ASMEND
	s_set_gpr_idx_on s5, gpr_idx(SRC0)
	v_mov_b32_e32 v73, v48
	s_set_gpr_idx_off
	v_cvt_f16_f32_e32 v73, v73
	s_set_gpr_idx_on s13, gpr_idx(SRC0)
	v_mov_b32_e32 v76, v48
	s_set_gpr_idx_off
	v_cvt_f16_f32_sdwa v76, v76 dst_sel:WORD_1 dst_unused:UNUSED_PAD src0_sel:DWORD
	s_nop 0
	v_or_b32_e32 v73, v76, v73
	;;#ASMSTART
	global_atomic_pk_add_f16 v[74:75], v73, off
	
	;;#ASMEND
	v_or_b32_e32 v73, s12, v98
	v_add_u32_e32 v74, s96, v73
	v_cmp_gt_u32_e32 vcc, 32, v74
	s_and_saveexec_b64 s[12:13], vcc
	s_cbranch_execz .LBB208_30
; %bb.34:                               ;   in Loop: Header=BB208_32 Depth=2
	s_add_i32 s14, s5, 2
	s_add_i32 s15, s5, 3
	s_set_gpr_idx_on s14, gpr_idx(SRC0)
	v_mov_b32_e32 v74, v0
	s_set_gpr_idx_off
	v_cvt_f16_f32_e32 v76, v74
	s_set_gpr_idx_on s15, gpr_idx(SRC0)
	v_mov_b32_e32 v74, v0
	s_set_gpr_idx_off
	v_cvt_f16_f32_sdwa v77, v74 dst_sel:WORD_1 dst_unused:UNUSED_PAD src0_sel:DWORD
	v_mul_lo_u32 v74, v73, s21
	v_ashrrev_i32_e32 v75, 31, v74
	v_lshl_add_u64 v[74:75], v[74:75], 1, v[70:71]
	v_or_b32_e32 v73, v77, v76
	;;#ASMSTART
	global_atomic_pk_add_f16 v[74:75], v73, off
	
	;;#ASMEND
	s_set_gpr_idx_on s14, gpr_idx(SRC0)
	v_mov_b32_e32 v73, v16
	s_set_gpr_idx_off
	v_cvt_f16_f32_e32 v73, v73
	s_set_gpr_idx_on s15, gpr_idx(SRC0)
	v_mov_b32_e32 v76, v16
	s_set_gpr_idx_off
	v_cvt_f16_f32_sdwa v91, v76 dst_sel:WORD_1 dst_unused:UNUSED_PAD src0_sel:DWORD
	v_lshl_add_u64 v[76:77], v[74:75], 0, 64
	s_add_i32 s5, s5, 4
	s_add_i32 s1, s1, 8
	v_or_b32_e32 v73, v91, v73
	;;#ASMSTART
	global_atomic_pk_add_f16 v[76:77], v73, off
	
	;;#ASMEND
	s_set_gpr_idx_on s14, gpr_idx(SRC0)
	v_mov_b32_e32 v73, v32
	s_set_gpr_idx_off
	v_cvt_f16_f32_e32 v73, v73
	s_set_gpr_idx_on s15, gpr_idx(SRC0)
	v_mov_b32_e32 v76, v32
	s_set_gpr_idx_off
	v_cvt_f16_f32_sdwa v91, v76 dst_sel:WORD_1 dst_unused:UNUSED_PAD src0_sel:DWORD
	v_lshl_add_u64 v[76:77], v[74:75], 0, s[40:41]
	s_cmp_eq_u32 s5, 16
	v_lshl_add_u64 v[74:75], v[74:75], 0, s[42:43]
	v_or_b32_e32 v73, v91, v73
	;;#ASMSTART
	global_atomic_pk_add_f16 v[76:77], v73, off
	
	;;#ASMEND
	s_set_gpr_idx_on s14, gpr_idx(SRC0)
	v_mov_b32_e32 v73, v48
	s_set_gpr_idx_off
	v_cvt_f16_f32_e32 v73, v73
	s_set_gpr_idx_on s15, gpr_idx(SRC0)
	v_mov_b32_e32 v76, v48
	s_set_gpr_idx_off
	v_cvt_f16_f32_sdwa v76, v76 dst_sel:WORD_1 dst_unused:UNUSED_PAD src0_sel:DWORD
	s_cselect_b64 s[14:15], -1, 0
	s_orn2_b64 s[14:15], s[14:15], exec
	v_or_b32_e32 v73, v76, v73
	;;#ASMSTART
	global_atomic_pk_add_f16 v[74:75], v73, off
	
	;;#ASMEND
	s_branch .LBB208_30
.LBB208_35:                             ;   in Loop: Header=BB208_7 Depth=1
	s_or_b64 exec, exec, s[6:7]
	v_readlane_b32 s72, v127, 2
	v_readlane_b32 s12, v127, 0
	;; [unrolled: 1-line block ×11, first 2 shown]
.LBB208_36:                             ;   in Loop: Header=BB208_7 Depth=1
	s_or_b64 exec, exec, s[48:49]
.LBB208_37:                             ;   in Loop: Header=BB208_7 Depth=1
	s_andn2_saveexec_b64 s[2:3], s[2:3]
	s_cbranch_execz .LBB208_46
; %bb.38:                               ;   in Loop: Header=BB208_7 Depth=1
	s_lshl_b32 s5, s4, 2
	v_cmp_gt_i32_e32 vcc, s5, v100
	s_and_saveexec_b64 s[6:7], vcc
	s_cbranch_execz .LBB208_45
; %bb.39:                               ;   in Loop: Header=BB208_7 Depth=1
	s_mul_i32 s0, s0, s23
	s_ashr_i32 s1, s0, 31
	s_add_u32 s0, s74, s0
	s_addc_u32 s1, s75, s1
	s_ashr_i32 s8, s44, 31
	s_add_u32 s0, s0, s44
	s_addc_u32 s1, s1, s8
	v_lshl_add_u64 v[0:1], s[0:1], 0, v[68:69]
	v_lshl_add_u64 v[8:9], v[0:1], 0, v[66:67]
	s_mov_b64 s[0:1], 0
	s_branch .LBB208_41
.LBB208_40:                             ;   in Loop: Header=BB208_41 Depth=2
	s_or_b64 exec, exec, s[8:9]
	v_lshl_or_b32 v12, v10, 11, v94
	;;#ASMSTART
	s_waitcnt vmcnt(1)
	;;#ASMEND
	ds_write2_b32 v12, v4, v5 offset1:32
	ds_write2_b32 v12, v6, v7 offset0:64 offset1:96
	v_add_u32_e32 v4, 0x400, v12
	v_add_u32_e32 v100, s26, v100
	;;#ASMSTART
	s_waitcnt vmcnt(0)
	;;#ASMEND
	ds_write2_b32 v4, v0, v1 offset1:32
	ds_write2_b32 v4, v2, v3 offset0:64 offset1:96
	v_add_u32_e32 v0, 1, v79
	v_add_u32_e32 v72, s26, v10
	v_cmp_le_i32_e32 vcc, s5, v100
	ds_write_b32 v11, v0 offset:16
	v_add_u32_e32 v0, 2, v79
	s_or_b64 s[0:1], vcc, s[0:1]
	v_cmp_lt_i32_e32 vcc, 7, v72
	s_nop 1
	v_cndmask_b32_e32 v79, v79, v0, vcc
	s_andn2_b64 exec, exec, s[0:1]
	s_cbranch_execz .LBB208_44
.LBB208_41:                             ;   Parent Loop BB208_7 Depth=1
                                        ; =>  This Loop Header: Depth=2
                                        ;       Child Loop BB208_43 Depth 3
	v_cmp_gt_i32_e32 vcc, 8, v72
	s_nop 1
	v_cndmask_b32_e64 v0, -8, 0, vcc
	v_add_u32_e32 v10, v0, v72
	v_ashrrev_i32_e32 v0, 31, v100
	v_lshrrev_b32_e32 v0, 30, v0
	v_add_u32_e32 v0, v100, v0
	v_and_b32_e32 v1, -4, v0
	v_lshlrev_b32_e32 v0, 4, v0
	v_sub_u32_e32 v2, v100, v1
	v_and_b32_e32 v0, 0xffffffc0, v0
	v_ashrrev_i32_e32 v1, 31, v0
	v_mul_lo_u32 v2, s24, v2
	v_lshl_add_u64 v[0:1], v[8:9], 0, v[0:1]
	v_ashrrev_i32_e32 v3, 31, v2
	v_lshl_add_u64 v[0:1], v[0:1], 0, v[2:3]
	v_lshlrev_b32_e32 v11, 2, v10
	;;#ASMSTART
	global_load_dwordx4 v[4:7], v[0:1], off offset:0   sc0 sc1 nt  
	global_load_dwordx4 v[0:3], v[0:1], off offset:32  sc0 sc1 nt  
	
	;;#ASMEND
	ds_read_b32 v12, v11 offset:24592
	v_add_u32_e32 v11, 0x6000, v11
	s_waitcnt lgkmcnt(0)
	v_cmp_ne_u32_e32 vcc, v12, v79
	s_and_saveexec_b64 s[8:9], vcc
	s_cbranch_execz .LBB208_40
; %bb.42:                               ;   in Loop: Header=BB208_41 Depth=2
	s_mov_b64 s[10:11], 0
.LBB208_43:                             ;   Parent Loop BB208_7 Depth=1
                                        ;     Parent Loop BB208_41 Depth=2
                                        ; =>    This Inner Loop Header: Depth=3
	;;#ASMSTART
	s_sleep 0
	;;#ASMEND
	ds_read_b32 v12, v11 offset:16
	s_waitcnt lgkmcnt(0)
	v_cmp_eq_u32_e32 vcc, v12, v79
	s_or_b64 s[10:11], vcc, s[10:11]
	s_andn2_b64 exec, exec, s[10:11]
	s_cbranch_execnz .LBB208_43
	s_branch .LBB208_40
.LBB208_44:                             ;   in Loop: Header=BB208_7 Depth=1
	s_or_b64 exec, exec, s[0:1]
.LBB208_45:                             ;   in Loop: Header=BB208_7 Depth=1
	s_or_b64 exec, exec, s[6:7]
	v_subrev_u32_e32 v100, s5, v100
.LBB208_46:                             ;   in Loop: Header=BB208_7 Depth=1
	s_or_b64 exec, exec, s[2:3]
.LBB208_47:                             ;   in Loop: Header=BB208_7 Depth=1
	s_andn2_saveexec_b64 s[0:1], s[46:47]
	s_cbranch_execz .LBB208_6
; %bb.48:                               ;   in Loop: Header=BB208_7 Depth=1
	s_lshl_b32 s10, s4, 1
	v_cmp_gt_i32_e32 vcc, s10, v100
	s_and_saveexec_b64 s[2:3], vcc
	s_cbranch_execz .LBB208_5
; %bb.49:                               ;   in Loop: Header=BB208_7 Depth=1
	s_mul_i32 s99, s99, s22
	s_ashr_i32 s4, s99, 31
	s_add_u32 s5, s72, s99
	v_add_u32_e32 v2, s96, v80
	s_addc_u32 s6, s73, s4
	s_ashr_i32 s7, s44, 31
	v_cmp_gt_u32_e32 vcc, 64, v2
	s_add_u32 s4, s5, s44
	s_addc_u32 s5, s6, s7
	v_cndmask_b32_e32 v0, 0, v95, vcc
	v_ashrrev_i32_e32 v1, 31, v0
	v_lshl_add_u64 v[0:1], s[4:5], 0, v[0:1]
	v_lshl_add_u64 v[8:9], v[0:1], 0, v[66:67]
	v_sub_u32_e32 v10, 63, v2
	s_mov_b64 s[4:5], 0
	s_branch .LBB208_51
.LBB208_50:                             ;   in Loop: Header=BB208_51 Depth=2
	s_or_b64 exec, exec, s[6:7]
	v_lshl_add_u32 v13, v11, 11, v96
	;;#ASMSTART
	s_waitcnt vmcnt(1)
	;;#ASMEND
	ds_write2_b32 v13, v4, v5 offset1:32
	ds_write2_b32 v13, v6, v7 offset0:64 offset1:96
	v_add_u32_e32 v4, 0x400, v13
	v_add_u32_e32 v100, s25, v100
	;;#ASMSTART
	s_waitcnt vmcnt(0)
	;;#ASMEND
	ds_write2_b32 v4, v0, v1 offset1:32
	ds_write2_b32 v4, v2, v3 offset0:64 offset1:96
	v_add_u32_e32 v0, 1, v79
	v_add_u32_e32 v72, s25, v11
	v_cmp_le_i32_e32 vcc, s10, v100
	ds_write_b32 v12, v0
	v_add_u32_e32 v0, 2, v79
	s_or_b64 s[4:5], vcc, s[4:5]
	v_cmp_lt_i32_e32 vcc, 3, v72
	s_nop 1
	v_cndmask_b32_e32 v79, v79, v0, vcc
	s_andn2_b64 exec, exec, s[4:5]
	s_cbranch_execz .LBB208_4
.LBB208_51:                             ;   Parent Loop BB208_7 Depth=1
                                        ; =>  This Loop Header: Depth=2
                                        ;       Child Loop BB208_53 Depth 3
	v_cmp_gt_i32_e32 vcc, 4, v72
	s_nop 1
	v_cndmask_b32_e64 v0, -4, 0, vcc
	v_add_u32_e32 v11, v0, v72
	v_lshrrev_b32_e32 v0, 31, v100
	v_add_u32_e32 v0, v100, v0
	v_and_b32_e32 v1, 0x7fffffe, v0
	v_sub_u32_e32 v1, v100, v1
	v_lshlrev_b32_e32 v1, 5, v1
	v_cmp_le_i32_e32 vcc, v1, v10
	v_lshlrev_b32_e32 v0, 5, v0
	v_and_b32_e32 v0, 0xffffffc0, v0
	v_cndmask_b32_e32 v2, 0, v1, vcc
	v_ashrrev_i32_e32 v1, 31, v0
	v_mul_lo_u32 v2, v2, s22
	v_lshl_add_u64 v[0:1], v[8:9], 0, v[0:1]
	v_ashrrev_i32_e32 v3, 31, v2
	v_lshl_add_u64 v[0:1], v[0:1], 0, v[2:3]
	v_lshlrev_b32_e32 v12, 2, v11
	;;#ASMSTART
	global_load_dwordx4 v[4:7], v[0:1], off offset:0   
	global_load_dwordx4 v[0:3], v[0:1], off offset:32  
	
	;;#ASMEND
	ds_read_b32 v13, v12 offset:24576
	v_add_u32_e32 v12, 0x6000, v12
	s_waitcnt lgkmcnt(0)
	v_cmp_ne_u32_e32 vcc, v13, v79
	s_and_saveexec_b64 s[6:7], vcc
	s_cbranch_execz .LBB208_50
; %bb.52:                               ;   in Loop: Header=BB208_51 Depth=2
	s_mov_b64 s[8:9], 0
.LBB208_53:                             ;   Parent Loop BB208_7 Depth=1
                                        ;     Parent Loop BB208_51 Depth=2
                                        ; =>    This Inner Loop Header: Depth=3
	;;#ASMSTART
	s_sleep 0
	;;#ASMEND
	ds_read_b32 v13, v12
	s_waitcnt lgkmcnt(0)
	v_cmp_eq_u32_e32 vcc, v13, v79
	s_or_b64 s[8:9], vcc, s[8:9]
	s_andn2_b64 exec, exec, s[8:9]
	s_cbranch_execnz .LBB208_53
	s_branch .LBB208_50
.LBB208_54:
	s_endpgm
	.section	.rodata,"a",@progbits
	.p2align	6, 0x0
	.amdhsa_kernel _Z19_skinny_gemm_kernelILi2ELi4ELi2ELi32ELi4EEvPKhS1_P6__halfPKfiiiiiiii
		.amdhsa_group_segment_fixed_size 24624
		.amdhsa_private_segment_fixed_size 0
		.amdhsa_kernarg_size 64
		.amdhsa_user_sgpr_count 2
		.amdhsa_user_sgpr_dispatch_ptr 0
		.amdhsa_user_sgpr_queue_ptr 0
		.amdhsa_user_sgpr_kernarg_segment_ptr 1
		.amdhsa_user_sgpr_dispatch_id 0
		.amdhsa_user_sgpr_kernarg_preload_length 0
		.amdhsa_user_sgpr_kernarg_preload_offset 0
		.amdhsa_user_sgpr_private_segment_size 0
		.amdhsa_uses_dynamic_stack 0
		.amdhsa_enable_private_segment 0
		.amdhsa_system_sgpr_workgroup_id_x 1
		.amdhsa_system_sgpr_workgroup_id_y 0
		.amdhsa_system_sgpr_workgroup_id_z 0
		.amdhsa_system_sgpr_workgroup_info 0
		.amdhsa_system_vgpr_workitem_id 0
		.amdhsa_next_free_vgpr 128
		.amdhsa_next_free_sgpr 100
		.amdhsa_accum_offset 128
		.amdhsa_reserve_vcc 1
		.amdhsa_float_round_mode_32 0
		.amdhsa_float_round_mode_16_64 0
		.amdhsa_float_denorm_mode_32 3
		.amdhsa_float_denorm_mode_16_64 3
		.amdhsa_dx10_clamp 1
		.amdhsa_ieee_mode 1
		.amdhsa_fp16_overflow 0
		.amdhsa_tg_split 0
		.amdhsa_exception_fp_ieee_invalid_op 0
		.amdhsa_exception_fp_denorm_src 0
		.amdhsa_exception_fp_ieee_div_zero 0
		.amdhsa_exception_fp_ieee_overflow 0
		.amdhsa_exception_fp_ieee_underflow 0
		.amdhsa_exception_fp_ieee_inexact 0
		.amdhsa_exception_int_div_zero 0
	.end_amdhsa_kernel
	.section	.text._Z19_skinny_gemm_kernelILi2ELi4ELi2ELi32ELi4EEvPKhS1_P6__halfPKfiiiiiiii,"axG",@progbits,_Z19_skinny_gemm_kernelILi2ELi4ELi2ELi32ELi4EEvPKhS1_P6__halfPKfiiiiiiii,comdat
.Lfunc_end208:
	.size	_Z19_skinny_gemm_kernelILi2ELi4ELi2ELi32ELi4EEvPKhS1_P6__halfPKfiiiiiiii, .Lfunc_end208-_Z19_skinny_gemm_kernelILi2ELi4ELi2ELi32ELi4EEvPKhS1_P6__halfPKfiiiiiiii
                                        ; -- End function
	.set _Z19_skinny_gemm_kernelILi2ELi4ELi2ELi32ELi4EEvPKhS1_P6__halfPKfiiiiiiii.num_vgpr, 128
	.set _Z19_skinny_gemm_kernelILi2ELi4ELi2ELi32ELi4EEvPKhS1_P6__halfPKfiiiiiiii.num_agpr, 0
	.set _Z19_skinny_gemm_kernelILi2ELi4ELi2ELi32ELi4EEvPKhS1_P6__halfPKfiiiiiiii.numbered_sgpr, 100
	.set _Z19_skinny_gemm_kernelILi2ELi4ELi2ELi32ELi4EEvPKhS1_P6__halfPKfiiiiiiii.num_named_barrier, 0
	.set _Z19_skinny_gemm_kernelILi2ELi4ELi2ELi32ELi4EEvPKhS1_P6__halfPKfiiiiiiii.private_seg_size, 0
	.set _Z19_skinny_gemm_kernelILi2ELi4ELi2ELi32ELi4EEvPKhS1_P6__halfPKfiiiiiiii.uses_vcc, 1
	.set _Z19_skinny_gemm_kernelILi2ELi4ELi2ELi32ELi4EEvPKhS1_P6__halfPKfiiiiiiii.uses_flat_scratch, 0
	.set _Z19_skinny_gemm_kernelILi2ELi4ELi2ELi32ELi4EEvPKhS1_P6__halfPKfiiiiiiii.has_dyn_sized_stack, 0
	.set _Z19_skinny_gemm_kernelILi2ELi4ELi2ELi32ELi4EEvPKhS1_P6__halfPKfiiiiiiii.has_recursion, 0
	.set _Z19_skinny_gemm_kernelILi2ELi4ELi2ELi32ELi4EEvPKhS1_P6__halfPKfiiiiiiii.has_indirect_call, 0
	.section	.AMDGPU.csdata,"",@progbits
; Kernel info:
; codeLenInByte = 14144
; TotalNumSgprs: 106
; NumVgprs: 128
; NumAgprs: 0
; TotalNumVgprs: 128
; ScratchSize: 0
; MemoryBound: 0
; FloatMode: 240
; IeeeMode: 1
; LDSByteSize: 24624 bytes/workgroup (compile time only)
; SGPRBlocks: 13
; VGPRBlocks: 15
; NumSGPRsForWavesPerEU: 106
; NumVGPRsForWavesPerEU: 128
; AccumOffset: 128
; Occupancy: 4
; WaveLimiterHint : 0
; COMPUTE_PGM_RSRC2:SCRATCH_EN: 0
; COMPUTE_PGM_RSRC2:USER_SGPR: 2
; COMPUTE_PGM_RSRC2:TRAP_HANDLER: 0
; COMPUTE_PGM_RSRC2:TGID_X_EN: 1
; COMPUTE_PGM_RSRC2:TGID_Y_EN: 0
; COMPUTE_PGM_RSRC2:TGID_Z_EN: 0
; COMPUTE_PGM_RSRC2:TIDIG_COMP_CNT: 0
; COMPUTE_PGM_RSRC3_GFX90A:ACCUM_OFFSET: 31
; COMPUTE_PGM_RSRC3_GFX90A:TG_SPLIT: 0
	.section	.text._Z19_skinny_gemm_kernelILi2ELi4ELi2ELi32ELi8EEvPKhS1_P6__halfPKfiiiiiiii,"axG",@progbits,_Z19_skinny_gemm_kernelILi2ELi4ELi2ELi32ELi8EEvPKhS1_P6__halfPKfiiiiiiii,comdat
	.protected	_Z19_skinny_gemm_kernelILi2ELi4ELi2ELi32ELi8EEvPKhS1_P6__halfPKfiiiiiiii ; -- Begin function _Z19_skinny_gemm_kernelILi2ELi4ELi2ELi32ELi8EEvPKhS1_P6__halfPKfiiiiiiii
	.globl	_Z19_skinny_gemm_kernelILi2ELi4ELi2ELi32ELi8EEvPKhS1_P6__halfPKfiiiiiiii
	.p2align	8
	.type	_Z19_skinny_gemm_kernelILi2ELi4ELi2ELi32ELi8EEvPKhS1_P6__halfPKfiiiiiiii,@function
_Z19_skinny_gemm_kernelILi2ELi4ELi2ELi32ELi8EEvPKhS1_P6__halfPKfiiiiiiii: ; @_Z19_skinny_gemm_kernelILi2ELi4ELi2ELi32ELi8EEvPKhS1_P6__halfPKfiiiiiiii
; %bb.0:
	v_cmp_gt_u32_e32 vcc, 12, v0
	s_and_saveexec_b64 s[4:5], vcc
; %bb.1:
	v_lshlrev_b32_e32 v1, 2, v0
	v_mov_b32_e32 v2, 0
	ds_write_b32 v1, v2 offset:49152
; %bb.2:
	s_or_b64 exec, exec, s[4:5]
	s_load_dwordx8 s[20:27], s[0:1], 0x20
	s_waitcnt lgkmcnt(0)
	s_barrier
	s_add_i32 s3, s20, 63
	s_ashr_i32 s5, s3, 31
	s_add_i32 s4, s21, 0x7f
	s_lshr_b32 s5, s5, 26
	s_ashr_i32 s6, s4, 31
	s_add_i32 s3, s3, s5
	s_ashr_i32 s12, s3, 6
	s_lshr_b32 s3, s6, 25
	s_add_i32 s4, s4, s3
	s_ashr_i32 s14, s4, 7
	s_mul_i32 s3, s14, s12
	s_mul_i32 s3, s3, s24
	s_add_i32 s4, s3, 0x12f
	s_mul_hi_i32 s4, s4, 0x6bca1af3
	s_lshr_b32 s5, s4, 31
	s_ashr_i32 s4, s4, 7
	s_add_i32 s4, s4, s5
	s_add_i32 s5, s2, 1
	s_mul_i32 s5, s4, s5
	v_cvt_f64_i32_e32 v[2:3], s3
	v_cvt_f64_u32_e32 v[4:5], s5
	v_min_f64 v[2:3], v[2:3], v[4:5]
	v_cvt_i32_f64_e32 v86, v[2:3]
	s_mul_i32 s33, s4, s2
	v_cmp_ge_i32_e32 vcc, s33, v86
	s_cbranch_vccnz .LBB209_54
; %bb.3:
	s_load_dwordx8 s[72:79], s[0:1], 0x0
	v_lshrrev_b32_e32 v1, 6, v0
	s_add_i32 s0, s26, s25
	v_cmp_le_i32_e64 s[18:19], s0, v1
	v_mov_b32_e32 v2, s25
	v_cmp_le_i32_e64 s[28:29], s25, v1
	v_mov_b32_e32 v3, s26
	v_cndmask_b32_e64 v3, 0, v3, s[18:19]
	v_cndmask_b32_e64 v2, 0, v2, s[28:29]
	s_abs_i32 s1, s24
	v_add_u32_e32 v2, v2, v3
	v_cvt_f32_u32_e32 v3, s1
	v_sub_u32_e32 v72, v1, v2
	s_ashr_i32 s2, s22, 31
	s_lshr_b32 s2, s2, 25
	v_rcp_iflag_f32_e32 v2, v3
	s_sub_i32 s5, 0, s1
	s_add_i32 s2, s22, s2
	s_ashr_i32 s2, s2, 7
	v_mul_f32_e32 v2, 0x4f7ffffe, v2
	v_cvt_u32_f32_e32 v2, v2
	s_abs_i32 s4, s2
	s_xor_b32 s3, s2, s24
	s_ashr_i32 s3, s3, 31
	v_readfirstlane_b32 s6, v2
	s_mul_i32 s5, s5, s6
	s_mul_hi_u32 s5, s6, s5
	s_add_i32 s6, s6, s5
	s_mul_hi_u32 s5, s4, s6
	s_mul_i32 s6, s5, s1
	s_sub_i32 s4, s4, s6
	s_add_i32 s6, s5, 1
	s_sub_i32 s7, s4, s1
	s_cmp_ge_u32 s4, s1
	s_cselect_b32 s5, s6, s5
	s_cselect_b32 s4, s7, s4
	s_add_i32 s6, s5, 1
	s_cmp_ge_u32 s4, s1
	s_cselect_b32 s1, s6, s5
	s_add_i32 s0, s0, s27
	v_and_b32_e32 v88, 31, v0
	v_lshrrev_b32_e32 v2, 3, v0
	v_cmp_gt_i32_e64 s[34:35], s0, v1
	v_lshlrev_b32_e32 v1, 2, v88
	v_and_b32_e32 v3, 4, v2
	v_lshlrev_b32_e32 v2, 6, v3
	v_or_b32_e32 v4, 0x8000, v1
	v_and_b32_e32 v5, 1, v0
	v_or_b32_e32 v89, v4, v2
	v_or_b32_e32 v90, v1, v2
	v_lshlrev_b32_e32 v2, 1, v5
	v_lshrrev_b32_e32 v7, 1, v0
	s_abs_i32 s97, s12
	v_sub_u32_e32 v2, v0, v2
	v_and_b32_e32 v66, 16, v7
	v_cvt_f32_u32_e32 v7, s97
	v_add_u32_e32 v2, 1, v2
	v_and_b32_e32 v6, 63, v2
	v_bitop3_b32 v91, v0, 1, v0 bitop3:0xc
	v_bitop3_b32 v92, v0, 3, 1 bitop3:0x6c
	;; [unrolled: 1-line block ×8, first 2 shown]
	v_and_b32_e32 v2, 30, v0
	v_lshlrev_b32_e32 v0, 4, v0
                                        ; implicit-def: $vgpr127 : SGPR spill to VGPR lane
	v_and_b32_e32 v0, 0x200, v0
	v_writelane_b32 v127, s12, 0
	v_or_b32_e32 v102, v1, v0
	v_rcp_iflag_f32_e32 v1, v7
	v_writelane_b32 v127, s14, 1
	s_waitcnt lgkmcnt(0)
	v_writelane_b32 v127, s72, 2
	s_abs_i32 s98, s14
	v_or_b32_e32 v104, v4, v0
	v_writelane_b32 v127, s73, 3
	v_writelane_b32 v127, s74, 4
	v_mul_f32_e32 v0, 0x4f7ffffe, v1
	v_cvt_f32_u32_e32 v1, s98
	v_writelane_b32 v127, s75, 5
	v_writelane_b32 v127, s76, 6
	;; [unrolled: 1-line block ×4, first 2 shown]
	v_cvt_u32_f32_e32 v0, v0
	v_rcp_iflag_f32_e32 v1, v1
	v_writelane_b32 v127, s79, 9
	v_cndmask_b32_e64 v87, 0, 1, s[18:19]
	s_xor_b32 s1, s1, s3
	v_writelane_b32 v127, s18, 10
	s_sub_i32 s15, s1, s3
	s_add_i32 s30, s24, -1
	v_writelane_b32 v127, s19, 11
	s_mul_i32 s1, s15, s30
	v_writelane_b32 v127, s28, 12
	s_sub_i32 s31, s2, s1
	v_readfirstlane_b32 s1, v0
	v_mul_f32_e32 v0, 0x4f7ffffe, v1
	v_writelane_b32 v127, s29, 13
	v_cvt_u32_f32_e32 v0, v0
	v_writelane_b32 v127, s15, 14
	s_sub_i32 s0, 0, s97
	v_writelane_b32 v127, s30, 15
	s_mul_i32 s0, s0, s1
	v_writelane_b32 v127, s31, 16
	s_mul_hi_u32 s0, s1, s0
	v_writelane_b32 v127, s34, 17
	s_ashr_i32 s36, s12, 31
	s_add_i32 s37, s1, s0
	s_sub_i32 s0, 0, s98
	v_readfirstlane_b32 s1, v0
	v_writelane_b32 v127, s35, 18
	s_mul_i32 s0, s0, s1
	v_mbcnt_lo_u32_b32 v0, -1, 0
	v_writelane_b32 v127, s36, 19
	s_ashr_i32 s38, s14, 31
	s_mul_hi_u32 s0, s1, s0
	v_mbcnt_hi_u32_b32 v0, -1, v0
	v_writelane_b32 v127, s37, 20
	v_mov_b32_e32 v65, 0
	v_mul_lo_u32 v68, s23, v88
	v_or_b32_e32 v105, v5, v3
	s_add_i32 s39, s1, s0
	v_and_or_b32 v0, v0, 64, v6
	v_writelane_b32 v127, s38, 21
	v_ashrrev_i32_e32 v69, 31, v68
	v_mov_b32_e32 v67, v65
	s_lshl_b32 s24, s23, 5
	v_mul_lo_u32 v103, s22, v88
	v_or_b32_e32 v106, 2, v105
	v_lshlrev_b32_e32 v64, 1, v2
	v_lshlrev_b32_e32 v107, 2, v0
	v_mov_b32_e32 v108, v72
	v_writelane_b32 v127, s39, 22
	s_branch .LBB209_7
.LBB209_4:                              ;   in Loop: Header=BB209_7 Depth=1
	s_or_b64 exec, exec, s[4:5]
.LBB209_5:                              ;   in Loop: Header=BB209_7 Depth=1
	s_or_b64 exec, exec, s[2:3]
	v_subrev_u32_e32 v108, s10, v108
.LBB209_6:                              ;   in Loop: Header=BB209_7 Depth=1
	s_or_b64 exec, exec, s[0:1]
	s_add_i32 s33, s33, 1
	v_cmp_ge_i32_e32 vcc, s33, v86
	s_cbranch_vccnz .LBB209_54
.LBB209_7:                              ; =>This Loop Header: Depth=1
                                        ;     Child Loop BB209_13 Depth 2
                                        ;       Child Loop BB209_15 Depth 3
                                        ;       Child Loop BB209_18 Depth 3
	;; [unrolled: 1-line block ×5, first 2 shown]
                                        ;     Child Loop BB209_32 Depth 2
                                        ;     Child Loop BB209_41 Depth 2
                                        ;       Child Loop BB209_43 Depth 3
                                        ;     Child Loop BB209_51 Depth 2
                                        ;       Child Loop BB209_53 Depth 3
	s_abs_i32 s1, s33
	s_mul_hi_u32 s2, s1, s37
	s_mul_i32 s3, s2, s97
	s_ashr_i32 s0, s33, 31
	s_sub_i32 s1, s1, s3
	s_xor_b32 s0, s0, s36
	s_add_i32 s3, s2, 1
	s_sub_i32 s4, s1, s97
	s_cmp_ge_u32 s1, s97
	s_cselect_b32 s2, s3, s2
	s_cselect_b32 s1, s4, s1
	s_add_i32 s3, s2, 1
	s_cmp_ge_u32 s1, s97
	s_cselect_b32 s1, s3, s2
	s_xor_b32 s1, s1, s0
	s_sub_i32 s0, s1, s0
	s_abs_i32 s2, s0
	s_mul_i32 s1, s0, s12
	s_mul_hi_u32 s3, s2, s39
	s_sub_i32 s1, s33, s1
	s_mul_i32 s4, s3, s98
	s_lshl_b32 s99, s1, 6
	s_ashr_i32 s1, s0, 31
	s_sub_i32 s2, s2, s4
	s_xor_b32 s1, s1, s38
	s_add_i32 s4, s3, 1
	s_sub_i32 s5, s2, s98
	s_cmp_ge_u32 s2, s98
	s_cselect_b32 s3, s4, s3
	s_cselect_b32 s2, s5, s2
	s_add_i32 s4, s3, 1
	s_cmp_ge_u32 s2, s98
	s_cselect_b32 s2, s4, s3
	s_xor_b32 s2, s2, s1
	s_sub_i32 s1, s2, s1
	s_mul_i32 s2, s1, s15
	s_lshl_b32 s44, s2, 7
	s_cmp_eq_u32 s1, s30
	s_cselect_b32 s4, s31, s15
	s_sub_i32 s2, s99, s20
	s_add_i32 s2, s2, 64
	s_max_i32 s96, s2, 0
	s_and_saveexec_b64 s[2:3], s[28:29]
	s_xor_b64 s[46:47], exec, s[2:3]
	s_cbranch_execz .LBB209_47
; %bb.8:                                ;   in Loop: Header=BB209_7 Depth=1
	s_mul_i32 s1, s1, s14
	s_sub_i32 s0, s0, s1
	s_lshl_b32 s0, s0, 7
	s_sub_i32 s5, s0, s21
	s_addk_i32 s5, 0x80
	s_max_i32 s1, s5, 0
	s_sub_i32 s0, s0, s1
	s_and_saveexec_b64 s[2:3], s[18:19]
	s_xor_b64 s[2:3], exec, s[2:3]
	s_cbranch_execz .LBB209_37
; %bb.9:                                ;   in Loop: Header=BB209_7 Depth=1
	s_and_saveexec_b64 s[48:49], s[34:35]
	s_cbranch_execz .LBB209_36
; %bb.10:                               ;   in Loop: Header=BB209_7 Depth=1
	global_load_dword v109, v65, s[78:79]
	v_mov_b32_e32 v63, 0
	v_cmp_gt_i32_e32 vcc, s4, v108
	v_mov_b32_e32 v62, v63
	v_mov_b32_e32 v61, v63
	;; [unrolled: 1-line block ×63, first 2 shown]
	s_and_saveexec_b64 s[6:7], vcc
	s_cbranch_execz .LBB209_29
; %bb.11:                               ;   in Loop: Header=BB209_7 Depth=1
	v_mov_b32_e32 v0, 0
	s_mov_b64 s[8:9], 0
	v_mov_b32_e32 v1, v0
	v_mov_b32_e32 v2, v0
	;; [unrolled: 1-line block ×63, first 2 shown]
	s_branch .LBB209_13
.LBB209_12:                             ;   in Loop: Header=BB209_13 Depth=2
	s_or_b64 exec, exec, s[10:11]
	v_add_u32_e32 v116, 0x3000, v113
	ds_read2_b32 v[114:115], v116 offset1:32
	v_add_u32_e32 v108, s27, v108
	s_waitcnt lgkmcnt(0)
	v_mfma_f32_32x32x16_fp8_fp8 v[0:15], v[84:85], v[114:115], v[0:15]
	ds_read2_b32 v[84:85], v116 offset0:128 offset1:160
	s_waitcnt lgkmcnt(0)
	v_mfma_f32_32x32x16_fp8_fp8 v[0:15], v[82:83], v[84:85], v[0:15]
	v_add_u32_e32 v84, 0x3400, v113
	ds_read2_b32 v[82:83], v84 offset1:32
	s_waitcnt lgkmcnt(0)
	v_mfma_f32_32x32x16_fp8_fp8 v[0:15], v[80:81], v[82:83], v[0:15]
	ds_read2_b32 v[80:81], v84 offset0:128 offset1:160
	s_waitcnt lgkmcnt(0)
	v_mfma_f32_32x32x16_fp8_fp8 v[0:15], v[78:79], v[80:81], v[0:15]
	v_add_u32_e32 v80, 0x3800, v113
	ds_read2_b32 v[78:79], v80 offset1:32
	;; [unrolled: 7-line block ×3, first 2 shown]
	ds_read2_b32 v[76:77], v76 offset0:128 offset1:160
	ds_write_b32 v111, v112 offset:49180
	s_waitcnt lgkmcnt(2)
	v_mfma_f32_32x32x16_fp8_fp8 v[0:15], v[72:73], v[74:75], v[0:15]
	v_add_u32_e32 v72, s27, v110
	v_add_u32_e32 v73, 2, v87
	v_cmp_lt_i32_e32 vcc, 1, v72
	s_nop 1
	v_cndmask_b32_e32 v87, v87, v73, vcc
	v_cmp_le_i32_e32 vcc, s4, v108
	s_waitcnt lgkmcnt(1)
	v_mfma_f32_32x32x16_fp8_fp8 v[0:15], v[70:71], v[76:77], v[0:15]
	s_or_b64 s[8:9], vcc, s[8:9]
	s_andn2_b64 exec, exec, s[8:9]
	s_cbranch_execz .LBB209_28
.LBB209_13:                             ;   Parent Loop BB209_7 Depth=1
                                        ; =>  This Loop Header: Depth=2
                                        ;       Child Loop BB209_15 Depth 3
                                        ;       Child Loop BB209_18 Depth 3
	;; [unrolled: 1-line block ×5, first 2 shown]
	v_cmp_gt_i32_e32 vcc, 2, v72
	s_nop 1
	v_cndmask_b32_e64 v70, -2, 0, vcc
	v_add_u32_e32 v110, v70, v72
	v_lshlrev_b32_e32 v111, 5, v110
	ds_read_b32 v70, v111 offset:49152
	s_waitcnt lgkmcnt(0)
	v_cmp_ne_u32_e32 vcc, v70, v87
	s_and_saveexec_b64 s[10:11], vcc
	s_cbranch_execz .LBB209_16
; %bb.14:                               ;   in Loop: Header=BB209_13 Depth=2
	s_mov_b64 s[12:13], 0
.LBB209_15:                             ;   Parent Loop BB209_7 Depth=1
                                        ;     Parent Loop BB209_13 Depth=2
                                        ; =>    This Inner Loop Header: Depth=3
	;;#ASMSTART
	s_sleep 0
	;;#ASMEND
	ds_read_b32 v70, v111 offset:49152
	s_waitcnt lgkmcnt(0)
	v_cmp_eq_u32_e32 vcc, v70, v87
	s_or_b64 s[12:13], vcc, s[12:13]
	s_andn2_b64 exec, exec, s[12:13]
	s_cbranch_execnz .LBB209_15
.LBB209_16:                             ;   in Loop: Header=BB209_13 Depth=2
	s_or_b64 exec, exec, s[10:11]
	v_lshl_add_u32 v70, v110, 12, v89
	v_add_u32_e32 v71, 0x400, v70
	ds_read2_b32 v[84:85], v70 offset1:32
	ds_read2_b32 v[82:83], v70 offset0:128 offset1:160
	ds_read2_b32 v[80:81], v71 offset1:32
	ds_read2_b32 v[78:79], v71 offset0:128 offset1:160
	v_add_u32_e32 v71, 0x800, v70
	v_add_u32_e32 v70, 0xc00, v70
	ds_read2_b32 v[76:77], v71 offset1:32
	ds_read2_b32 v[74:75], v71 offset0:128 offset1:160
	ds_read2_b32 v[72:73], v70 offset1:32
	ds_read_b32 v113, v111 offset:49156
	ds_read2_b32 v[70:71], v70 offset0:128 offset1:160
	v_add_u32_e32 v112, 1, v87
	ds_write_b32 v111, v112 offset:49152
	s_waitcnt lgkmcnt(2)
	v_cmp_ne_u32_e32 vcc, v113, v87
	s_and_saveexec_b64 s[10:11], vcc
	s_cbranch_execz .LBB209_19
; %bb.17:                               ;   in Loop: Header=BB209_13 Depth=2
	s_mov_b64 s[12:13], 0
.LBB209_18:                             ;   Parent Loop BB209_7 Depth=1
                                        ;     Parent Loop BB209_13 Depth=2
                                        ; =>    This Inner Loop Header: Depth=3
	;;#ASMSTART
	s_sleep 0
	;;#ASMEND
	ds_read_b32 v113, v111 offset:49156
	s_waitcnt lgkmcnt(0)
	v_cmp_eq_u32_e32 vcc, v113, v87
	s_or_b64 s[12:13], vcc, s[12:13]
	s_andn2_b64 exec, exec, s[12:13]
	s_cbranch_execnz .LBB209_18
.LBB209_19:                             ;   in Loop: Header=BB209_13 Depth=2
	s_or_b64 exec, exec, s[10:11]
	v_lshl_or_b32 v113, v110, 14, v90
	ds_read2_b32 v[114:115], v113 offset1:32
	v_add_u32_e32 v116, 0x400, v113
	s_waitcnt lgkmcnt(0)
	v_mfma_f32_32x32x16_fp8_fp8 v[48:63], v[84:85], v[114:115], v[48:63]
	ds_read2_b32 v[114:115], v113 offset0:128 offset1:160
	s_waitcnt lgkmcnt(0)
	v_mfma_f32_32x32x16_fp8_fp8 v[48:63], v[82:83], v[114:115], v[48:63]
	ds_read2_b32 v[114:115], v116 offset1:32
	s_waitcnt lgkmcnt(0)
	v_mfma_f32_32x32x16_fp8_fp8 v[48:63], v[80:81], v[114:115], v[48:63]
	ds_read2_b32 v[114:115], v116 offset0:128 offset1:160
	v_add_u32_e32 v116, 0x800, v113
	s_waitcnt lgkmcnt(0)
	v_mfma_f32_32x32x16_fp8_fp8 v[48:63], v[78:79], v[114:115], v[48:63]
	ds_read2_b32 v[114:115], v116 offset1:32
	s_waitcnt lgkmcnt(0)
	v_mfma_f32_32x32x16_fp8_fp8 v[48:63], v[76:77], v[114:115], v[48:63]
	ds_read2_b32 v[114:115], v116 offset0:128 offset1:160
	v_add_u32_e32 v116, 0xc00, v113
	s_waitcnt lgkmcnt(0)
	v_mfma_f32_32x32x16_fp8_fp8 v[48:63], v[74:75], v[114:115], v[48:63]
	ds_read2_b32 v[114:115], v116 offset1:32
	s_waitcnt lgkmcnt(0)
	v_mfma_f32_32x32x16_fp8_fp8 v[48:63], v[72:73], v[114:115], v[48:63]
	ds_read_b32 v117, v111 offset:49164
	ds_read2_b32 v[114:115], v116 offset0:128 offset1:160
	ds_write_b32 v111, v112 offset:49156
	s_waitcnt lgkmcnt(2)
	v_cmp_ne_u32_e32 vcc, v117, v87
	s_waitcnt lgkmcnt(1)
	v_mfma_f32_32x32x16_fp8_fp8 v[48:63], v[70:71], v[114:115], v[48:63]
	s_and_saveexec_b64 s[10:11], vcc
	s_cbranch_execz .LBB209_22
; %bb.20:                               ;   in Loop: Header=BB209_13 Depth=2
	s_mov_b64 s[12:13], 0
.LBB209_21:                             ;   Parent Loop BB209_7 Depth=1
                                        ;     Parent Loop BB209_13 Depth=2
                                        ; =>    This Inner Loop Header: Depth=3
	;;#ASMSTART
	s_sleep 0
	;;#ASMEND
	ds_read_b32 v114, v111 offset:49164
	s_waitcnt lgkmcnt(0)
	v_cmp_eq_u32_e32 vcc, v114, v87
	s_or_b64 s[12:13], vcc, s[12:13]
	s_andn2_b64 exec, exec, s[12:13]
	s_cbranch_execnz .LBB209_21
.LBB209_22:                             ;   in Loop: Header=BB209_13 Depth=2
	s_or_b64 exec, exec, s[10:11]
	v_add_u32_e32 v116, 0x1000, v113
	ds_read2_b32 v[114:115], v116 offset1:32
	s_waitcnt lgkmcnt(0)
	v_mfma_f32_32x32x16_fp8_fp8 v[32:47], v[84:85], v[114:115], v[32:47]
	ds_read2_b32 v[114:115], v116 offset0:128 offset1:160
	v_add_u32_e32 v116, 0x1400, v113
	s_waitcnt lgkmcnt(0)
	v_mfma_f32_32x32x16_fp8_fp8 v[32:47], v[82:83], v[114:115], v[32:47]
	ds_read2_b32 v[114:115], v116 offset1:32
	s_waitcnt lgkmcnt(0)
	v_mfma_f32_32x32x16_fp8_fp8 v[32:47], v[80:81], v[114:115], v[32:47]
	ds_read2_b32 v[114:115], v116 offset0:128 offset1:160
	v_add_u32_e32 v116, 0x1800, v113
	s_waitcnt lgkmcnt(0)
	v_mfma_f32_32x32x16_fp8_fp8 v[32:47], v[78:79], v[114:115], v[32:47]
	;; [unrolled: 7-line block ×3, first 2 shown]
	ds_read2_b32 v[114:115], v116 offset1:32
	s_waitcnt lgkmcnt(0)
	v_mfma_f32_32x32x16_fp8_fp8 v[32:47], v[72:73], v[114:115], v[32:47]
	ds_read_b32 v117, v111 offset:49172
	ds_read2_b32 v[114:115], v116 offset0:128 offset1:160
	ds_write_b32 v111, v112 offset:49164
	s_waitcnt lgkmcnt(2)
	v_cmp_ne_u32_e32 vcc, v117, v87
	s_waitcnt lgkmcnt(1)
	v_mfma_f32_32x32x16_fp8_fp8 v[32:47], v[70:71], v[114:115], v[32:47]
	s_and_saveexec_b64 s[10:11], vcc
	s_cbranch_execz .LBB209_25
; %bb.23:                               ;   in Loop: Header=BB209_13 Depth=2
	s_mov_b64 s[12:13], 0
.LBB209_24:                             ;   Parent Loop BB209_7 Depth=1
                                        ;     Parent Loop BB209_13 Depth=2
                                        ; =>    This Inner Loop Header: Depth=3
	;;#ASMSTART
	s_sleep 0
	;;#ASMEND
	ds_read_b32 v114, v111 offset:49172
	s_waitcnt lgkmcnt(0)
	v_cmp_eq_u32_e32 vcc, v114, v87
	s_or_b64 s[12:13], vcc, s[12:13]
	s_andn2_b64 exec, exec, s[12:13]
	s_cbranch_execnz .LBB209_24
.LBB209_25:                             ;   in Loop: Header=BB209_13 Depth=2
	s_or_b64 exec, exec, s[10:11]
	v_add_u32_e32 v116, 0x2000, v113
	ds_read2_b32 v[114:115], v116 offset1:32
	s_waitcnt lgkmcnt(0)
	v_mfma_f32_32x32x16_fp8_fp8 v[16:31], v[84:85], v[114:115], v[16:31]
	ds_read2_b32 v[114:115], v116 offset0:128 offset1:160
	v_add_u32_e32 v116, 0x2400, v113
	s_waitcnt lgkmcnt(0)
	v_mfma_f32_32x32x16_fp8_fp8 v[16:31], v[82:83], v[114:115], v[16:31]
	ds_read2_b32 v[114:115], v116 offset1:32
	s_waitcnt lgkmcnt(0)
	v_mfma_f32_32x32x16_fp8_fp8 v[16:31], v[80:81], v[114:115], v[16:31]
	ds_read2_b32 v[114:115], v116 offset0:128 offset1:160
	v_add_u32_e32 v116, 0x2800, v113
	s_waitcnt lgkmcnt(0)
	v_mfma_f32_32x32x16_fp8_fp8 v[16:31], v[78:79], v[114:115], v[16:31]
	;; [unrolled: 7-line block ×3, first 2 shown]
	ds_read2_b32 v[114:115], v116 offset1:32
	s_waitcnt lgkmcnt(0)
	v_mfma_f32_32x32x16_fp8_fp8 v[16:31], v[72:73], v[114:115], v[16:31]
	ds_read_b32 v117, v111 offset:49180
	ds_read2_b32 v[114:115], v116 offset0:128 offset1:160
	ds_write_b32 v111, v112 offset:49172
	s_waitcnt lgkmcnt(2)
	v_cmp_ne_u32_e32 vcc, v117, v87
	s_waitcnt lgkmcnt(1)
	v_mfma_f32_32x32x16_fp8_fp8 v[16:31], v[70:71], v[114:115], v[16:31]
	s_and_saveexec_b64 s[10:11], vcc
	s_cbranch_execz .LBB209_12
; %bb.26:                               ;   in Loop: Header=BB209_13 Depth=2
	s_mov_b64 s[12:13], 0
.LBB209_27:                             ;   Parent Loop BB209_7 Depth=1
                                        ;     Parent Loop BB209_13 Depth=2
                                        ; =>    This Inner Loop Header: Depth=3
	;;#ASMSTART
	s_sleep 0
	;;#ASMEND
	ds_read_b32 v114, v111 offset:49180
	s_waitcnt lgkmcnt(0)
	v_cmp_eq_u32_e32 vcc, v114, v87
	s_or_b64 s[12:13], vcc, s[12:13]
	s_andn2_b64 exec, exec, s[12:13]
	s_cbranch_execnz .LBB209_27
	s_branch .LBB209_12
.LBB209_28:                             ;   in Loop: Header=BB209_7 Depth=1
	s_or_b64 exec, exec, s[8:9]
.LBB209_29:                             ;   in Loop: Header=BB209_7 Depth=1
	v_writelane_b32 v127, s48, 23
	s_nop 1
	v_writelane_b32 v127, s49, 24
	v_writelane_b32 v127, s46, 25
	s_nop 1
	v_writelane_b32 v127, s47, 26
	v_writelane_b32 v127, s44, 27
	s_or_b64 exec, exec, s[6:7]
	v_cmp_le_i32_e32 vcc, s5, v88
	v_cmp_eq_u32_e64 s[64:65], 1, v91
	v_cmp_eq_u32_e64 s[30:31], 2, v91
	s_waitcnt vmcnt(0)
	v_cndmask_b32_e32 v70, 0, v109, vcc
	v_pk_mul_f32 v[48:49], v[70:71], v[48:49] op_sel_hi:[0,1]
	v_pk_mul_f32 v[62:63], v[70:71], v[62:63] op_sel_hi:[0,1]
	;; [unrolled: 1-line block ×8, first 2 shown]
	v_cndmask_b32_e64 v70, v48, v49, s[64:65]
	v_cndmask_b32_e64 v70, v70, v50, s[30:31]
	v_cmp_eq_u32_e64 s[40:41], 3, v91
	v_cmp_eq_u32_e64 s[42:43], 4, v91
	v_cmp_eq_u32_e64 s[44:45], 5, v91
	v_cndmask_b32_e64 v70, v70, v51, s[40:41]
	v_cndmask_b32_e64 v70, v70, v52, s[42:43]
	v_cndmask_b32_e64 v70, v70, v53, s[44:45]
	v_cmp_eq_u32_e64 s[46:47], 6, v91
	v_cmp_eq_u32_e64 s[48:49], 7, v91
	v_cmp_eq_u32_e64 s[50:51], 8, v91
	v_cndmask_b32_e64 v70, v70, v54, s[46:47]
	v_cndmask_b32_e64 v70, v70, v55, s[48:49]
	v_cndmask_b32_e64 v70, v70, v56, s[50:51]
	v_cmp_eq_u32_e64 s[52:53], 9, v91
	v_cmp_eq_u32_e64 s[54:55], 10, v91
	v_cmp_eq_u32_e64 s[56:57], 11, v91
	v_cndmask_b32_e64 v70, v70, v57, s[52:53]
	v_cndmask_b32_e64 v70, v70, v58, s[54:55]
	v_cndmask_b32_e64 v70, v70, v59, s[56:57]
	v_cmp_eq_u32_e64 s[58:59], 12, v91
	v_cmp_eq_u32_e64 s[60:61], 13, v91
	v_cmp_eq_u32_e64 s[62:63], 14, v91
	v_cndmask_b32_e64 v70, v70, v60, s[58:59]
	v_cndmask_b32_e64 v70, v70, v61, s[60:61]
	v_cndmask_b32_e64 v70, v70, v62, s[62:63]
	v_cmp_eq_u32_e64 s[66:67], 15, v91
	s_mul_i32 s6, s99, s21
	s_ashr_i32 s7, s6, 31
	v_cndmask_b32_e64 v70, v70, v63, s[66:67]
	ds_bpermute_b32 v70, v107, v70
	s_lshl_b64 s[6:7], s[6:7], 1
	v_cmp_eq_u32_e64 s[36:37], 0, v91
	s_add_u32 s70, s76, s6
	v_cmp_eq_u32_e32 vcc, 1, v92
	s_waitcnt lgkmcnt(0)
	v_cndmask_b32_e64 v63, v63, v70, s[66:67]
	v_cndmask_b32_e64 v62, v62, v70, s[62:63]
	;; [unrolled: 1-line block ×16, first 2 shown]
	s_addc_u32 s71, s77, s7
	v_cndmask_b32_e32 v48, v70, v79, vcc
	v_cmp_eq_u32_e64 s[6:7], 2, v92
	v_cmp_eq_u32_e64 s[8:9], 3, v92
	v_cmp_eq_u32_e64 s[10:11], 4, v92
	v_cndmask_b32_e64 v48, v48, v78, s[6:7]
	v_cndmask_b32_e64 v48, v48, v77, s[8:9]
	v_cndmask_b32_e64 v48, v48, v76, s[10:11]
	v_cmp_eq_u32_e64 s[12:13], 5, v92
	v_cmp_eq_u32_e64 s[14:15], 6, v92
	v_cmp_eq_u32_e64 s[16:17], 7, v92
	v_cndmask_b32_e64 v48, v48, v75, s[12:13]
	v_cndmask_b32_e64 v48, v48, v74, s[14:15]
	v_cndmask_b32_e64 v48, v48, v73, s[16:17]
	;; [unrolled: 6-line block ×4, first 2 shown]
	v_cmp_eq_u32_e64 s[34:35], 14, v92
	v_cmp_eq_u32_e64 s[38:39], 15, v92
	s_ashr_i32 s1, s0, 31
	v_cndmask_b32_e64 v48, v48, v62, s[34:35]
	v_cndmask_b32_e64 v48, v48, v63, s[38:39]
	ds_bpermute_b32 v71, v107, v48
	s_lshl_b64 s[68:69], s[0:1], 1
	s_add_u32 s68, s70, s68
	s_addc_u32 s69, s71, s69
	v_writelane_b32 v127, s68, 28
	v_or_b32_e32 v48, 32, v88
	s_waitcnt lgkmcnt(0)
	v_cndmask_b32_e64 v55, v57, v71, s[76:77]
	v_writelane_b32 v127, s69, 29
	v_cndmask_b32_e64 v57, v73, v71, s[16:17]
	v_cmp_le_i32_e64 s[68:69], s5, v48
	v_or_b32_e32 v73, 64, v88
	v_cndmask_b32_e64 v49, v63, v71, s[38:39]
	v_cndmask_b32_e64 v48, 0, v109, s[68:69]
	v_cmp_le_i32_e64 s[68:69], s5, v73
	v_or_b32_e32 v73, 0x60, v88
	v_cndmask_b32_e64 v54, v58, v71, s[78:79]
	v_cndmask_b32_e64 v58, v74, v71, s[14:15]
	;; [unrolled: 1-line block ×3, first 2 shown]
	v_cmp_le_i32_e64 s[70:71], s5, v73
	v_cmp_eq_u32_e64 s[68:69], 0, v92
	v_pk_mul_f32 v[32:33], v[48:49], v[32:33] op_sel_hi:[0,1]
	v_pk_mul_f32 v[30:31], v[74:75], v[30:31] op_sel_hi:[0,1]
	;; [unrolled: 1-line block ×9, first 2 shown]
	v_cndmask_b32_e64 v74, 0, v109, s[70:71]
	v_cndmask_b32_e64 v50, v62, v71, s[34:35]
	v_cndmask_b32_e64 v51, v61, v71, s[28:29]
	v_cndmask_b32_e64 v52, v60, v71, s[82:83]
	v_cndmask_b32_e64 v53, v59, v71, s[80:81]
	v_cndmask_b32_e64 v56, v56, v71, s[18:19]
	v_cndmask_b32_e64 v59, v75, v71, s[12:13]
	v_cndmask_b32_e64 v60, v76, v71, s[10:11]
	v_cndmask_b32_e64 v61, v77, v71, s[8:9]
	v_cndmask_b32_e64 v62, v78, v71, s[6:7]
	v_cndmask_b32_e32 v63, v79, v71, vcc
	v_cndmask_b32_e64 v70, v70, v71, s[68:69]
	v_pk_mul_f32 v[46:47], v[48:49], v[46:47] op_sel_hi:[0,1]
	v_pk_mul_f32 v[44:45], v[48:49], v[44:45] op_sel_hi:[0,1]
	;; [unrolled: 1-line block ×7, first 2 shown]
	v_cndmask_b32_e64 v48, v32, v33, s[64:65]
	v_cndmask_b32_e64 v71, v16, v17, s[64:65]
	v_pk_mul_f32 v[0:1], v[74:75], v[0:1] op_sel_hi:[0,1]
	v_cndmask_b32_e64 v48, v48, v34, s[30:31]
	v_cndmask_b32_e64 v71, v71, v18, s[30:31]
	v_pk_mul_f32 v[14:15], v[74:75], v[14:15] op_sel_hi:[0,1]
	v_pk_mul_f32 v[12:13], v[74:75], v[12:13] op_sel_hi:[0,1]
	;; [unrolled: 1-line block ×7, first 2 shown]
	v_cndmask_b32_e64 v74, v0, v1, s[64:65]
	v_cndmask_b32_e64 v48, v48, v35, s[40:41]
	;; [unrolled: 1-line block ×40, first 2 shown]
	ds_bpermute_b32 v48, v107, v48
	ds_bpermute_b32 v71, v107, v71
	v_cndmask_b32_e64 v74, v74, v15, s[66:67]
	ds_bpermute_b32 v74, v107, v74
	v_cmp_eq_u32_e64 s[70:71], 1, v93
	s_waitcnt lgkmcnt(2)
	v_cndmask_b32_e64 v33, v33, v48, s[64:65]
	s_waitcnt lgkmcnt(1)
	v_cndmask_b32_e64 v17, v17, v71, s[64:65]
	v_cndmask_b32_e64 v73, v70, v63, s[70:71]
	v_cmp_eq_u32_e64 s[64:65], 2, v93
	v_cndmask_b32_e64 v47, v47, v48, s[66:67]
	v_cndmask_b32_e64 v31, v31, v71, s[66:67]
	;; [unrolled: 1-line block ×3, first 2 shown]
	s_waitcnt lgkmcnt(0)
	v_cndmask_b32_e64 v15, v15, v74, s[66:67]
	v_cmp_eq_u32_e64 s[66:67], 3, v93
	v_cndmask_b32_e64 v46, v46, v48, s[62:63]
	v_cndmask_b32_e64 v30, v30, v71, s[62:63]
	v_cndmask_b32_e64 v73, v73, v61, s[66:67]
	v_cndmask_b32_e64 v14, v14, v74, s[62:63]
	v_cmp_eq_u32_e64 s[62:63], 4, v93
	v_cndmask_b32_e64 v45, v45, v48, s[60:61]
	v_cndmask_b32_e64 v29, v29, v71, s[60:61]
	v_cndmask_b32_e64 v73, v73, v60, s[62:63]
	;; [unrolled: 5-line block ×4, first 2 shown]
	v_cndmask_b32_e64 v11, v11, v74, s[56:57]
	v_cmp_eq_u32_e64 s[56:57], 7, v93
	v_cmp_eq_u32_e64 s[72:73], 8, v93
	v_cndmask_b32_e64 v41, v41, v48, s[52:53]
	v_cndmask_b32_e64 v73, v73, v57, s[56:57]
	;; [unrolled: 1-line block ×5, first 2 shown]
	v_cmp_eq_u32_e64 s[52:53], 9, v93
	v_cndmask_b32_e64 v40, v40, v48, s[50:51]
	v_cndmask_b32_e64 v24, v24, v71, s[50:51]
	v_cndmask_b32_e64 v73, v73, v55, s[52:53]
	v_cndmask_b32_e64 v8, v8, v74, s[50:51]
	v_cmp_eq_u32_e64 s[50:51], 10, v93
	v_cndmask_b32_e64 v42, v42, v48, s[54:55]
	v_cndmask_b32_e64 v26, v26, v71, s[54:55]
	v_cndmask_b32_e64 v10, v10, v74, s[54:55]
	v_cndmask_b32_e64 v73, v73, v54, s[50:51]
	;; [unrolled: 5-line block ×3, first 2 shown]
	v_cmp_eq_u32_e64 s[48:49], 12, v93
	v_cmp_eq_u32_e64 s[74:75], 13, v93
	v_cndmask_b32_e64 v36, v36, v48, s[42:43]
	v_cndmask_b32_e64 v73, v73, v52, s[48:49]
	;; [unrolled: 1-line block ×5, first 2 shown]
	v_cmp_eq_u32_e64 s[42:43], 14, v93
	v_cndmask_b32_e64 v37, v37, v48, s[44:45]
	v_cndmask_b32_e64 v21, v21, v71, s[44:45]
	;; [unrolled: 1-line block ×4, first 2 shown]
	v_cmp_eq_u32_e64 s[44:45], 15, v93
	v_cndmask_b32_e64 v34, v34, v48, s[30:31]
	v_cndmask_b32_e64 v18, v18, v71, s[30:31]
	;; [unrolled: 1-line block ×3, first 2 shown]
	ds_bpermute_b32 v73, v107, v73
	v_cndmask_b32_e64 v2, v2, v74, s[30:31]
	v_cmp_ne_u32_e64 s[30:31], 0, v91
	v_cndmask_b32_e64 v32, v32, v48, s[36:37]
	v_cndmask_b32_e64 v38, v38, v48, s[46:47]
	;; [unrolled: 1-line block ×6, first 2 shown]
	v_cmp_eq_u32_e64 s[40:41], 0, v93
	v_cndmask_b32_e32 v48, v32, v33, vcc
	v_cndmask_b32_e64 v0, v0, v74, s[36:37]
	s_waitcnt lgkmcnt(0)
	v_cndmask_b32_e64 v49, v49, v73, s[44:45]
	v_cndmask_b32_e64 v50, v50, v73, s[42:43]
	;; [unrolled: 1-line block ×17, first 2 shown]
	v_cndmask_b32_e32 v73, v0, v1, vcc
	v_cndmask_b32_e64 v48, v48, v35, s[8:9]
	v_cndmask_b32_e64 v73, v73, v2, s[6:7]
	;; [unrolled: 1-line block ×22, first 2 shown]
	v_cndmask_b32_e32 v71, v16, v17, vcc
	v_cndmask_b32_e64 v73, v73, v11, s[80:81]
	v_cndmask_b32_e64 v48, v48, v45, s[28:29]
	;; [unrolled: 1-line block ×10, first 2 shown]
	ds_bpermute_b32 v48, v107, v48
	v_cndmask_b32_e64 v71, v71, v21, s[12:13]
	v_cndmask_b32_e64 v73, v73, v15, s[38:39]
	;; [unrolled: 1-line block ×3, first 2 shown]
	ds_bpermute_b32 v73, v107, v73
	v_cndmask_b32_e64 v71, v71, v23, s[16:17]
	v_cndmask_b32_e64 v71, v71, v24, s[18:19]
	;; [unrolled: 1-line block ×4, first 2 shown]
	s_waitcnt lgkmcnt(1)
	v_cndmask_b32_e32 v33, v33, v48, vcc
	v_cndmask_b32_e64 v32, v32, v48, s[68:69]
	v_cndmask_b32_e64 v71, v71, v27, s[80:81]
	;; [unrolled: 1-line block ×16, first 2 shown]
	s_waitcnt lgkmcnt(0)
	v_cndmask_b32_e32 v1, v1, v73, vcc
	v_cndmask_b32_e64 v48, v32, v33, s[70:71]
	v_cndmask_b32_e64 v0, v0, v73, s[68:69]
	;; [unrolled: 1-line block ×28, first 2 shown]
	ds_bpermute_b32 v71, v107, v71
	v_cndmask_b32_e64 v48, v48, v38, s[58:59]
	v_cndmask_b32_e64 v73, v73, v5, s[60:61]
	;; [unrolled: 1-line block ×8, first 2 shown]
	v_cmp_eq_u32_e64 s[30:31], 1, v94
	v_cndmask_b32_e64 v48, v48, v42, s[50:51]
	v_cndmask_b32_e64 v73, v73, v9, s[52:53]
	;; [unrolled: 1-line block ×3, first 2 shown]
	v_cmp_eq_u32_e64 s[36:37], 2, v94
	s_waitcnt lgkmcnt(0)
	v_cndmask_b32_e32 v17, v17, v71, vcc
	v_cndmask_b32_e64 v48, v48, v43, s[54:55]
	v_cndmask_b32_e64 v16, v16, v71, s[68:69]
	;; [unrolled: 1-line block ×6, first 2 shown]
	v_cmp_eq_u32_e64 s[38:39], 3, v94
	v_cndmask_b32_e64 v29, v29, v71, s[28:29]
	v_cndmask_b32_e64 v28, v28, v71, s[82:83]
	;; [unrolled: 1-line block ×16, first 2 shown]
	v_cmp_eq_u32_e64 s[28:29], 4, v94
	v_cndmask_b32_e64 v48, v48, v45, s[74:75]
	v_cndmask_b32_e64 v71, v71, v18, s[64:65]
	v_cndmask_b32_e64 v73, v73, v12, s[48:49]
	v_cndmask_b32_e64 v74, v74, v60, s[28:29]
	v_cmp_eq_u32_e64 s[84:85], 5, v94
	v_cndmask_b32_e64 v48, v48, v46, s[42:43]
	v_cndmask_b32_e64 v71, v71, v19, s[66:67]
	v_cndmask_b32_e64 v73, v73, v13, s[74:75]
	v_cndmask_b32_e64 v74, v74, v59, s[84:85]
	;; [unrolled: 5-line block ×3, first 2 shown]
	v_cmp_eq_u32_e64 s[88:89], 7, v94
	ds_bpermute_b32 v48, v107, v48
	v_cndmask_b32_e64 v71, v71, v21, s[60:61]
	v_cndmask_b32_e64 v73, v73, v15, s[44:45]
	;; [unrolled: 1-line block ×3, first 2 shown]
	v_cmp_eq_u32_e64 s[92:93], 8, v94
	v_cndmask_b32_e64 v71, v71, v22, s[58:59]
	ds_bpermute_b32 v73, v107, v73
	v_cndmask_b32_e64 v74, v74, v56, s[92:93]
	v_cmp_eq_u32_e64 s[18:19], 9, v94
	v_cndmask_b32_e64 v71, v71, v23, s[56:57]
	v_cmp_eq_u32_e64 s[16:17], 10, v94
	v_cndmask_b32_e64 v74, v74, v55, s[18:19]
	v_cndmask_b32_e64 v71, v71, v24, s[72:73]
	;; [unrolled: 1-line block ×3, first 2 shown]
	v_cmp_eq_u32_e64 s[14:15], 11, v94
	v_cndmask_b32_e64 v71, v71, v25, s[52:53]
	v_cmp_eq_u32_e64 s[12:13], 12, v94
	v_cndmask_b32_e64 v74, v74, v53, s[14:15]
	v_cndmask_b32_e64 v71, v71, v26, s[50:51]
	s_waitcnt lgkmcnt(1)
	v_cndmask_b32_e64 v33, v33, v48, s[70:71]
	v_cndmask_b32_e64 v32, v32, v48, s[40:41]
	;; [unrolled: 1-line block ×3, first 2 shown]
	v_cmp_eq_u32_e64 s[76:77], 13, v94
	v_cndmask_b32_e64 v71, v71, v27, s[54:55]
	v_cndmask_b32_e64 v47, v47, v48, s[44:45]
	;; [unrolled: 1-line block ×15, first 2 shown]
	s_waitcnt lgkmcnt(0)
	v_cndmask_b32_e64 v1, v1, v73, s[70:71]
	v_cndmask_b32_e64 v48, v32, v33, s[30:31]
	;; [unrolled: 1-line block ×4, first 2 shown]
	v_cmp_eq_u32_e64 s[10:11], 14, v94
	v_cndmask_b32_e64 v71, v71, v28, s[48:49]
	v_cndmask_b32_e64 v15, v15, v73, s[44:45]
	;; [unrolled: 1-line block ×18, first 2 shown]
	v_cmp_eq_u32_e64 s[6:7], 15, v94
	v_cndmask_b32_e64 v71, v71, v29, s[74:75]
	v_cndmask_b32_e64 v48, v48, v35, s[38:39]
	;; [unrolled: 1-line block ×7, first 2 shown]
	ds_bpermute_b32 v74, v107, v74
	v_cndmask_b32_e64 v71, v71, v31, s[44:45]
	v_cndmask_b32_e64 v48, v48, v37, s[84:85]
	v_cndmask_b32_e64 v73, v73, v4, s[28:29]
	ds_bpermute_b32 v71, v107, v71
	v_cndmask_b32_e64 v48, v48, v38, s[80:81]
	v_cndmask_b32_e64 v73, v73, v5, s[84:85]
	v_cndmask_b32_e64 v48, v48, v39, s[88:89]
	v_cndmask_b32_e64 v73, v73, v6, s[80:81]
	v_cndmask_b32_e64 v48, v48, v40, s[92:93]
	v_cndmask_b32_e64 v73, v73, v7, s[88:89]
	v_cmp_eq_u32_e64 s[8:9], 0, v94
	v_cndmask_b32_e64 v48, v48, v41, s[18:19]
	v_cndmask_b32_e64 v73, v73, v8, s[92:93]
	s_waitcnt lgkmcnt(1)
	v_cndmask_b32_e64 v63, v63, v74, s[30:31]
	v_cndmask_b32_e64 v70, v70, v74, s[8:9]
	v_cmp_eq_u32_e64 s[34:35], 1, v95
	v_cndmask_b32_e64 v48, v48, v42, s[16:17]
	v_cndmask_b32_e64 v73, v73, v9, s[18:19]
	;; [unrolled: 1-line block ×17, first 2 shown]
	s_waitcnt lgkmcnt(0)
	v_cndmask_b32_e64 v31, v31, v71, s[44:45]
	v_cmp_eq_u32_e64 s[44:45], 2, v95
	v_cndmask_b32_e64 v17, v17, v71, s[70:71]
	v_cndmask_b32_e64 v48, v48, v43, s[14:15]
	;; [unrolled: 1-line block ×6, first 2 shown]
	v_cmp_eq_u32_e64 s[46:47], 3, v95
	v_cndmask_b32_e64 v29, v29, v71, s[74:75]
	v_cndmask_b32_e64 v28, v28, v71, s[48:49]
	;; [unrolled: 1-line block ×16, first 2 shown]
	v_cmp_eq_u32_e64 s[42:43], 4, v95
	v_cndmask_b32_e64 v48, v48, v45, s[76:77]
	v_cndmask_b32_e64 v71, v71, v18, s[36:37]
	v_cndmask_b32_e64 v73, v73, v12, s[12:13]
	v_cndmask_b32_e64 v74, v74, v60, s[42:43]
	v_cmp_eq_u32_e64 s[48:49], 5, v95
	v_cndmask_b32_e64 v48, v48, v46, s[10:11]
	v_cndmask_b32_e64 v71, v71, v19, s[38:39]
	v_cndmask_b32_e64 v73, v73, v13, s[76:77]
	v_cndmask_b32_e64 v74, v74, v59, s[48:49]
	;; [unrolled: 5-line block ×3, first 2 shown]
	v_cmp_eq_u32_e64 s[68:69], 7, v95
	ds_bpermute_b32 v48, v107, v48
	v_cndmask_b32_e64 v71, v71, v21, s[84:85]
	v_cndmask_b32_e64 v73, v73, v15, s[6:7]
	;; [unrolled: 1-line block ×3, first 2 shown]
	v_cmp_eq_u32_e64 s[74:75], 8, v95
	v_cndmask_b32_e64 v71, v71, v22, s[80:81]
	ds_bpermute_b32 v73, v107, v73
	v_cndmask_b32_e64 v74, v74, v56, s[74:75]
	v_cmp_eq_u32_e64 s[72:73], 9, v95
	v_cndmask_b32_e64 v71, v71, v23, s[88:89]
	v_cmp_eq_u32_e64 s[56:57], 10, v95
	v_cndmask_b32_e64 v74, v74, v55, s[72:73]
	v_cndmask_b32_e64 v71, v71, v24, s[92:93]
	;; [unrolled: 1-line block ×3, first 2 shown]
	v_cmp_eq_u32_e64 s[78:79], 11, v95
	v_cndmask_b32_e64 v71, v71, v25, s[18:19]
	v_cmp_eq_u32_e64 s[60:61], 12, v95
	v_cndmask_b32_e64 v74, v74, v53, s[78:79]
	v_cndmask_b32_e64 v71, v71, v26, s[16:17]
	s_waitcnt lgkmcnt(1)
	v_cndmask_b32_e64 v33, v33, v48, s[30:31]
	v_cndmask_b32_e64 v32, v32, v48, s[8:9]
	v_cndmask_b32_e64 v74, v74, v52, s[60:61]
	v_cmp_eq_u32_e64 s[82:83], 13, v95
	v_cndmask_b32_e64 v71, v71, v27, s[14:15]
	v_cndmask_b32_e64 v34, v34, v48, s[36:37]
	s_waitcnt lgkmcnt(0)
	v_cndmask_b32_e64 v76, v1, v73, s[30:31]
	v_cndmask_b32_e64 v1, v32, v33, s[34:35]
	;; [unrolled: 1-line block ×3, first 2 shown]
	v_cmp_eq_u32_e64 s[86:87], 14, v95
	v_cndmask_b32_e64 v71, v71, v28, s[12:13]
	v_cndmask_b32_e64 v35, v35, v48, s[38:39]
	;; [unrolled: 1-line block ×4, first 2 shown]
	v_cmp_eq_u32_e64 s[90:91], 15, v95
	v_cndmask_b32_e64 v71, v71, v29, s[76:77]
	v_cndmask_b32_e64 v36, v36, v48, s[28:29]
	;; [unrolled: 1-line block ×7, first 2 shown]
	ds_bpermute_b32 v74, v107, v74
	v_cndmask_b32_e64 v71, v71, v31, s[6:7]
	v_cndmask_b32_e64 v38, v38, v48, s[80:81]
	;; [unrolled: 1-line block ×3, first 2 shown]
	ds_bpermute_b32 v71, v107, v71
	v_cndmask_b32_e64 v39, v39, v48, s[88:89]
	v_cndmask_b32_e64 v1, v1, v38, s[54:55]
	;; [unrolled: 1-line block ×6, first 2 shown]
	v_cmp_eq_u32_e64 s[50:51], 0, v95
	v_cndmask_b32_e64 v42, v42, v48, s[16:17]
	v_cndmask_b32_e64 v1, v1, v41, s[72:73]
	s_waitcnt lgkmcnt(1)
	v_cndmask_b32_e64 v63, v63, v74, s[34:35]
	v_cndmask_b32_e64 v70, v70, v74, s[50:51]
	v_cmp_eq_u32_e32 vcc, 1, v96
	v_cndmask_b32_e64 v43, v43, v48, s[14:15]
	v_cndmask_b32_e64 v1, v1, v42, s[56:57]
	;; [unrolled: 1-line block ×16, first 2 shown]
	v_cndmask_b32_e32 v74, v70, v63, vcc
	v_cndmask_b32_e64 v47, v47, v48, s[6:7]
	s_waitcnt lgkmcnt(0)
	v_cndmask_b32_e64 v31, v31, v71, s[6:7]
	v_cndmask_b32_e64 v15, v15, v73, s[6:7]
	v_cmp_eq_u32_e64 s[6:7], 2, v96
	v_cndmask_b32_e64 v44, v44, v48, s[12:13]
	v_cndmask_b32_e64 v1, v1, v43, s[78:79]
	;; [unrolled: 1-line block ×6, first 2 shown]
	v_cmp_eq_u32_e64 s[10:11], 3, v96
	v_cndmask_b32_e64 v45, v45, v48, s[76:77]
	v_cndmask_b32_e64 v1, v1, v44, s[60:61]
	;; [unrolled: 1-line block ×3, first 2 shown]
	v_cmp_eq_u32_e64 s[40:41], 4, v96
	v_cndmask_b32_e64 v1, v1, v45, s[82:83]
	v_cmp_eq_u32_e64 s[52:53], 5, v96
	v_cndmask_b32_e64 v74, v74, v60, s[40:41]
	v_cndmask_b32_e64 v1, v1, v46, s[86:87]
	v_cndmask_b32_e64 v13, v13, v73, s[76:77]
	v_cndmask_b32_e64 v12, v12, v73, s[12:13]
	v_cndmask_b32_e64 v74, v74, v59, s[52:53]
	v_cndmask_b32_e64 v11, v11, v73, s[14:15]
	v_cmp_eq_u32_e64 s[58:59], 6, v96
	v_cndmask_b32_e64 v10, v10, v73, s[16:17]
	v_cndmask_b32_e64 v9, v9, v73, s[18:19]
	;; [unrolled: 1-line block ×14, first 2 shown]
	v_cmp_eq_u32_e64 s[62:63], 7, v96
	v_cndmask_b32_e64 v18, v18, v71, s[36:37]
	ds_bpermute_b32 v48, v107, v1
	v_cndmask_b32_e64 v1, v16, v75, s[34:35]
	v_cndmask_b32_e64 v0, v73, v76, s[34:35]
	;; [unrolled: 1-line block ×3, first 2 shown]
	v_cmp_eq_u32_e64 s[70:71], 8, v96
	v_cndmask_b32_e64 v19, v19, v71, s[38:39]
	v_cndmask_b32_e64 v1, v1, v18, s[44:45]
	v_cndmask_b32_e64 v0, v0, v2, s[44:45]
	v_cndmask_b32_e64 v29, v29, v71, s[76:77]
	v_cndmask_b32_e64 v74, v74, v56, s[70:71]
	v_cmp_eq_u32_e64 s[76:77], 9, v96
	v_cndmask_b32_e64 v20, v20, v71, s[28:29]
	v_cndmask_b32_e64 v1, v1, v19, s[46:47]
	;; [unrolled: 1-line block ×4, first 2 shown]
	v_cmp_eq_u32_e64 s[66:67], 10, v96
	v_cndmask_b32_e64 v21, v21, v71, s[84:85]
	v_cndmask_b32_e64 v1, v1, v20, s[42:43]
	;; [unrolled: 1-line block ×5, first 2 shown]
	v_cmp_eq_u32_e64 s[64:65], 11, v96
	v_cndmask_b32_e64 v1, v1, v21, s[48:49]
	v_cndmask_b32_e64 v0, v0, v5, s[48:49]
	v_cndmask_b32_e64 v23, v23, v71, s[88:89]
	v_cndmask_b32_e64 v74, v74, v53, s[64:65]
	v_cmp_eq_u32_e64 s[80:81], 12, v96
	v_cndmask_b32_e64 v1, v1, v22, s[54:55]
	v_cndmask_b32_e64 v0, v0, v6, s[54:55]
	v_cndmask_b32_e64 v24, v24, v71, s[92:93]
	v_cndmask_b32_e64 v74, v74, v52, s[80:81]
	;; [unrolled: 5-line block ×5, first 2 shown]
	v_cndmask_b32_e64 v1, v1, v26, s[56:57]
	v_cndmask_b32_e64 v0, v0, v10, s[56:57]
	;; [unrolled: 1-line block ×3, first 2 shown]
	ds_bpermute_b32 v74, v107, v74
	v_cndmask_b32_e64 v1, v1, v27, s[78:79]
	v_cndmask_b32_e64 v0, v0, v11, s[78:79]
	;; [unrolled: 1-line block ×8, first 2 shown]
	v_cmp_eq_u32_e64 s[94:95], 0, v96
	v_cndmask_b32_e64 v1, v1, v31, s[90:91]
	v_cndmask_b32_e64 v0, v0, v15, s[90:91]
	s_waitcnt lgkmcnt(0)
	v_cndmask_b32_e64 v49, v49, v74, s[92:93]
	v_cndmask_b32_e64 v50, v50, v74, s[88:89]
	;; [unrolled: 1-line block ×14, first 2 shown]
	v_cndmask_b32_e32 v63, v63, v74, vcc
	v_cndmask_b32_e64 v70, v70, v74, s[94:95]
	ds_bpermute_b32 v71, v107, v1
	ds_bpermute_b32 v74, v107, v0
	v_cndmask_b32_e64 v101, v35, v48, s[46:47]
	v_cndmask_b32_e64 v126, v36, v48, s[42:43]
	;; [unrolled: 1-line block ×3, first 2 shown]
	s_waitcnt lgkmcnt(1)
	v_cndmask_b32_e64 v81, v29, v71, s[82:83]
	s_waitcnt lgkmcnt(0)
	v_cndmask_b32_e64 v84, v12, v74, s[60:61]
	v_cndmask_b32_e64 v12, v33, v48, s[34:35]
	;; [unrolled: 1-line block ×7, first 2 shown]
	v_cndmask_b32_e32 v19, v29, v12, vcc
	v_cndmask_b32_e64 v19, v19, v4, s[6:7]
	v_cndmask_b32_e64 v19, v19, v101, s[10:11]
	;; [unrolled: 1-line block ×30, first 2 shown]
	ds_bpermute_b32 v30, v107, v19
	v_cndmask_b32_e32 v19, v16, v13, vcc
	v_cndmask_b32_e64 v19, v19, v5, s[6:7]
	v_cndmask_b32_e64 v99, v20, v71, s[42:43]
	;; [unrolled: 1-line block ×15, first 2 shown]
	v_cmp_eq_u32_e64 s[8:9], 1, v97
	v_cndmask_b32_e64 v85, v27, v71, s[78:79]
	v_cndmask_b32_e64 v19, v19, v110, s[66:67]
	;; [unrolled: 1-line block ×3, first 2 shown]
	v_cmp_eq_u32_e64 s[12:13], 2, v97
	v_cndmask_b32_e64 v83, v28, v71, s[60:61]
	v_cndmask_b32_e64 v19, v19, v85, s[64:65]
	;; [unrolled: 1-line block ×3, first 2 shown]
	v_cmp_eq_u32_e64 s[14:15], 3, v97
	v_cndmask_b32_e64 v19, v19, v83, s[80:81]
	v_cmp_eq_u32_e64 s[16:17], 4, v97
	v_cndmask_b32_e64 v0, v0, v61, s[14:15]
	v_cndmask_b32_e64 v19, v19, v81, s[84:85]
	v_cndmask_b32_e64 v77, v31, v71, s[90:91]
	v_cndmask_b32_e64 v0, v0, v60, s[16:17]
	v_cmp_eq_u32_e64 s[18:19], 5, v97
	v_cndmask_b32_e64 v19, v19, v79, s[88:89]
	v_cndmask_b32_e64 v80, v14, v74, s[86:87]
	v_cndmask_b32_e64 v0, v0, v59, s[18:19]
	;; [unrolled: 5-line block ×3, first 2 shown]
	v_cndmask_b32_e64 v0, v0, v58, s[78:79]
	v_cmp_eq_u32_e64 s[82:83], 7, v97
	v_cndmask_b32_e64 v122, v6, v74, s[54:55]
	v_cndmask_b32_e64 v6, v2, v74, s[44:45]
	ds_bpermute_b32 v20, v107, v19
	v_cndmask_b32_e32 v19, v21, v14, vcc
	v_cndmask_b32_e64 v0, v0, v57, s[82:83]
	v_cndmask_b32_e64 v113, v9, v74, s[72:73]
	v_cmp_eq_u32_e64 s[72:73], 8, v97
	v_cndmask_b32_e64 v3, v3, v74, s[46:47]
	v_cndmask_b32_e64 v19, v19, v6, s[6:7]
	;; [unrolled: 1-line block ×3, first 2 shown]
	v_cmp_eq_u32_e64 s[28:29], 9, v97
	v_cndmask_b32_e64 v19, v19, v3, s[10:11]
	v_cmp_eq_u32_e64 s[30:31], 10, v97
	v_cndmask_b32_e64 v0, v0, v55, s[28:29]
	v_cndmask_b32_e64 v19, v19, v100, s[40:41]
	v_cndmask_b32_e64 v0, v0, v54, s[30:31]
	v_cmp_eq_u32_e64 s[36:37], 11, v97
	v_cndmask_b32_e64 v19, v19, v125, s[52:53]
	v_cndmask_b32_e64 v119, v7, v74, s[68:69]
	;; [unrolled: 4-line block ×3, first 2 shown]
	v_cndmask_b32_e64 v0, v0, v52, s[38:39]
	v_cmp_eq_u32_e64 s[42:43], 13, v97
	v_cndmask_b32_e64 v19, v19, v119, s[62:63]
	v_cmp_eq_u32_e64 s[46:47], 14, v97
	v_cndmask_b32_e64 v0, v0, v51, s[42:43]
	v_cndmask_b32_e64 v19, v19, v116, s[70:71]
	;; [unrolled: 1-line block ×4, first 2 shown]
	v_cmp_eq_u32_e64 s[44:45], 15, v97
	v_cndmask_b32_e64 v19, v19, v113, s[76:77]
	v_cndmask_b32_e64 v19, v19, v111, s[66:67]
	;; [unrolled: 1-line block ×3, first 2 shown]
	ds_bpermute_b32 v0, v107, v0
	v_cndmask_b32_e64 v19, v19, v109, s[64:65]
	v_cndmask_b32_e64 v19, v19, v84, s[80:81]
	;; [unrolled: 1-line block ×4, first 2 shown]
	v_cmp_eq_u32_e64 s[34:35], 0, v97
	v_cndmask_b32_e64 v19, v19, v78, s[92:93]
	s_waitcnt lgkmcnt(0)
	v_cndmask_b32_e64 v7, v49, v0, s[44:45]
	v_cndmask_b32_e64 v8, v50, v0, s[46:47]
	;; [unrolled: 1-line block ×16, first 2 shown]
	ds_bpermute_b32 v28, v107, v19
	v_cmp_eq_u32_e64 s[48:49], 1, v98
	v_cmp_eq_u32_e64 s[50:51], 2, v98
	;; [unrolled: 1-line block ×3, first 2 shown]
	v_cndmask_b32_e64 v33, v0, v18, s[48:49]
	v_cndmask_b32_e64 v34, v33, v17, s[50:51]
	;; [unrolled: 1-line block ×3, first 2 shown]
	v_cmp_eq_u32_e64 s[56:57], 4, v98
	v_cmp_eq_u32_e64 s[60:61], 5, v98
	v_cndmask_b32_e64 v57, v43, v30, s[64:65]
	v_cndmask_b32_e64 v39, v35, v1, s[56:57]
	;; [unrolled: 1-line block ×4, first 2 shown]
	s_waitcnt lgkmcnt(0)
	v_cndmask_b32_e64 v48, v109, v28, s[64:65]
	v_cmp_eq_u32_e64 s[64:65], 6, v98
	v_cndmask_b32_e64 v58, v42, v30, s[66:67]
	v_cndmask_b32_e64 v49, v111, v28, s[66:67]
	;; [unrolled: 1-line block ×4, first 2 shown]
	v_cmp_eq_u32_e64 s[66:67], 7, v98
	v_cmp_eq_u32_e64 s[68:69], 8, v98
	v_cndmask_b32_e64 v60, v114, v30, s[70:71]
	v_cndmask_b32_e64 v42, v43, v25, s[66:67]
	v_cndmask_b32_e64 v43, v42, v24, s[68:69]
	v_cndmask_b32_e64 v42, v115, v20, s[70:71]
	v_cndmask_b32_e64 v51, v116, v28, s[70:71]
	v_cmp_eq_u32_e64 s[70:71], 9, v98
	v_cndmask_b32_e64 v56, v44, v30, s[80:81]
	v_cndmask_b32_e64 v61, v117, v30, s[62:63]
	v_cndmask_b32_e64 v44, v43, v23, s[70:71]
	v_cndmask_b32_e64 v43, v118, v20, s[62:63]
	v_cndmask_b32_e64 v52, v119, v28, s[62:63]
	;; [unrolled: 6-line block ×3, first 2 shown]
	v_cndmask_b32_e64 v53, v122, v28, s[58:59]
	v_cmp_eq_u32_e64 s[58:59], 11, v98
	v_cndmask_b32_e64 v63, v123, v30, s[52:53]
	v_cndmask_b32_e64 v54, v125, v28, s[52:53]
	v_cndmask_b32_e64 v55, v45, v11, s[58:59]
	v_cndmask_b32_e64 v45, v124, v20, s[52:53]
	v_cmp_eq_u32_e64 s[52:53], 12, v98
	v_cndmask_b32_e64 v71, v126, v30, s[40:41]
	v_cndmask_b32_e64 v73, v99, v20, s[40:41]
	v_cndmask_b32_e64 v70, v55, v10, s[52:53]
	;; [unrolled: 5-line block ×4, first 2 shown]
	v_cndmask_b32_e64 v70, v4, v30, s[6:7]
	v_cndmask_b32_e64 v77, v5, v20, s[6:7]
	;; [unrolled: 1-line block ×3, first 2 shown]
	v_cmp_eq_u32_e64 s[6:7], 15, v98
	v_cndmask_b32_e64 v36, v79, v20, s[88:89]
	v_cndmask_b32_e64 v33, v80, v28, s[88:89]
	;; [unrolled: 1-line block ×3, first 2 shown]
	ds_bpermute_b32 v79, v107, v3
	v_cndmask_b32_e32 v80, v12, v30, vcc
	v_cndmask_b32_e64 v59, v41, v30, s[76:77]
	v_cndmask_b32_e64 v46, v46, v30, s[88:89]
	;; [unrolled: 1-line block ×3, first 2 shown]
	s_waitcnt lgkmcnt(0)
	v_cndmask_b32_e64 v12, v10, v79, s[52:53]
	v_cndmask_b32_e64 v10, v22, v79, s[62:63]
	;; [unrolled: 1-line block ×18, first 2 shown]
	v_cndmask_b32_e32 v81, v13, v20, vcc
	v_cndmask_b32_e64 v13, v9, v79, s[40:41]
	v_cndmask_b32_e64 v9, v23, v79, s[70:71]
	ds_bpermute_b32 v23, v107, v3
	v_cndmask_b32_e64 v34, v82, v28, s[84:85]
	v_cndmask_b32_e32 v82, v14, v28, vcc
	v_cndmask_b32_e64 v14, v8, v79, s[10:11]
	v_cndmask_b32_e64 v8, v24, v79, s[68:69]
	;; [unrolled: 1-line block ×4, first 2 shown]
	s_waitcnt lgkmcnt(0)
	v_cndmask_b32_e64 v18, v46, v23, s[46:47]
	v_cndmask_b32_e64 v24, v47, v23, s[42:43]
	;; [unrolled: 1-line block ×36, first 2 shown]
	ds_bpermute_b32 v71, v107, v22
	v_cndmask_b32_e64 v16, v16, v20, s[94:95]
	v_cndmask_b32_e64 v41, v112, v20, s[76:77]
	;; [unrolled: 1-line block ×3, first 2 shown]
	v_cmp_eq_u32_e32 vcc, 0, v98
	s_waitcnt lgkmcnt(0)
	v_cndmask_b32_e64 v31, v17, v71, s[6:7]
	v_cndmask_b32_e64 v17, v16, v81, s[8:9]
	;; [unrolled: 1-line block ×16, first 2 shown]
	ds_bpermute_b32 v17, v107, v17
	v_cndmask_b32_e64 v11, v11, v79, s[58:59]
	v_cndmask_b32_e64 v5, v27, v79, s[60:61]
	v_cndmask_b32_e32 v0, v0, v79, vcc
	v_cndmask_b32_e64 v20, v60, v71, s[56:57]
	s_waitcnt lgkmcnt(0)
	v_cndmask_b32_e64 v60, v73, v17, s[16:17]
	v_cndmask_b32_e64 v73, v75, v17, s[14:15]
	;; [unrolled: 1-line block ×39, first 2 shown]
	ds_bpermute_b32 v80, v107, v16
	v_cndmask_b32_e64 v35, v84, v28, s[80:81]
	v_cndmask_b32_e64 v50, v113, v28, s[76:77]
	;; [unrolled: 1-line block ×4, first 2 shown]
	s_waitcnt lgkmcnt(0)
	v_cndmask_b32_e64 v47, v46, v80, s[6:7]
	v_cndmask_b32_e64 v46, v36, v80, s[10:11]
	v_cndmask_b32_e64 v36, v74, v82, s[8:9]
	v_cndmask_b32_e64 v36, v36, v78, s[12:13]
	v_cndmask_b32_e64 v36, v36, v76, s[14:15]
	v_cndmask_b32_e64 v36, v36, v55, s[16:17]
	v_cndmask_b32_e64 v36, v36, v54, s[18:19]
	v_cndmask_b32_e64 v36, v36, v53, s[78:79]
	v_cndmask_b32_e64 v36, v36, v52, s[82:83]
	v_cndmask_b32_e64 v36, v36, v51, s[72:73]
	v_cndmask_b32_e64 v36, v36, v50, s[28:29]
	v_cndmask_b32_e64 v36, v36, v49, s[30:31]
	v_cndmask_b32_e64 v36, v36, v48, s[36:37]
	v_cndmask_b32_e64 v36, v36, v35, s[38:39]
	v_cndmask_b32_e64 v36, v36, v34, s[42:43]
	v_cndmask_b32_e64 v36, v36, v33, s[46:47]
	v_cndmask_b32_e64 v36, v36, v32, s[44:45]
	v_cndmask_b32_e64 v42, v40, v80, s[62:63]
	v_cndmask_b32_e64 v40, v56, v80, s[68:69]
	ds_bpermute_b32 v56, v107, v36
	v_cndmask_b32_e64 v43, v39, v80, s[58:59]
	v_cndmask_b32_e64 v39, v57, v80, s[66:67]
	;; [unrolled: 1-line block ×4, first 2 shown]
	s_waitcnt lgkmcnt(0)
	v_cndmask_b32_e64 v81, v82, v56, s[8:9]
	v_cndmask_b32_e64 v74, v74, v56, s[34:35]
	;; [unrolled: 1-line block ×9, first 2 shown]
	v_cndmask_b32_e32 v16, v70, v71, vcc
	v_cndmask_b32_e64 v71, v55, v56, s[16:17]
	v_cndmask_b32_e64 v32, v32, v76, s[54:55]
	;; [unrolled: 1-line block ×29, first 2 shown]
	ds_bpermute_b32 v82, v107, v32
	v_cndmask_b32_e64 v33, v77, v80, s[48:49]
	v_readlane_b32 s18, v127, 10
	v_readlane_b32 s28, v127, 12
	;; [unrolled: 1-line block ×3, first 2 shown]
	s_waitcnt lgkmcnt(0)
	v_cndmask_b32_e64 v63, v57, v82, s[6:7]
	v_readlane_b32 s6, v127, 28
	v_cndmask_b32_e64 v62, v58, v82, s[10:11]
	v_cndmask_b32_e64 v58, v49, v82, s[62:63]
	;; [unrolled: 1-line block ×3, first 2 shown]
	v_readlane_b32 s7, v127, 29
	v_readlane_b32 s46, v127, 25
	;; [unrolled: 1-line block ×3, first 2 shown]
	v_subrev_u32_e32 v108, s4, v108
	s_mov_b32 s1, 0
	v_cndmask_b32_e64 v41, v41, v80, s[70:71]
	v_cndmask_b32_e64 v35, v73, v80, s[54:55]
	;; [unrolled: 1-line block ×3, first 2 shown]
	v_cndmask_b32_e32 v32, v79, v80, vcc
	v_cndmask_b32_e64 v61, v59, v82, s[40:41]
	v_cndmask_b32_e64 v60, v60, v82, s[52:53]
	;; [unrolled: 1-line block ×11, first 2 shown]
	v_cndmask_b32_e32 v48, v74, v82, vcc
	v_lshl_add_u64 v[70:71], s[6:7], 0, v[64:65]
	s_mov_b64 s[6:7], 0
	s_mov_b32 s5, 0
	v_readlane_b32 s19, v127, 11
	v_readlane_b32 s29, v127, 13
	;; [unrolled: 1-line block ×9, first 2 shown]
	s_mov_b64 s[40:41], 0x80
	s_mov_b64 s[42:43], 0xc0
	v_readlane_b32 s44, v127, 27
	v_readlane_b32 s47, v127, 26
	;; [unrolled: 1-line block ×3, first 2 shown]
                                        ; implicit-def: $sgpr8_sgpr9
	s_branch .LBB209_32
.LBB209_30:                             ;   in Loop: Header=BB209_32 Depth=2
	s_or_b64 exec, exec, s[12:13]
	s_andn2_b64 s[8:9], s[8:9], exec
	s_and_b64 s[12:13], s[14:15], exec
	s_or_b64 s[8:9], s[8:9], s[12:13]
.LBB209_31:                             ;   in Loop: Header=BB209_32 Depth=2
	s_or_b64 exec, exec, s[10:11]
	s_and_b64 s[10:11], exec, s[8:9]
	s_or_b64 s[6:7], s[10:11], s[6:7]
	s_andn2_b64 exec, exec, s[6:7]
	s_cbranch_execz .LBB209_35
.LBB209_32:                             ;   Parent Loop BB209_7 Depth=1
                                        ; =>  This Inner Loop Header: Depth=2
	s_and_b32 s12, s1, 24
	v_or_b32_e32 v73, s12, v105
	v_add_u32_e32 v74, s96, v73
	v_cmp_gt_u32_e32 vcc, 32, v74
	s_or_b64 s[8:9], s[8:9], exec
	s_and_saveexec_b64 s[10:11], vcc
	s_cbranch_execz .LBB209_31
; %bb.33:                               ;   in Loop: Header=BB209_32 Depth=2
	s_add_i32 s13, s5, 1
	s_set_gpr_idx_on s5, gpr_idx(SRC0)
	v_mov_b32_e32 v74, v0
	s_set_gpr_idx_off
	v_cvt_f16_f32_e32 v76, v74
	s_set_gpr_idx_on s13, gpr_idx(SRC0)
	v_mov_b32_e32 v74, v0
	s_set_gpr_idx_off
	v_cvt_f16_f32_sdwa v77, v74 dst_sel:WORD_1 dst_unused:UNUSED_PAD src0_sel:DWORD
	v_mul_lo_u32 v74, v73, s21
	v_ashrrev_i32_e32 v75, 31, v74
	v_lshl_add_u64 v[74:75], v[74:75], 1, v[70:71]
	v_or_b32_e32 v73, v77, v76
	;;#ASMSTART
	global_atomic_pk_add_f16 v[74:75], v73, off
	
	;;#ASMEND
	s_set_gpr_idx_on s5, gpr_idx(SRC0)
	v_mov_b32_e32 v73, v16
	s_set_gpr_idx_off
	v_cvt_f16_f32_e32 v73, v73
	s_set_gpr_idx_on s13, gpr_idx(SRC0)
	v_mov_b32_e32 v76, v16
	s_set_gpr_idx_off
	v_cvt_f16_f32_sdwa v78, v76 dst_sel:WORD_1 dst_unused:UNUSED_PAD src0_sel:DWORD
	v_lshl_add_u64 v[76:77], v[74:75], 0, 64
	s_mov_b64 s[14:15], -1
	v_or_b32_e32 v73, v78, v73
	;;#ASMSTART
	global_atomic_pk_add_f16 v[76:77], v73, off
	
	;;#ASMEND
	s_set_gpr_idx_on s5, gpr_idx(SRC0)
	v_mov_b32_e32 v73, v32
	s_set_gpr_idx_off
	v_cvt_f16_f32_e32 v73, v73
	s_set_gpr_idx_on s13, gpr_idx(SRC0)
	v_mov_b32_e32 v76, v32
	s_set_gpr_idx_off
	v_cvt_f16_f32_sdwa v78, v76 dst_sel:WORD_1 dst_unused:UNUSED_PAD src0_sel:DWORD
	v_lshl_add_u64 v[76:77], v[74:75], 0, s[40:41]
	v_lshl_add_u64 v[74:75], v[74:75], 0, s[42:43]
	v_or_b32_e32 v73, v78, v73
	;;#ASMSTART
	global_atomic_pk_add_f16 v[76:77], v73, off
	
	;;#ASMEND
	s_set_gpr_idx_on s5, gpr_idx(SRC0)
	v_mov_b32_e32 v73, v48
	s_set_gpr_idx_off
	v_cvt_f16_f32_e32 v73, v73
	s_set_gpr_idx_on s13, gpr_idx(SRC0)
	v_mov_b32_e32 v76, v48
	s_set_gpr_idx_off
	v_cvt_f16_f32_sdwa v76, v76 dst_sel:WORD_1 dst_unused:UNUSED_PAD src0_sel:DWORD
	s_nop 0
	v_or_b32_e32 v73, v76, v73
	;;#ASMSTART
	global_atomic_pk_add_f16 v[74:75], v73, off
	
	;;#ASMEND
	v_or_b32_e32 v73, s12, v106
	v_add_u32_e32 v74, s96, v73
	v_cmp_gt_u32_e32 vcc, 32, v74
	s_and_saveexec_b64 s[12:13], vcc
	s_cbranch_execz .LBB209_30
; %bb.34:                               ;   in Loop: Header=BB209_32 Depth=2
	s_add_i32 s14, s5, 2
	s_add_i32 s15, s5, 3
	s_set_gpr_idx_on s14, gpr_idx(SRC0)
	v_mov_b32_e32 v74, v0
	s_set_gpr_idx_off
	v_cvt_f16_f32_e32 v76, v74
	s_set_gpr_idx_on s15, gpr_idx(SRC0)
	v_mov_b32_e32 v74, v0
	s_set_gpr_idx_off
	v_cvt_f16_f32_sdwa v77, v74 dst_sel:WORD_1 dst_unused:UNUSED_PAD src0_sel:DWORD
	v_mul_lo_u32 v74, v73, s21
	v_ashrrev_i32_e32 v75, 31, v74
	v_lshl_add_u64 v[74:75], v[74:75], 1, v[70:71]
	v_or_b32_e32 v73, v77, v76
	;;#ASMSTART
	global_atomic_pk_add_f16 v[74:75], v73, off
	
	;;#ASMEND
	s_set_gpr_idx_on s14, gpr_idx(SRC0)
	v_mov_b32_e32 v73, v16
	s_set_gpr_idx_off
	v_cvt_f16_f32_e32 v73, v73
	s_set_gpr_idx_on s15, gpr_idx(SRC0)
	v_mov_b32_e32 v76, v16
	s_set_gpr_idx_off
	v_cvt_f16_f32_sdwa v78, v76 dst_sel:WORD_1 dst_unused:UNUSED_PAD src0_sel:DWORD
	v_lshl_add_u64 v[76:77], v[74:75], 0, 64
	s_add_i32 s5, s5, 4
	s_add_i32 s1, s1, 8
	v_or_b32_e32 v73, v78, v73
	;;#ASMSTART
	global_atomic_pk_add_f16 v[76:77], v73, off
	
	;;#ASMEND
	s_set_gpr_idx_on s14, gpr_idx(SRC0)
	v_mov_b32_e32 v73, v32
	s_set_gpr_idx_off
	v_cvt_f16_f32_e32 v73, v73
	s_set_gpr_idx_on s15, gpr_idx(SRC0)
	v_mov_b32_e32 v76, v32
	s_set_gpr_idx_off
	v_cvt_f16_f32_sdwa v78, v76 dst_sel:WORD_1 dst_unused:UNUSED_PAD src0_sel:DWORD
	v_lshl_add_u64 v[76:77], v[74:75], 0, s[40:41]
	s_cmp_eq_u32 s5, 16
	v_lshl_add_u64 v[74:75], v[74:75], 0, s[42:43]
	v_or_b32_e32 v73, v78, v73
	;;#ASMSTART
	global_atomic_pk_add_f16 v[76:77], v73, off
	
	;;#ASMEND
	s_set_gpr_idx_on s14, gpr_idx(SRC0)
	v_mov_b32_e32 v73, v48
	s_set_gpr_idx_off
	v_cvt_f16_f32_e32 v73, v73
	s_set_gpr_idx_on s15, gpr_idx(SRC0)
	v_mov_b32_e32 v76, v48
	s_set_gpr_idx_off
	v_cvt_f16_f32_sdwa v76, v76 dst_sel:WORD_1 dst_unused:UNUSED_PAD src0_sel:DWORD
	s_cselect_b64 s[14:15], -1, 0
	s_orn2_b64 s[14:15], s[14:15], exec
	v_or_b32_e32 v73, v76, v73
	;;#ASMSTART
	global_atomic_pk_add_f16 v[74:75], v73, off
	
	;;#ASMEND
	s_branch .LBB209_30
.LBB209_35:                             ;   in Loop: Header=BB209_7 Depth=1
	s_or_b64 exec, exec, s[6:7]
	v_readlane_b32 s72, v127, 2
	v_readlane_b32 s12, v127, 0
	;; [unrolled: 1-line block ×11, first 2 shown]
.LBB209_36:                             ;   in Loop: Header=BB209_7 Depth=1
	s_or_b64 exec, exec, s[48:49]
.LBB209_37:                             ;   in Loop: Header=BB209_7 Depth=1
	s_andn2_saveexec_b64 s[2:3], s[2:3]
	s_cbranch_execz .LBB209_46
; %bb.38:                               ;   in Loop: Header=BB209_7 Depth=1
	s_lshl_b32 s5, s4, 2
	v_cmp_gt_i32_e32 vcc, s5, v108
	s_and_saveexec_b64 s[6:7], vcc
	s_cbranch_execz .LBB209_45
; %bb.39:                               ;   in Loop: Header=BB209_7 Depth=1
	s_mul_i32 s0, s0, s23
	s_ashr_i32 s1, s0, 31
	s_add_u32 s0, s74, s0
	s_addc_u32 s1, s75, s1
	s_ashr_i32 s8, s44, 31
	s_add_u32 s0, s0, s44
	s_addc_u32 s1, s1, s8
	v_lshl_add_u64 v[0:1], s[0:1], 0, v[68:69]
	v_lshl_add_u64 v[16:17], v[0:1], 0, v[66:67]
	s_mov_b64 s[0:1], 0
	s_branch .LBB209_41
.LBB209_40:                             ;   in Loop: Header=BB209_41 Depth=2
	s_or_b64 exec, exec, s[8:9]
	v_lshl_or_b32 v20, v18, 12, v102
	;;#ASMSTART
	s_waitcnt vmcnt(3)
	;;#ASMEND
	ds_write2_b32 v20, v12, v13 offset1:32
	ds_write2_b32 v20, v14, v15 offset0:64 offset1:96
	v_add_u32_e32 v12, 0x400, v20
	;;#ASMSTART
	s_waitcnt vmcnt(2)
	;;#ASMEND
	ds_write2_b32 v12, v8, v9 offset1:32
	ds_write2_b32 v12, v10, v11 offset0:64 offset1:96
	v_add_u32_e32 v8, 0x800, v20
	;; [unrolled: 6-line block ×3, first 2 shown]
	v_add_u32_e32 v108, s26, v108
	;;#ASMSTART
	s_waitcnt vmcnt(0)
	;;#ASMEND
	ds_write2_b32 v4, v0, v1 offset1:32
	ds_write2_b32 v4, v2, v3 offset0:64 offset1:96
	v_add_u32_e32 v0, 1, v87
	v_add_u32_e32 v72, s26, v18
	v_cmp_le_i32_e32 vcc, s5, v108
	ds_write_b32 v19, v0 offset:16
	v_add_u32_e32 v0, 2, v87
	s_or_b64 s[0:1], vcc, s[0:1]
	v_cmp_lt_i32_e32 vcc, 7, v72
	s_nop 1
	v_cndmask_b32_e32 v87, v87, v0, vcc
	s_andn2_b64 exec, exec, s[0:1]
	s_cbranch_execz .LBB209_44
.LBB209_41:                             ;   Parent Loop BB209_7 Depth=1
                                        ; =>  This Loop Header: Depth=2
                                        ;       Child Loop BB209_43 Depth 3
	v_cmp_gt_i32_e32 vcc, 8, v72
	s_nop 1
	v_cndmask_b32_e64 v0, -8, 0, vcc
	v_add_u32_e32 v18, v0, v72
	v_ashrrev_i32_e32 v0, 31, v108
	v_lshrrev_b32_e32 v0, 30, v0
	v_add_u32_e32 v0, v108, v0
	v_and_b32_e32 v1, -4, v0
	v_lshlrev_b32_e32 v0, 5, v0
	v_sub_u32_e32 v2, v108, v1
	v_and_b32_e32 v0, 0xffffff80, v0
	v_ashrrev_i32_e32 v1, 31, v0
	v_mul_lo_u32 v2, s24, v2
	v_lshl_add_u64 v[0:1], v[16:17], 0, v[0:1]
	v_ashrrev_i32_e32 v3, 31, v2
	v_lshl_add_u64 v[0:1], v[0:1], 0, v[2:3]
	v_lshlrev_b32_e32 v19, 2, v18
	;;#ASMSTART
	global_load_dwordx4 v[12:15], v[0:1], off offset:0   sc0 sc1 nt  
	global_load_dwordx4 v[8:11], v[0:1], off offset:32  sc0 sc1 nt  
	global_load_dwordx4 v[4:7], v[0:1], off offset:64  sc0 sc1 nt  
	global_load_dwordx4 v[0:3], v[0:1], off offset:96  sc0 sc1 nt  
	
	;;#ASMEND
	ds_read_b32 v20, v19 offset:49168
	v_add_u32_e32 v19, 0xc000, v19
	s_waitcnt lgkmcnt(0)
	v_cmp_ne_u32_e32 vcc, v20, v87
	s_and_saveexec_b64 s[8:9], vcc
	s_cbranch_execz .LBB209_40
; %bb.42:                               ;   in Loop: Header=BB209_41 Depth=2
	s_mov_b64 s[10:11], 0
.LBB209_43:                             ;   Parent Loop BB209_7 Depth=1
                                        ;     Parent Loop BB209_41 Depth=2
                                        ; =>    This Inner Loop Header: Depth=3
	;;#ASMSTART
	s_sleep 0
	;;#ASMEND
	ds_read_b32 v20, v19 offset:16
	s_waitcnt lgkmcnt(0)
	v_cmp_eq_u32_e32 vcc, v20, v87
	s_or_b64 s[10:11], vcc, s[10:11]
	s_andn2_b64 exec, exec, s[10:11]
	s_cbranch_execnz .LBB209_43
	s_branch .LBB209_40
.LBB209_44:                             ;   in Loop: Header=BB209_7 Depth=1
	s_or_b64 exec, exec, s[0:1]
.LBB209_45:                             ;   in Loop: Header=BB209_7 Depth=1
	s_or_b64 exec, exec, s[6:7]
	v_subrev_u32_e32 v108, s5, v108
.LBB209_46:                             ;   in Loop: Header=BB209_7 Depth=1
	s_or_b64 exec, exec, s[2:3]
.LBB209_47:                             ;   in Loop: Header=BB209_7 Depth=1
	s_andn2_saveexec_b64 s[0:1], s[46:47]
	s_cbranch_execz .LBB209_6
; %bb.48:                               ;   in Loop: Header=BB209_7 Depth=1
	s_lshl_b32 s10, s4, 1
	v_cmp_gt_i32_e32 vcc, s10, v108
	s_and_saveexec_b64 s[2:3], vcc
	s_cbranch_execz .LBB209_5
; %bb.49:                               ;   in Loop: Header=BB209_7 Depth=1
	s_mul_i32 s99, s99, s22
	s_ashr_i32 s4, s99, 31
	s_add_u32 s5, s72, s99
	v_add_u32_e32 v2, s96, v88
	s_addc_u32 s6, s73, s4
	s_ashr_i32 s7, s44, 31
	v_cmp_gt_u32_e32 vcc, 64, v2
	s_add_u32 s4, s5, s44
	s_addc_u32 s5, s6, s7
	v_cndmask_b32_e32 v0, 0, v103, vcc
	v_ashrrev_i32_e32 v1, 31, v0
	v_lshl_add_u64 v[0:1], s[4:5], 0, v[0:1]
	v_lshl_add_u64 v[16:17], v[0:1], 0, v[66:67]
	v_sub_u32_e32 v18, 63, v2
	s_mov_b64 s[4:5], 0
	s_branch .LBB209_51
.LBB209_50:                             ;   in Loop: Header=BB209_51 Depth=2
	s_or_b64 exec, exec, s[6:7]
	v_lshl_add_u32 v21, v19, 12, v104
	;;#ASMSTART
	s_waitcnt vmcnt(3)
	;;#ASMEND
	ds_write2_b32 v21, v12, v13 offset1:32
	ds_write2_b32 v21, v14, v15 offset0:64 offset1:96
	v_add_u32_e32 v12, 0x400, v21
	;;#ASMSTART
	s_waitcnt vmcnt(2)
	;;#ASMEND
	ds_write2_b32 v12, v8, v9 offset1:32
	ds_write2_b32 v12, v10, v11 offset0:64 offset1:96
	v_add_u32_e32 v8, 0x800, v21
	;; [unrolled: 6-line block ×3, first 2 shown]
	v_add_u32_e32 v108, s25, v108
	;;#ASMSTART
	s_waitcnt vmcnt(0)
	;;#ASMEND
	ds_write2_b32 v4, v0, v1 offset1:32
	ds_write2_b32 v4, v2, v3 offset0:64 offset1:96
	v_add_u32_e32 v0, 1, v87
	v_add_u32_e32 v72, s25, v19
	v_cmp_le_i32_e32 vcc, s10, v108
	ds_write_b32 v20, v0
	v_add_u32_e32 v0, 2, v87
	s_or_b64 s[4:5], vcc, s[4:5]
	v_cmp_lt_i32_e32 vcc, 3, v72
	s_nop 1
	v_cndmask_b32_e32 v87, v87, v0, vcc
	s_andn2_b64 exec, exec, s[4:5]
	s_cbranch_execz .LBB209_4
.LBB209_51:                             ;   Parent Loop BB209_7 Depth=1
                                        ; =>  This Loop Header: Depth=2
                                        ;       Child Loop BB209_53 Depth 3
	v_cmp_gt_i32_e32 vcc, 4, v72
	s_nop 1
	v_cndmask_b32_e64 v0, -4, 0, vcc
	v_add_u32_e32 v19, v0, v72
	v_lshrrev_b32_e32 v0, 31, v108
	v_add_u32_e32 v0, v108, v0
	v_and_b32_e32 v1, 0x7fffffe, v0
	v_sub_u32_e32 v1, v108, v1
	v_lshlrev_b32_e32 v1, 5, v1
	v_cmp_le_i32_e32 vcc, v1, v18
	v_lshlrev_b32_e32 v0, 6, v0
	v_and_b32_e32 v0, 0xffffff80, v0
	v_cndmask_b32_e32 v2, 0, v1, vcc
	v_ashrrev_i32_e32 v1, 31, v0
	v_mul_lo_u32 v2, v2, s22
	v_lshl_add_u64 v[0:1], v[16:17], 0, v[0:1]
	v_ashrrev_i32_e32 v3, 31, v2
	v_lshl_add_u64 v[0:1], v[0:1], 0, v[2:3]
	v_lshlrev_b32_e32 v20, 2, v19
	;;#ASMSTART
	global_load_dwordx4 v[12:15], v[0:1], off offset:0   
	global_load_dwordx4 v[8:11], v[0:1], off offset:32  
	global_load_dwordx4 v[4:7], v[0:1], off offset:64  
	global_load_dwordx4 v[0:3], v[0:1], off offset:96  
	
	;;#ASMEND
	ds_read_b32 v21, v20 offset:49152
	v_add_u32_e32 v20, 0xc000, v20
	s_waitcnt lgkmcnt(0)
	v_cmp_ne_u32_e32 vcc, v21, v87
	s_and_saveexec_b64 s[6:7], vcc
	s_cbranch_execz .LBB209_50
; %bb.52:                               ;   in Loop: Header=BB209_51 Depth=2
	s_mov_b64 s[8:9], 0
.LBB209_53:                             ;   Parent Loop BB209_7 Depth=1
                                        ;     Parent Loop BB209_51 Depth=2
                                        ; =>    This Inner Loop Header: Depth=3
	;;#ASMSTART
	s_sleep 0
	;;#ASMEND
	ds_read_b32 v21, v20
	s_waitcnt lgkmcnt(0)
	v_cmp_eq_u32_e32 vcc, v21, v87
	s_or_b64 s[8:9], vcc, s[8:9]
	s_andn2_b64 exec, exec, s[8:9]
	s_cbranch_execnz .LBB209_53
	s_branch .LBB209_50
.LBB209_54:
	s_endpgm
	.section	.rodata,"a",@progbits
	.p2align	6, 0x0
	.amdhsa_kernel _Z19_skinny_gemm_kernelILi2ELi4ELi2ELi32ELi8EEvPKhS1_P6__halfPKfiiiiiiii
		.amdhsa_group_segment_fixed_size 49200
		.amdhsa_private_segment_fixed_size 0
		.amdhsa_kernarg_size 64
		.amdhsa_user_sgpr_count 2
		.amdhsa_user_sgpr_dispatch_ptr 0
		.amdhsa_user_sgpr_queue_ptr 0
		.amdhsa_user_sgpr_kernarg_segment_ptr 1
		.amdhsa_user_sgpr_dispatch_id 0
		.amdhsa_user_sgpr_kernarg_preload_length 0
		.amdhsa_user_sgpr_kernarg_preload_offset 0
		.amdhsa_user_sgpr_private_segment_size 0
		.amdhsa_uses_dynamic_stack 0
		.amdhsa_enable_private_segment 0
		.amdhsa_system_sgpr_workgroup_id_x 1
		.amdhsa_system_sgpr_workgroup_id_y 0
		.amdhsa_system_sgpr_workgroup_id_z 0
		.amdhsa_system_sgpr_workgroup_info 0
		.amdhsa_system_vgpr_workitem_id 0
		.amdhsa_next_free_vgpr 128
		.amdhsa_next_free_sgpr 100
		.amdhsa_accum_offset 128
		.amdhsa_reserve_vcc 1
		.amdhsa_float_round_mode_32 0
		.amdhsa_float_round_mode_16_64 0
		.amdhsa_float_denorm_mode_32 3
		.amdhsa_float_denorm_mode_16_64 3
		.amdhsa_dx10_clamp 1
		.amdhsa_ieee_mode 1
		.amdhsa_fp16_overflow 0
		.amdhsa_tg_split 0
		.amdhsa_exception_fp_ieee_invalid_op 0
		.amdhsa_exception_fp_denorm_src 0
		.amdhsa_exception_fp_ieee_div_zero 0
		.amdhsa_exception_fp_ieee_overflow 0
		.amdhsa_exception_fp_ieee_underflow 0
		.amdhsa_exception_fp_ieee_inexact 0
		.amdhsa_exception_int_div_zero 0
	.end_amdhsa_kernel
	.section	.text._Z19_skinny_gemm_kernelILi2ELi4ELi2ELi32ELi8EEvPKhS1_P6__halfPKfiiiiiiii,"axG",@progbits,_Z19_skinny_gemm_kernelILi2ELi4ELi2ELi32ELi8EEvPKhS1_P6__halfPKfiiiiiiii,comdat
.Lfunc_end209:
	.size	_Z19_skinny_gemm_kernelILi2ELi4ELi2ELi32ELi8EEvPKhS1_P6__halfPKfiiiiiiii, .Lfunc_end209-_Z19_skinny_gemm_kernelILi2ELi4ELi2ELi32ELi8EEvPKhS1_P6__halfPKfiiiiiiii
                                        ; -- End function
	.set _Z19_skinny_gemm_kernelILi2ELi4ELi2ELi32ELi8EEvPKhS1_P6__halfPKfiiiiiiii.num_vgpr, 128
	.set _Z19_skinny_gemm_kernelILi2ELi4ELi2ELi32ELi8EEvPKhS1_P6__halfPKfiiiiiiii.num_agpr, 0
	.set _Z19_skinny_gemm_kernelILi2ELi4ELi2ELi32ELi8EEvPKhS1_P6__halfPKfiiiiiiii.numbered_sgpr, 100
	.set _Z19_skinny_gemm_kernelILi2ELi4ELi2ELi32ELi8EEvPKhS1_P6__halfPKfiiiiiiii.num_named_barrier, 0
	.set _Z19_skinny_gemm_kernelILi2ELi4ELi2ELi32ELi8EEvPKhS1_P6__halfPKfiiiiiiii.private_seg_size, 0
	.set _Z19_skinny_gemm_kernelILi2ELi4ELi2ELi32ELi8EEvPKhS1_P6__halfPKfiiiiiiii.uses_vcc, 1
	.set _Z19_skinny_gemm_kernelILi2ELi4ELi2ELi32ELi8EEvPKhS1_P6__halfPKfiiiiiiii.uses_flat_scratch, 0
	.set _Z19_skinny_gemm_kernelILi2ELi4ELi2ELi32ELi8EEvPKhS1_P6__halfPKfiiiiiiii.has_dyn_sized_stack, 0
	.set _Z19_skinny_gemm_kernelILi2ELi4ELi2ELi32ELi8EEvPKhS1_P6__halfPKfiiiiiiii.has_recursion, 0
	.set _Z19_skinny_gemm_kernelILi2ELi4ELi2ELi32ELi8EEvPKhS1_P6__halfPKfiiiiiiii.has_indirect_call, 0
	.section	.AMDGPU.csdata,"",@progbits
; Kernel info:
; codeLenInByte = 14804
; TotalNumSgprs: 106
; NumVgprs: 128
; NumAgprs: 0
; TotalNumVgprs: 128
; ScratchSize: 0
; MemoryBound: 0
; FloatMode: 240
; IeeeMode: 1
; LDSByteSize: 49200 bytes/workgroup (compile time only)
; SGPRBlocks: 13
; VGPRBlocks: 15
; NumSGPRsForWavesPerEU: 106
; NumVGPRsForWavesPerEU: 128
; AccumOffset: 128
; Occupancy: 4
; WaveLimiterHint : 0
; COMPUTE_PGM_RSRC2:SCRATCH_EN: 0
; COMPUTE_PGM_RSRC2:USER_SGPR: 2
; COMPUTE_PGM_RSRC2:TRAP_HANDLER: 0
; COMPUTE_PGM_RSRC2:TGID_X_EN: 1
; COMPUTE_PGM_RSRC2:TGID_Y_EN: 0
; COMPUTE_PGM_RSRC2:TGID_Z_EN: 0
; COMPUTE_PGM_RSRC2:TIDIG_COMP_CNT: 0
; COMPUTE_PGM_RSRC3_GFX90A:ACCUM_OFFSET: 31
; COMPUTE_PGM_RSRC3_GFX90A:TG_SPLIT: 0
	.section	.text._Z19_skinny_gemm_kernelILi2ELi4ELi3ELi16ELi4EEvPKhS1_P6__halfPKfiiiiiiii,"axG",@progbits,_Z19_skinny_gemm_kernelILi2ELi4ELi3ELi16ELi4EEvPKhS1_P6__halfPKfiiiiiiii,comdat
	.protected	_Z19_skinny_gemm_kernelILi2ELi4ELi3ELi16ELi4EEvPKhS1_P6__halfPKfiiiiiiii ; -- Begin function _Z19_skinny_gemm_kernelILi2ELi4ELi3ELi16ELi4EEvPKhS1_P6__halfPKfiiiiiiii
	.globl	_Z19_skinny_gemm_kernelILi2ELi4ELi3ELi16ELi4EEvPKhS1_P6__halfPKfiiiiiiii
	.p2align	8
	.type	_Z19_skinny_gemm_kernelILi2ELi4ELi3ELi16ELi4EEvPKhS1_P6__halfPKfiiiiiiii,@function
_Z19_skinny_gemm_kernelILi2ELi4ELi3ELi16ELi4EEvPKhS1_P6__halfPKfiiiiiiii: ; @_Z19_skinny_gemm_kernelILi2ELi4ELi3ELi16ELi4EEvPKhS1_P6__halfPKfiiiiiiii
; %bb.0:
	v_cmp_gt_u32_e32 vcc, 18, v0
	v_lshlrev_b32_e32 v1, 2, v0
	s_and_saveexec_b64 s[4:5], vcc
; %bb.1:
	v_mov_b32_e32 v2, 0
	ds_write_b32 v1, v2 offset:36864
; %bb.2:
	s_or_b64 exec, exec, s[4:5]
	s_load_dwordx8 s[20:27], s[0:1], 0x20
	s_waitcnt lgkmcnt(0)
	s_barrier
	s_add_i32 s3, s20, 31
	s_ashr_i32 s5, s3, 31
	s_add_i32 s4, s21, 63
	s_lshr_b32 s5, s5, 27
	s_ashr_i32 s6, s4, 31
	s_add_i32 s3, s3, s5
	s_ashr_i32 s33, s3, 5
	s_lshr_b32 s3, s6, 26
	s_add_i32 s4, s4, s3
	s_ashr_i32 s52, s4, 6
	s_mul_i32 s3, s52, s33
	s_mul_i32 s3, s3, s24
	s_add_i32 s4, s3, 0x12f
	s_mul_hi_i32 s4, s4, 0x6bca1af3
	s_lshr_b32 s5, s4, 31
	s_ashr_i32 s4, s4, 7
	s_add_i32 s4, s4, s5
	s_add_i32 s5, s2, 1
	s_mul_i32 s5, s4, s5
	v_cvt_f64_i32_e32 v[2:3], s3
	v_cvt_f64_u32_e32 v[4:5], s5
	v_min_f64 v[2:3], v[2:3], v[4:5]
	v_cvt_i32_f64_e32 v33, v[2:3]
	s_mul_i32 s53, s4, s2
	v_cmp_ge_i32_e32 vcc, s53, v33
	s_cbranch_vccnz .LBB210_56
; %bb.3:
	v_lshrrev_b32_e32 v2, 6, v0
	s_add_i32 s4, s26, s25
	s_load_dwordx8 s[36:43], s[0:1], 0x0
	v_cmp_le_i32_e64 s[0:1], s4, v2
	v_mov_b32_e32 v3, s25
	v_cmp_le_i32_e64 s[2:3], s25, v2
	v_mov_b32_e32 v4, s26
	v_cndmask_b32_e64 v4, 0, v4, s[0:1]
	v_cndmask_b32_e64 v3, 0, v3, s[2:3]
	s_abs_i32 s5, s24
	v_add_u32_e32 v3, v3, v4
	v_cvt_f32_u32_e32 v4, s5
	v_sub_u32_e32 v44, v2, v3
	s_ashr_i32 s6, s22, 31
	s_lshr_b32 s6, s6, 25
	v_rcp_iflag_f32_e32 v3, v4
	s_sub_i32 s9, 0, s5
	s_add_i32 s6, s22, s6
	s_ashr_i32 s6, s6, 7
	v_mul_f32_e32 v3, 0x4f7ffffe, v3
	v_cvt_u32_f32_e32 v3, v3
	s_abs_i32 s8, s6
	s_xor_b32 s7, s6, s24
	s_ashr_i32 s7, s7, 31
	v_readfirstlane_b32 s10, v3
	s_mul_i32 s9, s9, s10
	s_mul_hi_u32 s9, s10, s9
	s_add_i32 s10, s10, s9
	s_mul_hi_u32 s9, s8, s10
	s_mul_i32 s10, s9, s5
	s_sub_i32 s8, s8, s10
	s_add_i32 s10, s9, 1
	s_sub_i32 s11, s8, s5
	s_cmp_ge_u32 s8, s5
	s_cselect_b32 s9, s10, s9
	s_cselect_b32 s8, s11, s8
	s_add_i32 s10, s9, 1
	s_cmp_ge_u32 s8, s5
	s_cselect_b32 s5, s10, s9
	s_xor_b32 s5, s5, s7
	s_sub_i32 s54, s5, s7
	s_add_i32 s24, s24, -1
	s_mul_i32 s5, s54, s24
	s_add_i32 s4, s4, s27
	s_sub_i32 s55, s6, s5
	v_cmp_gt_i32_e64 s[4:5], s4, v2
	v_lshlrev_b32_e32 v2, 1, v0
	v_lshlrev_b32_e32 v3, 4, v0
	v_and_b32_e32 v1, 60, v1
	v_and_b32_e32 v2, 64, v2
	v_and_b32_e32 v4, 0x100, v3
	v_or3_b32 v65, v1, v2, v4
	v_and_b32_e32 v1, 1, v0
	v_lshrrev_b32_e32 v4, 2, v0
	s_abs_i32 s56, s33
	v_and_or_b32 v72, v4, 12, v1
	v_cvt_f32_u32_e32 v4, s56
	v_lshlrev_b32_e32 v2, 1, v1
	v_and_b32_e32 v32, 14, v0
	v_sub_u32_e32 v2, v0, v2
	v_bitop3_b32 v67, v0, 1, v0 bitop3:0xc
	v_bitop3_b32 v68, v0, 3, 1 bitop3:0x6c
	v_and_b32_e32 v38, 48, v3
	v_bfe_u32 v74, v0, 2, 4
	v_and_b32_e32 v1, 60, v0
	v_lshlrev_b32_e32 v3, 8, v0
	v_lshlrev_b32_e32 v0, 6, v0
	v_and_b32_e32 v3, 0x200, v3
	v_and_b32_e32 v0, 64, v0
	v_or3_b32 v75, v1, v3, v0
	v_rcp_iflag_f32_e32 v0, v4
	s_abs_i32 s58, s52
	v_cvt_f32_u32_e32 v1, s58
	v_mad_u64_u32 v[34:35], s[6:7], s21, v72, v[32:33]
	v_mul_f32_e32 v0, 0x4f7ffffe, v0
	v_cvt_u32_f32_e32 v0, v0
	v_rcp_iflag_f32_e32 v1, v1
	s_sub_i32 s6, 0, s56
	v_add_u32_e32 v2, 1, v2
	v_readfirstlane_b32 s7, v0
	v_mul_f32_e32 v0, 0x4f7ffffe, v1
	v_cvt_u32_f32_e32 v0, v0
	s_mul_i32 s6, s6, s7
	s_mul_hi_u32 s6, s7, s6
	s_add_i32 s60, s7, s6
	s_sub_i32 s6, 0, s58
	v_readfirstlane_b32 s7, v0
	v_mbcnt_lo_u32_b32 v0, -1, 0
	v_and_b32_e32 v2, 63, v2
	s_mul_i32 s6, s6, s7
	v_mbcnt_hi_u32_b32 v0, -1, v0
	v_lshl_add_u32 v36, s21, 4, v34
	v_mul_lo_u32 v40, s23, v74
	s_mul_hi_u32 s6, s7, s6
	v_and_or_b32 v0, v0, 64, v2
	v_cndmask_b32_e64 v64, 0, 1, s[0:1]
	v_or_b32_e32 v66, 0x6000, v65
	s_ashr_i32 s29, s21, 31
	s_mov_b32 s28, s21
	v_or_b32_e32 v69, 16, v32
	v_or_b32_e32 v70, 32, v32
	;; [unrolled: 1-line block ×3, first 2 shown]
	v_ashrrev_i32_e32 v35, 31, v34
	v_or_b32_e32 v73, 16, v72
	v_ashrrev_i32_e32 v37, 31, v36
	v_ashrrev_i32_e32 v41, 31, v40
	v_mov_b32_e32 v39, 0
	s_lshl_b32 s57, s23, 4
	v_mul_lo_u32 v76, s22, v74
	v_or_b32_e32 v77, 0x6000, v75
	s_ashr_i32 s59, s33, 31
	s_ashr_i32 s61, s52, 31
	s_add_i32 s62, s7, s6
	s_mov_b64 s[30:31], 0x60
	v_lshlrev_b32_e32 v78, 2, v0
	v_mov_b32_e32 v79, v44
	s_branch .LBB210_7
.LBB210_4:                              ;   in Loop: Header=BB210_7 Depth=1
	s_or_b64 exec, exec, s[10:11]
.LBB210_5:                              ;   in Loop: Header=BB210_7 Depth=1
	s_or_b64 exec, exec, s[8:9]
	v_subrev_u32_e32 v79, s16, v79
.LBB210_6:                              ;   in Loop: Header=BB210_7 Depth=1
	s_or_b64 exec, exec, s[6:7]
	s_add_i32 s53, s53, 1
	v_cmp_ge_i32_e32 vcc, s53, v33
	s_cbranch_vccnz .LBB210_56
.LBB210_7:                              ; =>This Loop Header: Depth=1
                                        ;     Child Loop BB210_13 Depth 2
                                        ;       Child Loop BB210_15 Depth 3
                                        ;       Child Loop BB210_18 Depth 3
	;; [unrolled: 1-line block ×6, first 2 shown]
                                        ;     Child Loop BB210_43 Depth 2
                                        ;       Child Loop BB210_45 Depth 3
                                        ;     Child Loop BB210_53 Depth 2
                                        ;       Child Loop BB210_55 Depth 3
	s_abs_i32 s7, s53
	s_mul_hi_u32 s8, s7, s60
	s_mul_i32 s9, s8, s56
	s_ashr_i32 s6, s53, 31
	s_sub_i32 s7, s7, s9
	s_xor_b32 s6, s6, s59
	s_add_i32 s9, s8, 1
	s_sub_i32 s10, s7, s56
	s_cmp_ge_u32 s7, s56
	s_cselect_b32 s8, s9, s8
	s_cselect_b32 s7, s10, s7
	s_add_i32 s9, s8, 1
	s_cmp_ge_u32 s7, s56
	s_cselect_b32 s7, s9, s8
	s_xor_b32 s7, s7, s6
	s_sub_i32 s6, s7, s6
	s_abs_i32 s8, s6
	s_mul_i32 s7, s6, s33
	s_mul_hi_u32 s9, s8, s62
	s_sub_i32 s7, s53, s7
	s_mul_i32 s10, s9, s58
	s_lshl_b32 s63, s7, 5
	s_ashr_i32 s7, s6, 31
	s_sub_i32 s8, s8, s10
	s_xor_b32 s7, s7, s61
	s_add_i32 s10, s9, 1
	s_sub_i32 s11, s8, s58
	s_cmp_ge_u32 s8, s58
	s_cselect_b32 s9, s10, s9
	s_cselect_b32 s8, s11, s8
	s_add_i32 s10, s9, 1
	s_cmp_ge_u32 s8, s58
	s_cselect_b32 s8, s10, s9
	s_xor_b32 s8, s8, s7
	s_sub_i32 s7, s8, s7
	s_mul_i32 s8, s7, s54
	s_lshl_b32 s64, s8, 7
	s_cmp_eq_u32 s7, s24
	s_cselect_b32 s66, s55, s54
	s_sub_i32 s8, s63, s20
	s_add_i32 s8, s8, 32
	s_max_i32 s65, s8, 0
	s_and_saveexec_b64 s[8:9], s[2:3]
	s_xor_b64 s[34:35], exec, s[8:9]
	s_cbranch_execz .LBB210_49
; %bb.8:                                ;   in Loop: Header=BB210_7 Depth=1
	s_mul_i32 s7, s7, s52
	s_sub_i32 s6, s6, s7
	s_lshl_b32 s6, s6, 6
	s_sub_i32 s45, s6, s21
	s_add_i32 s45, s45, 64
	s_max_i32 s7, s45, 0
	s_sub_i32 s44, s6, s7
	s_and_saveexec_b64 s[6:7], s[0:1]
	s_xor_b64 s[46:47], exec, s[6:7]
	s_cbranch_execz .LBB210_39
; %bb.9:                                ;   in Loop: Header=BB210_7 Depth=1
	s_and_saveexec_b64 s[48:49], s[4:5]
	s_cbranch_execz .LBB210_38
; %bb.10:                               ;   in Loop: Header=BB210_7 Depth=1
	s_waitcnt lgkmcnt(0)
	global_load_dword v80, v39, s[42:43]
	v_mov_b32_e32 v31, 0
	v_cmp_gt_i32_e32 vcc, s66, v79
	v_mov_b32_e32 v30, v31
	v_mov_b32_e32 v29, v31
	;; [unrolled: 1-line block ×31, first 2 shown]
	s_and_saveexec_b64 s[6:7], vcc
	s_cbranch_execz .LBB210_32
; %bb.11:                               ;   in Loop: Header=BB210_7 Depth=1
	v_mov_b32_e32 v4, 0
	s_mov_b64 s[8:9], 0
	v_mov_b32_e32 v5, v4
	v_mov_b32_e32 v6, v4
	;; [unrolled: 1-line block ×31, first 2 shown]
	s_branch .LBB210_13
.LBB210_12:                             ;   in Loop: Header=BB210_13 Depth=2
	s_or_b64 exec, exec, s[10:11]
	v_add_u32_e32 v59, 0x1800, v58
	ds_read2_b32 v[60:61], v59 offset1:32
	v_add_u32_e32 v62, 0x1c00, v58
	v_add_u32_e32 v79, s27, v79
	s_waitcnt lgkmcnt(0)
	v_mfma_f32_16x16x32_fp8_fp8 v[16:19], v[42:43], v[60:61], v[16:19]
	ds_read2_b32 v[42:43], v59 offset0:128 offset1:160
	ds_read2_b32 v[58:59], v62 offset1:32
	v_mfma_f32_16x16x32_fp8_fp8 v[4:7], v[52:53], v[60:61], v[4:7]
	s_waitcnt lgkmcnt(1)
	v_mfma_f32_16x16x32_fp8_fp8 v[16:19], v[44:45], v[42:43], v[16:19]
	v_add_u32_e32 v44, s27, v81
	v_cmp_lt_i32_e32 vcc, 2, v44
	v_mfma_f32_16x16x32_fp8_fp8 v[4:7], v[54:55], v[42:43], v[4:7]
	v_add_u32_e32 v42, 2, v64
	v_cndmask_b32_e32 v64, v64, v42, vcc
	v_cmp_le_i32_e32 vcc, s66, v79
	s_waitcnt lgkmcnt(0)
	v_mfma_f32_16x16x32_fp8_fp8 v[16:19], v[46:47], v[58:59], v[16:19]
	ds_read2_b32 v[46:47], v62 offset0:128 offset1:160
	s_or_b64 s[8:9], vcc, s[8:9]
	;;#ASMSTART
	s_waitcnt lgkmcnt(0)
	;;#ASMEND
	v_mfma_f32_16x16x32_fp8_fp8 v[4:7], v[56:57], v[58:59], v[4:7]
	ds_write_b32 v82, v83 offset:36900
	s_waitcnt lgkmcnt(1)
	v_mfma_f32_16x16x32_fp8_fp8 v[16:19], v[48:49], v[46:47], v[16:19]
	v_mfma_f32_16x16x32_fp8_fp8 v[4:7], v[50:51], v[46:47], v[4:7]
	s_andn2_b64 exec, exec, s[8:9]
	s_cbranch_execz .LBB210_31
.LBB210_13:                             ;   Parent Loop BB210_7 Depth=1
                                        ; =>  This Loop Header: Depth=2
                                        ;       Child Loop BB210_15 Depth 3
                                        ;       Child Loop BB210_18 Depth 3
                                        ;       Child Loop BB210_21 Depth 3
                                        ;       Child Loop BB210_24 Depth 3
                                        ;       Child Loop BB210_27 Depth 3
                                        ;       Child Loop BB210_30 Depth 3
	v_cmp_gt_i32_e32 vcc, 3, v44
	s_nop 1
	v_cndmask_b32_e64 v42, -3, 0, vcc
	v_add_u32_e32 v81, v42, v44
	v_lshlrev_b32_e32 v82, 4, v81
	ds_read_b32 v42, v82 offset:36888
	s_waitcnt lgkmcnt(0)
	v_cmp_ne_u32_e32 vcc, v42, v64
	s_and_saveexec_b64 s[10:11], vcc
	s_cbranch_execz .LBB210_16
; %bb.14:                               ;   in Loop: Header=BB210_13 Depth=2
	s_mov_b64 s[12:13], 0
.LBB210_15:                             ;   Parent Loop BB210_7 Depth=1
                                        ;     Parent Loop BB210_13 Depth=2
                                        ; =>    This Inner Loop Header: Depth=3
	;;#ASMSTART
	s_sleep 0
	;;#ASMEND
	ds_read_b32 v42, v82 offset:36888
	s_waitcnt lgkmcnt(0)
	v_cmp_eq_u32_e32 vcc, v42, v64
	s_or_b64 s[12:13], vcc, s[12:13]
	s_andn2_b64 exec, exec, s[12:13]
	s_cbranch_execnz .LBB210_15
.LBB210_16:                             ;   in Loop: Header=BB210_13 Depth=2
	s_or_b64 exec, exec, s[10:11]
	v_lshlrev_b32_e32 v84, 13, v81
	v_or_b32_e32 v42, v65, v84
	ds_read2_b32 v[50:51], v42 offset1:32
	ds_read2_b32 v[58:59], v42 offset0:128 offset1:160
	v_add_u32_e32 v42, 0x400, v42
	v_add_u32_e32 v83, 1, v64
	ds_read2_b32 v[62:63], v42 offset1:32
	ds_read2_b32 v[60:61], v42 offset0:128 offset1:160
	;;#ASMSTART
	s_waitcnt lgkmcnt(0)
	;;#ASMEND
	ds_write_b32 v82, v83 offset:36888
	v_lshlrev_b32_e32 v85, 3, v81
	ds_read_b32 v42, v85 offset:36864
	s_waitcnt lgkmcnt(0)
	v_cmp_ne_u32_e32 vcc, v42, v64
	s_and_saveexec_b64 s[10:11], vcc
	s_cbranch_execz .LBB210_19
; %bb.17:                               ;   in Loop: Header=BB210_13 Depth=2
	s_mov_b64 s[12:13], 0
.LBB210_18:                             ;   Parent Loop BB210_7 Depth=1
                                        ;     Parent Loop BB210_13 Depth=2
                                        ; =>    This Inner Loop Header: Depth=3
	;;#ASMSTART
	s_sleep 0
	;;#ASMEND
	ds_read_b32 v42, v85 offset:36864
	s_waitcnt lgkmcnt(0)
	v_cmp_eq_u32_e32 vcc, v42, v64
	s_or_b64 s[12:13], vcc, s[12:13]
	s_andn2_b64 exec, exec, s[12:13]
	s_cbranch_execnz .LBB210_18
.LBB210_19:                             ;   in Loop: Header=BB210_13 Depth=2
	s_or_b64 exec, exec, s[10:11]
	v_lshlrev_b32_e32 v42, 12, v81
	v_add_u32_e32 v56, v66, v42
	ds_read2_b32 v[42:43], v56 offset1:32
	ds_read2_b32 v[44:45], v56 offset0:128 offset1:160
	v_add_u32_e32 v48, 0x400, v56
	ds_read2_b32 v[46:47], v48 offset1:32
	ds_read2_b32 v[48:49], v48 offset0:128 offset1:160
	ds_read_b32 v52, v85 offset:36868
	ds_write_b32 v85, v83 offset:36864
	s_waitcnt lgkmcnt(5)
	v_mfma_f32_16x16x32_fp8_fp8 v[28:31], v[42:43], v[50:51], v[28:31]
	s_waitcnt lgkmcnt(1)
	v_cmp_ne_u32_e32 vcc, v52, v64
	v_mfma_f32_16x16x32_fp8_fp8 v[28:31], v[44:45], v[58:59], v[28:31]
	v_mfma_f32_16x16x32_fp8_fp8 v[28:31], v[46:47], v[62:63], v[28:31]
	;; [unrolled: 1-line block ×3, first 2 shown]
	s_and_saveexec_b64 s[10:11], vcc
	s_cbranch_execz .LBB210_22
; %bb.20:                               ;   in Loop: Header=BB210_13 Depth=2
	s_mov_b64 s[12:13], 0
.LBB210_21:                             ;   Parent Loop BB210_7 Depth=1
                                        ;     Parent Loop BB210_13 Depth=2
                                        ; =>    This Inner Loop Header: Depth=3
	;;#ASMSTART
	s_sleep 0
	;;#ASMEND
	ds_read_b32 v52, v85 offset:36868
	s_waitcnt lgkmcnt(0)
	v_cmp_eq_u32_e32 vcc, v52, v64
	s_or_b64 s[12:13], vcc, s[12:13]
	s_andn2_b64 exec, exec, s[12:13]
	s_cbranch_execnz .LBB210_21
.LBB210_22:                             ;   in Loop: Header=BB210_13 Depth=2
	s_or_b64 exec, exec, s[10:11]
	v_add_u32_e32 v54, 0x800, v56
	ds_read2_b32 v[52:53], v54 offset1:32
	ds_read2_b32 v[54:55], v54 offset0:128 offset1:160
	v_add_u32_e32 v86, 0xc00, v56
	ds_read2_b32 v[56:57], v86 offset1:32
	ds_write_b32 v85, v83 offset:36868
	s_waitcnt lgkmcnt(3)
	v_mfma_f32_16x16x32_fp8_fp8 v[12:15], v[52:53], v[50:51], v[12:15]
	ds_read2_b32 v[50:51], v86 offset0:128 offset1:160
	s_waitcnt lgkmcnt(3)
	v_mfma_f32_16x16x32_fp8_fp8 v[12:15], v[54:55], v[58:59], v[12:15]
	ds_read_b32 v58, v82 offset:36892
	s_waitcnt lgkmcnt(0)
	v_cmp_ne_u32_e32 vcc, v58, v64
	v_mfma_f32_16x16x32_fp8_fp8 v[12:15], v[56:57], v[62:63], v[12:15]
	v_mfma_f32_16x16x32_fp8_fp8 v[12:15], v[50:51], v[60:61], v[12:15]
	s_and_saveexec_b64 s[10:11], vcc
	s_cbranch_execz .LBB210_25
; %bb.23:                               ;   in Loop: Header=BB210_13 Depth=2
	s_mov_b64 s[12:13], 0
.LBB210_24:                             ;   Parent Loop BB210_7 Depth=1
                                        ;     Parent Loop BB210_13 Depth=2
                                        ; =>    This Inner Loop Header: Depth=3
	;;#ASMSTART
	s_sleep 0
	;;#ASMEND
	ds_read_b32 v58, v82 offset:36892
	s_waitcnt lgkmcnt(0)
	v_cmp_eq_u32_e32 vcc, v58, v64
	s_or_b64 s[12:13], vcc, s[12:13]
	s_andn2_b64 exec, exec, s[12:13]
	s_cbranch_execnz .LBB210_24
.LBB210_25:                             ;   in Loop: Header=BB210_13 Depth=2
	s_or_b64 exec, exec, s[10:11]
	v_add_u32_e32 v58, v65, v84
	v_add_u32_e32 v59, 0x800, v58
	ds_read2_b32 v[60:61], v59 offset1:32
	s_waitcnt lgkmcnt(0)
	v_mfma_f32_16x16x32_fp8_fp8 v[24:27], v[42:43], v[60:61], v[24:27]
	v_mfma_f32_16x16x32_fp8_fp8 v[8:11], v[52:53], v[60:61], v[8:11]
	ds_read2_b32 v[60:61], v59 offset0:128 offset1:160
	v_add_u32_e32 v59, 0xc00, v58
	ds_read2_b32 v[62:63], v59 offset1:32
	s_waitcnt lgkmcnt(1)
	v_mfma_f32_16x16x32_fp8_fp8 v[24:27], v[44:45], v[60:61], v[24:27]
	ds_read2_b32 v[84:85], v59 offset0:128 offset1:160
	;;#ASMSTART
	s_waitcnt lgkmcnt(0)
	;;#ASMEND
	ds_read_b32 v59, v82 offset:36896
	v_mfma_f32_16x16x32_fp8_fp8 v[8:11], v[54:55], v[60:61], v[8:11]
	ds_write_b32 v82, v83 offset:36892
	s_waitcnt lgkmcnt(1)
	v_cmp_ne_u32_e32 vcc, v59, v64
	v_mfma_f32_16x16x32_fp8_fp8 v[24:27], v[46:47], v[62:63], v[24:27]
	v_mfma_f32_16x16x32_fp8_fp8 v[8:11], v[56:57], v[62:63], v[8:11]
	;; [unrolled: 1-line block ×4, first 2 shown]
	s_and_saveexec_b64 s[10:11], vcc
	s_cbranch_execz .LBB210_28
; %bb.26:                               ;   in Loop: Header=BB210_13 Depth=2
	s_mov_b64 s[12:13], 0
.LBB210_27:                             ;   Parent Loop BB210_7 Depth=1
                                        ;     Parent Loop BB210_13 Depth=2
                                        ; =>    This Inner Loop Header: Depth=3
	;;#ASMSTART
	s_sleep 0
	;;#ASMEND
	ds_read_b32 v59, v82 offset:36896
	s_waitcnt lgkmcnt(0)
	v_cmp_eq_u32_e32 vcc, v59, v64
	s_or_b64 s[12:13], vcc, s[12:13]
	s_andn2_b64 exec, exec, s[12:13]
	s_cbranch_execnz .LBB210_27
.LBB210_28:                             ;   in Loop: Header=BB210_13 Depth=2
	s_or_b64 exec, exec, s[10:11]
	v_add_u32_e32 v59, 0x1000, v58
	ds_read2_b32 v[60:61], v59 offset1:32
	ds_read2_b32 v[62:63], v59 offset0:128 offset1:160
	v_add_u32_e32 v59, 0x1400, v58
	ds_read2_b32 v[84:85], v59 offset1:32
	ds_read2_b32 v[86:87], v59 offset0:128 offset1:160
	s_waitcnt lgkmcnt(3)
	v_mfma_f32_16x16x32_fp8_fp8 v[20:23], v[42:43], v[60:61], v[20:23]
	;;#ASMSTART
	s_waitcnt lgkmcnt(0)
	;;#ASMEND
	ds_read_b32 v59, v82 offset:36900
	ds_write_b32 v82, v83 offset:36896
	v_mfma_f32_16x16x32_fp8_fp8 v[0:3], v[52:53], v[60:61], v[0:3]
	s_waitcnt lgkmcnt(1)
	v_cmp_ne_u32_e32 vcc, v59, v64
	v_mfma_f32_16x16x32_fp8_fp8 v[20:23], v[44:45], v[62:63], v[20:23]
	v_mfma_f32_16x16x32_fp8_fp8 v[0:3], v[54:55], v[62:63], v[0:3]
	;; [unrolled: 1-line block ×6, first 2 shown]
	s_and_saveexec_b64 s[10:11], vcc
	s_cbranch_execz .LBB210_12
; %bb.29:                               ;   in Loop: Header=BB210_13 Depth=2
	s_mov_b64 s[12:13], 0
.LBB210_30:                             ;   Parent Loop BB210_7 Depth=1
                                        ;     Parent Loop BB210_13 Depth=2
                                        ; =>    This Inner Loop Header: Depth=3
	;;#ASMSTART
	s_sleep 0
	;;#ASMEND
	ds_read_b32 v59, v82 offset:36900
	s_waitcnt lgkmcnt(0)
	v_cmp_eq_u32_e32 vcc, v59, v64
	s_or_b64 s[12:13], vcc, s[12:13]
	s_andn2_b64 exec, exec, s[12:13]
	s_cbranch_execnz .LBB210_30
	s_branch .LBB210_12
.LBB210_31:                             ;   in Loop: Header=BB210_7 Depth=1
	s_or_b64 exec, exec, s[8:9]
.LBB210_32:                             ;   in Loop: Header=BB210_7 Depth=1
	s_or_b64 exec, exec, s[6:7]
	v_cmp_le_i32_e32 vcc, s45, v32
	v_cmp_eq_u32_e64 s[6:7], 2, v67
	v_cmp_eq_u32_e64 s[8:9], 3, v67
	s_waitcnt vmcnt(0)
	v_cndmask_b32_e32 v42, 0, v80, vcc
	v_pk_mul_f32 v[28:29], v[42:43], v[28:29] op_sel_hi:[0,1]
	v_cmp_eq_u32_e32 vcc, 1, v67
	v_pk_mul_f32 v[46:47], v[42:43], v[30:31] op_sel_hi:[0,1]
	v_cmp_eq_u32_e64 s[10:11], 0, v67
	v_cndmask_b32_e32 v30, v28, v29, vcc
	v_cndmask_b32_e64 v30, v30, v46, s[6:7]
	v_cndmask_b32_e64 v30, v30, v47, s[8:9]
	ds_bpermute_b32 v43, v78, v30
	v_cmp_le_i32_e64 s[14:15], s45, v69
	v_cmp_le_i32_e64 s[18:19], s45, v70
	v_cmp_eq_u32_e64 s[12:13], 1, v68
	v_cmp_eq_u32_e64 s[16:17], 3, v68
	s_waitcnt lgkmcnt(0)
	v_cndmask_b32_e64 v30, v47, v43, s[8:9]
	v_cndmask_b32_e64 v31, v46, v43, s[6:7]
	v_cndmask_b32_e32 v29, v29, v43, vcc
	v_cndmask_b32_e64 v43, v28, v43, s[10:11]
	v_cndmask_b32_e64 v28, 0, v80, s[14:15]
	v_pk_mul_f32 v[24:25], v[28:29], v[24:25] op_sel_hi:[0,1]
	v_pk_mul_f32 v[46:47], v[28:29], v[26:27] op_sel_hi:[0,1]
	v_cndmask_b32_e32 v26, v24, v25, vcc
	v_cndmask_b32_e64 v26, v26, v46, s[6:7]
	v_cndmask_b32_e64 v26, v26, v47, s[8:9]
	ds_bpermute_b32 v48, v78, v26
	v_cndmask_b32_e64 v45, v43, v29, s[12:13]
	v_cmp_eq_u32_e64 s[14:15], 2, v68
	s_waitcnt lgkmcnt(0)
	v_cndmask_b32_e32 v25, v25, v48, vcc
	v_cndmask_b32_e64 v49, v24, v48, s[10:11]
	v_cndmask_b32_e64 v24, 0, v80, s[18:19]
	v_pk_mul_f32 v[20:21], v[24:25], v[20:21] op_sel_hi:[0,1]
	v_cndmask_b32_e64 v26, v45, v31, s[14:15]
	v_cndmask_b32_e64 v27, v47, v48, s[8:9]
	v_cndmask_b32_e64 v45, v46, v48, s[6:7]
	v_pk_mul_f32 v[46:47], v[24:25], v[22:23] op_sel_hi:[0,1]
	v_cndmask_b32_e32 v22, v20, v21, vcc
	v_cndmask_b32_e64 v22, v22, v46, s[6:7]
	v_cndmask_b32_e64 v22, v22, v47, s[8:9]
	ds_bpermute_b32 v48, v78, v22
	v_cmp_le_i32_e64 s[18:19], s45, v71
	v_cndmask_b32_e64 v22, v49, v25, s[12:13]
	v_cndmask_b32_e64 v22, v22, v45, s[14:15]
	v_cndmask_b32_e64 v26, v26, v30, s[16:17]
	s_waitcnt lgkmcnt(0)
	v_cndmask_b32_e64 v51, v20, v48, s[10:11]
	v_cndmask_b32_e64 v20, 0, v80, s[18:19]
	v_pk_mul_f32 v[54:55], v[20:21], v[16:17] op_sel_hi:[0,1]
	v_pk_mul_f32 v[52:53], v[20:21], v[18:19] op_sel_hi:[0,1]
	v_cndmask_b32_e32 v16, v54, v55, vcc
	v_cndmask_b32_e64 v16, v16, v52, s[6:7]
	v_cndmask_b32_e64 v16, v16, v53, s[8:9]
	ds_bpermute_b32 v17, v78, v16
	v_cndmask_b32_e32 v50, v21, v48, vcc
	v_cndmask_b32_e64 v46, v46, v48, s[6:7]
	v_cndmask_b32_e64 v16, v51, v50, s[12:13]
	;; [unrolled: 1-line block ×5, first 2 shown]
	v_cmp_ne_u32_e32 vcc, 0, v67
	ds_bpermute_b32 v47, v78, v16
	s_waitcnt lgkmcnt(1)
	v_cndmask_b32_e64 v18, v53, v17, s[8:9]
	v_cndmask_b32_e64 v19, v52, v17, s[6:7]
	v_cndmask_b32_e32 v16, v55, v17, vcc
	v_cndmask_b32_e64 v17, v54, v17, s[10:11]
	v_cndmask_b32_e64 v21, v17, v16, s[12:13]
	v_cndmask_b32_e64 v21, v21, v19, s[14:15]
	v_cndmask_b32_e64 v22, v22, v27, s[16:17]
	v_cndmask_b32_e64 v21, v21, v18, s[16:17]
	ds_bpermute_b32 v26, v78, v26
	ds_bpermute_b32 v22, v78, v22
	;; [unrolled: 1-line block ×3, first 2 shown]
	v_add_u32_e32 v21, s65, v72
	v_cmp_gt_u32_e32 vcc, 32, v21
	s_and_saveexec_b64 s[18:19], vcc
	s_cbranch_execz .LBB210_37
; %bb.33:                               ;   in Loop: Header=BB210_7 Depth=1
	v_cmp_eq_u32_e64 s[8:9], 1, v68
	v_cmp_eq_u32_e64 s[10:11], 0, v68
	v_cmp_eq_u32_e32 vcc, 3, v68
	s_waitcnt lgkmcnt(2)
	v_cndmask_b32_e64 v29, v29, v26, s[8:9]
	s_waitcnt lgkmcnt(1)
	v_cndmask_b32_e64 v25, v25, v22, s[8:9]
	v_cndmask_b32_e64 v52, v50, v47, s[8:9]
	s_waitcnt lgkmcnt(0)
	v_cndmask_b32_e64 v54, v16, v48, s[8:9]
	s_mul_i32 s8, s63, s21
	s_ashr_i32 s9, s8, 31
	s_lshl_b64 s[8:9], s[8:9], 1
	v_cndmask_b32_e64 v43, v43, v26, s[10:11]
	v_cndmask_b32_e64 v49, v49, v22, s[10:11]
	;; [unrolled: 1-line block ×4, first 2 shown]
	s_add_u32 s10, s40, s8
	s_addc_u32 s11, s41, s9
	s_ashr_i32 s45, s44, 31
	v_cvt_f16_f32_e32 v43, v43
	v_cvt_f16_f32_sdwa v29, v29 dst_sel:WORD_1 dst_unused:UNUSED_PAD src0_sel:DWORD
	v_cvt_f16_f32_e32 v49, v49
	v_cvt_f16_f32_sdwa v25, v25 dst_sel:WORD_1 dst_unused:UNUSED_PAD src0_sel:DWORD
	s_lshl_b64 s[8:9], s[44:45], 1
	s_add_u32 s50, s10, s8
	s_addc_u32 s51, s11, s9
	v_lshl_add_u64 v[16:17], v[34:35], 1, s[50:51]
	v_or_b32_e32 v29, v29, v43
	v_or_b32_e32 v25, v25, v49
	;;#ASMSTART
	global_atomic_pk_add_f16 v[16:17], v29, off
	
	;;#ASMEND
	v_lshl_add_u64 v[50:51], v[16:17], 0, 32
	;;#ASMSTART
	global_atomic_pk_add_f16 v[50:51], v25, off
	
	;;#ASMEND
	v_cvt_f16_f32_e32 v25, v53
	v_cvt_f16_f32_sdwa v29, v52 dst_sel:WORD_1 dst_unused:UNUSED_PAD src0_sel:DWORD
	v_cvt_f16_f32_e32 v43, v55
	v_cvt_f16_f32_sdwa v49, v54 dst_sel:WORD_1 dst_unused:UNUSED_PAD src0_sel:DWORD
	v_cmp_eq_u32_e64 s[6:7], 2, v68
	v_lshl_add_u64 v[50:51], v[16:17], 0, 64
	v_or_b32_e32 v25, v29, v25
	v_cmp_gt_u32_e64 s[8:9], 30, v21
	;;#ASMSTART
	global_atomic_pk_add_f16 v[50:51], v25, off
	
	;;#ASMEND
	v_lshl_add_u64 v[50:51], v[16:17], 0, s[30:31]
	v_or_b32_e32 v25, v49, v43
	;;#ASMSTART
	global_atomic_pk_add_f16 v[50:51], v25, off
	
	;;#ASMEND
	s_and_b64 exec, exec, s[8:9]
	s_cbranch_execz .LBB210_37
; %bb.34:                               ;   in Loop: Header=BB210_7 Depth=1
	v_cndmask_b32_e32 v30, v30, v26, vcc
	v_cndmask_b32_e64 v26, v31, v26, s[6:7]
	v_cvt_f16_f32_e32 v26, v26
	v_cvt_f16_f32_sdwa v30, v30 dst_sel:WORD_1 dst_unused:UNUSED_PAD src0_sel:DWORD
	v_cndmask_b32_e32 v27, v27, v22, vcc
	v_cndmask_b32_e64 v22, v45, v22, s[6:7]
	v_cndmask_b32_e32 v23, v23, v47, vcc
	v_cndmask_b32_e64 v31, v46, v47, s[6:7]
	v_cndmask_b32_e32 v45, v18, v48, vcc
	v_or_b32_e32 v18, v30, v26
	v_cvt_f16_f32_e32 v22, v22
	v_cvt_f16_f32_sdwa v26, v27 dst_sel:WORD_1 dst_unused:UNUSED_PAD src0_sel:DWORD
	v_cvt_f16_f32_e32 v27, v31
	v_cvt_f16_f32_sdwa v23, v23 dst_sel:WORD_1 dst_unused:UNUSED_PAD src0_sel:DWORD
	v_lshl_add_u64 v[16:17], s[28:29], 2, v[16:17]
	v_or_b32_e32 v22, v26, v22
	v_mov_b32_e32 v43, v42
	v_cndmask_b32_e64 v46, v19, v48, s[6:7]
	;;#ASMSTART
	global_atomic_pk_add_f16 v[16:17], v18, off
	
	;;#ASMEND
	v_lshl_add_u64 v[18:19], v[16:17], 0, 32
	;;#ASMSTART
	global_atomic_pk_add_f16 v[18:19], v22, off
	
	;;#ASMEND
	v_or_b32_e32 v26, v23, v27
	v_mov_b32_e32 v22, v42
	v_mov_b32_e32 v23, v42
	v_pk_mul_f32 v[14:15], v[22:23], v[14:15]
	v_pk_mul_f32 v[22:23], v[42:43], v[12:13]
	v_cmp_eq_u32_e32 vcc, 1, v67
	v_mov_b32_e32 v29, v28
	v_lshl_add_u64 v[18:19], v[16:17], 0, 64
	v_cndmask_b32_e32 v12, v22, v23, vcc
	v_cmp_eq_u32_e64 s[6:7], 2, v67
	v_cmp_eq_u32_e64 s[8:9], 3, v67
	;;#ASMSTART
	global_atomic_pk_add_f16 v[18:19], v26, off
	
	;;#ASMEND
	v_lshl_add_u64 v[26:27], v[16:17], 0, s[30:31]
	v_cndmask_b32_e64 v12, v12, v14, s[6:7]
	v_mov_b32_e32 v16, v28
	v_mov_b32_e32 v17, v28
	v_pk_mul_f32 v[18:19], v[28:29], v[8:9]
	v_cndmask_b32_e64 v12, v12, v15, s[8:9]
	v_pk_mul_f32 v[10:11], v[16:17], v[10:11]
	v_cndmask_b32_e32 v8, v18, v19, vcc
	ds_bpermute_b32 v30, v78, v12
	v_cndmask_b32_e64 v8, v8, v10, s[6:7]
	v_cndmask_b32_e64 v8, v8, v11, s[8:9]
	ds_bpermute_b32 v17, v78, v8
	v_cmp_eq_u32_e64 s[10:11], 0, v67
	s_waitcnt lgkmcnt(1)
	v_cndmask_b32_e64 v12, v15, v30, s[8:9]
	v_cndmask_b32_e64 v13, v14, v30, s[6:7]
	v_cndmask_b32_e32 v14, v23, v30, vcc
	v_cndmask_b32_e64 v15, v22, v30, s[10:11]
	v_cmp_eq_u32_e64 s[12:13], 1, v68
	v_mov_b32_e32 v25, v24
	v_cmp_eq_u32_e64 s[14:15], 2, v68
	v_cndmask_b32_e64 v22, v15, v14, s[12:13]
	s_waitcnt lgkmcnt(0)
	v_cndmask_b32_e64 v9, v11, v17, s[8:9]
	v_cndmask_b32_e64 v8, v22, v13, s[14:15]
	v_cndmask_b32_e64 v10, v10, v17, s[6:7]
	v_cndmask_b32_e32 v16, v19, v17, vcc
	v_cndmask_b32_e64 v17, v18, v17, s[10:11]
	v_mov_b32_e32 v18, v24
	v_mov_b32_e32 v19, v24
	v_pk_mul_f32 v[22:23], v[24:25], v[0:1]
	v_pk_mul_f32 v[18:19], v[18:19], v[2:3]
	v_cndmask_b32_e32 v0, v22, v23, vcc
	v_cndmask_b32_e64 v0, v0, v18, s[6:7]
	v_cndmask_b32_e64 v0, v0, v19, s[8:9]
	ds_bpermute_b32 v1, v78, v0
	v_mov_b32_e32 v21, v20
	v_cndmask_b32_e64 v0, v17, v16, s[12:13]
	v_cmp_eq_u32_e64 s[16:17], 3, v68
	v_cndmask_b32_e64 v0, v0, v10, s[14:15]
	s_waitcnt lgkmcnt(0)
	v_cndmask_b32_e64 v3, v19, v1, s[8:9]
	v_cndmask_b32_e64 v11, v18, v1, s[6:7]
	v_mov_b32_e32 v18, v20
	v_mov_b32_e32 v19, v20
	v_pk_mul_f32 v[6:7], v[18:19], v[6:7]
	v_pk_mul_f32 v[18:19], v[20:21], v[4:5]
	v_cndmask_b32_e64 v0, v0, v9, s[16:17]
	v_cndmask_b32_e32 v4, v18, v19, vcc
	v_cndmask_b32_e64 v4, v4, v6, s[6:7]
	v_cndmask_b32_e64 v4, v4, v7, s[8:9]
	ds_bpermute_b32 v20, v78, v4
	ds_bpermute_b32 v2, v78, v0
	v_cndmask_b32_e32 v0, v23, v1, vcc
	v_cmp_ne_u32_e32 vcc, 0, v67
	v_cndmask_b32_e64 v1, v22, v1, s[10:11]
	s_waitcnt lgkmcnt(1)
	v_cndmask_b32_e64 v5, v7, v20, s[8:9]
	v_cndmask_b32_e64 v6, v6, v20, s[6:7]
	v_cndmask_b32_e32 v19, v19, v20, vcc
	v_cndmask_b32_e64 v20, v18, v20, s[10:11]
	v_cndmask_b32_e64 v4, v1, v0, s[12:13]
	;; [unrolled: 1-line block ×3, first 2 shown]
	v_cvt_f16_f32_e32 v31, v46
	v_cvt_f16_f32_sdwa v42, v45 dst_sel:WORD_1 dst_unused:UNUSED_PAD src0_sel:DWORD
	v_cndmask_b32_e64 v4, v4, v11, s[14:15]
	v_cndmask_b32_e64 v7, v7, v6, s[14:15]
	;; [unrolled: 1-line block ×5, first 2 shown]
	ds_bpermute_b32 v8, v78, v8
	ds_bpermute_b32 v4, v78, v4
	;; [unrolled: 1-line block ×3, first 2 shown]
	v_or_b32_e32 v18, v42, v31
	;;#ASMSTART
	global_atomic_pk_add_f16 v[26:27], v18, off
	
	;;#ASMEND
	v_add_u32_e32 v18, s65, v73
	v_cmp_gt_u32_e32 vcc, 32, v18
	s_and_b64 exec, exec, vcc
	s_cbranch_execz .LBB210_37
; %bb.35:                               ;   in Loop: Header=BB210_7 Depth=1
	v_cmp_eq_u32_e64 s[8:9], 1, v68
	v_cmp_eq_u32_e64 s[10:11], 0, v68
	v_cmp_eq_u32_e32 vcc, 3, v68
	s_waitcnt lgkmcnt(2)
	v_cndmask_b32_e64 v14, v14, v8, s[8:9]
	v_cndmask_b32_e64 v15, v15, v8, s[10:11]
	;; [unrolled: 1-line block ×4, first 2 shown]
	v_cvt_f16_f32_e32 v15, v15
	v_cvt_f16_f32_sdwa v14, v14 dst_sel:WORD_1 dst_unused:UNUSED_PAD src0_sel:DWORD
	v_cvt_f16_f32_e32 v17, v17
	v_cvt_f16_f32_sdwa v16, v16 dst_sel:WORD_1 dst_unused:UNUSED_PAD src0_sel:DWORD
	s_waitcnt lgkmcnt(1)
	v_cndmask_b32_e64 v21, v0, v4, s[8:9]
	v_cndmask_b32_e64 v22, v1, v4, s[10:11]
	v_lshl_add_u64 v[0:1], v[36:37], 1, s[50:51]
	v_or_b32_e32 v14, v14, v15
	v_or_b32_e32 v16, v16, v17
	s_waitcnt lgkmcnt(0)
	v_cndmask_b32_e64 v19, v19, v7, s[8:9]
	v_cndmask_b32_e64 v20, v20, v7, s[10:11]
	;;#ASMSTART
	global_atomic_pk_add_f16 v[0:1], v14, off
	
	;;#ASMEND
	v_lshl_add_u64 v[14:15], v[0:1], 0, 32
	;;#ASMSTART
	global_atomic_pk_add_f16 v[14:15], v16, off
	
	;;#ASMEND
	v_cvt_f16_f32_e32 v16, v22
	v_cvt_f16_f32_sdwa v17, v21 dst_sel:WORD_1 dst_unused:UNUSED_PAD src0_sel:DWORD
	v_cvt_f16_f32_e32 v20, v20
	v_cvt_f16_f32_sdwa v19, v19 dst_sel:WORD_1 dst_unused:UNUSED_PAD src0_sel:DWORD
	v_cmp_eq_u32_e64 s[6:7], 2, v68
	v_lshl_add_u64 v[14:15], v[0:1], 0, 64
	v_or_b32_e32 v16, v17, v16
	v_cmp_gt_u32_e64 s[8:9], 30, v18
	;;#ASMSTART
	global_atomic_pk_add_f16 v[14:15], v16, off
	
	;;#ASMEND
	v_lshl_add_u64 v[14:15], v[0:1], 0, s[30:31]
	v_or_b32_e32 v16, v19, v20
	;;#ASMSTART
	global_atomic_pk_add_f16 v[14:15], v16, off
	
	;;#ASMEND
	s_and_b64 exec, exec, s[8:9]
	s_cbranch_execz .LBB210_37
; %bb.36:                               ;   in Loop: Header=BB210_7 Depth=1
	v_cndmask_b32_e32 v12, v12, v8, vcc
	v_cndmask_b32_e64 v8, v13, v8, s[6:7]
	v_cndmask_b32_e32 v9, v9, v2, vcc
	v_cndmask_b32_e64 v2, v10, v2, s[6:7]
	v_cndmask_b32_e32 v10, v3, v4, vcc
	v_cndmask_b32_e32 v5, v5, v7, vcc
	v_cndmask_b32_e64 v6, v6, v7, s[6:7]
	v_cvt_f16_f32_e32 v3, v8
	v_cvt_f16_f32_sdwa v7, v12 dst_sel:WORD_1 dst_unused:UNUSED_PAD src0_sel:DWORD
	v_cvt_f16_f32_e32 v8, v2
	v_cvt_f16_f32_sdwa v9, v9 dst_sel:WORD_1 dst_unused:UNUSED_PAD src0_sel:DWORD
	v_cndmask_b32_e64 v4, v11, v4, s[6:7]
	v_lshl_add_u64 v[0:1], s[28:29], 2, v[0:1]
	v_or_b32_e32 v2, v7, v3
	v_or_b32_e32 v7, v9, v8
	;;#ASMSTART
	global_atomic_pk_add_f16 v[0:1], v2, off
	
	;;#ASMEND
	v_lshl_add_u64 v[2:3], v[0:1], 0, 32
	;;#ASMSTART
	global_atomic_pk_add_f16 v[2:3], v7, off
	
	;;#ASMEND
	v_cvt_f16_f32_e32 v4, v4
	v_cvt_f16_f32_sdwa v7, v10 dst_sel:WORD_1 dst_unused:UNUSED_PAD src0_sel:DWORD
	v_cvt_f16_f32_e32 v6, v6
	v_cvt_f16_f32_sdwa v5, v5 dst_sel:WORD_1 dst_unused:UNUSED_PAD src0_sel:DWORD
	v_lshl_add_u64 v[2:3], v[0:1], 0, 64
	v_or_b32_e32 v4, v7, v4
	;;#ASMSTART
	global_atomic_pk_add_f16 v[2:3], v4, off
	
	;;#ASMEND
	v_lshl_add_u64 v[0:1], v[0:1], 0, s[30:31]
	v_or_b32_e32 v2, v5, v6
	;;#ASMSTART
	global_atomic_pk_add_f16 v[0:1], v2, off
	
	;;#ASMEND
.LBB210_37:                             ;   in Loop: Header=BB210_7 Depth=1
	s_or_b64 exec, exec, s[18:19]
	v_subrev_u32_e32 v79, s66, v79
.LBB210_38:                             ;   in Loop: Header=BB210_7 Depth=1
	s_or_b64 exec, exec, s[48:49]
.LBB210_39:                             ;   in Loop: Header=BB210_7 Depth=1
	s_andn2_saveexec_b64 s[6:7], s[46:47]
	s_cbranch_execz .LBB210_48
; %bb.40:                               ;   in Loop: Header=BB210_7 Depth=1
	s_lshl_b32 s16, s66, 2
	v_cmp_gt_i32_e32 vcc, s16, v79
	s_and_saveexec_b64 s[8:9], vcc
	s_cbranch_execz .LBB210_47
; %bb.41:                               ;   in Loop: Header=BB210_7 Depth=1
	s_mul_i32 s10, s44, s23
	s_ashr_i32 s11, s10, 31
	s_waitcnt lgkmcnt(0)
	s_add_u32 s10, s38, s10
	s_addc_u32 s11, s39, s11
	s_ashr_i32 s12, s64, 31
	s_add_u32 s10, s10, s64
	s_addc_u32 s11, s11, s12
	v_lshl_add_u64 v[0:1], s[10:11], 0, v[40:41]
	v_lshl_add_u64 v[8:9], v[0:1], 0, v[38:39]
	s_mov_b64 s[10:11], 0
	s_branch .LBB210_43
.LBB210_42:                             ;   in Loop: Header=BB210_43 Depth=2
	s_or_b64 exec, exec, s[12:13]
	v_lshl_or_b32 v12, v10, 11, v75
	;;#ASMSTART
	s_waitcnt vmcnt(1)
	;;#ASMEND
	ds_write2_b32 v12, v4, v5 offset1:32
	ds_write2_b32 v12, v6, v7 offset0:64 offset1:96
	v_add_u32_e32 v4, 0x400, v12
	v_add_u32_e32 v79, s26, v79
	;;#ASMSTART
	s_waitcnt vmcnt(0)
	;;#ASMEND
	ds_write2_b32 v4, v0, v1 offset1:32
	ds_write2_b32 v4, v2, v3 offset0:64 offset1:96
	v_add_u32_e32 v0, 1, v64
	v_add_u32_e32 v44, s26, v10
	v_cmp_le_i32_e32 vcc, s16, v79
	ds_write_b32 v11, v0 offset:24
	v_add_u32_e32 v0, 2, v64
	s_or_b64 s[10:11], vcc, s[10:11]
	v_cmp_lt_i32_e32 vcc, 11, v44
	s_nop 1
	v_cndmask_b32_e32 v64, v64, v0, vcc
	s_andn2_b64 exec, exec, s[10:11]
	s_cbranch_execz .LBB210_46
.LBB210_43:                             ;   Parent Loop BB210_7 Depth=1
                                        ; =>  This Loop Header: Depth=2
                                        ;       Child Loop BB210_45 Depth 3
	v_cmp_gt_i32_e32 vcc, 12, v44
	s_nop 1
	v_cndmask_b32_e64 v0, -12, 0, vcc
	v_add_u32_e32 v10, v0, v44
	v_ashrrev_i32_e32 v0, 31, v79
	v_lshrrev_b32_e32 v0, 30, v0
	v_add_u32_e32 v0, v79, v0
	v_and_b32_e32 v1, -4, v0
	v_lshlrev_b32_e32 v0, 5, v0
	v_sub_u32_e32 v2, v79, v1
	v_and_b32_e32 v0, 0xffffff80, v0
	v_ashrrev_i32_e32 v1, 31, v0
	v_mul_lo_u32 v2, s57, v2
	v_lshl_add_u64 v[0:1], v[8:9], 0, v[0:1]
	v_ashrrev_i32_e32 v3, 31, v2
	v_lshl_add_u64 v[0:1], v[0:1], 0, v[2:3]
	v_lshlrev_b32_e32 v11, 2, v10
	;;#ASMSTART
	global_load_dwordx4 v[4:7], v[0:1], off offset:0   sc0 sc1 nt  
	global_load_dwordx4 v[0:3], v[0:1], off offset:64  sc0 sc1 nt  
	
	;;#ASMEND
	ds_read_b32 v12, v11 offset:36888
	v_add_u32_e32 v11, 0x9000, v11
	s_waitcnt lgkmcnt(0)
	v_cmp_ne_u32_e32 vcc, v12, v64
	s_and_saveexec_b64 s[12:13], vcc
	s_cbranch_execz .LBB210_42
; %bb.44:                               ;   in Loop: Header=BB210_43 Depth=2
	s_mov_b64 s[14:15], 0
.LBB210_45:                             ;   Parent Loop BB210_7 Depth=1
                                        ;     Parent Loop BB210_43 Depth=2
                                        ; =>    This Inner Loop Header: Depth=3
	;;#ASMSTART
	s_sleep 0
	;;#ASMEND
	ds_read_b32 v12, v11 offset:24
	s_waitcnt lgkmcnt(0)
	v_cmp_eq_u32_e32 vcc, v12, v64
	s_or_b64 s[14:15], vcc, s[14:15]
	s_andn2_b64 exec, exec, s[14:15]
	s_cbranch_execnz .LBB210_45
	s_branch .LBB210_42
.LBB210_46:                             ;   in Loop: Header=BB210_7 Depth=1
	s_or_b64 exec, exec, s[10:11]
.LBB210_47:                             ;   in Loop: Header=BB210_7 Depth=1
	s_or_b64 exec, exec, s[8:9]
	v_subrev_u32_e32 v79, s16, v79
.LBB210_48:                             ;   in Loop: Header=BB210_7 Depth=1
	s_or_b64 exec, exec, s[6:7]
.LBB210_49:                             ;   in Loop: Header=BB210_7 Depth=1
	s_andn2_saveexec_b64 s[6:7], s[34:35]
	s_cbranch_execz .LBB210_6
; %bb.50:                               ;   in Loop: Header=BB210_7 Depth=1
	s_lshl_b32 s16, s66, 1
	v_cmp_gt_i32_e32 vcc, s16, v79
	s_and_saveexec_b64 s[8:9], vcc
	s_cbranch_execz .LBB210_5
; %bb.51:                               ;   in Loop: Header=BB210_7 Depth=1
	s_mul_i32 s63, s63, s22
	s_ashr_i32 s10, s63, 31
	s_waitcnt lgkmcnt(0)
	s_add_u32 s11, s36, s63
	v_add_u32_e32 v2, s65, v74
	s_addc_u32 s12, s37, s10
	s_ashr_i32 s13, s64, 31
	v_cmp_gt_u32_e32 vcc, 32, v2
	s_add_u32 s10, s11, s64
	s_addc_u32 s11, s12, s13
	v_cndmask_b32_e32 v0, 0, v76, vcc
	v_ashrrev_i32_e32 v1, 31, v0
	v_lshl_add_u64 v[0:1], s[10:11], 0, v[0:1]
	v_lshl_add_u64 v[8:9], v[0:1], 0, v[38:39]
	v_sub_u32_e32 v10, 31, v2
	s_mov_b64 s[10:11], 0
	s_branch .LBB210_53
.LBB210_52:                             ;   in Loop: Header=BB210_53 Depth=2
	s_or_b64 exec, exec, s[12:13]
	v_lshl_add_u32 v13, v11, 11, v77
	;;#ASMSTART
	s_waitcnt vmcnt(1)
	;;#ASMEND
	ds_write2_b32 v13, v4, v5 offset1:32
	ds_write2_b32 v13, v6, v7 offset0:64 offset1:96
	v_add_u32_e32 v4, 0x400, v13
	v_add_u32_e32 v79, s25, v79
	;;#ASMSTART
	s_waitcnt vmcnt(0)
	;;#ASMEND
	ds_write2_b32 v4, v0, v1 offset1:32
	ds_write2_b32 v4, v2, v3 offset0:64 offset1:96
	v_add_u32_e32 v0, 1, v64
	v_add_u32_e32 v44, s25, v11
	v_cmp_le_i32_e32 vcc, s16, v79
	ds_write_b32 v12, v0
	v_add_u32_e32 v0, 2, v64
	s_or_b64 s[10:11], vcc, s[10:11]
	v_cmp_lt_i32_e32 vcc, 5, v44
	s_nop 1
	v_cndmask_b32_e32 v64, v64, v0, vcc
	s_andn2_b64 exec, exec, s[10:11]
	s_cbranch_execz .LBB210_4
.LBB210_53:                             ;   Parent Loop BB210_7 Depth=1
                                        ; =>  This Loop Header: Depth=2
                                        ;       Child Loop BB210_55 Depth 3
	v_cmp_gt_i32_e32 vcc, 6, v44
	s_nop 1
	v_cndmask_b32_e64 v0, -6, 0, vcc
	v_add_u32_e32 v11, v0, v44
	v_lshrrev_b32_e32 v0, 31, v79
	v_add_u32_e32 v0, v79, v0
	v_and_b32_e32 v1, 0xffffffe, v0
	v_sub_u32_e32 v1, v79, v1
	v_lshlrev_b32_e32 v1, 4, v1
	v_cmp_le_i32_e32 vcc, v1, v10
	v_lshlrev_b32_e32 v0, 6, v0
	v_and_b32_e32 v0, 0xffffff80, v0
	v_cndmask_b32_e32 v2, 0, v1, vcc
	v_ashrrev_i32_e32 v1, 31, v0
	v_mul_lo_u32 v2, v2, s22
	v_lshl_add_u64 v[0:1], v[8:9], 0, v[0:1]
	v_ashrrev_i32_e32 v3, 31, v2
	v_lshl_add_u64 v[0:1], v[0:1], 0, v[2:3]
	v_lshlrev_b32_e32 v12, 2, v11
	;;#ASMSTART
	global_load_dwordx4 v[4:7], v[0:1], off offset:0   
	global_load_dwordx4 v[0:3], v[0:1], off offset:64  
	
	;;#ASMEND
	ds_read_b32 v13, v12 offset:36864
	v_add_u32_e32 v12, 0x9000, v12
	s_waitcnt lgkmcnt(0)
	v_cmp_ne_u32_e32 vcc, v13, v64
	s_and_saveexec_b64 s[12:13], vcc
	s_cbranch_execz .LBB210_52
; %bb.54:                               ;   in Loop: Header=BB210_53 Depth=2
	s_mov_b64 s[14:15], 0
.LBB210_55:                             ;   Parent Loop BB210_7 Depth=1
                                        ;     Parent Loop BB210_53 Depth=2
                                        ; =>    This Inner Loop Header: Depth=3
	;;#ASMSTART
	s_sleep 0
	;;#ASMEND
	ds_read_b32 v13, v12
	s_waitcnt lgkmcnt(0)
	v_cmp_eq_u32_e32 vcc, v13, v64
	s_or_b64 s[14:15], vcc, s[14:15]
	s_andn2_b64 exec, exec, s[14:15]
	s_cbranch_execnz .LBB210_55
	s_branch .LBB210_52
.LBB210_56:
	s_endpgm
	.section	.rodata,"a",@progbits
	.p2align	6, 0x0
	.amdhsa_kernel _Z19_skinny_gemm_kernelILi2ELi4ELi3ELi16ELi4EEvPKhS1_P6__halfPKfiiiiiiii
		.amdhsa_group_segment_fixed_size 36936
		.amdhsa_private_segment_fixed_size 0
		.amdhsa_kernarg_size 64
		.amdhsa_user_sgpr_count 2
		.amdhsa_user_sgpr_dispatch_ptr 0
		.amdhsa_user_sgpr_queue_ptr 0
		.amdhsa_user_sgpr_kernarg_segment_ptr 1
		.amdhsa_user_sgpr_dispatch_id 0
		.amdhsa_user_sgpr_kernarg_preload_length 0
		.amdhsa_user_sgpr_kernarg_preload_offset 0
		.amdhsa_user_sgpr_private_segment_size 0
		.amdhsa_uses_dynamic_stack 0
		.amdhsa_enable_private_segment 0
		.amdhsa_system_sgpr_workgroup_id_x 1
		.amdhsa_system_sgpr_workgroup_id_y 0
		.amdhsa_system_sgpr_workgroup_id_z 0
		.amdhsa_system_sgpr_workgroup_info 0
		.amdhsa_system_vgpr_workitem_id 0
		.amdhsa_next_free_vgpr 88
		.amdhsa_next_free_sgpr 67
		.amdhsa_accum_offset 88
		.amdhsa_reserve_vcc 1
		.amdhsa_float_round_mode_32 0
		.amdhsa_float_round_mode_16_64 0
		.amdhsa_float_denorm_mode_32 3
		.amdhsa_float_denorm_mode_16_64 3
		.amdhsa_dx10_clamp 1
		.amdhsa_ieee_mode 1
		.amdhsa_fp16_overflow 0
		.amdhsa_tg_split 0
		.amdhsa_exception_fp_ieee_invalid_op 0
		.amdhsa_exception_fp_denorm_src 0
		.amdhsa_exception_fp_ieee_div_zero 0
		.amdhsa_exception_fp_ieee_overflow 0
		.amdhsa_exception_fp_ieee_underflow 0
		.amdhsa_exception_fp_ieee_inexact 0
		.amdhsa_exception_int_div_zero 0
	.end_amdhsa_kernel
	.section	.text._Z19_skinny_gemm_kernelILi2ELi4ELi3ELi16ELi4EEvPKhS1_P6__halfPKfiiiiiiii,"axG",@progbits,_Z19_skinny_gemm_kernelILi2ELi4ELi3ELi16ELi4EEvPKhS1_P6__halfPKfiiiiiiii,comdat
.Lfunc_end210:
	.size	_Z19_skinny_gemm_kernelILi2ELi4ELi3ELi16ELi4EEvPKhS1_P6__halfPKfiiiiiiii, .Lfunc_end210-_Z19_skinny_gemm_kernelILi2ELi4ELi3ELi16ELi4EEvPKhS1_P6__halfPKfiiiiiiii
                                        ; -- End function
	.set _Z19_skinny_gemm_kernelILi2ELi4ELi3ELi16ELi4EEvPKhS1_P6__halfPKfiiiiiiii.num_vgpr, 88
	.set _Z19_skinny_gemm_kernelILi2ELi4ELi3ELi16ELi4EEvPKhS1_P6__halfPKfiiiiiiii.num_agpr, 0
	.set _Z19_skinny_gemm_kernelILi2ELi4ELi3ELi16ELi4EEvPKhS1_P6__halfPKfiiiiiiii.numbered_sgpr, 67
	.set _Z19_skinny_gemm_kernelILi2ELi4ELi3ELi16ELi4EEvPKhS1_P6__halfPKfiiiiiiii.num_named_barrier, 0
	.set _Z19_skinny_gemm_kernelILi2ELi4ELi3ELi16ELi4EEvPKhS1_P6__halfPKfiiiiiiii.private_seg_size, 0
	.set _Z19_skinny_gemm_kernelILi2ELi4ELi3ELi16ELi4EEvPKhS1_P6__halfPKfiiiiiiii.uses_vcc, 1
	.set _Z19_skinny_gemm_kernelILi2ELi4ELi3ELi16ELi4EEvPKhS1_P6__halfPKfiiiiiiii.uses_flat_scratch, 0
	.set _Z19_skinny_gemm_kernelILi2ELi4ELi3ELi16ELi4EEvPKhS1_P6__halfPKfiiiiiiii.has_dyn_sized_stack, 0
	.set _Z19_skinny_gemm_kernelILi2ELi4ELi3ELi16ELi4EEvPKhS1_P6__halfPKfiiiiiiii.has_recursion, 0
	.set _Z19_skinny_gemm_kernelILi2ELi4ELi3ELi16ELi4EEvPKhS1_P6__halfPKfiiiiiiii.has_indirect_call, 0
	.section	.AMDGPU.csdata,"",@progbits
; Kernel info:
; codeLenInByte = 5552
; TotalNumSgprs: 73
; NumVgprs: 88
; NumAgprs: 0
; TotalNumVgprs: 88
; ScratchSize: 0
; MemoryBound: 0
; FloatMode: 240
; IeeeMode: 1
; LDSByteSize: 36936 bytes/workgroup (compile time only)
; SGPRBlocks: 9
; VGPRBlocks: 10
; NumSGPRsForWavesPerEU: 73
; NumVGPRsForWavesPerEU: 88
; AccumOffset: 88
; Occupancy: 5
; WaveLimiterHint : 0
; COMPUTE_PGM_RSRC2:SCRATCH_EN: 0
; COMPUTE_PGM_RSRC2:USER_SGPR: 2
; COMPUTE_PGM_RSRC2:TRAP_HANDLER: 0
; COMPUTE_PGM_RSRC2:TGID_X_EN: 1
; COMPUTE_PGM_RSRC2:TGID_Y_EN: 0
; COMPUTE_PGM_RSRC2:TGID_Z_EN: 0
; COMPUTE_PGM_RSRC2:TIDIG_COMP_CNT: 0
; COMPUTE_PGM_RSRC3_GFX90A:ACCUM_OFFSET: 21
; COMPUTE_PGM_RSRC3_GFX90A:TG_SPLIT: 0
	.section	.text._Z19_skinny_gemm_kernelILi2ELi4ELi3ELi32ELi4EEvPKhS1_P6__halfPKfiiiiiiii,"axG",@progbits,_Z19_skinny_gemm_kernelILi2ELi4ELi3ELi32ELi4EEvPKhS1_P6__halfPKfiiiiiiii,comdat
	.protected	_Z19_skinny_gemm_kernelILi2ELi4ELi3ELi32ELi4EEvPKhS1_P6__halfPKfiiiiiiii ; -- Begin function _Z19_skinny_gemm_kernelILi2ELi4ELi3ELi32ELi4EEvPKhS1_P6__halfPKfiiiiiiii
	.globl	_Z19_skinny_gemm_kernelILi2ELi4ELi3ELi32ELi4EEvPKhS1_P6__halfPKfiiiiiiii
	.p2align	8
	.type	_Z19_skinny_gemm_kernelILi2ELi4ELi3ELi32ELi4EEvPKhS1_P6__halfPKfiiiiiiii,@function
_Z19_skinny_gemm_kernelILi2ELi4ELi3ELi32ELi4EEvPKhS1_P6__halfPKfiiiiiiii: ; @_Z19_skinny_gemm_kernelILi2ELi4ELi3ELi32ELi4EEvPKhS1_P6__halfPKfiiiiiiii
; %bb.0:
	v_cmp_gt_u32_e32 vcc, 18, v0
	s_and_saveexec_b64 s[4:5], vcc
; %bb.1:
	v_lshlrev_b32_e32 v1, 2, v0
	v_mov_b32_e32 v2, 0
	ds_write_b32 v1, v2 offset:36864
; %bb.2:
	s_or_b64 exec, exec, s[4:5]
	s_load_dwordx8 s[20:27], s[0:1], 0x20
	s_waitcnt lgkmcnt(0)
	s_barrier
	s_add_i32 s3, s20, 63
	s_ashr_i32 s5, s3, 31
	s_add_i32 s4, s21, 0x7f
	s_lshr_b32 s5, s5, 26
	s_ashr_i32 s6, s4, 31
	s_add_i32 s3, s3, s5
	s_ashr_i32 s12, s3, 6
	s_lshr_b32 s3, s6, 25
	s_add_i32 s4, s4, s3
	s_ashr_i32 s14, s4, 7
	s_mul_i32 s3, s14, s12
	s_mul_i32 s3, s3, s24
	s_add_i32 s4, s3, 0x12f
	s_mul_hi_i32 s4, s4, 0x6bca1af3
	s_lshr_b32 s5, s4, 31
	s_ashr_i32 s4, s4, 7
	s_add_i32 s4, s4, s5
	s_add_i32 s5, s2, 1
	s_mul_i32 s5, s4, s5
	v_cvt_f64_i32_e32 v[2:3], s3
	v_cvt_f64_u32_e32 v[4:5], s5
	v_min_f64 v[2:3], v[2:3], v[4:5]
	v_cvt_i32_f64_e32 v78, v[2:3]
	s_mul_i32 s33, s4, s2
	v_cmp_ge_i32_e32 vcc, s33, v78
	s_cbranch_vccnz .LBB211_54
; %bb.3:
	s_load_dwordx8 s[72:79], s[0:1], 0x0
	v_lshrrev_b32_e32 v1, 6, v0
	s_add_i32 s0, s26, s25
	v_cmp_le_i32_e64 s[18:19], s0, v1
	v_mov_b32_e32 v2, s25
	v_cmp_le_i32_e64 s[28:29], s25, v1
	v_mov_b32_e32 v3, s26
	v_cndmask_b32_e64 v3, 0, v3, s[18:19]
	v_cndmask_b32_e64 v2, 0, v2, s[28:29]
	s_abs_i32 s1, s24
	v_add_u32_e32 v2, v2, v3
	v_cvt_f32_u32_e32 v3, s1
	v_sub_u32_e32 v72, v1, v2
	s_ashr_i32 s2, s22, 31
	s_lshr_b32 s2, s2, 26
	v_rcp_iflag_f32_e32 v2, v3
	s_sub_i32 s5, 0, s1
	s_add_i32 s2, s22, s2
	s_ashr_i32 s2, s2, 6
	v_mul_f32_e32 v2, 0x4f7ffffe, v2
	v_cvt_u32_f32_e32 v2, v2
	s_abs_i32 s4, s2
	s_xor_b32 s3, s2, s24
	s_ashr_i32 s3, s3, 31
	v_readfirstlane_b32 s6, v2
	s_mul_i32 s5, s5, s6
	s_mul_hi_u32 s5, s6, s5
	s_add_i32 s6, s6, s5
	s_mul_hi_u32 s5, s4, s6
	s_mul_i32 s6, s5, s1
	s_sub_i32 s4, s4, s6
	s_add_i32 s6, s5, 1
	s_sub_i32 s7, s4, s1
	s_cmp_ge_u32 s4, s1
	s_cselect_b32 s5, s6, s5
	s_cselect_b32 s4, s7, s4
	s_add_i32 s6, s5, 1
	s_cmp_ge_u32 s4, s1
	s_cselect_b32 s1, s6, s5
	s_add_i32 s0, s0, s27
	v_and_b32_e32 v80, 31, v0
	v_lshrrev_b32_e32 v2, 3, v0
	v_cmp_gt_i32_e64 s[34:35], s0, v1
	v_lshlrev_b32_e32 v1, 2, v80
	v_and_b32_e32 v3, 4, v2
	v_lshlrev_b32_e32 v2, 6, v3
	v_or_b32_e32 v4, 0x6000, v1
	v_and_b32_e32 v5, 1, v0
	v_or_b32_e32 v81, v4, v2
	v_or_b32_e32 v82, v1, v2
	v_lshlrev_b32_e32 v2, 1, v5
	v_lshrrev_b32_e32 v7, 1, v0
	s_abs_i32 s97, s12
	v_sub_u32_e32 v2, v0, v2
	v_and_b32_e32 v66, 16, v7
	v_cvt_f32_u32_e32 v7, s97
	v_add_u32_e32 v2, 1, v2
	v_and_b32_e32 v6, 63, v2
	v_bitop3_b32 v83, v0, 1, v0 bitop3:0xc
	v_bitop3_b32 v84, v0, 3, 1 bitop3:0x6c
	;; [unrolled: 1-line block ×8, first 2 shown]
	v_and_b32_e32 v2, 30, v0
	v_lshlrev_b32_e32 v0, 4, v0
                                        ; implicit-def: $vgpr127 : SGPR spill to VGPR lane
	v_and_b32_e32 v0, 0x200, v0
	v_writelane_b32 v127, s12, 0
	v_or_b32_e32 v94, v1, v0
	v_rcp_iflag_f32_e32 v1, v7
	v_writelane_b32 v127, s14, 1
	s_waitcnt lgkmcnt(0)
	v_writelane_b32 v127, s72, 2
	s_abs_i32 s98, s14
	v_or_b32_e32 v96, v4, v0
	v_writelane_b32 v127, s73, 3
	v_writelane_b32 v127, s74, 4
	v_mul_f32_e32 v0, 0x4f7ffffe, v1
	v_cvt_f32_u32_e32 v1, s98
	v_writelane_b32 v127, s75, 5
	v_writelane_b32 v127, s76, 6
	;; [unrolled: 1-line block ×4, first 2 shown]
	v_cvt_u32_f32_e32 v0, v0
	v_rcp_iflag_f32_e32 v1, v1
	v_writelane_b32 v127, s79, 9
	v_cndmask_b32_e64 v79, 0, 1, s[18:19]
	s_xor_b32 s1, s1, s3
	v_writelane_b32 v127, s18, 10
	s_sub_i32 s15, s1, s3
	s_add_i32 s30, s24, -1
	v_writelane_b32 v127, s19, 11
	s_mul_i32 s1, s15, s30
	v_writelane_b32 v127, s28, 12
	s_sub_i32 s31, s2, s1
	v_readfirstlane_b32 s1, v0
	v_mul_f32_e32 v0, 0x4f7ffffe, v1
	v_writelane_b32 v127, s29, 13
	v_cvt_u32_f32_e32 v0, v0
	v_writelane_b32 v127, s15, 14
	s_sub_i32 s0, 0, s97
	v_writelane_b32 v127, s30, 15
	s_mul_i32 s0, s0, s1
	v_writelane_b32 v127, s31, 16
	s_mul_hi_u32 s0, s1, s0
	v_writelane_b32 v127, s34, 17
	s_ashr_i32 s36, s12, 31
	s_add_i32 s37, s1, s0
	s_sub_i32 s0, 0, s98
	v_readfirstlane_b32 s1, v0
	v_writelane_b32 v127, s35, 18
	s_mul_i32 s0, s0, s1
	v_mbcnt_lo_u32_b32 v0, -1, 0
	v_writelane_b32 v127, s36, 19
	s_ashr_i32 s38, s14, 31
	s_mul_hi_u32 s0, s1, s0
	v_mbcnt_hi_u32_b32 v0, -1, v0
	v_writelane_b32 v127, s37, 20
	v_mov_b32_e32 v65, 0
	v_mul_lo_u32 v68, s23, v80
	v_or_b32_e32 v97, v5, v3
	s_add_i32 s39, s1, s0
	v_and_or_b32 v0, v0, 64, v6
	v_writelane_b32 v127, s38, 21
	v_ashrrev_i32_e32 v69, 31, v68
	v_mov_b32_e32 v67, v65
	s_lshl_b32 s24, s23, 5
	v_mul_lo_u32 v95, s22, v80
	v_or_b32_e32 v98, 2, v97
	v_lshlrev_b32_e32 v64, 1, v2
	v_lshlrev_b32_e32 v99, 2, v0
	v_mov_b32_e32 v100, v72
	v_writelane_b32 v127, s39, 22
	s_branch .LBB211_7
.LBB211_4:                              ;   in Loop: Header=BB211_7 Depth=1
	s_or_b64 exec, exec, s[4:5]
.LBB211_5:                              ;   in Loop: Header=BB211_7 Depth=1
	s_or_b64 exec, exec, s[2:3]
	v_subrev_u32_e32 v100, s10, v100
.LBB211_6:                              ;   in Loop: Header=BB211_7 Depth=1
	s_or_b64 exec, exec, s[0:1]
	s_add_i32 s33, s33, 1
	v_cmp_ge_i32_e32 vcc, s33, v78
	s_cbranch_vccnz .LBB211_54
.LBB211_7:                              ; =>This Loop Header: Depth=1
                                        ;     Child Loop BB211_13 Depth 2
                                        ;       Child Loop BB211_15 Depth 3
                                        ;       Child Loop BB211_18 Depth 3
	;; [unrolled: 1-line block ×5, first 2 shown]
                                        ;     Child Loop BB211_32 Depth 2
                                        ;     Child Loop BB211_41 Depth 2
                                        ;       Child Loop BB211_43 Depth 3
                                        ;     Child Loop BB211_51 Depth 2
                                        ;       Child Loop BB211_53 Depth 3
	s_abs_i32 s1, s33
	s_mul_hi_u32 s2, s1, s37
	s_mul_i32 s3, s2, s97
	s_ashr_i32 s0, s33, 31
	s_sub_i32 s1, s1, s3
	s_xor_b32 s0, s0, s36
	s_add_i32 s3, s2, 1
	s_sub_i32 s4, s1, s97
	s_cmp_ge_u32 s1, s97
	s_cselect_b32 s2, s3, s2
	s_cselect_b32 s1, s4, s1
	s_add_i32 s3, s2, 1
	s_cmp_ge_u32 s1, s97
	s_cselect_b32 s1, s3, s2
	s_xor_b32 s1, s1, s0
	s_sub_i32 s0, s1, s0
	s_abs_i32 s2, s0
	s_mul_i32 s1, s0, s12
	s_mul_hi_u32 s3, s2, s39
	s_sub_i32 s1, s33, s1
	s_mul_i32 s4, s3, s98
	s_lshl_b32 s99, s1, 6
	s_ashr_i32 s1, s0, 31
	s_sub_i32 s2, s2, s4
	s_xor_b32 s1, s1, s38
	s_add_i32 s4, s3, 1
	s_sub_i32 s5, s2, s98
	s_cmp_ge_u32 s2, s98
	s_cselect_b32 s3, s4, s3
	s_cselect_b32 s2, s5, s2
	s_add_i32 s4, s3, 1
	s_cmp_ge_u32 s2, s98
	s_cselect_b32 s2, s4, s3
	s_xor_b32 s2, s2, s1
	s_sub_i32 s1, s2, s1
	s_mul_i32 s2, s1, s15
	s_lshl_b32 s44, s2, 6
	s_cmp_eq_u32 s1, s30
	s_cselect_b32 s4, s31, s15
	s_sub_i32 s2, s99, s20
	s_add_i32 s2, s2, 64
	s_max_i32 s96, s2, 0
	s_and_saveexec_b64 s[2:3], s[28:29]
	s_xor_b64 s[46:47], exec, s[2:3]
	s_cbranch_execz .LBB211_47
; %bb.8:                                ;   in Loop: Header=BB211_7 Depth=1
	s_mul_i32 s1, s1, s14
	s_sub_i32 s0, s0, s1
	s_lshl_b32 s0, s0, 7
	s_sub_i32 s5, s0, s21
	s_addk_i32 s5, 0x80
	s_max_i32 s1, s5, 0
	s_sub_i32 s0, s0, s1
	s_and_saveexec_b64 s[2:3], s[18:19]
	s_xor_b64 s[2:3], exec, s[2:3]
	s_cbranch_execz .LBB211_37
; %bb.9:                                ;   in Loop: Header=BB211_7 Depth=1
	s_and_saveexec_b64 s[48:49], s[34:35]
	s_cbranch_execz .LBB211_36
; %bb.10:                               ;   in Loop: Header=BB211_7 Depth=1
	global_load_dword v101, v65, s[78:79]
	v_mov_b32_e32 v63, 0
	v_cmp_gt_i32_e32 vcc, s4, v100
	v_mov_b32_e32 v62, v63
	v_mov_b32_e32 v61, v63
	;; [unrolled: 1-line block ×63, first 2 shown]
	s_and_saveexec_b64 s[6:7], vcc
	s_cbranch_execz .LBB211_29
; %bb.11:                               ;   in Loop: Header=BB211_7 Depth=1
	v_mov_b32_e32 v0, 0
	s_mov_b64 s[8:9], 0
	v_mov_b32_e32 v1, v0
	v_mov_b32_e32 v2, v0
	v_mov_b32_e32 v3, v0
	v_mov_b32_e32 v4, v0
	v_mov_b32_e32 v5, v0
	v_mov_b32_e32 v6, v0
	v_mov_b32_e32 v7, v0
	v_mov_b32_e32 v8, v0
	v_mov_b32_e32 v9, v0
	v_mov_b32_e32 v10, v0
	v_mov_b32_e32 v11, v0
	v_mov_b32_e32 v12, v0
	v_mov_b32_e32 v13, v0
	v_mov_b32_e32 v14, v0
	v_mov_b32_e32 v15, v0
	v_mov_b32_e32 v16, v0
	v_mov_b32_e32 v17, v0
	v_mov_b32_e32 v18, v0
	v_mov_b32_e32 v19, v0
	v_mov_b32_e32 v20, v0
	v_mov_b32_e32 v21, v0
	v_mov_b32_e32 v22, v0
	v_mov_b32_e32 v23, v0
	v_mov_b32_e32 v24, v0
	v_mov_b32_e32 v25, v0
	v_mov_b32_e32 v26, v0
	v_mov_b32_e32 v27, v0
	v_mov_b32_e32 v28, v0
	v_mov_b32_e32 v29, v0
	v_mov_b32_e32 v30, v0
	v_mov_b32_e32 v31, v0
	v_mov_b32_e32 v32, v0
	v_mov_b32_e32 v33, v0
	v_mov_b32_e32 v34, v0
	v_mov_b32_e32 v35, v0
	v_mov_b32_e32 v36, v0
	v_mov_b32_e32 v37, v0
	v_mov_b32_e32 v38, v0
	v_mov_b32_e32 v39, v0
	v_mov_b32_e32 v40, v0
	v_mov_b32_e32 v41, v0
	v_mov_b32_e32 v42, v0
	v_mov_b32_e32 v43, v0
	v_mov_b32_e32 v44, v0
	v_mov_b32_e32 v45, v0
	v_mov_b32_e32 v46, v0
	v_mov_b32_e32 v47, v0
	v_mov_b32_e32 v48, v0
	v_mov_b32_e32 v49, v0
	v_mov_b32_e32 v50, v0
	v_mov_b32_e32 v51, v0
	v_mov_b32_e32 v52, v0
	v_mov_b32_e32 v53, v0
	v_mov_b32_e32 v54, v0
	v_mov_b32_e32 v55, v0
	v_mov_b32_e32 v56, v0
	v_mov_b32_e32 v57, v0
	v_mov_b32_e32 v58, v0
	v_mov_b32_e32 v59, v0
	v_mov_b32_e32 v60, v0
	v_mov_b32_e32 v61, v0
	v_mov_b32_e32 v62, v0
	v_mov_b32_e32 v63, v0
	s_branch .LBB211_13
.LBB211_12:                             ;   in Loop: Header=BB211_13 Depth=2
	s_or_b64 exec, exec, s[10:11]
	v_add_u32_e32 v108, 0x1800, v105
	ds_read2_b32 v[106:107], v108 offset1:32
	v_add_u32_e32 v100, s27, v100
	s_waitcnt lgkmcnt(0)
	v_mfma_f32_32x32x16_fp8_fp8 v[0:15], v[76:77], v[106:107], v[0:15]
	ds_read2_b32 v[76:77], v108 offset0:128 offset1:160
	s_waitcnt lgkmcnt(0)
	v_mfma_f32_32x32x16_fp8_fp8 v[0:15], v[74:75], v[76:77], v[0:15]
	v_add_u32_e32 v76, 0x1c00, v105
	ds_read2_b32 v[74:75], v76 offset1:32
	ds_read2_b32 v[76:77], v76 offset0:128 offset1:160
	ds_write_b32 v103, v104 offset:36892
	s_waitcnt lgkmcnt(2)
	v_mfma_f32_32x32x16_fp8_fp8 v[0:15], v[72:73], v[74:75], v[0:15]
	v_add_u32_e32 v72, s27, v102
	v_add_u32_e32 v73, 2, v79
	v_cmp_lt_i32_e32 vcc, 2, v72
	s_nop 1
	v_cndmask_b32_e32 v79, v79, v73, vcc
	v_cmp_le_i32_e32 vcc, s4, v100
	s_waitcnt lgkmcnt(1)
	v_mfma_f32_32x32x16_fp8_fp8 v[0:15], v[70:71], v[76:77], v[0:15]
	s_or_b64 s[8:9], vcc, s[8:9]
	s_andn2_b64 exec, exec, s[8:9]
	s_cbranch_execz .LBB211_28
.LBB211_13:                             ;   Parent Loop BB211_7 Depth=1
                                        ; =>  This Loop Header: Depth=2
                                        ;       Child Loop BB211_15 Depth 3
                                        ;       Child Loop BB211_18 Depth 3
	;; [unrolled: 1-line block ×5, first 2 shown]
	v_cmp_gt_i32_e32 vcc, 3, v72
	s_nop 1
	v_cndmask_b32_e64 v70, -3, 0, vcc
	v_add_u32_e32 v102, v70, v72
	v_lshlrev_b32_e32 v103, 5, v102
	ds_read_b32 v70, v103 offset:36864
	s_waitcnt lgkmcnt(0)
	v_cmp_ne_u32_e32 vcc, v70, v79
	s_and_saveexec_b64 s[10:11], vcc
	s_cbranch_execz .LBB211_16
; %bb.14:                               ;   in Loop: Header=BB211_13 Depth=2
	s_mov_b64 s[12:13], 0
.LBB211_15:                             ;   Parent Loop BB211_7 Depth=1
                                        ;     Parent Loop BB211_13 Depth=2
                                        ; =>    This Inner Loop Header: Depth=3
	;;#ASMSTART
	s_sleep 0
	;;#ASMEND
	ds_read_b32 v70, v103 offset:36864
	s_waitcnt lgkmcnt(0)
	v_cmp_eq_u32_e32 vcc, v70, v79
	s_or_b64 s[12:13], vcc, s[12:13]
	s_andn2_b64 exec, exec, s[12:13]
	s_cbranch_execnz .LBB211_15
.LBB211_16:                             ;   in Loop: Header=BB211_13 Depth=2
	s_or_b64 exec, exec, s[10:11]
	v_lshl_add_u32 v70, v102, 11, v81
	ds_read2_b32 v[76:77], v70 offset1:32
	ds_read2_b32 v[74:75], v70 offset0:128 offset1:160
	v_add_u32_e32 v70, 0x400, v70
	ds_read2_b32 v[72:73], v70 offset1:32
	ds_read_b32 v105, v103 offset:36868
	ds_read2_b32 v[70:71], v70 offset0:128 offset1:160
	v_add_u32_e32 v104, 1, v79
	ds_write_b32 v103, v104 offset:36864
	s_waitcnt lgkmcnt(2)
	v_cmp_ne_u32_e32 vcc, v105, v79
	s_and_saveexec_b64 s[10:11], vcc
	s_cbranch_execz .LBB211_19
; %bb.17:                               ;   in Loop: Header=BB211_13 Depth=2
	s_mov_b64 s[12:13], 0
.LBB211_18:                             ;   Parent Loop BB211_7 Depth=1
                                        ;     Parent Loop BB211_13 Depth=2
                                        ; =>    This Inner Loop Header: Depth=3
	;;#ASMSTART
	s_sleep 0
	;;#ASMEND
	ds_read_b32 v105, v103 offset:36868
	s_waitcnt lgkmcnt(0)
	v_cmp_eq_u32_e32 vcc, v105, v79
	s_or_b64 s[12:13], vcc, s[12:13]
	s_andn2_b64 exec, exec, s[12:13]
	s_cbranch_execnz .LBB211_18
.LBB211_19:                             ;   in Loop: Header=BB211_13 Depth=2
	s_or_b64 exec, exec, s[10:11]
	v_lshlrev_b32_e32 v105, 13, v102
	v_or_b32_e32 v108, v82, v105
	ds_read2_b32 v[106:107], v108 offset1:32
	ds_write_b32 v103, v104 offset:36868
	s_waitcnt lgkmcnt(1)
	v_mfma_f32_32x32x16_fp8_fp8 v[48:63], v[76:77], v[106:107], v[48:63]
	ds_read2_b32 v[106:107], v108 offset0:128 offset1:160
	v_add_u32_e32 v108, 0x400, v108
	s_waitcnt lgkmcnt(0)
	v_mfma_f32_32x32x16_fp8_fp8 v[48:63], v[74:75], v[106:107], v[48:63]
	ds_read2_b32 v[106:107], v108 offset1:32
	s_waitcnt lgkmcnt(0)
	v_mfma_f32_32x32x16_fp8_fp8 v[48:63], v[72:73], v[106:107], v[48:63]
	ds_read2_b32 v[106:107], v108 offset0:128 offset1:160
	ds_read_b32 v108, v103 offset:36876
	s_waitcnt lgkmcnt(0)
	v_cmp_ne_u32_e32 vcc, v108, v79
	v_mfma_f32_32x32x16_fp8_fp8 v[48:63], v[70:71], v[106:107], v[48:63]
	s_and_saveexec_b64 s[10:11], vcc
	s_cbranch_execz .LBB211_22
; %bb.20:                               ;   in Loop: Header=BB211_13 Depth=2
	s_mov_b64 s[12:13], 0
.LBB211_21:                             ;   Parent Loop BB211_7 Depth=1
                                        ;     Parent Loop BB211_13 Depth=2
                                        ; =>    This Inner Loop Header: Depth=3
	;;#ASMSTART
	s_sleep 0
	;;#ASMEND
	ds_read_b32 v106, v103 offset:36876
	s_waitcnt lgkmcnt(0)
	v_cmp_eq_u32_e32 vcc, v106, v79
	s_or_b64 s[12:13], vcc, s[12:13]
	s_andn2_b64 exec, exec, s[12:13]
	s_cbranch_execnz .LBB211_21
.LBB211_22:                             ;   in Loop: Header=BB211_13 Depth=2
	s_or_b64 exec, exec, s[10:11]
	v_add_u32_e32 v105, v82, v105
	v_add_u32_e32 v108, 0x800, v105
	ds_read2_b32 v[106:107], v108 offset1:32
	ds_write_b32 v103, v104 offset:36876
	s_waitcnt lgkmcnt(1)
	v_mfma_f32_32x32x16_fp8_fp8 v[32:47], v[76:77], v[106:107], v[32:47]
	ds_read2_b32 v[106:107], v108 offset0:128 offset1:160
	v_add_u32_e32 v108, 0xc00, v105
	s_waitcnt lgkmcnt(0)
	v_mfma_f32_32x32x16_fp8_fp8 v[32:47], v[74:75], v[106:107], v[32:47]
	ds_read2_b32 v[106:107], v108 offset1:32
	s_waitcnt lgkmcnt(0)
	v_mfma_f32_32x32x16_fp8_fp8 v[32:47], v[72:73], v[106:107], v[32:47]
	ds_read2_b32 v[106:107], v108 offset0:128 offset1:160
	ds_read_b32 v108, v103 offset:36884
	s_waitcnt lgkmcnt(0)
	v_cmp_ne_u32_e32 vcc, v108, v79
	v_mfma_f32_32x32x16_fp8_fp8 v[32:47], v[70:71], v[106:107], v[32:47]
	s_and_saveexec_b64 s[10:11], vcc
	s_cbranch_execz .LBB211_25
; %bb.23:                               ;   in Loop: Header=BB211_13 Depth=2
	s_mov_b64 s[12:13], 0
.LBB211_24:                             ;   Parent Loop BB211_7 Depth=1
                                        ;     Parent Loop BB211_13 Depth=2
                                        ; =>    This Inner Loop Header: Depth=3
	;;#ASMSTART
	s_sleep 0
	;;#ASMEND
	ds_read_b32 v106, v103 offset:36884
	s_waitcnt lgkmcnt(0)
	v_cmp_eq_u32_e32 vcc, v106, v79
	s_or_b64 s[12:13], vcc, s[12:13]
	s_andn2_b64 exec, exec, s[12:13]
	s_cbranch_execnz .LBB211_24
.LBB211_25:                             ;   in Loop: Header=BB211_13 Depth=2
	s_or_b64 exec, exec, s[10:11]
	v_add_u32_e32 v108, 0x1000, v105
	ds_read2_b32 v[106:107], v108 offset1:32
	s_waitcnt lgkmcnt(0)
	v_mfma_f32_32x32x16_fp8_fp8 v[16:31], v[76:77], v[106:107], v[16:31]
	ds_read2_b32 v[106:107], v108 offset0:128 offset1:160
	v_add_u32_e32 v108, 0x1400, v105
	s_waitcnt lgkmcnt(0)
	v_mfma_f32_32x32x16_fp8_fp8 v[16:31], v[74:75], v[106:107], v[16:31]
	ds_read2_b32 v[106:107], v108 offset1:32
	s_waitcnt lgkmcnt(0)
	v_mfma_f32_32x32x16_fp8_fp8 v[16:31], v[72:73], v[106:107], v[16:31]
	ds_read_b32 v109, v103 offset:36892
	ds_read2_b32 v[106:107], v108 offset0:128 offset1:160
	ds_write_b32 v103, v104 offset:36884
	s_waitcnt lgkmcnt(2)
	v_cmp_ne_u32_e32 vcc, v109, v79
	s_waitcnt lgkmcnt(1)
	v_mfma_f32_32x32x16_fp8_fp8 v[16:31], v[70:71], v[106:107], v[16:31]
	s_and_saveexec_b64 s[10:11], vcc
	s_cbranch_execz .LBB211_12
; %bb.26:                               ;   in Loop: Header=BB211_13 Depth=2
	s_mov_b64 s[12:13], 0
.LBB211_27:                             ;   Parent Loop BB211_7 Depth=1
                                        ;     Parent Loop BB211_13 Depth=2
                                        ; =>    This Inner Loop Header: Depth=3
	;;#ASMSTART
	s_sleep 0
	;;#ASMEND
	ds_read_b32 v106, v103 offset:36892
	s_waitcnt lgkmcnt(0)
	v_cmp_eq_u32_e32 vcc, v106, v79
	s_or_b64 s[12:13], vcc, s[12:13]
	s_andn2_b64 exec, exec, s[12:13]
	s_cbranch_execnz .LBB211_27
	s_branch .LBB211_12
.LBB211_28:                             ;   in Loop: Header=BB211_7 Depth=1
	s_or_b64 exec, exec, s[8:9]
.LBB211_29:                             ;   in Loop: Header=BB211_7 Depth=1
	v_writelane_b32 v127, s48, 23
	s_nop 1
	v_writelane_b32 v127, s49, 24
	v_writelane_b32 v127, s46, 25
	s_nop 1
	v_writelane_b32 v127, s47, 26
	v_writelane_b32 v127, s44, 27
	s_or_b64 exec, exec, s[6:7]
	v_cmp_le_i32_e32 vcc, s5, v80
	v_cmp_eq_u32_e64 s[64:65], 1, v83
	v_cmp_eq_u32_e64 s[30:31], 2, v83
	s_waitcnt vmcnt(0)
	v_cndmask_b32_e32 v70, 0, v101, vcc
	v_pk_mul_f32 v[48:49], v[70:71], v[48:49] op_sel_hi:[0,1]
	v_pk_mul_f32 v[62:63], v[70:71], v[62:63] op_sel_hi:[0,1]
	v_pk_mul_f32 v[60:61], v[70:71], v[60:61] op_sel_hi:[0,1]
	v_pk_mul_f32 v[58:59], v[70:71], v[58:59] op_sel_hi:[0,1]
	v_pk_mul_f32 v[56:57], v[70:71], v[56:57] op_sel_hi:[0,1]
	v_pk_mul_f32 v[54:55], v[70:71], v[54:55] op_sel_hi:[0,1]
	v_pk_mul_f32 v[52:53], v[70:71], v[52:53] op_sel_hi:[0,1]
	v_pk_mul_f32 v[50:51], v[70:71], v[50:51] op_sel_hi:[0,1]
	v_cndmask_b32_e64 v70, v48, v49, s[64:65]
	v_cndmask_b32_e64 v70, v70, v50, s[30:31]
	v_cmp_eq_u32_e64 s[40:41], 3, v83
	v_cmp_eq_u32_e64 s[42:43], 4, v83
	v_cmp_eq_u32_e64 s[44:45], 5, v83
	v_cndmask_b32_e64 v70, v70, v51, s[40:41]
	v_cndmask_b32_e64 v70, v70, v52, s[42:43]
	v_cndmask_b32_e64 v70, v70, v53, s[44:45]
	v_cmp_eq_u32_e64 s[46:47], 6, v83
	v_cmp_eq_u32_e64 s[48:49], 7, v83
	v_cmp_eq_u32_e64 s[50:51], 8, v83
	v_cndmask_b32_e64 v70, v70, v54, s[46:47]
	;; [unrolled: 6-line block ×4, first 2 shown]
	v_cndmask_b32_e64 v70, v70, v61, s[60:61]
	v_cndmask_b32_e64 v70, v70, v62, s[62:63]
	v_cmp_eq_u32_e64 s[66:67], 15, v83
	s_mul_i32 s6, s99, s21
	s_ashr_i32 s7, s6, 31
	v_cndmask_b32_e64 v70, v70, v63, s[66:67]
	ds_bpermute_b32 v70, v99, v70
	s_lshl_b64 s[6:7], s[6:7], 1
	v_cmp_eq_u32_e64 s[36:37], 0, v83
	s_add_u32 s70, s76, s6
	v_cmp_eq_u32_e32 vcc, 1, v84
	s_waitcnt lgkmcnt(0)
	v_cndmask_b32_e64 v63, v63, v70, s[66:67]
	v_cndmask_b32_e64 v62, v62, v70, s[62:63]
	;; [unrolled: 1-line block ×16, first 2 shown]
	s_addc_u32 s71, s77, s7
	v_cndmask_b32_e32 v48, v70, v103, vcc
	v_cmp_eq_u32_e64 s[6:7], 2, v84
	v_cmp_eq_u32_e64 s[8:9], 3, v84
	v_cmp_eq_u32_e64 s[10:11], 4, v84
	v_cndmask_b32_e64 v48, v48, v102, s[6:7]
	v_cndmask_b32_e64 v48, v48, v77, s[8:9]
	v_cndmask_b32_e64 v48, v48, v76, s[10:11]
	v_cmp_eq_u32_e64 s[12:13], 5, v84
	v_cmp_eq_u32_e64 s[14:15], 6, v84
	v_cmp_eq_u32_e64 s[16:17], 7, v84
	v_cndmask_b32_e64 v48, v48, v75, s[12:13]
	v_cndmask_b32_e64 v48, v48, v74, s[14:15]
	v_cndmask_b32_e64 v48, v48, v73, s[16:17]
	;; [unrolled: 6-line block ×4, first 2 shown]
	v_cmp_eq_u32_e64 s[34:35], 14, v84
	v_cmp_eq_u32_e64 s[38:39], 15, v84
	s_ashr_i32 s1, s0, 31
	v_cndmask_b32_e64 v48, v48, v62, s[34:35]
	v_cndmask_b32_e64 v48, v48, v63, s[38:39]
	ds_bpermute_b32 v71, v99, v48
	s_lshl_b64 s[68:69], s[0:1], 1
	s_add_u32 s68, s70, s68
	s_addc_u32 s69, s71, s69
	v_writelane_b32 v127, s68, 28
	v_or_b32_e32 v48, 32, v80
	s_waitcnt lgkmcnt(0)
	v_cndmask_b32_e64 v55, v57, v71, s[76:77]
	v_writelane_b32 v127, s69, 29
	v_cndmask_b32_e64 v57, v73, v71, s[16:17]
	v_cmp_le_i32_e64 s[68:69], s5, v48
	v_or_b32_e32 v73, 64, v80
	v_cndmask_b32_e64 v49, v63, v71, s[38:39]
	v_cndmask_b32_e64 v48, 0, v101, s[68:69]
	v_cmp_le_i32_e64 s[68:69], s5, v73
	v_or_b32_e32 v73, 0x60, v80
	v_cndmask_b32_e64 v54, v58, v71, s[78:79]
	v_cndmask_b32_e64 v58, v74, v71, s[14:15]
	;; [unrolled: 1-line block ×3, first 2 shown]
	v_cmp_le_i32_e64 s[70:71], s5, v73
	v_cmp_eq_u32_e64 s[68:69], 0, v84
	v_pk_mul_f32 v[32:33], v[48:49], v[32:33] op_sel_hi:[0,1]
	v_pk_mul_f32 v[30:31], v[74:75], v[30:31] op_sel_hi:[0,1]
	;; [unrolled: 1-line block ×9, first 2 shown]
	v_cndmask_b32_e64 v74, 0, v101, s[70:71]
	v_cndmask_b32_e64 v50, v62, v71, s[34:35]
	;; [unrolled: 1-line block ×10, first 2 shown]
	v_cndmask_b32_e32 v63, v103, v71, vcc
	v_cndmask_b32_e64 v70, v70, v71, s[68:69]
	v_pk_mul_f32 v[46:47], v[48:49], v[46:47] op_sel_hi:[0,1]
	v_pk_mul_f32 v[44:45], v[48:49], v[44:45] op_sel_hi:[0,1]
	;; [unrolled: 1-line block ×7, first 2 shown]
	v_cndmask_b32_e64 v48, v32, v33, s[64:65]
	v_cndmask_b32_e64 v71, v16, v17, s[64:65]
	v_pk_mul_f32 v[0:1], v[74:75], v[0:1] op_sel_hi:[0,1]
	v_cndmask_b32_e64 v48, v48, v34, s[30:31]
	v_cndmask_b32_e64 v71, v71, v18, s[30:31]
	v_pk_mul_f32 v[14:15], v[74:75], v[14:15] op_sel_hi:[0,1]
	v_pk_mul_f32 v[12:13], v[74:75], v[12:13] op_sel_hi:[0,1]
	;; [unrolled: 1-line block ×7, first 2 shown]
	v_cndmask_b32_e64 v74, v0, v1, s[64:65]
	v_cndmask_b32_e64 v48, v48, v35, s[40:41]
	;; [unrolled: 1-line block ×40, first 2 shown]
	ds_bpermute_b32 v48, v99, v48
	ds_bpermute_b32 v71, v99, v71
	v_cndmask_b32_e64 v74, v74, v15, s[66:67]
	ds_bpermute_b32 v74, v99, v74
	v_cmp_eq_u32_e64 s[70:71], 1, v85
	s_waitcnt lgkmcnt(2)
	v_cndmask_b32_e64 v33, v33, v48, s[64:65]
	s_waitcnt lgkmcnt(1)
	v_cndmask_b32_e64 v17, v17, v71, s[64:65]
	v_cndmask_b32_e64 v73, v70, v63, s[70:71]
	v_cmp_eq_u32_e64 s[64:65], 2, v85
	v_cndmask_b32_e64 v47, v47, v48, s[66:67]
	v_cndmask_b32_e64 v31, v31, v71, s[66:67]
	;; [unrolled: 1-line block ×3, first 2 shown]
	s_waitcnt lgkmcnt(0)
	v_cndmask_b32_e64 v15, v15, v74, s[66:67]
	v_cmp_eq_u32_e64 s[66:67], 3, v85
	v_cndmask_b32_e64 v46, v46, v48, s[62:63]
	v_cndmask_b32_e64 v30, v30, v71, s[62:63]
	v_cndmask_b32_e64 v73, v73, v61, s[66:67]
	v_cndmask_b32_e64 v14, v14, v74, s[62:63]
	v_cmp_eq_u32_e64 s[62:63], 4, v85
	v_cndmask_b32_e64 v45, v45, v48, s[60:61]
	v_cndmask_b32_e64 v29, v29, v71, s[60:61]
	v_cndmask_b32_e64 v73, v73, v60, s[62:63]
	v_cndmask_b32_e64 v13, v13, v74, s[60:61]
	v_cmp_eq_u32_e64 s[60:61], 5, v85
	v_cndmask_b32_e64 v44, v44, v48, s[58:59]
	v_cndmask_b32_e64 v28, v28, v71, s[58:59]
	v_cndmask_b32_e64 v73, v73, v59, s[60:61]
	v_cndmask_b32_e64 v12, v12, v74, s[58:59]
	v_cmp_eq_u32_e64 s[58:59], 6, v85
	v_cndmask_b32_e64 v43, v43, v48, s[56:57]
	v_cndmask_b32_e64 v27, v27, v71, s[56:57]
	v_cndmask_b32_e64 v73, v73, v58, s[58:59]
	v_cndmask_b32_e64 v11, v11, v74, s[56:57]
	v_cmp_eq_u32_e64 s[56:57], 7, v85
	v_cmp_eq_u32_e64 s[72:73], 8, v85
	v_cndmask_b32_e64 v41, v41, v48, s[52:53]
	v_cndmask_b32_e64 v73, v73, v57, s[56:57]
	;; [unrolled: 1-line block ×5, first 2 shown]
	v_cmp_eq_u32_e64 s[52:53], 9, v85
	v_cndmask_b32_e64 v40, v40, v48, s[50:51]
	v_cndmask_b32_e64 v24, v24, v71, s[50:51]
	v_cndmask_b32_e64 v73, v73, v55, s[52:53]
	v_cndmask_b32_e64 v8, v8, v74, s[50:51]
	v_cmp_eq_u32_e64 s[50:51], 10, v85
	v_cndmask_b32_e64 v42, v42, v48, s[54:55]
	v_cndmask_b32_e64 v26, v26, v71, s[54:55]
	v_cndmask_b32_e64 v10, v10, v74, s[54:55]
	v_cndmask_b32_e64 v73, v73, v54, s[50:51]
	;; [unrolled: 5-line block ×3, first 2 shown]
	v_cmp_eq_u32_e64 s[48:49], 12, v85
	v_cmp_eq_u32_e64 s[74:75], 13, v85
	v_cndmask_b32_e64 v36, v36, v48, s[42:43]
	v_cndmask_b32_e64 v73, v73, v52, s[48:49]
	;; [unrolled: 1-line block ×5, first 2 shown]
	v_cmp_eq_u32_e64 s[42:43], 14, v85
	v_cndmask_b32_e64 v37, v37, v48, s[44:45]
	v_cndmask_b32_e64 v21, v21, v71, s[44:45]
	;; [unrolled: 1-line block ×4, first 2 shown]
	v_cmp_eq_u32_e64 s[44:45], 15, v85
	v_cndmask_b32_e64 v34, v34, v48, s[30:31]
	v_cndmask_b32_e64 v18, v18, v71, s[30:31]
	;; [unrolled: 1-line block ×3, first 2 shown]
	ds_bpermute_b32 v73, v99, v73
	v_cndmask_b32_e64 v2, v2, v74, s[30:31]
	v_cmp_ne_u32_e64 s[30:31], 0, v83
	v_cndmask_b32_e64 v32, v32, v48, s[36:37]
	v_cndmask_b32_e64 v38, v38, v48, s[46:47]
	;; [unrolled: 1-line block ×6, first 2 shown]
	v_cmp_eq_u32_e64 s[40:41], 0, v85
	v_cndmask_b32_e32 v48, v32, v33, vcc
	v_cndmask_b32_e64 v0, v0, v74, s[36:37]
	s_waitcnt lgkmcnt(0)
	v_cndmask_b32_e64 v49, v49, v73, s[44:45]
	v_cndmask_b32_e64 v50, v50, v73, s[42:43]
	;; [unrolled: 1-line block ×17, first 2 shown]
	v_cndmask_b32_e32 v73, v0, v1, vcc
	v_cndmask_b32_e64 v48, v48, v35, s[8:9]
	v_cndmask_b32_e64 v73, v73, v2, s[6:7]
	;; [unrolled: 1-line block ×22, first 2 shown]
	v_cndmask_b32_e32 v71, v16, v17, vcc
	v_cndmask_b32_e64 v73, v73, v11, s[80:81]
	v_cndmask_b32_e64 v48, v48, v45, s[28:29]
	v_cndmask_b32_e64 v71, v71, v18, s[6:7]
	v_cndmask_b32_e64 v73, v73, v12, s[82:83]
	v_cndmask_b32_e64 v48, v48, v46, s[34:35]
	v_cndmask_b32_e64 v71, v71, v19, s[8:9]
	v_cndmask_b32_e64 v73, v73, v13, s[28:29]
	v_cndmask_b32_e64 v48, v48, v47, s[38:39]
	v_cndmask_b32_e64 v71, v71, v20, s[10:11]
	v_cndmask_b32_e64 v73, v73, v14, s[34:35]
	ds_bpermute_b32 v48, v99, v48
	v_cndmask_b32_e64 v71, v71, v21, s[12:13]
	v_cndmask_b32_e64 v73, v73, v15, s[38:39]
	;; [unrolled: 1-line block ×3, first 2 shown]
	ds_bpermute_b32 v73, v99, v73
	v_cndmask_b32_e64 v71, v71, v23, s[16:17]
	v_cndmask_b32_e64 v71, v71, v24, s[18:19]
	;; [unrolled: 1-line block ×4, first 2 shown]
	s_waitcnt lgkmcnt(1)
	v_cndmask_b32_e32 v33, v33, v48, vcc
	v_cndmask_b32_e64 v32, v32, v48, s[68:69]
	v_cndmask_b32_e64 v71, v71, v27, s[80:81]
	v_cndmask_b32_e64 v47, v47, v48, s[38:39]
	v_cndmask_b32_e64 v46, v46, v48, s[34:35]
	v_cndmask_b32_e64 v45, v45, v48, s[28:29]
	v_cndmask_b32_e64 v44, v44, v48, s[82:83]
	v_cndmask_b32_e64 v43, v43, v48, s[80:81]
	v_cndmask_b32_e64 v42, v42, v48, s[78:79]
	v_cndmask_b32_e64 v41, v41, v48, s[76:77]
	v_cndmask_b32_e64 v40, v40, v48, s[18:19]
	v_cndmask_b32_e64 v39, v39, v48, s[16:17]
	v_cndmask_b32_e64 v38, v38, v48, s[14:15]
	v_cndmask_b32_e64 v37, v37, v48, s[12:13]
	v_cndmask_b32_e64 v36, v36, v48, s[10:11]
	v_cndmask_b32_e64 v35, v35, v48, s[8:9]
	v_cndmask_b32_e64 v34, v34, v48, s[6:7]
	s_waitcnt lgkmcnt(0)
	v_cndmask_b32_e32 v1, v1, v73, vcc
	v_cndmask_b32_e64 v48, v32, v33, s[70:71]
	v_cndmask_b32_e64 v0, v0, v73, s[68:69]
	;; [unrolled: 1-line block ×28, first 2 shown]
	ds_bpermute_b32 v71, v99, v71
	v_cndmask_b32_e64 v48, v48, v38, s[58:59]
	v_cndmask_b32_e64 v73, v73, v5, s[60:61]
	;; [unrolled: 1-line block ×8, first 2 shown]
	v_cmp_eq_u32_e64 s[30:31], 1, v86
	v_cndmask_b32_e64 v48, v48, v42, s[50:51]
	v_cndmask_b32_e64 v73, v73, v9, s[52:53]
	;; [unrolled: 1-line block ×3, first 2 shown]
	v_cmp_eq_u32_e64 s[36:37], 2, v86
	s_waitcnt lgkmcnt(0)
	v_cndmask_b32_e32 v17, v17, v71, vcc
	v_cndmask_b32_e64 v48, v48, v43, s[54:55]
	v_cndmask_b32_e64 v16, v16, v71, s[68:69]
	;; [unrolled: 1-line block ×6, first 2 shown]
	v_cmp_eq_u32_e64 s[38:39], 3, v86
	v_cndmask_b32_e64 v29, v29, v71, s[28:29]
	v_cndmask_b32_e64 v28, v28, v71, s[82:83]
	;; [unrolled: 1-line block ×16, first 2 shown]
	v_cmp_eq_u32_e64 s[28:29], 4, v86
	v_cndmask_b32_e64 v48, v48, v45, s[74:75]
	v_cndmask_b32_e64 v71, v71, v18, s[64:65]
	v_cndmask_b32_e64 v73, v73, v12, s[48:49]
	v_cndmask_b32_e64 v74, v74, v60, s[28:29]
	v_cmp_eq_u32_e64 s[84:85], 5, v86
	v_cndmask_b32_e64 v48, v48, v46, s[42:43]
	v_cndmask_b32_e64 v71, v71, v19, s[66:67]
	v_cndmask_b32_e64 v73, v73, v13, s[74:75]
	v_cndmask_b32_e64 v74, v74, v59, s[84:85]
	;; [unrolled: 5-line block ×3, first 2 shown]
	v_cmp_eq_u32_e64 s[88:89], 7, v86
	ds_bpermute_b32 v48, v99, v48
	v_cndmask_b32_e64 v71, v71, v21, s[60:61]
	v_cndmask_b32_e64 v73, v73, v15, s[44:45]
	;; [unrolled: 1-line block ×3, first 2 shown]
	v_cmp_eq_u32_e64 s[92:93], 8, v86
	v_cndmask_b32_e64 v71, v71, v22, s[58:59]
	ds_bpermute_b32 v73, v99, v73
	v_cndmask_b32_e64 v74, v74, v56, s[92:93]
	v_cmp_eq_u32_e64 s[18:19], 9, v86
	v_cndmask_b32_e64 v71, v71, v23, s[56:57]
	v_cmp_eq_u32_e64 s[16:17], 10, v86
	v_cndmask_b32_e64 v74, v74, v55, s[18:19]
	v_cndmask_b32_e64 v71, v71, v24, s[72:73]
	;; [unrolled: 1-line block ×3, first 2 shown]
	v_cmp_eq_u32_e64 s[14:15], 11, v86
	v_cndmask_b32_e64 v71, v71, v25, s[52:53]
	v_cmp_eq_u32_e64 s[12:13], 12, v86
	v_cndmask_b32_e64 v74, v74, v53, s[14:15]
	v_cndmask_b32_e64 v71, v71, v26, s[50:51]
	s_waitcnt lgkmcnt(1)
	v_cndmask_b32_e64 v33, v33, v48, s[70:71]
	v_cndmask_b32_e64 v32, v32, v48, s[40:41]
	;; [unrolled: 1-line block ×3, first 2 shown]
	v_cmp_eq_u32_e64 s[76:77], 13, v86
	v_cndmask_b32_e64 v71, v71, v27, s[54:55]
	v_cndmask_b32_e64 v47, v47, v48, s[44:45]
	;; [unrolled: 1-line block ×15, first 2 shown]
	s_waitcnt lgkmcnt(0)
	v_cndmask_b32_e64 v1, v1, v73, s[70:71]
	v_cndmask_b32_e64 v48, v32, v33, s[30:31]
	;; [unrolled: 1-line block ×4, first 2 shown]
	v_cmp_eq_u32_e64 s[10:11], 14, v86
	v_cndmask_b32_e64 v71, v71, v28, s[48:49]
	v_cndmask_b32_e64 v15, v15, v73, s[44:45]
	v_cndmask_b32_e64 v14, v14, v73, s[42:43]
	v_cndmask_b32_e64 v13, v13, v73, s[74:75]
	v_cndmask_b32_e64 v12, v12, v73, s[48:49]
	v_cndmask_b32_e64 v11, v11, v73, s[54:55]
	v_cndmask_b32_e64 v10, v10, v73, s[50:51]
	v_cndmask_b32_e64 v9, v9, v73, s[52:53]
	v_cndmask_b32_e64 v8, v8, v73, s[72:73]
	v_cndmask_b32_e64 v7, v7, v73, s[56:57]
	v_cndmask_b32_e64 v6, v6, v73, s[58:59]
	v_cndmask_b32_e64 v5, v5, v73, s[60:61]
	v_cndmask_b32_e64 v4, v4, v73, s[62:63]
	v_cndmask_b32_e64 v3, v3, v73, s[66:67]
	v_cndmask_b32_e64 v2, v2, v73, s[64:65]
	v_cndmask_b32_e64 v48, v48, v34, s[36:37]
	v_cndmask_b32_e64 v73, v0, v1, s[30:31]
	v_cndmask_b32_e64 v74, v74, v50, s[10:11]
	v_cmp_eq_u32_e64 s[6:7], 15, v86
	v_cndmask_b32_e64 v71, v71, v29, s[74:75]
	v_cndmask_b32_e64 v48, v48, v35, s[38:39]
	;; [unrolled: 1-line block ×7, first 2 shown]
	ds_bpermute_b32 v74, v99, v74
	v_cndmask_b32_e64 v71, v71, v31, s[44:45]
	v_cndmask_b32_e64 v48, v48, v37, s[84:85]
	v_cndmask_b32_e64 v73, v73, v4, s[28:29]
	ds_bpermute_b32 v71, v99, v71
	v_cndmask_b32_e64 v48, v48, v38, s[80:81]
	v_cndmask_b32_e64 v73, v73, v5, s[84:85]
	;; [unrolled: 1-line block ×6, first 2 shown]
	v_cmp_eq_u32_e64 s[8:9], 0, v86
	v_cndmask_b32_e64 v48, v48, v41, s[18:19]
	v_cndmask_b32_e64 v73, v73, v8, s[92:93]
	s_waitcnt lgkmcnt(1)
	v_cndmask_b32_e64 v63, v63, v74, s[30:31]
	v_cndmask_b32_e64 v70, v70, v74, s[8:9]
	v_cmp_eq_u32_e64 s[34:35], 1, v87
	v_cndmask_b32_e64 v48, v48, v42, s[16:17]
	v_cndmask_b32_e64 v73, v73, v9, s[18:19]
	v_cndmask_b32_e64 v49, v49, v74, s[6:7]
	v_cndmask_b32_e64 v50, v50, v74, s[10:11]
	v_cndmask_b32_e64 v51, v51, v74, s[76:77]
	v_cndmask_b32_e64 v52, v52, v74, s[12:13]
	v_cndmask_b32_e64 v53, v53, v74, s[14:15]
	v_cndmask_b32_e64 v54, v54, v74, s[16:17]
	v_cndmask_b32_e64 v55, v55, v74, s[18:19]
	v_cndmask_b32_e64 v56, v56, v74, s[92:93]
	v_cndmask_b32_e64 v57, v57, v74, s[88:89]
	v_cndmask_b32_e64 v58, v58, v74, s[80:81]
	v_cndmask_b32_e64 v59, v59, v74, s[84:85]
	v_cndmask_b32_e64 v60, v60, v74, s[28:29]
	v_cndmask_b32_e64 v61, v61, v74, s[38:39]
	v_cndmask_b32_e64 v62, v62, v74, s[36:37]
	v_cndmask_b32_e64 v74, v70, v63, s[34:35]
	s_waitcnt lgkmcnt(0)
	v_cndmask_b32_e64 v31, v31, v71, s[44:45]
	v_cmp_eq_u32_e64 s[44:45], 2, v87
	v_cndmask_b32_e64 v17, v17, v71, s[70:71]
	v_cndmask_b32_e64 v48, v48, v43, s[14:15]
	;; [unrolled: 1-line block ×6, first 2 shown]
	v_cmp_eq_u32_e64 s[46:47], 3, v87
	v_cndmask_b32_e64 v29, v29, v71, s[74:75]
	v_cndmask_b32_e64 v28, v28, v71, s[48:49]
	v_cndmask_b32_e64 v27, v27, v71, s[54:55]
	v_cndmask_b32_e64 v26, v26, v71, s[50:51]
	v_cndmask_b32_e64 v25, v25, v71, s[52:53]
	v_cndmask_b32_e64 v24, v24, v71, s[72:73]
	v_cndmask_b32_e64 v23, v23, v71, s[56:57]
	v_cndmask_b32_e64 v22, v22, v71, s[58:59]
	v_cndmask_b32_e64 v21, v21, v71, s[60:61]
	v_cndmask_b32_e64 v20, v20, v71, s[62:63]
	v_cndmask_b32_e64 v19, v19, v71, s[66:67]
	v_cndmask_b32_e64 v18, v18, v71, s[64:65]
	v_cndmask_b32_e64 v48, v48, v44, s[12:13]
	v_cndmask_b32_e64 v71, v16, v17, s[30:31]
	v_cndmask_b32_e64 v73, v73, v11, s[14:15]
	v_cndmask_b32_e64 v74, v74, v61, s[46:47]
	v_cmp_eq_u32_e64 s[42:43], 4, v87
	v_cndmask_b32_e64 v48, v48, v45, s[76:77]
	v_cndmask_b32_e64 v71, v71, v18, s[36:37]
	v_cndmask_b32_e64 v73, v73, v12, s[12:13]
	v_cndmask_b32_e64 v74, v74, v60, s[42:43]
	v_cmp_eq_u32_e64 s[48:49], 5, v87
	v_cndmask_b32_e64 v48, v48, v46, s[10:11]
	v_cndmask_b32_e64 v71, v71, v19, s[38:39]
	v_cndmask_b32_e64 v73, v73, v13, s[76:77]
	v_cndmask_b32_e64 v74, v74, v59, s[48:49]
	;; [unrolled: 5-line block ×3, first 2 shown]
	v_cmp_eq_u32_e64 s[68:69], 7, v87
	ds_bpermute_b32 v48, v99, v48
	v_cndmask_b32_e64 v71, v71, v21, s[84:85]
	v_cndmask_b32_e64 v73, v73, v15, s[6:7]
	v_cndmask_b32_e64 v74, v74, v57, s[68:69]
	v_cmp_eq_u32_e64 s[74:75], 8, v87
	v_cndmask_b32_e64 v71, v71, v22, s[80:81]
	ds_bpermute_b32 v73, v99, v73
	v_cndmask_b32_e64 v74, v74, v56, s[74:75]
	v_cmp_eq_u32_e64 s[72:73], 9, v87
	v_cndmask_b32_e64 v71, v71, v23, s[88:89]
	v_cmp_eq_u32_e64 s[56:57], 10, v87
	v_cndmask_b32_e64 v74, v74, v55, s[72:73]
	v_cndmask_b32_e64 v71, v71, v24, s[92:93]
	v_cndmask_b32_e64 v74, v74, v54, s[56:57]
	v_cmp_eq_u32_e64 s[78:79], 11, v87
	v_cndmask_b32_e64 v71, v71, v25, s[18:19]
	v_cmp_eq_u32_e64 s[60:61], 12, v87
	v_cndmask_b32_e64 v74, v74, v53, s[78:79]
	v_cndmask_b32_e64 v71, v71, v26, s[16:17]
	s_waitcnt lgkmcnt(1)
	v_cndmask_b32_e64 v33, v33, v48, s[30:31]
	v_cndmask_b32_e64 v32, v32, v48, s[8:9]
	;; [unrolled: 1-line block ×3, first 2 shown]
	v_cmp_eq_u32_e64 s[82:83], 13, v87
	v_cndmask_b32_e64 v71, v71, v27, s[14:15]
	v_cndmask_b32_e64 v34, v34, v48, s[36:37]
	s_waitcnt lgkmcnt(0)
	v_cndmask_b32_e64 v76, v1, v73, s[30:31]
	v_cndmask_b32_e64 v1, v32, v33, s[34:35]
	;; [unrolled: 1-line block ×3, first 2 shown]
	v_cmp_eq_u32_e64 s[86:87], 14, v87
	v_cndmask_b32_e64 v71, v71, v28, s[12:13]
	v_cndmask_b32_e64 v35, v35, v48, s[38:39]
	v_cndmask_b32_e64 v1, v1, v34, s[44:45]
	v_cndmask_b32_e64 v74, v74, v50, s[86:87]
	v_cmp_eq_u32_e64 s[90:91], 15, v87
	v_cndmask_b32_e64 v71, v71, v29, s[76:77]
	v_cndmask_b32_e64 v36, v36, v48, s[28:29]
	;; [unrolled: 1-line block ×7, first 2 shown]
	ds_bpermute_b32 v74, v99, v74
	v_cndmask_b32_e64 v71, v71, v31, s[6:7]
	v_cndmask_b32_e64 v38, v38, v48, s[80:81]
	;; [unrolled: 1-line block ×3, first 2 shown]
	ds_bpermute_b32 v71, v99, v71
	v_cndmask_b32_e64 v39, v39, v48, s[88:89]
	v_cndmask_b32_e64 v1, v1, v38, s[54:55]
	;; [unrolled: 1-line block ×6, first 2 shown]
	v_cmp_eq_u32_e64 s[50:51], 0, v87
	v_cndmask_b32_e64 v42, v42, v48, s[16:17]
	v_cndmask_b32_e64 v1, v1, v41, s[72:73]
	s_waitcnt lgkmcnt(1)
	v_cndmask_b32_e64 v63, v63, v74, s[34:35]
	v_cndmask_b32_e64 v70, v70, v74, s[50:51]
	v_cmp_eq_u32_e32 vcc, 1, v88
	v_cndmask_b32_e64 v43, v43, v48, s[14:15]
	v_cndmask_b32_e64 v1, v1, v42, s[56:57]
	v_cndmask_b32_e64 v49, v49, v74, s[90:91]
	v_cndmask_b32_e64 v50, v50, v74, s[86:87]
	v_cndmask_b32_e64 v51, v51, v74, s[82:83]
	v_cndmask_b32_e64 v52, v52, v74, s[60:61]
	v_cndmask_b32_e64 v53, v53, v74, s[78:79]
	v_cndmask_b32_e64 v54, v54, v74, s[56:57]
	v_cndmask_b32_e64 v55, v55, v74, s[72:73]
	v_cndmask_b32_e64 v56, v56, v74, s[74:75]
	v_cndmask_b32_e64 v57, v57, v74, s[68:69]
	v_cndmask_b32_e64 v58, v58, v74, s[54:55]
	v_cndmask_b32_e64 v59, v59, v74, s[48:49]
	v_cndmask_b32_e64 v60, v60, v74, s[42:43]
	v_cndmask_b32_e64 v61, v61, v74, s[46:47]
	v_cndmask_b32_e64 v62, v62, v74, s[44:45]
	v_cndmask_b32_e32 v74, v70, v63, vcc
	v_cndmask_b32_e64 v47, v47, v48, s[6:7]
	s_waitcnt lgkmcnt(0)
	v_cndmask_b32_e64 v31, v31, v71, s[6:7]
	v_cndmask_b32_e64 v15, v15, v73, s[6:7]
	v_cmp_eq_u32_e64 s[6:7], 2, v88
	v_cndmask_b32_e64 v44, v44, v48, s[12:13]
	v_cndmask_b32_e64 v1, v1, v43, s[78:79]
	;; [unrolled: 1-line block ×6, first 2 shown]
	v_cmp_eq_u32_e64 s[10:11], 3, v88
	v_cndmask_b32_e64 v45, v45, v48, s[76:77]
	v_cndmask_b32_e64 v1, v1, v44, s[60:61]
	;; [unrolled: 1-line block ×3, first 2 shown]
	v_cmp_eq_u32_e64 s[40:41], 4, v88
	v_cndmask_b32_e64 v1, v1, v45, s[82:83]
	v_cmp_eq_u32_e64 s[52:53], 5, v88
	v_cndmask_b32_e64 v74, v74, v60, s[40:41]
	v_cndmask_b32_e64 v1, v1, v46, s[86:87]
	;; [unrolled: 1-line block ×6, first 2 shown]
	v_cmp_eq_u32_e64 s[58:59], 6, v88
	v_cndmask_b32_e64 v10, v10, v73, s[16:17]
	v_cndmask_b32_e64 v9, v9, v73, s[18:19]
	;; [unrolled: 1-line block ×14, first 2 shown]
	v_cmp_eq_u32_e64 s[62:63], 7, v88
	v_cndmask_b32_e64 v18, v18, v71, s[36:37]
	ds_bpermute_b32 v48, v99, v1
	v_cndmask_b32_e64 v1, v16, v75, s[34:35]
	v_cndmask_b32_e64 v0, v73, v76, s[34:35]
	;; [unrolled: 1-line block ×3, first 2 shown]
	v_cmp_eq_u32_e64 s[70:71], 8, v88
	v_cndmask_b32_e64 v19, v19, v71, s[38:39]
	v_cndmask_b32_e64 v1, v1, v18, s[44:45]
	;; [unrolled: 1-line block ×5, first 2 shown]
	v_cmp_eq_u32_e64 s[76:77], 9, v88
	v_cndmask_b32_e64 v20, v20, v71, s[28:29]
	v_cndmask_b32_e64 v1, v1, v19, s[46:47]
	;; [unrolled: 1-line block ×4, first 2 shown]
	v_cmp_eq_u32_e64 s[66:67], 10, v88
	v_cndmask_b32_e64 v21, v21, v71, s[84:85]
	v_cndmask_b32_e64 v1, v1, v20, s[42:43]
	;; [unrolled: 1-line block ×5, first 2 shown]
	v_cmp_eq_u32_e64 s[64:65], 11, v88
	v_cndmask_b32_e64 v1, v1, v21, s[48:49]
	v_cndmask_b32_e64 v0, v0, v5, s[48:49]
	v_cndmask_b32_e64 v23, v23, v71, s[88:89]
	v_cndmask_b32_e64 v74, v74, v53, s[64:65]
	v_cmp_eq_u32_e64 s[80:81], 12, v88
	v_cndmask_b32_e64 v1, v1, v22, s[54:55]
	v_cndmask_b32_e64 v0, v0, v6, s[54:55]
	v_cndmask_b32_e64 v24, v24, v71, s[92:93]
	v_cndmask_b32_e64 v74, v74, v52, s[80:81]
	;; [unrolled: 5-line block ×5, first 2 shown]
	v_cndmask_b32_e64 v1, v1, v26, s[56:57]
	v_cndmask_b32_e64 v0, v0, v10, s[56:57]
	;; [unrolled: 1-line block ×3, first 2 shown]
	ds_bpermute_b32 v74, v99, v74
	v_cndmask_b32_e64 v1, v1, v27, s[78:79]
	v_cndmask_b32_e64 v0, v0, v11, s[78:79]
	v_cndmask_b32_e64 v1, v1, v28, s[60:61]
	v_cndmask_b32_e64 v0, v0, v12, s[60:61]
	v_cndmask_b32_e64 v1, v1, v29, s[82:83]
	v_cndmask_b32_e64 v0, v0, v13, s[82:83]
	v_cndmask_b32_e64 v1, v1, v30, s[86:87]
	v_cndmask_b32_e64 v0, v0, v14, s[86:87]
	v_cmp_eq_u32_e64 s[94:95], 0, v88
	v_cndmask_b32_e64 v1, v1, v31, s[90:91]
	v_cndmask_b32_e64 v0, v0, v15, s[90:91]
	s_waitcnt lgkmcnt(0)
	v_cndmask_b32_e64 v49, v49, v74, s[92:93]
	v_cndmask_b32_e64 v50, v50, v74, s[88:89]
	;; [unrolled: 1-line block ×14, first 2 shown]
	v_cndmask_b32_e32 v63, v63, v74, vcc
	v_cndmask_b32_e64 v70, v70, v74, s[94:95]
	ds_bpermute_b32 v71, v99, v1
	ds_bpermute_b32 v74, v99, v0
	v_cndmask_b32_e64 v93, v35, v48, s[46:47]
	v_cndmask_b32_e64 v126, v36, v48, s[42:43]
	;; [unrolled: 1-line block ×3, first 2 shown]
	s_waitcnt lgkmcnt(1)
	v_cndmask_b32_e64 v104, v29, v71, s[82:83]
	s_waitcnt lgkmcnt(0)
	v_cndmask_b32_e64 v107, v12, v74, s[60:61]
	v_cndmask_b32_e64 v12, v33, v48, s[34:35]
	;; [unrolled: 1-line block ×7, first 2 shown]
	v_cndmask_b32_e32 v19, v29, v12, vcc
	v_cndmask_b32_e64 v19, v19, v4, s[6:7]
	v_cndmask_b32_e64 v19, v19, v93, s[10:11]
	;; [unrolled: 1-line block ×30, first 2 shown]
	ds_bpermute_b32 v30, v99, v19
	v_cndmask_b32_e32 v19, v16, v13, vcc
	v_cndmask_b32_e64 v19, v19, v5, s[6:7]
	v_cndmask_b32_e64 v91, v20, v71, s[42:43]
	;; [unrolled: 1-line block ×15, first 2 shown]
	v_cmp_eq_u32_e64 s[8:9], 1, v89
	v_cndmask_b32_e64 v108, v27, v71, s[78:79]
	v_cndmask_b32_e64 v19, v19, v110, s[66:67]
	v_cndmask_b32_e64 v0, v70, v63, s[8:9]
	v_cmp_eq_u32_e64 s[12:13], 2, v89
	v_cndmask_b32_e64 v106, v28, v71, s[60:61]
	v_cndmask_b32_e64 v19, v19, v108, s[64:65]
	;; [unrolled: 1-line block ×3, first 2 shown]
	v_cmp_eq_u32_e64 s[14:15], 3, v89
	v_cndmask_b32_e64 v19, v19, v106, s[80:81]
	v_cmp_eq_u32_e64 s[16:17], 4, v89
	v_cndmask_b32_e64 v0, v0, v61, s[14:15]
	v_cndmask_b32_e64 v19, v19, v104, s[84:85]
	v_cndmask_b32_e64 v77, v31, v71, s[90:91]
	v_cndmask_b32_e64 v0, v0, v60, s[16:17]
	v_cmp_eq_u32_e64 s[18:19], 5, v89
	v_cndmask_b32_e64 v19, v19, v102, s[88:89]
	v_cndmask_b32_e64 v103, v14, v74, s[86:87]
	v_cndmask_b32_e64 v0, v0, v59, s[18:19]
	v_cndmask_b32_e64 v109, v11, v74, s[78:79]
	v_cmp_eq_u32_e64 s[78:79], 6, v89
	v_cndmask_b32_e64 v14, v76, v74, s[34:35]
	v_cndmask_b32_e64 v19, v19, v77, s[92:93]
	v_cndmask_b32_e64 v21, v73, v74, s[50:51]
	v_cndmask_b32_e64 v0, v0, v58, s[78:79]
	v_cmp_eq_u32_e64 s[82:83], 7, v89
	v_cndmask_b32_e64 v122, v6, v74, s[54:55]
	v_cndmask_b32_e64 v6, v2, v74, s[44:45]
	ds_bpermute_b32 v20, v99, v19
	v_cndmask_b32_e32 v19, v21, v14, vcc
	v_cndmask_b32_e64 v0, v0, v57, s[82:83]
	v_cndmask_b32_e64 v113, v9, v74, s[72:73]
	v_cmp_eq_u32_e64 s[72:73], 8, v89
	v_cndmask_b32_e64 v3, v3, v74, s[46:47]
	v_cndmask_b32_e64 v19, v19, v6, s[6:7]
	;; [unrolled: 1-line block ×3, first 2 shown]
	v_cmp_eq_u32_e64 s[28:29], 9, v89
	v_cndmask_b32_e64 v19, v19, v3, s[10:11]
	v_cmp_eq_u32_e64 s[30:31], 10, v89
	v_cndmask_b32_e64 v0, v0, v55, s[28:29]
	v_cndmask_b32_e64 v19, v19, v92, s[40:41]
	v_cndmask_b32_e64 v0, v0, v54, s[30:31]
	v_cmp_eq_u32_e64 s[36:37], 11, v89
	v_cndmask_b32_e64 v19, v19, v125, s[52:53]
	v_cndmask_b32_e64 v119, v7, v74, s[68:69]
	;; [unrolled: 4-line block ×3, first 2 shown]
	v_cndmask_b32_e64 v0, v0, v52, s[38:39]
	v_cmp_eq_u32_e64 s[42:43], 13, v89
	v_cndmask_b32_e64 v19, v19, v119, s[62:63]
	v_cmp_eq_u32_e64 s[46:47], 14, v89
	v_cndmask_b32_e64 v0, v0, v51, s[42:43]
	v_cndmask_b32_e64 v19, v19, v116, s[70:71]
	v_cndmask_b32_e64 v111, v10, v74, s[56:57]
	v_cndmask_b32_e64 v0, v0, v50, s[46:47]
	v_cmp_eq_u32_e64 s[44:45], 15, v89
	v_cndmask_b32_e64 v19, v19, v113, s[76:77]
	v_cndmask_b32_e64 v19, v19, v111, s[66:67]
	v_cndmask_b32_e64 v0, v0, v49, s[44:45]
	ds_bpermute_b32 v0, v99, v0
	v_cndmask_b32_e64 v19, v19, v109, s[64:65]
	v_cndmask_b32_e64 v19, v19, v107, s[80:81]
	;; [unrolled: 1-line block ×4, first 2 shown]
	v_cmp_eq_u32_e64 s[34:35], 0, v89
	v_cndmask_b32_e64 v19, v19, v101, s[92:93]
	s_waitcnt lgkmcnt(0)
	v_cndmask_b32_e64 v7, v49, v0, s[44:45]
	v_cndmask_b32_e64 v8, v50, v0, s[46:47]
	;; [unrolled: 1-line block ×16, first 2 shown]
	ds_bpermute_b32 v28, v99, v19
	v_cmp_eq_u32_e64 s[48:49], 1, v90
	v_cmp_eq_u32_e64 s[50:51], 2, v90
	;; [unrolled: 1-line block ×3, first 2 shown]
	v_cndmask_b32_e64 v33, v0, v18, s[48:49]
	v_cndmask_b32_e64 v34, v33, v17, s[50:51]
	;; [unrolled: 1-line block ×3, first 2 shown]
	v_cmp_eq_u32_e64 s[56:57], 4, v90
	v_cmp_eq_u32_e64 s[60:61], 5, v90
	v_cndmask_b32_e64 v57, v43, v30, s[64:65]
	v_cndmask_b32_e64 v39, v35, v1, s[56:57]
	;; [unrolled: 1-line block ×4, first 2 shown]
	s_waitcnt lgkmcnt(0)
	v_cndmask_b32_e64 v48, v109, v28, s[64:65]
	v_cmp_eq_u32_e64 s[64:65], 6, v90
	v_cndmask_b32_e64 v58, v42, v30, s[66:67]
	v_cndmask_b32_e64 v49, v111, v28, s[66:67]
	;; [unrolled: 1-line block ×4, first 2 shown]
	v_cmp_eq_u32_e64 s[66:67], 7, v90
	v_cmp_eq_u32_e64 s[68:69], 8, v90
	v_cndmask_b32_e64 v60, v114, v30, s[70:71]
	v_cndmask_b32_e64 v42, v43, v25, s[66:67]
	v_cndmask_b32_e64 v43, v42, v24, s[68:69]
	v_cndmask_b32_e64 v42, v115, v20, s[70:71]
	v_cndmask_b32_e64 v51, v116, v28, s[70:71]
	v_cmp_eq_u32_e64 s[70:71], 9, v90
	v_cndmask_b32_e64 v56, v44, v30, s[80:81]
	v_cndmask_b32_e64 v61, v117, v30, s[62:63]
	v_cndmask_b32_e64 v44, v43, v23, s[70:71]
	v_cndmask_b32_e64 v43, v118, v20, s[62:63]
	v_cndmask_b32_e64 v52, v119, v28, s[62:63]
	;; [unrolled: 6-line block ×3, first 2 shown]
	v_cndmask_b32_e64 v53, v122, v28, s[58:59]
	v_cmp_eq_u32_e64 s[58:59], 11, v90
	v_cndmask_b32_e64 v63, v123, v30, s[52:53]
	v_cndmask_b32_e64 v54, v125, v28, s[52:53]
	v_cndmask_b32_e64 v55, v45, v11, s[58:59]
	v_cndmask_b32_e64 v45, v124, v20, s[52:53]
	v_cmp_eq_u32_e64 s[52:53], 12, v90
	v_cndmask_b32_e64 v71, v126, v30, s[40:41]
	v_cndmask_b32_e64 v73, v91, v20, s[40:41]
	v_cndmask_b32_e64 v70, v55, v10, s[52:53]
	;; [unrolled: 5-line block ×4, first 2 shown]
	v_cndmask_b32_e64 v70, v4, v30, s[6:7]
	v_cndmask_b32_e64 v91, v6, v28, s[6:7]
	v_cmp_eq_u32_e64 s[6:7], 15, v90
	v_cndmask_b32_e32 v93, v12, v30, vcc
	v_cndmask_b32_e64 v59, v41, v30, s[76:77]
	v_cndmask_b32_e64 v3, v3, v7, s[6:7]
	ds_bpermute_b32 v92, v99, v3
	v_cndmask_b32_e64 v46, v46, v30, s[88:89]
	v_cndmask_b32_e64 v32, v101, v28, s[92:93]
	v_cndmask_b32_e32 v101, v13, v20, vcc
	v_cndmask_b32_e64 v36, v102, v20, s[88:89]
	s_waitcnt lgkmcnt(0)
	v_cndmask_b32_e64 v12, v10, v92, s[52:53]
	v_cndmask_b32_e64 v10, v22, v92, s[62:63]
	;; [unrolled: 1-line block ×20, first 2 shown]
	ds_bpermute_b32 v23, v99, v3
	v_cndmask_b32_e32 v102, v14, v28, vcc
	v_cndmask_b32_e64 v14, v8, v92, s[10:11]
	v_cndmask_b32_e64 v8, v24, v92, s[68:69]
	;; [unrolled: 1-line block ×4, first 2 shown]
	s_waitcnt lgkmcnt(0)
	v_cndmask_b32_e64 v18, v46, v23, s[46:47]
	v_cndmask_b32_e64 v24, v47, v23, s[42:43]
	;; [unrolled: 1-line block ×36, first 2 shown]
	ds_bpermute_b32 v71, v99, v22
	v_cndmask_b32_e64 v16, v16, v20, s[94:95]
	v_cndmask_b32_e64 v41, v112, v20, s[76:77]
	;; [unrolled: 1-line block ×4, first 2 shown]
	s_waitcnt lgkmcnt(0)
	v_cndmask_b32_e64 v31, v17, v71, s[6:7]
	v_cndmask_b32_e64 v17, v16, v101, s[8:9]
	;; [unrolled: 1-line block ×16, first 2 shown]
	ds_bpermute_b32 v17, v99, v17
	v_cmp_eq_u32_e32 vcc, 0, v90
	v_cndmask_b32_e64 v11, v11, v92, s[58:59]
	v_cndmask_b32_e64 v5, v27, v92, s[60:61]
	v_cndmask_b32_e32 v0, v0, v92, vcc
	v_cndmask_b32_e64 v20, v60, v71, s[56:57]
	s_waitcnt lgkmcnt(0)
	v_cndmask_b32_e64 v60, v73, v17, s[16:17]
	v_cndmask_b32_e64 v73, v75, v17, s[14:15]
	;; [unrolled: 1-line block ×39, first 2 shown]
	ds_bpermute_b32 v93, v99, v16
	v_cndmask_b32_e64 v33, v103, v28, s[88:89]
	v_cndmask_b32_e64 v34, v105, v28, s[84:85]
	;; [unrolled: 1-line block ×6, first 2 shown]
	s_waitcnt lgkmcnt(0)
	v_cndmask_b32_e64 v47, v46, v93, s[6:7]
	v_cndmask_b32_e64 v46, v36, v93, s[10:11]
	;; [unrolled: 1-line block ×19, first 2 shown]
	ds_bpermute_b32 v56, v99, v36
	v_cndmask_b32_e64 v43, v39, v93, s[58:59]
	v_cndmask_b32_e64 v39, v57, v93, s[66:67]
	;; [unrolled: 1-line block ×4, first 2 shown]
	s_waitcnt lgkmcnt(0)
	v_cndmask_b32_e64 v101, v102, v56, s[8:9]
	v_cndmask_b32_e64 v74, v74, v56, s[34:35]
	;; [unrolled: 1-line block ×9, first 2 shown]
	v_cndmask_b32_e32 v16, v70, v71, vcc
	v_cndmask_b32_e64 v71, v55, v56, s[16:17]
	v_cndmask_b32_e64 v32, v32, v76, s[54:55]
	;; [unrolled: 1-line block ×29, first 2 shown]
	ds_bpermute_b32 v102, v99, v32
	v_cndmask_b32_e64 v33, v77, v93, s[48:49]
	v_readlane_b32 s18, v127, 10
	v_readlane_b32 s28, v127, 12
	;; [unrolled: 1-line block ×3, first 2 shown]
	s_waitcnt lgkmcnt(0)
	v_cndmask_b32_e64 v63, v57, v102, s[6:7]
	v_readlane_b32 s6, v127, 28
	v_cndmask_b32_e64 v62, v58, v102, s[10:11]
	v_cndmask_b32_e64 v58, v49, v102, s[62:63]
	;; [unrolled: 1-line block ×3, first 2 shown]
	v_readlane_b32 s7, v127, 29
	v_readlane_b32 s46, v127, 25
	;; [unrolled: 1-line block ×3, first 2 shown]
	v_subrev_u32_e32 v100, s4, v100
	s_mov_b32 s1, 0
	v_cndmask_b32_e64 v41, v41, v93, s[70:71]
	v_cndmask_b32_e64 v35, v73, v93, s[54:55]
	;; [unrolled: 1-line block ×3, first 2 shown]
	v_cndmask_b32_e32 v32, v92, v93, vcc
	v_cndmask_b32_e64 v61, v59, v102, s[40:41]
	v_cndmask_b32_e64 v60, v60, v102, s[52:53]
	;; [unrolled: 1-line block ×11, first 2 shown]
	v_cndmask_b32_e32 v48, v74, v102, vcc
	v_lshl_add_u64 v[70:71], s[6:7], 0, v[64:65]
	s_mov_b64 s[6:7], 0
	s_mov_b32 s5, 0
	v_readlane_b32 s19, v127, 11
	v_readlane_b32 s29, v127, 13
	;; [unrolled: 1-line block ×9, first 2 shown]
	s_mov_b64 s[40:41], 0x80
	s_mov_b64 s[42:43], 0xc0
	v_readlane_b32 s44, v127, 27
	v_readlane_b32 s47, v127, 26
	v_readlane_b32 s49, v127, 24
                                        ; implicit-def: $sgpr8_sgpr9
	s_branch .LBB211_32
.LBB211_30:                             ;   in Loop: Header=BB211_32 Depth=2
	s_or_b64 exec, exec, s[12:13]
	s_andn2_b64 s[8:9], s[8:9], exec
	s_and_b64 s[12:13], s[14:15], exec
	s_or_b64 s[8:9], s[8:9], s[12:13]
.LBB211_31:                             ;   in Loop: Header=BB211_32 Depth=2
	s_or_b64 exec, exec, s[10:11]
	s_and_b64 s[10:11], exec, s[8:9]
	s_or_b64 s[6:7], s[10:11], s[6:7]
	s_andn2_b64 exec, exec, s[6:7]
	s_cbranch_execz .LBB211_35
.LBB211_32:                             ;   Parent Loop BB211_7 Depth=1
                                        ; =>  This Inner Loop Header: Depth=2
	s_and_b32 s12, s1, 24
	v_or_b32_e32 v73, s12, v97
	v_add_u32_e32 v74, s96, v73
	v_cmp_gt_u32_e32 vcc, 32, v74
	s_or_b64 s[8:9], s[8:9], exec
	s_and_saveexec_b64 s[10:11], vcc
	s_cbranch_execz .LBB211_31
; %bb.33:                               ;   in Loop: Header=BB211_32 Depth=2
	s_add_i32 s13, s5, 1
	s_set_gpr_idx_on s5, gpr_idx(SRC0)
	v_mov_b32_e32 v74, v0
	s_set_gpr_idx_off
	v_cvt_f16_f32_e32 v76, v74
	s_set_gpr_idx_on s13, gpr_idx(SRC0)
	v_mov_b32_e32 v74, v0
	s_set_gpr_idx_off
	v_cvt_f16_f32_sdwa v77, v74 dst_sel:WORD_1 dst_unused:UNUSED_PAD src0_sel:DWORD
	v_mul_lo_u32 v74, v73, s21
	v_ashrrev_i32_e32 v75, 31, v74
	v_lshl_add_u64 v[74:75], v[74:75], 1, v[70:71]
	v_or_b32_e32 v73, v77, v76
	;;#ASMSTART
	global_atomic_pk_add_f16 v[74:75], v73, off
	
	;;#ASMEND
	s_set_gpr_idx_on s5, gpr_idx(SRC0)
	v_mov_b32_e32 v73, v16
	s_set_gpr_idx_off
	v_cvt_f16_f32_e32 v73, v73
	s_set_gpr_idx_on s13, gpr_idx(SRC0)
	v_mov_b32_e32 v76, v16
	s_set_gpr_idx_off
	v_cvt_f16_f32_sdwa v91, v76 dst_sel:WORD_1 dst_unused:UNUSED_PAD src0_sel:DWORD
	v_lshl_add_u64 v[76:77], v[74:75], 0, 64
	s_mov_b64 s[14:15], -1
	v_or_b32_e32 v73, v91, v73
	;;#ASMSTART
	global_atomic_pk_add_f16 v[76:77], v73, off
	
	;;#ASMEND
	s_set_gpr_idx_on s5, gpr_idx(SRC0)
	v_mov_b32_e32 v73, v32
	s_set_gpr_idx_off
	v_cvt_f16_f32_e32 v73, v73
	s_set_gpr_idx_on s13, gpr_idx(SRC0)
	v_mov_b32_e32 v76, v32
	s_set_gpr_idx_off
	v_cvt_f16_f32_sdwa v91, v76 dst_sel:WORD_1 dst_unused:UNUSED_PAD src0_sel:DWORD
	v_lshl_add_u64 v[76:77], v[74:75], 0, s[40:41]
	v_lshl_add_u64 v[74:75], v[74:75], 0, s[42:43]
	v_or_b32_e32 v73, v91, v73
	;;#ASMSTART
	global_atomic_pk_add_f16 v[76:77], v73, off
	
	;;#ASMEND
	s_set_gpr_idx_on s5, gpr_idx(SRC0)
	v_mov_b32_e32 v73, v48
	s_set_gpr_idx_off
	v_cvt_f16_f32_e32 v73, v73
	s_set_gpr_idx_on s13, gpr_idx(SRC0)
	v_mov_b32_e32 v76, v48
	s_set_gpr_idx_off
	v_cvt_f16_f32_sdwa v76, v76 dst_sel:WORD_1 dst_unused:UNUSED_PAD src0_sel:DWORD
	s_nop 0
	v_or_b32_e32 v73, v76, v73
	;;#ASMSTART
	global_atomic_pk_add_f16 v[74:75], v73, off
	
	;;#ASMEND
	v_or_b32_e32 v73, s12, v98
	v_add_u32_e32 v74, s96, v73
	v_cmp_gt_u32_e32 vcc, 32, v74
	s_and_saveexec_b64 s[12:13], vcc
	s_cbranch_execz .LBB211_30
; %bb.34:                               ;   in Loop: Header=BB211_32 Depth=2
	s_add_i32 s14, s5, 2
	s_add_i32 s15, s5, 3
	s_set_gpr_idx_on s14, gpr_idx(SRC0)
	v_mov_b32_e32 v74, v0
	s_set_gpr_idx_off
	v_cvt_f16_f32_e32 v76, v74
	s_set_gpr_idx_on s15, gpr_idx(SRC0)
	v_mov_b32_e32 v74, v0
	s_set_gpr_idx_off
	v_cvt_f16_f32_sdwa v77, v74 dst_sel:WORD_1 dst_unused:UNUSED_PAD src0_sel:DWORD
	v_mul_lo_u32 v74, v73, s21
	v_ashrrev_i32_e32 v75, 31, v74
	v_lshl_add_u64 v[74:75], v[74:75], 1, v[70:71]
	v_or_b32_e32 v73, v77, v76
	;;#ASMSTART
	global_atomic_pk_add_f16 v[74:75], v73, off
	
	;;#ASMEND
	s_set_gpr_idx_on s14, gpr_idx(SRC0)
	v_mov_b32_e32 v73, v16
	s_set_gpr_idx_off
	v_cvt_f16_f32_e32 v73, v73
	s_set_gpr_idx_on s15, gpr_idx(SRC0)
	v_mov_b32_e32 v76, v16
	s_set_gpr_idx_off
	v_cvt_f16_f32_sdwa v91, v76 dst_sel:WORD_1 dst_unused:UNUSED_PAD src0_sel:DWORD
	v_lshl_add_u64 v[76:77], v[74:75], 0, 64
	s_add_i32 s5, s5, 4
	s_add_i32 s1, s1, 8
	v_or_b32_e32 v73, v91, v73
	;;#ASMSTART
	global_atomic_pk_add_f16 v[76:77], v73, off
	
	;;#ASMEND
	s_set_gpr_idx_on s14, gpr_idx(SRC0)
	v_mov_b32_e32 v73, v32
	s_set_gpr_idx_off
	v_cvt_f16_f32_e32 v73, v73
	s_set_gpr_idx_on s15, gpr_idx(SRC0)
	v_mov_b32_e32 v76, v32
	s_set_gpr_idx_off
	v_cvt_f16_f32_sdwa v91, v76 dst_sel:WORD_1 dst_unused:UNUSED_PAD src0_sel:DWORD
	v_lshl_add_u64 v[76:77], v[74:75], 0, s[40:41]
	s_cmp_eq_u32 s5, 16
	v_lshl_add_u64 v[74:75], v[74:75], 0, s[42:43]
	v_or_b32_e32 v73, v91, v73
	;;#ASMSTART
	global_atomic_pk_add_f16 v[76:77], v73, off
	
	;;#ASMEND
	s_set_gpr_idx_on s14, gpr_idx(SRC0)
	v_mov_b32_e32 v73, v48
	s_set_gpr_idx_off
	v_cvt_f16_f32_e32 v73, v73
	s_set_gpr_idx_on s15, gpr_idx(SRC0)
	v_mov_b32_e32 v76, v48
	s_set_gpr_idx_off
	v_cvt_f16_f32_sdwa v76, v76 dst_sel:WORD_1 dst_unused:UNUSED_PAD src0_sel:DWORD
	s_cselect_b64 s[14:15], -1, 0
	s_orn2_b64 s[14:15], s[14:15], exec
	v_or_b32_e32 v73, v76, v73
	;;#ASMSTART
	global_atomic_pk_add_f16 v[74:75], v73, off
	
	;;#ASMEND
	s_branch .LBB211_30
.LBB211_35:                             ;   in Loop: Header=BB211_7 Depth=1
	s_or_b64 exec, exec, s[6:7]
	v_readlane_b32 s72, v127, 2
	v_readlane_b32 s12, v127, 0
	;; [unrolled: 1-line block ×11, first 2 shown]
.LBB211_36:                             ;   in Loop: Header=BB211_7 Depth=1
	s_or_b64 exec, exec, s[48:49]
.LBB211_37:                             ;   in Loop: Header=BB211_7 Depth=1
	s_andn2_saveexec_b64 s[2:3], s[2:3]
	s_cbranch_execz .LBB211_46
; %bb.38:                               ;   in Loop: Header=BB211_7 Depth=1
	s_lshl_b32 s5, s4, 2
	v_cmp_gt_i32_e32 vcc, s5, v100
	s_and_saveexec_b64 s[6:7], vcc
	s_cbranch_execz .LBB211_45
; %bb.39:                               ;   in Loop: Header=BB211_7 Depth=1
	s_mul_i32 s0, s0, s23
	s_ashr_i32 s1, s0, 31
	s_add_u32 s0, s74, s0
	s_addc_u32 s1, s75, s1
	s_ashr_i32 s8, s44, 31
	s_add_u32 s0, s0, s44
	s_addc_u32 s1, s1, s8
	v_lshl_add_u64 v[0:1], s[0:1], 0, v[68:69]
	v_lshl_add_u64 v[8:9], v[0:1], 0, v[66:67]
	s_mov_b64 s[0:1], 0
	s_branch .LBB211_41
.LBB211_40:                             ;   in Loop: Header=BB211_41 Depth=2
	s_or_b64 exec, exec, s[8:9]
	v_lshl_or_b32 v12, v10, 11, v94
	;;#ASMSTART
	s_waitcnt vmcnt(1)
	;;#ASMEND
	ds_write2_b32 v12, v4, v5 offset1:32
	ds_write2_b32 v12, v6, v7 offset0:64 offset1:96
	v_add_u32_e32 v4, 0x400, v12
	v_add_u32_e32 v100, s26, v100
	;;#ASMSTART
	s_waitcnt vmcnt(0)
	;;#ASMEND
	ds_write2_b32 v4, v0, v1 offset1:32
	ds_write2_b32 v4, v2, v3 offset0:64 offset1:96
	v_add_u32_e32 v0, 1, v79
	v_add_u32_e32 v72, s26, v10
	v_cmp_le_i32_e32 vcc, s5, v100
	ds_write_b32 v11, v0 offset:24
	v_add_u32_e32 v0, 2, v79
	s_or_b64 s[0:1], vcc, s[0:1]
	v_cmp_lt_i32_e32 vcc, 11, v72
	s_nop 1
	v_cndmask_b32_e32 v79, v79, v0, vcc
	s_andn2_b64 exec, exec, s[0:1]
	s_cbranch_execz .LBB211_44
.LBB211_41:                             ;   Parent Loop BB211_7 Depth=1
                                        ; =>  This Loop Header: Depth=2
                                        ;       Child Loop BB211_43 Depth 3
	v_cmp_gt_i32_e32 vcc, 12, v72
	s_nop 1
	v_cndmask_b32_e64 v0, -12, 0, vcc
	v_add_u32_e32 v10, v0, v72
	v_ashrrev_i32_e32 v0, 31, v100
	v_lshrrev_b32_e32 v0, 30, v0
	v_add_u32_e32 v0, v100, v0
	v_and_b32_e32 v1, -4, v0
	v_lshlrev_b32_e32 v0, 4, v0
	v_sub_u32_e32 v2, v100, v1
	v_and_b32_e32 v0, 0xffffffc0, v0
	v_ashrrev_i32_e32 v1, 31, v0
	v_mul_lo_u32 v2, s24, v2
	v_lshl_add_u64 v[0:1], v[8:9], 0, v[0:1]
	v_ashrrev_i32_e32 v3, 31, v2
	v_lshl_add_u64 v[0:1], v[0:1], 0, v[2:3]
	v_lshlrev_b32_e32 v11, 2, v10
	;;#ASMSTART
	global_load_dwordx4 v[4:7], v[0:1], off offset:0   sc0 sc1 nt  
	global_load_dwordx4 v[0:3], v[0:1], off offset:32  sc0 sc1 nt  
	
	;;#ASMEND
	ds_read_b32 v12, v11 offset:36888
	v_add_u32_e32 v11, 0x9000, v11
	s_waitcnt lgkmcnt(0)
	v_cmp_ne_u32_e32 vcc, v12, v79
	s_and_saveexec_b64 s[8:9], vcc
	s_cbranch_execz .LBB211_40
; %bb.42:                               ;   in Loop: Header=BB211_41 Depth=2
	s_mov_b64 s[10:11], 0
.LBB211_43:                             ;   Parent Loop BB211_7 Depth=1
                                        ;     Parent Loop BB211_41 Depth=2
                                        ; =>    This Inner Loop Header: Depth=3
	;;#ASMSTART
	s_sleep 0
	;;#ASMEND
	ds_read_b32 v12, v11 offset:24
	s_waitcnt lgkmcnt(0)
	v_cmp_eq_u32_e32 vcc, v12, v79
	s_or_b64 s[10:11], vcc, s[10:11]
	s_andn2_b64 exec, exec, s[10:11]
	s_cbranch_execnz .LBB211_43
	s_branch .LBB211_40
.LBB211_44:                             ;   in Loop: Header=BB211_7 Depth=1
	s_or_b64 exec, exec, s[0:1]
.LBB211_45:                             ;   in Loop: Header=BB211_7 Depth=1
	s_or_b64 exec, exec, s[6:7]
	v_subrev_u32_e32 v100, s5, v100
.LBB211_46:                             ;   in Loop: Header=BB211_7 Depth=1
	s_or_b64 exec, exec, s[2:3]
.LBB211_47:                             ;   in Loop: Header=BB211_7 Depth=1
	s_andn2_saveexec_b64 s[0:1], s[46:47]
	s_cbranch_execz .LBB211_6
; %bb.48:                               ;   in Loop: Header=BB211_7 Depth=1
	s_lshl_b32 s10, s4, 1
	v_cmp_gt_i32_e32 vcc, s10, v100
	s_and_saveexec_b64 s[2:3], vcc
	s_cbranch_execz .LBB211_5
; %bb.49:                               ;   in Loop: Header=BB211_7 Depth=1
	s_mul_i32 s99, s99, s22
	s_ashr_i32 s4, s99, 31
	s_add_u32 s5, s72, s99
	v_add_u32_e32 v2, s96, v80
	s_addc_u32 s6, s73, s4
	s_ashr_i32 s7, s44, 31
	v_cmp_gt_u32_e32 vcc, 64, v2
	s_add_u32 s4, s5, s44
	s_addc_u32 s5, s6, s7
	v_cndmask_b32_e32 v0, 0, v95, vcc
	v_ashrrev_i32_e32 v1, 31, v0
	v_lshl_add_u64 v[0:1], s[4:5], 0, v[0:1]
	v_lshl_add_u64 v[8:9], v[0:1], 0, v[66:67]
	v_sub_u32_e32 v10, 63, v2
	s_mov_b64 s[4:5], 0
	s_branch .LBB211_51
.LBB211_50:                             ;   in Loop: Header=BB211_51 Depth=2
	s_or_b64 exec, exec, s[6:7]
	v_lshl_add_u32 v13, v11, 11, v96
	;;#ASMSTART
	s_waitcnt vmcnt(1)
	;;#ASMEND
	ds_write2_b32 v13, v4, v5 offset1:32
	ds_write2_b32 v13, v6, v7 offset0:64 offset1:96
	v_add_u32_e32 v4, 0x400, v13
	v_add_u32_e32 v100, s25, v100
	;;#ASMSTART
	s_waitcnt vmcnt(0)
	;;#ASMEND
	ds_write2_b32 v4, v0, v1 offset1:32
	ds_write2_b32 v4, v2, v3 offset0:64 offset1:96
	v_add_u32_e32 v0, 1, v79
	v_add_u32_e32 v72, s25, v11
	v_cmp_le_i32_e32 vcc, s10, v100
	ds_write_b32 v12, v0
	v_add_u32_e32 v0, 2, v79
	s_or_b64 s[4:5], vcc, s[4:5]
	v_cmp_lt_i32_e32 vcc, 5, v72
	s_nop 1
	v_cndmask_b32_e32 v79, v79, v0, vcc
	s_andn2_b64 exec, exec, s[4:5]
	s_cbranch_execz .LBB211_4
.LBB211_51:                             ;   Parent Loop BB211_7 Depth=1
                                        ; =>  This Loop Header: Depth=2
                                        ;       Child Loop BB211_53 Depth 3
	v_cmp_gt_i32_e32 vcc, 6, v72
	s_nop 1
	v_cndmask_b32_e64 v0, -6, 0, vcc
	v_add_u32_e32 v11, v0, v72
	v_lshrrev_b32_e32 v0, 31, v100
	v_add_u32_e32 v0, v100, v0
	v_and_b32_e32 v1, 0x7fffffe, v0
	v_sub_u32_e32 v1, v100, v1
	v_lshlrev_b32_e32 v1, 5, v1
	v_cmp_le_i32_e32 vcc, v1, v10
	v_lshlrev_b32_e32 v0, 5, v0
	v_and_b32_e32 v0, 0xffffffc0, v0
	v_cndmask_b32_e32 v2, 0, v1, vcc
	v_ashrrev_i32_e32 v1, 31, v0
	v_mul_lo_u32 v2, v2, s22
	v_lshl_add_u64 v[0:1], v[8:9], 0, v[0:1]
	v_ashrrev_i32_e32 v3, 31, v2
	v_lshl_add_u64 v[0:1], v[0:1], 0, v[2:3]
	v_lshlrev_b32_e32 v12, 2, v11
	;;#ASMSTART
	global_load_dwordx4 v[4:7], v[0:1], off offset:0   
	global_load_dwordx4 v[0:3], v[0:1], off offset:32  
	
	;;#ASMEND
	ds_read_b32 v13, v12 offset:36864
	v_add_u32_e32 v12, 0x9000, v12
	s_waitcnt lgkmcnt(0)
	v_cmp_ne_u32_e32 vcc, v13, v79
	s_and_saveexec_b64 s[6:7], vcc
	s_cbranch_execz .LBB211_50
; %bb.52:                               ;   in Loop: Header=BB211_51 Depth=2
	s_mov_b64 s[8:9], 0
.LBB211_53:                             ;   Parent Loop BB211_7 Depth=1
                                        ;     Parent Loop BB211_51 Depth=2
                                        ; =>    This Inner Loop Header: Depth=3
	;;#ASMSTART
	s_sleep 0
	;;#ASMEND
	ds_read_b32 v13, v12
	s_waitcnt lgkmcnt(0)
	v_cmp_eq_u32_e32 vcc, v13, v79
	s_or_b64 s[8:9], vcc, s[8:9]
	s_andn2_b64 exec, exec, s[8:9]
	s_cbranch_execnz .LBB211_53
	s_branch .LBB211_50
.LBB211_54:
	s_endpgm
	.section	.rodata,"a",@progbits
	.p2align	6, 0x0
	.amdhsa_kernel _Z19_skinny_gemm_kernelILi2ELi4ELi3ELi32ELi4EEvPKhS1_P6__halfPKfiiiiiiii
		.amdhsa_group_segment_fixed_size 36936
		.amdhsa_private_segment_fixed_size 0
		.amdhsa_kernarg_size 64
		.amdhsa_user_sgpr_count 2
		.amdhsa_user_sgpr_dispatch_ptr 0
		.amdhsa_user_sgpr_queue_ptr 0
		.amdhsa_user_sgpr_kernarg_segment_ptr 1
		.amdhsa_user_sgpr_dispatch_id 0
		.amdhsa_user_sgpr_kernarg_preload_length 0
		.amdhsa_user_sgpr_kernarg_preload_offset 0
		.amdhsa_user_sgpr_private_segment_size 0
		.amdhsa_uses_dynamic_stack 0
		.amdhsa_enable_private_segment 0
		.amdhsa_system_sgpr_workgroup_id_x 1
		.amdhsa_system_sgpr_workgroup_id_y 0
		.amdhsa_system_sgpr_workgroup_id_z 0
		.amdhsa_system_sgpr_workgroup_info 0
		.amdhsa_system_vgpr_workitem_id 0
		.amdhsa_next_free_vgpr 128
		.amdhsa_next_free_sgpr 100
		.amdhsa_accum_offset 128
		.amdhsa_reserve_vcc 1
		.amdhsa_float_round_mode_32 0
		.amdhsa_float_round_mode_16_64 0
		.amdhsa_float_denorm_mode_32 3
		.amdhsa_float_denorm_mode_16_64 3
		.amdhsa_dx10_clamp 1
		.amdhsa_ieee_mode 1
		.amdhsa_fp16_overflow 0
		.amdhsa_tg_split 0
		.amdhsa_exception_fp_ieee_invalid_op 0
		.amdhsa_exception_fp_denorm_src 0
		.amdhsa_exception_fp_ieee_div_zero 0
		.amdhsa_exception_fp_ieee_overflow 0
		.amdhsa_exception_fp_ieee_underflow 0
		.amdhsa_exception_fp_ieee_inexact 0
		.amdhsa_exception_int_div_zero 0
	.end_amdhsa_kernel
	.section	.text._Z19_skinny_gemm_kernelILi2ELi4ELi3ELi32ELi4EEvPKhS1_P6__halfPKfiiiiiiii,"axG",@progbits,_Z19_skinny_gemm_kernelILi2ELi4ELi3ELi32ELi4EEvPKhS1_P6__halfPKfiiiiiiii,comdat
.Lfunc_end211:
	.size	_Z19_skinny_gemm_kernelILi2ELi4ELi3ELi32ELi4EEvPKhS1_P6__halfPKfiiiiiiii, .Lfunc_end211-_Z19_skinny_gemm_kernelILi2ELi4ELi3ELi32ELi4EEvPKhS1_P6__halfPKfiiiiiiii
                                        ; -- End function
	.set _Z19_skinny_gemm_kernelILi2ELi4ELi3ELi32ELi4EEvPKhS1_P6__halfPKfiiiiiiii.num_vgpr, 128
	.set _Z19_skinny_gemm_kernelILi2ELi4ELi3ELi32ELi4EEvPKhS1_P6__halfPKfiiiiiiii.num_agpr, 0
	.set _Z19_skinny_gemm_kernelILi2ELi4ELi3ELi32ELi4EEvPKhS1_P6__halfPKfiiiiiiii.numbered_sgpr, 100
	.set _Z19_skinny_gemm_kernelILi2ELi4ELi3ELi32ELi4EEvPKhS1_P6__halfPKfiiiiiiii.num_named_barrier, 0
	.set _Z19_skinny_gemm_kernelILi2ELi4ELi3ELi32ELi4EEvPKhS1_P6__halfPKfiiiiiiii.private_seg_size, 0
	.set _Z19_skinny_gemm_kernelILi2ELi4ELi3ELi32ELi4EEvPKhS1_P6__halfPKfiiiiiiii.uses_vcc, 1
	.set _Z19_skinny_gemm_kernelILi2ELi4ELi3ELi32ELi4EEvPKhS1_P6__halfPKfiiiiiiii.uses_flat_scratch, 0
	.set _Z19_skinny_gemm_kernelILi2ELi4ELi3ELi32ELi4EEvPKhS1_P6__halfPKfiiiiiiii.has_dyn_sized_stack, 0
	.set _Z19_skinny_gemm_kernelILi2ELi4ELi3ELi32ELi4EEvPKhS1_P6__halfPKfiiiiiiii.has_recursion, 0
	.set _Z19_skinny_gemm_kernelILi2ELi4ELi3ELi32ELi4EEvPKhS1_P6__halfPKfiiiiiiii.has_indirect_call, 0
	.section	.AMDGPU.csdata,"",@progbits
; Kernel info:
; codeLenInByte = 14144
; TotalNumSgprs: 106
; NumVgprs: 128
; NumAgprs: 0
; TotalNumVgprs: 128
; ScratchSize: 0
; MemoryBound: 0
; FloatMode: 240
; IeeeMode: 1
; LDSByteSize: 36936 bytes/workgroup (compile time only)
; SGPRBlocks: 13
; VGPRBlocks: 15
; NumSGPRsForWavesPerEU: 106
; NumVGPRsForWavesPerEU: 128
; AccumOffset: 128
; Occupancy: 4
; WaveLimiterHint : 0
; COMPUTE_PGM_RSRC2:SCRATCH_EN: 0
; COMPUTE_PGM_RSRC2:USER_SGPR: 2
; COMPUTE_PGM_RSRC2:TRAP_HANDLER: 0
; COMPUTE_PGM_RSRC2:TGID_X_EN: 1
; COMPUTE_PGM_RSRC2:TGID_Y_EN: 0
; COMPUTE_PGM_RSRC2:TGID_Z_EN: 0
; COMPUTE_PGM_RSRC2:TIDIG_COMP_CNT: 0
; COMPUTE_PGM_RSRC3_GFX90A:ACCUM_OFFSET: 31
; COMPUTE_PGM_RSRC3_GFX90A:TG_SPLIT: 0
	.section	.text._Z19_skinny_gemm_kernelILi2ELi4ELi4ELi16ELi4EEvPKhS1_P6__halfPKfiiiiiiii,"axG",@progbits,_Z19_skinny_gemm_kernelILi2ELi4ELi4ELi16ELi4EEvPKhS1_P6__halfPKfiiiiiiii,comdat
	.protected	_Z19_skinny_gemm_kernelILi2ELi4ELi4ELi16ELi4EEvPKhS1_P6__halfPKfiiiiiiii ; -- Begin function _Z19_skinny_gemm_kernelILi2ELi4ELi4ELi16ELi4EEvPKhS1_P6__halfPKfiiiiiiii
	.globl	_Z19_skinny_gemm_kernelILi2ELi4ELi4ELi16ELi4EEvPKhS1_P6__halfPKfiiiiiiii
	.p2align	8
	.type	_Z19_skinny_gemm_kernelILi2ELi4ELi4ELi16ELi4EEvPKhS1_P6__halfPKfiiiiiiii,@function
_Z19_skinny_gemm_kernelILi2ELi4ELi4ELi16ELi4EEvPKhS1_P6__halfPKfiiiiiiii: ; @_Z19_skinny_gemm_kernelILi2ELi4ELi4ELi16ELi4EEvPKhS1_P6__halfPKfiiiiiiii
; %bb.0:
	v_cmp_gt_u32_e32 vcc, 24, v0
	v_lshlrev_b32_e32 v1, 2, v0
	s_and_saveexec_b64 s[4:5], vcc
; %bb.1:
	v_mov_b32_e32 v2, 0
	ds_write_b32 v1, v2 offset:49152
; %bb.2:
	s_or_b64 exec, exec, s[4:5]
	s_load_dwordx8 s[20:27], s[0:1], 0x20
	s_waitcnt lgkmcnt(0)
	s_barrier
	s_add_i32 s3, s20, 31
	s_ashr_i32 s5, s3, 31
	s_add_i32 s4, s21, 63
	s_lshr_b32 s5, s5, 27
	s_ashr_i32 s6, s4, 31
	s_add_i32 s3, s3, s5
	s_ashr_i32 s33, s3, 5
	s_lshr_b32 s3, s6, 26
	s_add_i32 s4, s4, s3
	s_ashr_i32 s52, s4, 6
	s_mul_i32 s3, s52, s33
	s_mul_i32 s3, s3, s24
	s_add_i32 s4, s3, 0x12f
	s_mul_hi_i32 s4, s4, 0x6bca1af3
	s_lshr_b32 s5, s4, 31
	s_ashr_i32 s4, s4, 7
	s_add_i32 s4, s4, s5
	s_add_i32 s5, s2, 1
	s_mul_i32 s5, s4, s5
	v_cvt_f64_i32_e32 v[2:3], s3
	v_cvt_f64_u32_e32 v[4:5], s5
	v_min_f64 v[2:3], v[2:3], v[4:5]
	v_cvt_i32_f64_e32 v33, v[2:3]
	s_mul_i32 s53, s4, s2
	v_cmp_ge_i32_e32 vcc, s53, v33
	s_cbranch_vccnz .LBB212_56
; %bb.3:
	v_lshrrev_b32_e32 v2, 6, v0
	s_add_i32 s4, s26, s25
	s_load_dwordx8 s[36:43], s[0:1], 0x0
	v_cmp_le_i32_e64 s[0:1], s4, v2
	v_mov_b32_e32 v3, s25
	v_cmp_le_i32_e64 s[2:3], s25, v2
	v_mov_b32_e32 v4, s26
	v_cndmask_b32_e64 v4, 0, v4, s[0:1]
	v_cndmask_b32_e64 v3, 0, v3, s[2:3]
	s_abs_i32 s5, s24
	v_add_u32_e32 v3, v3, v4
	v_cvt_f32_u32_e32 v4, s5
	v_sub_u32_e32 v44, v2, v3
	s_ashr_i32 s6, s22, 31
	s_lshr_b32 s6, s6, 25
	v_rcp_iflag_f32_e32 v3, v4
	s_sub_i32 s9, 0, s5
	s_add_i32 s6, s22, s6
	s_ashr_i32 s6, s6, 7
	v_mul_f32_e32 v3, 0x4f7ffffe, v3
	v_cvt_u32_f32_e32 v3, v3
	s_abs_i32 s8, s6
	s_xor_b32 s7, s6, s24
	s_ashr_i32 s7, s7, 31
	v_readfirstlane_b32 s10, v3
	s_mul_i32 s9, s9, s10
	s_mul_hi_u32 s9, s10, s9
	s_add_i32 s10, s10, s9
	s_mul_hi_u32 s9, s8, s10
	s_mul_i32 s10, s9, s5
	s_sub_i32 s8, s8, s10
	s_add_i32 s10, s9, 1
	s_sub_i32 s11, s8, s5
	s_cmp_ge_u32 s8, s5
	s_cselect_b32 s9, s10, s9
	s_cselect_b32 s8, s11, s8
	s_add_i32 s10, s9, 1
	s_cmp_ge_u32 s8, s5
	s_cselect_b32 s5, s10, s9
	s_xor_b32 s5, s5, s7
	s_sub_i32 s54, s5, s7
	s_add_i32 s24, s24, -1
	s_mul_i32 s5, s54, s24
	s_add_i32 s4, s4, s27
	s_sub_i32 s55, s6, s5
	v_cmp_gt_i32_e64 s[4:5], s4, v2
	v_lshlrev_b32_e32 v2, 1, v0
	v_lshlrev_b32_e32 v3, 4, v0
	v_and_b32_e32 v1, 60, v1
	v_and_b32_e32 v2, 64, v2
	;; [unrolled: 1-line block ×3, first 2 shown]
	v_or3_b32 v65, v1, v2, v4
	v_and_b32_e32 v1, 1, v0
	v_lshrrev_b32_e32 v4, 2, v0
	s_abs_i32 s56, s33
	v_and_or_b32 v72, v4, 12, v1
	v_cvt_f32_u32_e32 v4, s56
	v_lshlrev_b32_e32 v2, 1, v1
	v_and_b32_e32 v32, 14, v0
	v_sub_u32_e32 v2, v0, v2
	v_bitop3_b32 v67, v0, 1, v0 bitop3:0xc
	v_bitop3_b32 v68, v0, 3, 1 bitop3:0x6c
	v_and_b32_e32 v38, 48, v3
	v_bfe_u32 v74, v0, 2, 4
	v_and_b32_e32 v1, 60, v0
	v_lshlrev_b32_e32 v3, 8, v0
	v_lshlrev_b32_e32 v0, 6, v0
	v_and_b32_e32 v3, 0x200, v3
	v_and_b32_e32 v0, 64, v0
	v_or3_b32 v75, v1, v3, v0
	v_rcp_iflag_f32_e32 v0, v4
	s_abs_i32 s58, s52
	v_cvt_f32_u32_e32 v1, s58
	v_mad_u64_u32 v[34:35], s[6:7], s21, v72, v[32:33]
	v_mul_f32_e32 v0, 0x4f7ffffe, v0
	v_cvt_u32_f32_e32 v0, v0
	v_rcp_iflag_f32_e32 v1, v1
	s_sub_i32 s6, 0, s56
	v_add_u32_e32 v2, 1, v2
	v_readfirstlane_b32 s7, v0
	v_mul_f32_e32 v0, 0x4f7ffffe, v1
	v_cvt_u32_f32_e32 v0, v0
	s_mul_i32 s6, s6, s7
	s_mul_hi_u32 s6, s7, s6
	s_add_i32 s60, s7, s6
	s_sub_i32 s6, 0, s58
	v_readfirstlane_b32 s7, v0
	v_mbcnt_lo_u32_b32 v0, -1, 0
	v_and_b32_e32 v2, 63, v2
	s_mul_i32 s6, s6, s7
	v_mbcnt_hi_u32_b32 v0, -1, v0
	v_lshl_add_u32 v36, s21, 4, v34
	v_mul_lo_u32 v40, s23, v74
	s_mul_hi_u32 s6, s7, s6
	v_and_or_b32 v0, v0, 64, v2
	v_cndmask_b32_e64 v64, 0, 1, s[0:1]
	v_or_b32_e32 v66, 0x8000, v65
	s_ashr_i32 s29, s21, 31
	s_mov_b32 s28, s21
	v_or_b32_e32 v69, 16, v32
	v_or_b32_e32 v70, 32, v32
	;; [unrolled: 1-line block ×3, first 2 shown]
	v_ashrrev_i32_e32 v35, 31, v34
	v_or_b32_e32 v73, 16, v72
	v_ashrrev_i32_e32 v37, 31, v36
	v_ashrrev_i32_e32 v41, 31, v40
	v_mov_b32_e32 v39, 0
	s_lshl_b32 s57, s23, 4
	v_mul_lo_u32 v76, s22, v74
	v_or_b32_e32 v77, 0x8000, v75
	s_ashr_i32 s59, s33, 31
	s_ashr_i32 s61, s52, 31
	s_add_i32 s62, s7, s6
	s_mov_b64 s[30:31], 0x60
	v_lshlrev_b32_e32 v78, 2, v0
	v_mov_b32_e32 v79, v44
	s_branch .LBB212_7
.LBB212_4:                              ;   in Loop: Header=BB212_7 Depth=1
	s_or_b64 exec, exec, s[10:11]
.LBB212_5:                              ;   in Loop: Header=BB212_7 Depth=1
	s_or_b64 exec, exec, s[8:9]
	v_subrev_u32_e32 v79, s16, v79
.LBB212_6:                              ;   in Loop: Header=BB212_7 Depth=1
	s_or_b64 exec, exec, s[6:7]
	s_add_i32 s53, s53, 1
	v_cmp_ge_i32_e32 vcc, s53, v33
	s_cbranch_vccnz .LBB212_56
.LBB212_7:                              ; =>This Loop Header: Depth=1
                                        ;     Child Loop BB212_13 Depth 2
                                        ;       Child Loop BB212_15 Depth 3
                                        ;       Child Loop BB212_18 Depth 3
                                        ;       Child Loop BB212_21 Depth 3
                                        ;       Child Loop BB212_24 Depth 3
                                        ;       Child Loop BB212_27 Depth 3
                                        ;       Child Loop BB212_30 Depth 3
                                        ;     Child Loop BB212_43 Depth 2
                                        ;       Child Loop BB212_45 Depth 3
                                        ;     Child Loop BB212_53 Depth 2
                                        ;       Child Loop BB212_55 Depth 3
	s_abs_i32 s7, s53
	s_mul_hi_u32 s8, s7, s60
	s_mul_i32 s9, s8, s56
	s_ashr_i32 s6, s53, 31
	s_sub_i32 s7, s7, s9
	s_xor_b32 s6, s6, s59
	s_add_i32 s9, s8, 1
	s_sub_i32 s10, s7, s56
	s_cmp_ge_u32 s7, s56
	s_cselect_b32 s8, s9, s8
	s_cselect_b32 s7, s10, s7
	s_add_i32 s9, s8, 1
	s_cmp_ge_u32 s7, s56
	s_cselect_b32 s7, s9, s8
	s_xor_b32 s7, s7, s6
	s_sub_i32 s6, s7, s6
	s_abs_i32 s8, s6
	s_mul_i32 s7, s6, s33
	s_mul_hi_u32 s9, s8, s62
	s_sub_i32 s7, s53, s7
	s_mul_i32 s10, s9, s58
	s_lshl_b32 s63, s7, 5
	s_ashr_i32 s7, s6, 31
	s_sub_i32 s8, s8, s10
	s_xor_b32 s7, s7, s61
	s_add_i32 s10, s9, 1
	s_sub_i32 s11, s8, s58
	s_cmp_ge_u32 s8, s58
	s_cselect_b32 s9, s10, s9
	s_cselect_b32 s8, s11, s8
	s_add_i32 s10, s9, 1
	s_cmp_ge_u32 s8, s58
	s_cselect_b32 s8, s10, s9
	s_xor_b32 s8, s8, s7
	s_sub_i32 s7, s8, s7
	s_mul_i32 s8, s7, s54
	s_lshl_b32 s64, s8, 7
	s_cmp_eq_u32 s7, s24
	s_cselect_b32 s66, s55, s54
	s_sub_i32 s8, s63, s20
	s_add_i32 s8, s8, 32
	s_max_i32 s65, s8, 0
	s_and_saveexec_b64 s[8:9], s[2:3]
	s_xor_b64 s[34:35], exec, s[8:9]
	s_cbranch_execz .LBB212_49
; %bb.8:                                ;   in Loop: Header=BB212_7 Depth=1
	s_mul_i32 s7, s7, s52
	s_sub_i32 s6, s6, s7
	s_lshl_b32 s6, s6, 6
	s_sub_i32 s45, s6, s21
	s_add_i32 s45, s45, 64
	s_max_i32 s7, s45, 0
	s_sub_i32 s44, s6, s7
	s_and_saveexec_b64 s[6:7], s[0:1]
	s_xor_b64 s[46:47], exec, s[6:7]
	s_cbranch_execz .LBB212_39
; %bb.9:                                ;   in Loop: Header=BB212_7 Depth=1
	s_and_saveexec_b64 s[48:49], s[4:5]
	s_cbranch_execz .LBB212_38
; %bb.10:                               ;   in Loop: Header=BB212_7 Depth=1
	s_waitcnt lgkmcnt(0)
	global_load_dword v80, v39, s[42:43]
	v_mov_b32_e32 v31, 0
	v_cmp_gt_i32_e32 vcc, s66, v79
	v_mov_b32_e32 v30, v31
	v_mov_b32_e32 v29, v31
	;; [unrolled: 1-line block ×31, first 2 shown]
	s_and_saveexec_b64 s[6:7], vcc
	s_cbranch_execz .LBB212_32
; %bb.11:                               ;   in Loop: Header=BB212_7 Depth=1
	v_mov_b32_e32 v4, 0
	s_mov_b64 s[8:9], 0
	v_mov_b32_e32 v5, v4
	v_mov_b32_e32 v6, v4
	;; [unrolled: 1-line block ×31, first 2 shown]
	s_branch .LBB212_13
.LBB212_12:                             ;   in Loop: Header=BB212_13 Depth=2
	s_or_b64 exec, exec, s[10:11]
	v_add_u32_e32 v59, 0x1800, v58
	ds_read2_b32 v[60:61], v59 offset1:32
	v_add_u32_e32 v62, 0x1c00, v58
	v_add_u32_e32 v79, s27, v79
	s_waitcnt lgkmcnt(0)
	v_mfma_f32_16x16x32_fp8_fp8 v[16:19], v[42:43], v[60:61], v[16:19]
	ds_read2_b32 v[42:43], v59 offset0:128 offset1:160
	ds_read2_b32 v[58:59], v62 offset1:32
	v_mfma_f32_16x16x32_fp8_fp8 v[4:7], v[52:53], v[60:61], v[4:7]
	s_waitcnt lgkmcnt(1)
	v_mfma_f32_16x16x32_fp8_fp8 v[16:19], v[44:45], v[42:43], v[16:19]
	v_add_u32_e32 v44, s27, v81
	v_cmp_lt_i32_e32 vcc, 3, v44
	v_mfma_f32_16x16x32_fp8_fp8 v[4:7], v[54:55], v[42:43], v[4:7]
	v_add_u32_e32 v42, 2, v64
	v_cndmask_b32_e32 v64, v64, v42, vcc
	v_cmp_le_i32_e32 vcc, s66, v79
	s_waitcnt lgkmcnt(0)
	v_mfma_f32_16x16x32_fp8_fp8 v[16:19], v[46:47], v[58:59], v[16:19]
	ds_read2_b32 v[46:47], v62 offset0:128 offset1:160
	s_or_b64 s[8:9], vcc, s[8:9]
	;;#ASMSTART
	s_waitcnt lgkmcnt(0)
	;;#ASMEND
	v_mfma_f32_16x16x32_fp8_fp8 v[4:7], v[56:57], v[58:59], v[4:7]
	ds_write_b32 v82, v83 offset:49196
	s_waitcnt lgkmcnt(1)
	v_mfma_f32_16x16x32_fp8_fp8 v[16:19], v[48:49], v[46:47], v[16:19]
	v_mfma_f32_16x16x32_fp8_fp8 v[4:7], v[50:51], v[46:47], v[4:7]
	s_andn2_b64 exec, exec, s[8:9]
	s_cbranch_execz .LBB212_31
.LBB212_13:                             ;   Parent Loop BB212_7 Depth=1
                                        ; =>  This Loop Header: Depth=2
                                        ;       Child Loop BB212_15 Depth 3
                                        ;       Child Loop BB212_18 Depth 3
	;; [unrolled: 1-line block ×6, first 2 shown]
	v_cmp_gt_i32_e32 vcc, 4, v44
	s_nop 1
	v_cndmask_b32_e64 v42, -4, 0, vcc
	v_add_u32_e32 v81, v42, v44
	v_lshlrev_b32_e32 v82, 4, v81
	ds_read_b32 v42, v82 offset:49184
	s_waitcnt lgkmcnt(0)
	v_cmp_ne_u32_e32 vcc, v42, v64
	s_and_saveexec_b64 s[10:11], vcc
	s_cbranch_execz .LBB212_16
; %bb.14:                               ;   in Loop: Header=BB212_13 Depth=2
	s_mov_b64 s[12:13], 0
.LBB212_15:                             ;   Parent Loop BB212_7 Depth=1
                                        ;     Parent Loop BB212_13 Depth=2
                                        ; =>    This Inner Loop Header: Depth=3
	;;#ASMSTART
	s_sleep 0
	;;#ASMEND
	ds_read_b32 v42, v82 offset:49184
	s_waitcnt lgkmcnt(0)
	v_cmp_eq_u32_e32 vcc, v42, v64
	s_or_b64 s[12:13], vcc, s[12:13]
	s_andn2_b64 exec, exec, s[12:13]
	s_cbranch_execnz .LBB212_15
.LBB212_16:                             ;   in Loop: Header=BB212_13 Depth=2
	s_or_b64 exec, exec, s[10:11]
	v_lshlrev_b32_e32 v84, 13, v81
	v_or_b32_e32 v42, v65, v84
	ds_read2_b32 v[50:51], v42 offset1:32
	ds_read2_b32 v[58:59], v42 offset0:128 offset1:160
	v_add_u32_e32 v42, 0x400, v42
	v_add_u32_e32 v83, 1, v64
	ds_read2_b32 v[62:63], v42 offset1:32
	ds_read2_b32 v[60:61], v42 offset0:128 offset1:160
	;;#ASMSTART
	s_waitcnt lgkmcnt(0)
	;;#ASMEND
	ds_write_b32 v82, v83 offset:49184
	v_lshlrev_b32_e32 v85, 3, v81
	ds_read_b32 v42, v85 offset:49152
	s_waitcnt lgkmcnt(0)
	v_cmp_ne_u32_e32 vcc, v42, v64
	s_and_saveexec_b64 s[10:11], vcc
	s_cbranch_execz .LBB212_19
; %bb.17:                               ;   in Loop: Header=BB212_13 Depth=2
	s_mov_b64 s[12:13], 0
.LBB212_18:                             ;   Parent Loop BB212_7 Depth=1
                                        ;     Parent Loop BB212_13 Depth=2
                                        ; =>    This Inner Loop Header: Depth=3
	;;#ASMSTART
	s_sleep 0
	;;#ASMEND
	ds_read_b32 v42, v85 offset:49152
	s_waitcnt lgkmcnt(0)
	v_cmp_eq_u32_e32 vcc, v42, v64
	s_or_b64 s[12:13], vcc, s[12:13]
	s_andn2_b64 exec, exec, s[12:13]
	s_cbranch_execnz .LBB212_18
.LBB212_19:                             ;   in Loop: Header=BB212_13 Depth=2
	s_or_b64 exec, exec, s[10:11]
	v_lshlrev_b32_e32 v42, 12, v81
	v_add_u32_e32 v56, v66, v42
	ds_read2_b32 v[42:43], v56 offset1:32
	ds_read2_b32 v[44:45], v56 offset0:128 offset1:160
	v_add_u32_e32 v48, 0x400, v56
	ds_read2_b32 v[46:47], v48 offset1:32
	ds_read2_b32 v[48:49], v48 offset0:128 offset1:160
	ds_read_b32 v52, v85 offset:49156
	ds_write_b32 v85, v83 offset:49152
	s_waitcnt lgkmcnt(5)
	v_mfma_f32_16x16x32_fp8_fp8 v[28:31], v[42:43], v[50:51], v[28:31]
	s_waitcnt lgkmcnt(1)
	v_cmp_ne_u32_e32 vcc, v52, v64
	v_mfma_f32_16x16x32_fp8_fp8 v[28:31], v[44:45], v[58:59], v[28:31]
	v_mfma_f32_16x16x32_fp8_fp8 v[28:31], v[46:47], v[62:63], v[28:31]
	;; [unrolled: 1-line block ×3, first 2 shown]
	s_and_saveexec_b64 s[10:11], vcc
	s_cbranch_execz .LBB212_22
; %bb.20:                               ;   in Loop: Header=BB212_13 Depth=2
	s_mov_b64 s[12:13], 0
.LBB212_21:                             ;   Parent Loop BB212_7 Depth=1
                                        ;     Parent Loop BB212_13 Depth=2
                                        ; =>    This Inner Loop Header: Depth=3
	;;#ASMSTART
	s_sleep 0
	;;#ASMEND
	ds_read_b32 v52, v85 offset:49156
	s_waitcnt lgkmcnt(0)
	v_cmp_eq_u32_e32 vcc, v52, v64
	s_or_b64 s[12:13], vcc, s[12:13]
	s_andn2_b64 exec, exec, s[12:13]
	s_cbranch_execnz .LBB212_21
.LBB212_22:                             ;   in Loop: Header=BB212_13 Depth=2
	s_or_b64 exec, exec, s[10:11]
	v_add_u32_e32 v54, 0x800, v56
	ds_read2_b32 v[52:53], v54 offset1:32
	ds_read2_b32 v[54:55], v54 offset0:128 offset1:160
	v_add_u32_e32 v86, 0xc00, v56
	ds_read2_b32 v[56:57], v86 offset1:32
	ds_write_b32 v85, v83 offset:49156
	s_waitcnt lgkmcnt(3)
	v_mfma_f32_16x16x32_fp8_fp8 v[12:15], v[52:53], v[50:51], v[12:15]
	ds_read2_b32 v[50:51], v86 offset0:128 offset1:160
	s_waitcnt lgkmcnt(3)
	v_mfma_f32_16x16x32_fp8_fp8 v[12:15], v[54:55], v[58:59], v[12:15]
	ds_read_b32 v58, v82 offset:49188
	s_waitcnt lgkmcnt(0)
	v_cmp_ne_u32_e32 vcc, v58, v64
	v_mfma_f32_16x16x32_fp8_fp8 v[12:15], v[56:57], v[62:63], v[12:15]
	v_mfma_f32_16x16x32_fp8_fp8 v[12:15], v[50:51], v[60:61], v[12:15]
	s_and_saveexec_b64 s[10:11], vcc
	s_cbranch_execz .LBB212_25
; %bb.23:                               ;   in Loop: Header=BB212_13 Depth=2
	s_mov_b64 s[12:13], 0
.LBB212_24:                             ;   Parent Loop BB212_7 Depth=1
                                        ;     Parent Loop BB212_13 Depth=2
                                        ; =>    This Inner Loop Header: Depth=3
	;;#ASMSTART
	s_sleep 0
	;;#ASMEND
	ds_read_b32 v58, v82 offset:49188
	s_waitcnt lgkmcnt(0)
	v_cmp_eq_u32_e32 vcc, v58, v64
	s_or_b64 s[12:13], vcc, s[12:13]
	s_andn2_b64 exec, exec, s[12:13]
	s_cbranch_execnz .LBB212_24
.LBB212_25:                             ;   in Loop: Header=BB212_13 Depth=2
	s_or_b64 exec, exec, s[10:11]
	v_add_u32_e32 v58, v65, v84
	v_add_u32_e32 v59, 0x800, v58
	ds_read2_b32 v[60:61], v59 offset1:32
	s_waitcnt lgkmcnt(0)
	v_mfma_f32_16x16x32_fp8_fp8 v[24:27], v[42:43], v[60:61], v[24:27]
	v_mfma_f32_16x16x32_fp8_fp8 v[8:11], v[52:53], v[60:61], v[8:11]
	ds_read2_b32 v[60:61], v59 offset0:128 offset1:160
	v_add_u32_e32 v59, 0xc00, v58
	ds_read2_b32 v[62:63], v59 offset1:32
	s_waitcnt lgkmcnt(1)
	v_mfma_f32_16x16x32_fp8_fp8 v[24:27], v[44:45], v[60:61], v[24:27]
	ds_read2_b32 v[84:85], v59 offset0:128 offset1:160
	;;#ASMSTART
	s_waitcnt lgkmcnt(0)
	;;#ASMEND
	ds_read_b32 v59, v82 offset:49192
	v_mfma_f32_16x16x32_fp8_fp8 v[8:11], v[54:55], v[60:61], v[8:11]
	ds_write_b32 v82, v83 offset:49188
	s_waitcnt lgkmcnt(1)
	v_cmp_ne_u32_e32 vcc, v59, v64
	v_mfma_f32_16x16x32_fp8_fp8 v[24:27], v[46:47], v[62:63], v[24:27]
	v_mfma_f32_16x16x32_fp8_fp8 v[8:11], v[56:57], v[62:63], v[8:11]
	v_mfma_f32_16x16x32_fp8_fp8 v[24:27], v[48:49], v[84:85], v[24:27]
	v_mfma_f32_16x16x32_fp8_fp8 v[8:11], v[50:51], v[84:85], v[8:11]
	s_and_saveexec_b64 s[10:11], vcc
	s_cbranch_execz .LBB212_28
; %bb.26:                               ;   in Loop: Header=BB212_13 Depth=2
	s_mov_b64 s[12:13], 0
.LBB212_27:                             ;   Parent Loop BB212_7 Depth=1
                                        ;     Parent Loop BB212_13 Depth=2
                                        ; =>    This Inner Loop Header: Depth=3
	;;#ASMSTART
	s_sleep 0
	;;#ASMEND
	ds_read_b32 v59, v82 offset:49192
	s_waitcnt lgkmcnt(0)
	v_cmp_eq_u32_e32 vcc, v59, v64
	s_or_b64 s[12:13], vcc, s[12:13]
	s_andn2_b64 exec, exec, s[12:13]
	s_cbranch_execnz .LBB212_27
.LBB212_28:                             ;   in Loop: Header=BB212_13 Depth=2
	s_or_b64 exec, exec, s[10:11]
	v_add_u32_e32 v59, 0x1000, v58
	ds_read2_b32 v[60:61], v59 offset1:32
	ds_read2_b32 v[62:63], v59 offset0:128 offset1:160
	v_add_u32_e32 v59, 0x1400, v58
	ds_read2_b32 v[84:85], v59 offset1:32
	ds_read2_b32 v[86:87], v59 offset0:128 offset1:160
	s_waitcnt lgkmcnt(3)
	v_mfma_f32_16x16x32_fp8_fp8 v[20:23], v[42:43], v[60:61], v[20:23]
	;;#ASMSTART
	s_waitcnt lgkmcnt(0)
	;;#ASMEND
	ds_read_b32 v59, v82 offset:49196
	ds_write_b32 v82, v83 offset:49192
	v_mfma_f32_16x16x32_fp8_fp8 v[0:3], v[52:53], v[60:61], v[0:3]
	s_waitcnt lgkmcnt(1)
	v_cmp_ne_u32_e32 vcc, v59, v64
	v_mfma_f32_16x16x32_fp8_fp8 v[20:23], v[44:45], v[62:63], v[20:23]
	v_mfma_f32_16x16x32_fp8_fp8 v[0:3], v[54:55], v[62:63], v[0:3]
	;; [unrolled: 1-line block ×6, first 2 shown]
	s_and_saveexec_b64 s[10:11], vcc
	s_cbranch_execz .LBB212_12
; %bb.29:                               ;   in Loop: Header=BB212_13 Depth=2
	s_mov_b64 s[12:13], 0
.LBB212_30:                             ;   Parent Loop BB212_7 Depth=1
                                        ;     Parent Loop BB212_13 Depth=2
                                        ; =>    This Inner Loop Header: Depth=3
	;;#ASMSTART
	s_sleep 0
	;;#ASMEND
	ds_read_b32 v59, v82 offset:49196
	s_waitcnt lgkmcnt(0)
	v_cmp_eq_u32_e32 vcc, v59, v64
	s_or_b64 s[12:13], vcc, s[12:13]
	s_andn2_b64 exec, exec, s[12:13]
	s_cbranch_execnz .LBB212_30
	s_branch .LBB212_12
.LBB212_31:                             ;   in Loop: Header=BB212_7 Depth=1
	s_or_b64 exec, exec, s[8:9]
.LBB212_32:                             ;   in Loop: Header=BB212_7 Depth=1
	s_or_b64 exec, exec, s[6:7]
	v_cmp_le_i32_e32 vcc, s45, v32
	v_cmp_eq_u32_e64 s[6:7], 2, v67
	v_cmp_eq_u32_e64 s[8:9], 3, v67
	s_waitcnt vmcnt(0)
	v_cndmask_b32_e32 v42, 0, v80, vcc
	v_pk_mul_f32 v[28:29], v[42:43], v[28:29] op_sel_hi:[0,1]
	v_cmp_eq_u32_e32 vcc, 1, v67
	v_pk_mul_f32 v[46:47], v[42:43], v[30:31] op_sel_hi:[0,1]
	v_cmp_eq_u32_e64 s[10:11], 0, v67
	v_cndmask_b32_e32 v30, v28, v29, vcc
	v_cndmask_b32_e64 v30, v30, v46, s[6:7]
	v_cndmask_b32_e64 v30, v30, v47, s[8:9]
	ds_bpermute_b32 v43, v78, v30
	v_cmp_le_i32_e64 s[14:15], s45, v69
	v_cmp_le_i32_e64 s[18:19], s45, v70
	v_cmp_eq_u32_e64 s[12:13], 1, v68
	v_cmp_eq_u32_e64 s[16:17], 3, v68
	s_waitcnt lgkmcnt(0)
	v_cndmask_b32_e64 v30, v47, v43, s[8:9]
	v_cndmask_b32_e64 v31, v46, v43, s[6:7]
	v_cndmask_b32_e32 v29, v29, v43, vcc
	v_cndmask_b32_e64 v43, v28, v43, s[10:11]
	v_cndmask_b32_e64 v28, 0, v80, s[14:15]
	v_pk_mul_f32 v[24:25], v[28:29], v[24:25] op_sel_hi:[0,1]
	v_pk_mul_f32 v[46:47], v[28:29], v[26:27] op_sel_hi:[0,1]
	v_cndmask_b32_e32 v26, v24, v25, vcc
	v_cndmask_b32_e64 v26, v26, v46, s[6:7]
	v_cndmask_b32_e64 v26, v26, v47, s[8:9]
	ds_bpermute_b32 v48, v78, v26
	v_cndmask_b32_e64 v45, v43, v29, s[12:13]
	v_cmp_eq_u32_e64 s[14:15], 2, v68
	s_waitcnt lgkmcnt(0)
	v_cndmask_b32_e32 v25, v25, v48, vcc
	v_cndmask_b32_e64 v49, v24, v48, s[10:11]
	v_cndmask_b32_e64 v24, 0, v80, s[18:19]
	v_pk_mul_f32 v[20:21], v[24:25], v[20:21] op_sel_hi:[0,1]
	v_cndmask_b32_e64 v26, v45, v31, s[14:15]
	v_cndmask_b32_e64 v27, v47, v48, s[8:9]
	;; [unrolled: 1-line block ×3, first 2 shown]
	v_pk_mul_f32 v[46:47], v[24:25], v[22:23] op_sel_hi:[0,1]
	v_cndmask_b32_e32 v22, v20, v21, vcc
	v_cndmask_b32_e64 v22, v22, v46, s[6:7]
	v_cndmask_b32_e64 v22, v22, v47, s[8:9]
	ds_bpermute_b32 v48, v78, v22
	v_cmp_le_i32_e64 s[18:19], s45, v71
	v_cndmask_b32_e64 v22, v49, v25, s[12:13]
	v_cndmask_b32_e64 v22, v22, v45, s[14:15]
	;; [unrolled: 1-line block ×3, first 2 shown]
	s_waitcnt lgkmcnt(0)
	v_cndmask_b32_e64 v51, v20, v48, s[10:11]
	v_cndmask_b32_e64 v20, 0, v80, s[18:19]
	v_pk_mul_f32 v[54:55], v[20:21], v[16:17] op_sel_hi:[0,1]
	v_pk_mul_f32 v[52:53], v[20:21], v[18:19] op_sel_hi:[0,1]
	v_cndmask_b32_e32 v16, v54, v55, vcc
	v_cndmask_b32_e64 v16, v16, v52, s[6:7]
	v_cndmask_b32_e64 v16, v16, v53, s[8:9]
	ds_bpermute_b32 v17, v78, v16
	v_cndmask_b32_e32 v50, v21, v48, vcc
	v_cndmask_b32_e64 v46, v46, v48, s[6:7]
	v_cndmask_b32_e64 v16, v51, v50, s[12:13]
	v_cndmask_b32_e64 v23, v47, v48, s[8:9]
	v_cndmask_b32_e64 v16, v16, v46, s[14:15]
	v_cndmask_b32_e64 v16, v16, v23, s[16:17]
	v_cmp_ne_u32_e32 vcc, 0, v67
	ds_bpermute_b32 v47, v78, v16
	s_waitcnt lgkmcnt(1)
	v_cndmask_b32_e64 v18, v53, v17, s[8:9]
	v_cndmask_b32_e64 v19, v52, v17, s[6:7]
	v_cndmask_b32_e32 v16, v55, v17, vcc
	v_cndmask_b32_e64 v17, v54, v17, s[10:11]
	v_cndmask_b32_e64 v21, v17, v16, s[12:13]
	;; [unrolled: 1-line block ×5, first 2 shown]
	ds_bpermute_b32 v26, v78, v26
	ds_bpermute_b32 v22, v78, v22
	;; [unrolled: 1-line block ×3, first 2 shown]
	v_add_u32_e32 v21, s65, v72
	v_cmp_gt_u32_e32 vcc, 32, v21
	s_and_saveexec_b64 s[18:19], vcc
	s_cbranch_execz .LBB212_37
; %bb.33:                               ;   in Loop: Header=BB212_7 Depth=1
	v_cmp_eq_u32_e64 s[8:9], 1, v68
	v_cmp_eq_u32_e64 s[10:11], 0, v68
	v_cmp_eq_u32_e32 vcc, 3, v68
	s_waitcnt lgkmcnt(2)
	v_cndmask_b32_e64 v29, v29, v26, s[8:9]
	s_waitcnt lgkmcnt(1)
	v_cndmask_b32_e64 v25, v25, v22, s[8:9]
	v_cndmask_b32_e64 v52, v50, v47, s[8:9]
	s_waitcnt lgkmcnt(0)
	v_cndmask_b32_e64 v54, v16, v48, s[8:9]
	s_mul_i32 s8, s63, s21
	s_ashr_i32 s9, s8, 31
	s_lshl_b64 s[8:9], s[8:9], 1
	v_cndmask_b32_e64 v43, v43, v26, s[10:11]
	v_cndmask_b32_e64 v49, v49, v22, s[10:11]
	;; [unrolled: 1-line block ×4, first 2 shown]
	s_add_u32 s10, s40, s8
	s_addc_u32 s11, s41, s9
	s_ashr_i32 s45, s44, 31
	v_cvt_f16_f32_e32 v43, v43
	v_cvt_f16_f32_sdwa v29, v29 dst_sel:WORD_1 dst_unused:UNUSED_PAD src0_sel:DWORD
	v_cvt_f16_f32_e32 v49, v49
	v_cvt_f16_f32_sdwa v25, v25 dst_sel:WORD_1 dst_unused:UNUSED_PAD src0_sel:DWORD
	s_lshl_b64 s[8:9], s[44:45], 1
	s_add_u32 s50, s10, s8
	s_addc_u32 s51, s11, s9
	v_lshl_add_u64 v[16:17], v[34:35], 1, s[50:51]
	v_or_b32_e32 v29, v29, v43
	v_or_b32_e32 v25, v25, v49
	;;#ASMSTART
	global_atomic_pk_add_f16 v[16:17], v29, off
	
	;;#ASMEND
	v_lshl_add_u64 v[50:51], v[16:17], 0, 32
	;;#ASMSTART
	global_atomic_pk_add_f16 v[50:51], v25, off
	
	;;#ASMEND
	v_cvt_f16_f32_e32 v25, v53
	v_cvt_f16_f32_sdwa v29, v52 dst_sel:WORD_1 dst_unused:UNUSED_PAD src0_sel:DWORD
	v_cvt_f16_f32_e32 v43, v55
	v_cvt_f16_f32_sdwa v49, v54 dst_sel:WORD_1 dst_unused:UNUSED_PAD src0_sel:DWORD
	v_cmp_eq_u32_e64 s[6:7], 2, v68
	v_lshl_add_u64 v[50:51], v[16:17], 0, 64
	v_or_b32_e32 v25, v29, v25
	v_cmp_gt_u32_e64 s[8:9], 30, v21
	;;#ASMSTART
	global_atomic_pk_add_f16 v[50:51], v25, off
	
	;;#ASMEND
	v_lshl_add_u64 v[50:51], v[16:17], 0, s[30:31]
	v_or_b32_e32 v25, v49, v43
	;;#ASMSTART
	global_atomic_pk_add_f16 v[50:51], v25, off
	
	;;#ASMEND
	s_and_b64 exec, exec, s[8:9]
	s_cbranch_execz .LBB212_37
; %bb.34:                               ;   in Loop: Header=BB212_7 Depth=1
	v_cndmask_b32_e32 v30, v30, v26, vcc
	v_cndmask_b32_e64 v26, v31, v26, s[6:7]
	v_cvt_f16_f32_e32 v26, v26
	v_cvt_f16_f32_sdwa v30, v30 dst_sel:WORD_1 dst_unused:UNUSED_PAD src0_sel:DWORD
	v_cndmask_b32_e32 v27, v27, v22, vcc
	v_cndmask_b32_e64 v22, v45, v22, s[6:7]
	v_cndmask_b32_e32 v23, v23, v47, vcc
	v_cndmask_b32_e64 v31, v46, v47, s[6:7]
	v_cndmask_b32_e32 v45, v18, v48, vcc
	v_or_b32_e32 v18, v30, v26
	v_cvt_f16_f32_e32 v22, v22
	v_cvt_f16_f32_sdwa v26, v27 dst_sel:WORD_1 dst_unused:UNUSED_PAD src0_sel:DWORD
	v_cvt_f16_f32_e32 v27, v31
	v_cvt_f16_f32_sdwa v23, v23 dst_sel:WORD_1 dst_unused:UNUSED_PAD src0_sel:DWORD
	v_lshl_add_u64 v[16:17], s[28:29], 2, v[16:17]
	v_or_b32_e32 v22, v26, v22
	v_mov_b32_e32 v43, v42
	v_cndmask_b32_e64 v46, v19, v48, s[6:7]
	;;#ASMSTART
	global_atomic_pk_add_f16 v[16:17], v18, off
	
	;;#ASMEND
	v_lshl_add_u64 v[18:19], v[16:17], 0, 32
	;;#ASMSTART
	global_atomic_pk_add_f16 v[18:19], v22, off
	
	;;#ASMEND
	v_or_b32_e32 v26, v23, v27
	v_mov_b32_e32 v22, v42
	v_mov_b32_e32 v23, v42
	v_pk_mul_f32 v[14:15], v[22:23], v[14:15]
	v_pk_mul_f32 v[22:23], v[42:43], v[12:13]
	v_cmp_eq_u32_e32 vcc, 1, v67
	v_mov_b32_e32 v29, v28
	v_lshl_add_u64 v[18:19], v[16:17], 0, 64
	v_cndmask_b32_e32 v12, v22, v23, vcc
	v_cmp_eq_u32_e64 s[6:7], 2, v67
	v_cmp_eq_u32_e64 s[8:9], 3, v67
	;;#ASMSTART
	global_atomic_pk_add_f16 v[18:19], v26, off
	
	;;#ASMEND
	v_lshl_add_u64 v[26:27], v[16:17], 0, s[30:31]
	v_cndmask_b32_e64 v12, v12, v14, s[6:7]
	v_mov_b32_e32 v16, v28
	v_mov_b32_e32 v17, v28
	v_pk_mul_f32 v[18:19], v[28:29], v[8:9]
	v_cndmask_b32_e64 v12, v12, v15, s[8:9]
	v_pk_mul_f32 v[10:11], v[16:17], v[10:11]
	v_cndmask_b32_e32 v8, v18, v19, vcc
	ds_bpermute_b32 v30, v78, v12
	v_cndmask_b32_e64 v8, v8, v10, s[6:7]
	v_cndmask_b32_e64 v8, v8, v11, s[8:9]
	ds_bpermute_b32 v17, v78, v8
	v_cmp_eq_u32_e64 s[10:11], 0, v67
	s_waitcnt lgkmcnt(1)
	v_cndmask_b32_e64 v12, v15, v30, s[8:9]
	v_cndmask_b32_e64 v13, v14, v30, s[6:7]
	v_cndmask_b32_e32 v14, v23, v30, vcc
	v_cndmask_b32_e64 v15, v22, v30, s[10:11]
	v_cmp_eq_u32_e64 s[12:13], 1, v68
	v_mov_b32_e32 v25, v24
	v_cmp_eq_u32_e64 s[14:15], 2, v68
	v_cndmask_b32_e64 v22, v15, v14, s[12:13]
	s_waitcnt lgkmcnt(0)
	v_cndmask_b32_e64 v9, v11, v17, s[8:9]
	v_cndmask_b32_e64 v8, v22, v13, s[14:15]
	;; [unrolled: 1-line block ×3, first 2 shown]
	v_cndmask_b32_e32 v16, v19, v17, vcc
	v_cndmask_b32_e64 v17, v18, v17, s[10:11]
	v_mov_b32_e32 v18, v24
	v_mov_b32_e32 v19, v24
	v_pk_mul_f32 v[22:23], v[24:25], v[0:1]
	v_pk_mul_f32 v[18:19], v[18:19], v[2:3]
	v_cndmask_b32_e32 v0, v22, v23, vcc
	v_cndmask_b32_e64 v0, v0, v18, s[6:7]
	v_cndmask_b32_e64 v0, v0, v19, s[8:9]
	ds_bpermute_b32 v1, v78, v0
	v_mov_b32_e32 v21, v20
	v_cndmask_b32_e64 v0, v17, v16, s[12:13]
	v_cmp_eq_u32_e64 s[16:17], 3, v68
	v_cndmask_b32_e64 v0, v0, v10, s[14:15]
	s_waitcnt lgkmcnt(0)
	v_cndmask_b32_e64 v3, v19, v1, s[8:9]
	v_cndmask_b32_e64 v11, v18, v1, s[6:7]
	v_mov_b32_e32 v18, v20
	v_mov_b32_e32 v19, v20
	v_pk_mul_f32 v[6:7], v[18:19], v[6:7]
	v_pk_mul_f32 v[18:19], v[20:21], v[4:5]
	v_cndmask_b32_e64 v0, v0, v9, s[16:17]
	v_cndmask_b32_e32 v4, v18, v19, vcc
	v_cndmask_b32_e64 v4, v4, v6, s[6:7]
	v_cndmask_b32_e64 v4, v4, v7, s[8:9]
	ds_bpermute_b32 v20, v78, v4
	ds_bpermute_b32 v2, v78, v0
	v_cndmask_b32_e32 v0, v23, v1, vcc
	v_cmp_ne_u32_e32 vcc, 0, v67
	v_cndmask_b32_e64 v1, v22, v1, s[10:11]
	s_waitcnt lgkmcnt(1)
	v_cndmask_b32_e64 v5, v7, v20, s[8:9]
	v_cndmask_b32_e64 v6, v6, v20, s[6:7]
	v_cndmask_b32_e32 v19, v19, v20, vcc
	v_cndmask_b32_e64 v20, v18, v20, s[10:11]
	v_cndmask_b32_e64 v4, v1, v0, s[12:13]
	;; [unrolled: 1-line block ×3, first 2 shown]
	v_cvt_f16_f32_e32 v31, v46
	v_cvt_f16_f32_sdwa v42, v45 dst_sel:WORD_1 dst_unused:UNUSED_PAD src0_sel:DWORD
	v_cndmask_b32_e64 v4, v4, v11, s[14:15]
	v_cndmask_b32_e64 v7, v7, v6, s[14:15]
	;; [unrolled: 1-line block ×5, first 2 shown]
	ds_bpermute_b32 v8, v78, v8
	ds_bpermute_b32 v4, v78, v4
	;; [unrolled: 1-line block ×3, first 2 shown]
	v_or_b32_e32 v18, v42, v31
	;;#ASMSTART
	global_atomic_pk_add_f16 v[26:27], v18, off
	
	;;#ASMEND
	v_add_u32_e32 v18, s65, v73
	v_cmp_gt_u32_e32 vcc, 32, v18
	s_and_b64 exec, exec, vcc
	s_cbranch_execz .LBB212_37
; %bb.35:                               ;   in Loop: Header=BB212_7 Depth=1
	v_cmp_eq_u32_e64 s[8:9], 1, v68
	v_cmp_eq_u32_e64 s[10:11], 0, v68
	v_cmp_eq_u32_e32 vcc, 3, v68
	s_waitcnt lgkmcnt(2)
	v_cndmask_b32_e64 v14, v14, v8, s[8:9]
	v_cndmask_b32_e64 v15, v15, v8, s[10:11]
	;; [unrolled: 1-line block ×4, first 2 shown]
	v_cvt_f16_f32_e32 v15, v15
	v_cvt_f16_f32_sdwa v14, v14 dst_sel:WORD_1 dst_unused:UNUSED_PAD src0_sel:DWORD
	v_cvt_f16_f32_e32 v17, v17
	v_cvt_f16_f32_sdwa v16, v16 dst_sel:WORD_1 dst_unused:UNUSED_PAD src0_sel:DWORD
	s_waitcnt lgkmcnt(1)
	v_cndmask_b32_e64 v21, v0, v4, s[8:9]
	v_cndmask_b32_e64 v22, v1, v4, s[10:11]
	v_lshl_add_u64 v[0:1], v[36:37], 1, s[50:51]
	v_or_b32_e32 v14, v14, v15
	v_or_b32_e32 v16, v16, v17
	s_waitcnt lgkmcnt(0)
	v_cndmask_b32_e64 v19, v19, v7, s[8:9]
	v_cndmask_b32_e64 v20, v20, v7, s[10:11]
	;;#ASMSTART
	global_atomic_pk_add_f16 v[0:1], v14, off
	
	;;#ASMEND
	v_lshl_add_u64 v[14:15], v[0:1], 0, 32
	;;#ASMSTART
	global_atomic_pk_add_f16 v[14:15], v16, off
	
	;;#ASMEND
	v_cvt_f16_f32_e32 v16, v22
	v_cvt_f16_f32_sdwa v17, v21 dst_sel:WORD_1 dst_unused:UNUSED_PAD src0_sel:DWORD
	v_cvt_f16_f32_e32 v20, v20
	v_cvt_f16_f32_sdwa v19, v19 dst_sel:WORD_1 dst_unused:UNUSED_PAD src0_sel:DWORD
	v_cmp_eq_u32_e64 s[6:7], 2, v68
	v_lshl_add_u64 v[14:15], v[0:1], 0, 64
	v_or_b32_e32 v16, v17, v16
	v_cmp_gt_u32_e64 s[8:9], 30, v18
	;;#ASMSTART
	global_atomic_pk_add_f16 v[14:15], v16, off
	
	;;#ASMEND
	v_lshl_add_u64 v[14:15], v[0:1], 0, s[30:31]
	v_or_b32_e32 v16, v19, v20
	;;#ASMSTART
	global_atomic_pk_add_f16 v[14:15], v16, off
	
	;;#ASMEND
	s_and_b64 exec, exec, s[8:9]
	s_cbranch_execz .LBB212_37
; %bb.36:                               ;   in Loop: Header=BB212_7 Depth=1
	v_cndmask_b32_e32 v12, v12, v8, vcc
	v_cndmask_b32_e64 v8, v13, v8, s[6:7]
	v_cndmask_b32_e32 v9, v9, v2, vcc
	v_cndmask_b32_e64 v2, v10, v2, s[6:7]
	v_cndmask_b32_e32 v10, v3, v4, vcc
	v_cndmask_b32_e32 v5, v5, v7, vcc
	v_cndmask_b32_e64 v6, v6, v7, s[6:7]
	v_cvt_f16_f32_e32 v3, v8
	v_cvt_f16_f32_sdwa v7, v12 dst_sel:WORD_1 dst_unused:UNUSED_PAD src0_sel:DWORD
	v_cvt_f16_f32_e32 v8, v2
	v_cvt_f16_f32_sdwa v9, v9 dst_sel:WORD_1 dst_unused:UNUSED_PAD src0_sel:DWORD
	v_cndmask_b32_e64 v4, v11, v4, s[6:7]
	v_lshl_add_u64 v[0:1], s[28:29], 2, v[0:1]
	v_or_b32_e32 v2, v7, v3
	v_or_b32_e32 v7, v9, v8
	;;#ASMSTART
	global_atomic_pk_add_f16 v[0:1], v2, off
	
	;;#ASMEND
	v_lshl_add_u64 v[2:3], v[0:1], 0, 32
	;;#ASMSTART
	global_atomic_pk_add_f16 v[2:3], v7, off
	
	;;#ASMEND
	v_cvt_f16_f32_e32 v4, v4
	v_cvt_f16_f32_sdwa v7, v10 dst_sel:WORD_1 dst_unused:UNUSED_PAD src0_sel:DWORD
	v_cvt_f16_f32_e32 v6, v6
	v_cvt_f16_f32_sdwa v5, v5 dst_sel:WORD_1 dst_unused:UNUSED_PAD src0_sel:DWORD
	v_lshl_add_u64 v[2:3], v[0:1], 0, 64
	v_or_b32_e32 v4, v7, v4
	;;#ASMSTART
	global_atomic_pk_add_f16 v[2:3], v4, off
	
	;;#ASMEND
	v_lshl_add_u64 v[0:1], v[0:1], 0, s[30:31]
	v_or_b32_e32 v2, v5, v6
	;;#ASMSTART
	global_atomic_pk_add_f16 v[0:1], v2, off
	
	;;#ASMEND
.LBB212_37:                             ;   in Loop: Header=BB212_7 Depth=1
	s_or_b64 exec, exec, s[18:19]
	v_subrev_u32_e32 v79, s66, v79
.LBB212_38:                             ;   in Loop: Header=BB212_7 Depth=1
	s_or_b64 exec, exec, s[48:49]
.LBB212_39:                             ;   in Loop: Header=BB212_7 Depth=1
	s_andn2_saveexec_b64 s[6:7], s[46:47]
	s_cbranch_execz .LBB212_48
; %bb.40:                               ;   in Loop: Header=BB212_7 Depth=1
	s_lshl_b32 s16, s66, 2
	v_cmp_gt_i32_e32 vcc, s16, v79
	s_and_saveexec_b64 s[8:9], vcc
	s_cbranch_execz .LBB212_47
; %bb.41:                               ;   in Loop: Header=BB212_7 Depth=1
	s_mul_i32 s10, s44, s23
	s_ashr_i32 s11, s10, 31
	s_waitcnt lgkmcnt(0)
	s_add_u32 s10, s38, s10
	s_addc_u32 s11, s39, s11
	s_ashr_i32 s12, s64, 31
	s_add_u32 s10, s10, s64
	s_addc_u32 s11, s11, s12
	v_lshl_add_u64 v[0:1], s[10:11], 0, v[40:41]
	v_lshl_add_u64 v[8:9], v[0:1], 0, v[38:39]
	s_mov_b64 s[10:11], 0
	s_branch .LBB212_43
.LBB212_42:                             ;   in Loop: Header=BB212_43 Depth=2
	s_or_b64 exec, exec, s[12:13]
	v_lshl_or_b32 v12, v10, 11, v75
	;;#ASMSTART
	s_waitcnt vmcnt(1)
	;;#ASMEND
	ds_write2_b32 v12, v4, v5 offset1:32
	ds_write2_b32 v12, v6, v7 offset0:64 offset1:96
	v_add_u32_e32 v4, 0x400, v12
	v_add_u32_e32 v79, s26, v79
	;;#ASMSTART
	s_waitcnt vmcnt(0)
	;;#ASMEND
	ds_write2_b32 v4, v0, v1 offset1:32
	ds_write2_b32 v4, v2, v3 offset0:64 offset1:96
	v_add_u32_e32 v0, 1, v64
	v_add_u32_e32 v44, s26, v10
	v_cmp_le_i32_e32 vcc, s16, v79
	ds_write_b32 v11, v0 offset:32
	v_add_u32_e32 v0, 2, v64
	s_or_b64 s[10:11], vcc, s[10:11]
	v_cmp_lt_i32_e32 vcc, 15, v44
	s_nop 1
	v_cndmask_b32_e32 v64, v64, v0, vcc
	s_andn2_b64 exec, exec, s[10:11]
	s_cbranch_execz .LBB212_46
.LBB212_43:                             ;   Parent Loop BB212_7 Depth=1
                                        ; =>  This Loop Header: Depth=2
                                        ;       Child Loop BB212_45 Depth 3
	v_cmp_gt_i32_e32 vcc, 16, v44
	s_nop 1
	v_cndmask_b32_e64 v0, -16, 0, vcc
	v_add_u32_e32 v10, v0, v44
	v_ashrrev_i32_e32 v0, 31, v79
	v_lshrrev_b32_e32 v0, 30, v0
	v_add_u32_e32 v0, v79, v0
	v_and_b32_e32 v1, -4, v0
	v_lshlrev_b32_e32 v0, 5, v0
	v_sub_u32_e32 v2, v79, v1
	v_and_b32_e32 v0, 0xffffff80, v0
	v_ashrrev_i32_e32 v1, 31, v0
	v_mul_lo_u32 v2, s57, v2
	v_lshl_add_u64 v[0:1], v[8:9], 0, v[0:1]
	v_ashrrev_i32_e32 v3, 31, v2
	v_lshl_add_u64 v[0:1], v[0:1], 0, v[2:3]
	v_lshlrev_b32_e32 v11, 2, v10
	;;#ASMSTART
	global_load_dwordx4 v[4:7], v[0:1], off offset:0   sc0 sc1 nt  
	global_load_dwordx4 v[0:3], v[0:1], off offset:64  sc0 sc1 nt  
	
	;;#ASMEND
	ds_read_b32 v12, v11 offset:49184
	v_add_u32_e32 v11, 0xc000, v11
	s_waitcnt lgkmcnt(0)
	v_cmp_ne_u32_e32 vcc, v12, v64
	s_and_saveexec_b64 s[12:13], vcc
	s_cbranch_execz .LBB212_42
; %bb.44:                               ;   in Loop: Header=BB212_43 Depth=2
	s_mov_b64 s[14:15], 0
.LBB212_45:                             ;   Parent Loop BB212_7 Depth=1
                                        ;     Parent Loop BB212_43 Depth=2
                                        ; =>    This Inner Loop Header: Depth=3
	;;#ASMSTART
	s_sleep 0
	;;#ASMEND
	ds_read_b32 v12, v11 offset:32
	s_waitcnt lgkmcnt(0)
	v_cmp_eq_u32_e32 vcc, v12, v64
	s_or_b64 s[14:15], vcc, s[14:15]
	s_andn2_b64 exec, exec, s[14:15]
	s_cbranch_execnz .LBB212_45
	s_branch .LBB212_42
.LBB212_46:                             ;   in Loop: Header=BB212_7 Depth=1
	s_or_b64 exec, exec, s[10:11]
.LBB212_47:                             ;   in Loop: Header=BB212_7 Depth=1
	s_or_b64 exec, exec, s[8:9]
	v_subrev_u32_e32 v79, s16, v79
.LBB212_48:                             ;   in Loop: Header=BB212_7 Depth=1
	s_or_b64 exec, exec, s[6:7]
.LBB212_49:                             ;   in Loop: Header=BB212_7 Depth=1
	s_andn2_saveexec_b64 s[6:7], s[34:35]
	s_cbranch_execz .LBB212_6
; %bb.50:                               ;   in Loop: Header=BB212_7 Depth=1
	s_lshl_b32 s16, s66, 1
	v_cmp_gt_i32_e32 vcc, s16, v79
	s_and_saveexec_b64 s[8:9], vcc
	s_cbranch_execz .LBB212_5
; %bb.51:                               ;   in Loop: Header=BB212_7 Depth=1
	s_mul_i32 s63, s63, s22
	s_ashr_i32 s10, s63, 31
	s_waitcnt lgkmcnt(0)
	s_add_u32 s11, s36, s63
	v_add_u32_e32 v2, s65, v74
	s_addc_u32 s12, s37, s10
	s_ashr_i32 s13, s64, 31
	v_cmp_gt_u32_e32 vcc, 32, v2
	s_add_u32 s10, s11, s64
	s_addc_u32 s11, s12, s13
	v_cndmask_b32_e32 v0, 0, v76, vcc
	v_ashrrev_i32_e32 v1, 31, v0
	v_lshl_add_u64 v[0:1], s[10:11], 0, v[0:1]
	v_lshl_add_u64 v[8:9], v[0:1], 0, v[38:39]
	v_sub_u32_e32 v10, 31, v2
	s_mov_b64 s[10:11], 0
	s_branch .LBB212_53
.LBB212_52:                             ;   in Loop: Header=BB212_53 Depth=2
	s_or_b64 exec, exec, s[12:13]
	v_lshl_add_u32 v13, v11, 11, v77
	;;#ASMSTART
	s_waitcnt vmcnt(1)
	;;#ASMEND
	ds_write2_b32 v13, v4, v5 offset1:32
	ds_write2_b32 v13, v6, v7 offset0:64 offset1:96
	v_add_u32_e32 v4, 0x400, v13
	v_add_u32_e32 v79, s25, v79
	;;#ASMSTART
	s_waitcnt vmcnt(0)
	;;#ASMEND
	ds_write2_b32 v4, v0, v1 offset1:32
	ds_write2_b32 v4, v2, v3 offset0:64 offset1:96
	v_add_u32_e32 v0, 1, v64
	v_add_u32_e32 v44, s25, v11
	v_cmp_le_i32_e32 vcc, s16, v79
	ds_write_b32 v12, v0
	v_add_u32_e32 v0, 2, v64
	s_or_b64 s[10:11], vcc, s[10:11]
	v_cmp_lt_i32_e32 vcc, 7, v44
	s_nop 1
	v_cndmask_b32_e32 v64, v64, v0, vcc
	s_andn2_b64 exec, exec, s[10:11]
	s_cbranch_execz .LBB212_4
.LBB212_53:                             ;   Parent Loop BB212_7 Depth=1
                                        ; =>  This Loop Header: Depth=2
                                        ;       Child Loop BB212_55 Depth 3
	v_cmp_gt_i32_e32 vcc, 8, v44
	s_nop 1
	v_cndmask_b32_e64 v0, -8, 0, vcc
	v_add_u32_e32 v11, v0, v44
	v_lshrrev_b32_e32 v0, 31, v79
	v_add_u32_e32 v0, v79, v0
	v_and_b32_e32 v1, 0xffffffe, v0
	v_sub_u32_e32 v1, v79, v1
	v_lshlrev_b32_e32 v1, 4, v1
	v_cmp_le_i32_e32 vcc, v1, v10
	v_lshlrev_b32_e32 v0, 6, v0
	v_and_b32_e32 v0, 0xffffff80, v0
	v_cndmask_b32_e32 v2, 0, v1, vcc
	v_ashrrev_i32_e32 v1, 31, v0
	v_mul_lo_u32 v2, v2, s22
	v_lshl_add_u64 v[0:1], v[8:9], 0, v[0:1]
	v_ashrrev_i32_e32 v3, 31, v2
	v_lshl_add_u64 v[0:1], v[0:1], 0, v[2:3]
	v_lshlrev_b32_e32 v12, 2, v11
	;;#ASMSTART
	global_load_dwordx4 v[4:7], v[0:1], off offset:0   
	global_load_dwordx4 v[0:3], v[0:1], off offset:64  
	
	;;#ASMEND
	ds_read_b32 v13, v12 offset:49152
	v_add_u32_e32 v12, 0xc000, v12
	s_waitcnt lgkmcnt(0)
	v_cmp_ne_u32_e32 vcc, v13, v64
	s_and_saveexec_b64 s[12:13], vcc
	s_cbranch_execz .LBB212_52
; %bb.54:                               ;   in Loop: Header=BB212_53 Depth=2
	s_mov_b64 s[14:15], 0
.LBB212_55:                             ;   Parent Loop BB212_7 Depth=1
                                        ;     Parent Loop BB212_53 Depth=2
                                        ; =>    This Inner Loop Header: Depth=3
	;;#ASMSTART
	s_sleep 0
	;;#ASMEND
	ds_read_b32 v13, v12
	s_waitcnt lgkmcnt(0)
	v_cmp_eq_u32_e32 vcc, v13, v64
	s_or_b64 s[14:15], vcc, s[14:15]
	s_andn2_b64 exec, exec, s[14:15]
	s_cbranch_execnz .LBB212_55
	s_branch .LBB212_52
.LBB212_56:
	s_endpgm
	.section	.rodata,"a",@progbits
	.p2align	6, 0x0
	.amdhsa_kernel _Z19_skinny_gemm_kernelILi2ELi4ELi4ELi16ELi4EEvPKhS1_P6__halfPKfiiiiiiii
		.amdhsa_group_segment_fixed_size 49248
		.amdhsa_private_segment_fixed_size 0
		.amdhsa_kernarg_size 64
		.amdhsa_user_sgpr_count 2
		.amdhsa_user_sgpr_dispatch_ptr 0
		.amdhsa_user_sgpr_queue_ptr 0
		.amdhsa_user_sgpr_kernarg_segment_ptr 1
		.amdhsa_user_sgpr_dispatch_id 0
		.amdhsa_user_sgpr_kernarg_preload_length 0
		.amdhsa_user_sgpr_kernarg_preload_offset 0
		.amdhsa_user_sgpr_private_segment_size 0
		.amdhsa_uses_dynamic_stack 0
		.amdhsa_enable_private_segment 0
		.amdhsa_system_sgpr_workgroup_id_x 1
		.amdhsa_system_sgpr_workgroup_id_y 0
		.amdhsa_system_sgpr_workgroup_id_z 0
		.amdhsa_system_sgpr_workgroup_info 0
		.amdhsa_system_vgpr_workitem_id 0
		.amdhsa_next_free_vgpr 88
		.amdhsa_next_free_sgpr 67
		.amdhsa_accum_offset 88
		.amdhsa_reserve_vcc 1
		.amdhsa_float_round_mode_32 0
		.amdhsa_float_round_mode_16_64 0
		.amdhsa_float_denorm_mode_32 3
		.amdhsa_float_denorm_mode_16_64 3
		.amdhsa_dx10_clamp 1
		.amdhsa_ieee_mode 1
		.amdhsa_fp16_overflow 0
		.amdhsa_tg_split 0
		.amdhsa_exception_fp_ieee_invalid_op 0
		.amdhsa_exception_fp_denorm_src 0
		.amdhsa_exception_fp_ieee_div_zero 0
		.amdhsa_exception_fp_ieee_overflow 0
		.amdhsa_exception_fp_ieee_underflow 0
		.amdhsa_exception_fp_ieee_inexact 0
		.amdhsa_exception_int_div_zero 0
	.end_amdhsa_kernel
	.section	.text._Z19_skinny_gemm_kernelILi2ELi4ELi4ELi16ELi4EEvPKhS1_P6__halfPKfiiiiiiii,"axG",@progbits,_Z19_skinny_gemm_kernelILi2ELi4ELi4ELi16ELi4EEvPKhS1_P6__halfPKfiiiiiiii,comdat
.Lfunc_end212:
	.size	_Z19_skinny_gemm_kernelILi2ELi4ELi4ELi16ELi4EEvPKhS1_P6__halfPKfiiiiiiii, .Lfunc_end212-_Z19_skinny_gemm_kernelILi2ELi4ELi4ELi16ELi4EEvPKhS1_P6__halfPKfiiiiiiii
                                        ; -- End function
	.set _Z19_skinny_gemm_kernelILi2ELi4ELi4ELi16ELi4EEvPKhS1_P6__halfPKfiiiiiiii.num_vgpr, 88
	.set _Z19_skinny_gemm_kernelILi2ELi4ELi4ELi16ELi4EEvPKhS1_P6__halfPKfiiiiiiii.num_agpr, 0
	.set _Z19_skinny_gemm_kernelILi2ELi4ELi4ELi16ELi4EEvPKhS1_P6__halfPKfiiiiiiii.numbered_sgpr, 67
	.set _Z19_skinny_gemm_kernelILi2ELi4ELi4ELi16ELi4EEvPKhS1_P6__halfPKfiiiiiiii.num_named_barrier, 0
	.set _Z19_skinny_gemm_kernelILi2ELi4ELi4ELi16ELi4EEvPKhS1_P6__halfPKfiiiiiiii.private_seg_size, 0
	.set _Z19_skinny_gemm_kernelILi2ELi4ELi4ELi16ELi4EEvPKhS1_P6__halfPKfiiiiiiii.uses_vcc, 1
	.set _Z19_skinny_gemm_kernelILi2ELi4ELi4ELi16ELi4EEvPKhS1_P6__halfPKfiiiiiiii.uses_flat_scratch, 0
	.set _Z19_skinny_gemm_kernelILi2ELi4ELi4ELi16ELi4EEvPKhS1_P6__halfPKfiiiiiiii.has_dyn_sized_stack, 0
	.set _Z19_skinny_gemm_kernelILi2ELi4ELi4ELi16ELi4EEvPKhS1_P6__halfPKfiiiiiiii.has_recursion, 0
	.set _Z19_skinny_gemm_kernelILi2ELi4ELi4ELi16ELi4EEvPKhS1_P6__halfPKfiiiiiiii.has_indirect_call, 0
	.section	.AMDGPU.csdata,"",@progbits
; Kernel info:
; codeLenInByte = 5552
; TotalNumSgprs: 73
; NumVgprs: 88
; NumAgprs: 0
; TotalNumVgprs: 88
; ScratchSize: 0
; MemoryBound: 0
; FloatMode: 240
; IeeeMode: 1
; LDSByteSize: 49248 bytes/workgroup (compile time only)
; SGPRBlocks: 9
; VGPRBlocks: 10
; NumSGPRsForWavesPerEU: 73
; NumVGPRsForWavesPerEU: 88
; AccumOffset: 88
; Occupancy: 5
; WaveLimiterHint : 0
; COMPUTE_PGM_RSRC2:SCRATCH_EN: 0
; COMPUTE_PGM_RSRC2:USER_SGPR: 2
; COMPUTE_PGM_RSRC2:TRAP_HANDLER: 0
; COMPUTE_PGM_RSRC2:TGID_X_EN: 1
; COMPUTE_PGM_RSRC2:TGID_Y_EN: 0
; COMPUTE_PGM_RSRC2:TGID_Z_EN: 0
; COMPUTE_PGM_RSRC2:TIDIG_COMP_CNT: 0
; COMPUTE_PGM_RSRC3_GFX90A:ACCUM_OFFSET: 21
; COMPUTE_PGM_RSRC3_GFX90A:TG_SPLIT: 0
	.section	.text._Z19_skinny_gemm_kernelILi2ELi4ELi4ELi32ELi4EEvPKhS1_P6__halfPKfiiiiiiii,"axG",@progbits,_Z19_skinny_gemm_kernelILi2ELi4ELi4ELi32ELi4EEvPKhS1_P6__halfPKfiiiiiiii,comdat
	.protected	_Z19_skinny_gemm_kernelILi2ELi4ELi4ELi32ELi4EEvPKhS1_P6__halfPKfiiiiiiii ; -- Begin function _Z19_skinny_gemm_kernelILi2ELi4ELi4ELi32ELi4EEvPKhS1_P6__halfPKfiiiiiiii
	.globl	_Z19_skinny_gemm_kernelILi2ELi4ELi4ELi32ELi4EEvPKhS1_P6__halfPKfiiiiiiii
	.p2align	8
	.type	_Z19_skinny_gemm_kernelILi2ELi4ELi4ELi32ELi4EEvPKhS1_P6__halfPKfiiiiiiii,@function
_Z19_skinny_gemm_kernelILi2ELi4ELi4ELi32ELi4EEvPKhS1_P6__halfPKfiiiiiiii: ; @_Z19_skinny_gemm_kernelILi2ELi4ELi4ELi32ELi4EEvPKhS1_P6__halfPKfiiiiiiii
; %bb.0:
	v_cmp_gt_u32_e32 vcc, 24, v0
	s_and_saveexec_b64 s[4:5], vcc
; %bb.1:
	v_lshlrev_b32_e32 v1, 2, v0
	v_mov_b32_e32 v2, 0
	ds_write_b32 v1, v2 offset:49152
; %bb.2:
	s_or_b64 exec, exec, s[4:5]
	s_load_dwordx8 s[20:27], s[0:1], 0x20
	s_waitcnt lgkmcnt(0)
	s_barrier
	s_add_i32 s3, s20, 63
	s_ashr_i32 s5, s3, 31
	s_add_i32 s4, s21, 0x7f
	s_lshr_b32 s5, s5, 26
	s_ashr_i32 s6, s4, 31
	s_add_i32 s3, s3, s5
	s_ashr_i32 s12, s3, 6
	s_lshr_b32 s3, s6, 25
	s_add_i32 s4, s4, s3
	s_ashr_i32 s14, s4, 7
	s_mul_i32 s3, s14, s12
	s_mul_i32 s3, s3, s24
	s_add_i32 s4, s3, 0x12f
	s_mul_hi_i32 s4, s4, 0x6bca1af3
	s_lshr_b32 s5, s4, 31
	s_ashr_i32 s4, s4, 7
	s_add_i32 s4, s4, s5
	s_add_i32 s5, s2, 1
	s_mul_i32 s5, s4, s5
	v_cvt_f64_i32_e32 v[2:3], s3
	v_cvt_f64_u32_e32 v[4:5], s5
	v_min_f64 v[2:3], v[2:3], v[4:5]
	v_cvt_i32_f64_e32 v78, v[2:3]
	s_mul_i32 s33, s4, s2
	v_cmp_ge_i32_e32 vcc, s33, v78
	s_cbranch_vccnz .LBB213_54
; %bb.3:
	s_load_dwordx8 s[72:79], s[0:1], 0x0
	v_lshrrev_b32_e32 v1, 6, v0
	s_add_i32 s0, s26, s25
	v_cmp_le_i32_e64 s[18:19], s0, v1
	v_mov_b32_e32 v2, s25
	v_cmp_le_i32_e64 s[28:29], s25, v1
	v_mov_b32_e32 v3, s26
	v_cndmask_b32_e64 v3, 0, v3, s[18:19]
	v_cndmask_b32_e64 v2, 0, v2, s[28:29]
	s_abs_i32 s1, s24
	v_add_u32_e32 v2, v2, v3
	v_cvt_f32_u32_e32 v3, s1
	v_sub_u32_e32 v72, v1, v2
	s_ashr_i32 s2, s22, 31
	s_lshr_b32 s2, s2, 26
	v_rcp_iflag_f32_e32 v2, v3
	s_sub_i32 s5, 0, s1
	s_add_i32 s2, s22, s2
	s_ashr_i32 s2, s2, 6
	v_mul_f32_e32 v2, 0x4f7ffffe, v2
	v_cvt_u32_f32_e32 v2, v2
	s_abs_i32 s4, s2
	s_xor_b32 s3, s2, s24
	s_ashr_i32 s3, s3, 31
	v_readfirstlane_b32 s6, v2
	s_mul_i32 s5, s5, s6
	s_mul_hi_u32 s5, s6, s5
	s_add_i32 s6, s6, s5
	s_mul_hi_u32 s5, s4, s6
	s_mul_i32 s6, s5, s1
	s_sub_i32 s4, s4, s6
	s_add_i32 s6, s5, 1
	s_sub_i32 s7, s4, s1
	s_cmp_ge_u32 s4, s1
	s_cselect_b32 s5, s6, s5
	s_cselect_b32 s4, s7, s4
	s_add_i32 s6, s5, 1
	s_cmp_ge_u32 s4, s1
	s_cselect_b32 s1, s6, s5
	s_add_i32 s0, s0, s27
	v_and_b32_e32 v80, 31, v0
	v_lshrrev_b32_e32 v2, 3, v0
	v_cmp_gt_i32_e64 s[34:35], s0, v1
	v_lshlrev_b32_e32 v1, 2, v80
	v_and_b32_e32 v3, 4, v2
	v_lshlrev_b32_e32 v2, 6, v3
	v_or_b32_e32 v4, 0x8000, v1
	v_and_b32_e32 v5, 1, v0
	v_or_b32_e32 v81, v4, v2
	v_or_b32_e32 v82, v1, v2
	v_lshlrev_b32_e32 v2, 1, v5
	v_lshrrev_b32_e32 v7, 1, v0
	s_abs_i32 s97, s12
	v_sub_u32_e32 v2, v0, v2
	v_and_b32_e32 v66, 16, v7
	v_cvt_f32_u32_e32 v7, s97
	v_add_u32_e32 v2, 1, v2
	v_and_b32_e32 v6, 63, v2
	v_bitop3_b32 v83, v0, 1, v0 bitop3:0xc
	v_bitop3_b32 v84, v0, 3, 1 bitop3:0x6c
	;; [unrolled: 1-line block ×8, first 2 shown]
	v_and_b32_e32 v2, 30, v0
	v_lshlrev_b32_e32 v0, 4, v0
                                        ; implicit-def: $vgpr127 : SGPR spill to VGPR lane
	v_and_b32_e32 v0, 0x200, v0
	v_writelane_b32 v127, s12, 0
	v_or_b32_e32 v94, v1, v0
	v_rcp_iflag_f32_e32 v1, v7
	v_writelane_b32 v127, s14, 1
	s_waitcnt lgkmcnt(0)
	v_writelane_b32 v127, s72, 2
	s_abs_i32 s98, s14
	v_or_b32_e32 v96, v4, v0
	v_writelane_b32 v127, s73, 3
	v_writelane_b32 v127, s74, 4
	v_mul_f32_e32 v0, 0x4f7ffffe, v1
	v_cvt_f32_u32_e32 v1, s98
	v_writelane_b32 v127, s75, 5
	v_writelane_b32 v127, s76, 6
	;; [unrolled: 1-line block ×4, first 2 shown]
	v_cvt_u32_f32_e32 v0, v0
	v_rcp_iflag_f32_e32 v1, v1
	v_writelane_b32 v127, s79, 9
	v_cndmask_b32_e64 v79, 0, 1, s[18:19]
	s_xor_b32 s1, s1, s3
	v_writelane_b32 v127, s18, 10
	s_sub_i32 s15, s1, s3
	s_add_i32 s30, s24, -1
	v_writelane_b32 v127, s19, 11
	s_mul_i32 s1, s15, s30
	v_writelane_b32 v127, s28, 12
	s_sub_i32 s31, s2, s1
	v_readfirstlane_b32 s1, v0
	v_mul_f32_e32 v0, 0x4f7ffffe, v1
	v_writelane_b32 v127, s29, 13
	v_cvt_u32_f32_e32 v0, v0
	v_writelane_b32 v127, s15, 14
	s_sub_i32 s0, 0, s97
	v_writelane_b32 v127, s30, 15
	s_mul_i32 s0, s0, s1
	v_writelane_b32 v127, s31, 16
	s_mul_hi_u32 s0, s1, s0
	v_writelane_b32 v127, s34, 17
	s_ashr_i32 s36, s12, 31
	s_add_i32 s37, s1, s0
	s_sub_i32 s0, 0, s98
	v_readfirstlane_b32 s1, v0
	v_writelane_b32 v127, s35, 18
	s_mul_i32 s0, s0, s1
	v_mbcnt_lo_u32_b32 v0, -1, 0
	v_writelane_b32 v127, s36, 19
	s_ashr_i32 s38, s14, 31
	s_mul_hi_u32 s0, s1, s0
	v_mbcnt_hi_u32_b32 v0, -1, v0
	v_writelane_b32 v127, s37, 20
	v_mov_b32_e32 v65, 0
	v_mul_lo_u32 v68, s23, v80
	v_or_b32_e32 v97, v5, v3
	s_add_i32 s39, s1, s0
	v_and_or_b32 v0, v0, 64, v6
	v_writelane_b32 v127, s38, 21
	v_ashrrev_i32_e32 v69, 31, v68
	v_mov_b32_e32 v67, v65
	s_lshl_b32 s24, s23, 5
	v_mul_lo_u32 v95, s22, v80
	v_or_b32_e32 v98, 2, v97
	v_lshlrev_b32_e32 v64, 1, v2
	v_lshlrev_b32_e32 v99, 2, v0
	v_mov_b32_e32 v100, v72
	v_writelane_b32 v127, s39, 22
	s_branch .LBB213_7
.LBB213_4:                              ;   in Loop: Header=BB213_7 Depth=1
	s_or_b64 exec, exec, s[4:5]
.LBB213_5:                              ;   in Loop: Header=BB213_7 Depth=1
	s_or_b64 exec, exec, s[2:3]
	v_subrev_u32_e32 v100, s10, v100
.LBB213_6:                              ;   in Loop: Header=BB213_7 Depth=1
	s_or_b64 exec, exec, s[0:1]
	s_add_i32 s33, s33, 1
	v_cmp_ge_i32_e32 vcc, s33, v78
	s_cbranch_vccnz .LBB213_54
.LBB213_7:                              ; =>This Loop Header: Depth=1
                                        ;     Child Loop BB213_13 Depth 2
                                        ;       Child Loop BB213_15 Depth 3
                                        ;       Child Loop BB213_18 Depth 3
	;; [unrolled: 1-line block ×5, first 2 shown]
                                        ;     Child Loop BB213_32 Depth 2
                                        ;     Child Loop BB213_41 Depth 2
                                        ;       Child Loop BB213_43 Depth 3
                                        ;     Child Loop BB213_51 Depth 2
                                        ;       Child Loop BB213_53 Depth 3
	s_abs_i32 s1, s33
	s_mul_hi_u32 s2, s1, s37
	s_mul_i32 s3, s2, s97
	s_ashr_i32 s0, s33, 31
	s_sub_i32 s1, s1, s3
	s_xor_b32 s0, s0, s36
	s_add_i32 s3, s2, 1
	s_sub_i32 s4, s1, s97
	s_cmp_ge_u32 s1, s97
	s_cselect_b32 s2, s3, s2
	s_cselect_b32 s1, s4, s1
	s_add_i32 s3, s2, 1
	s_cmp_ge_u32 s1, s97
	s_cselect_b32 s1, s3, s2
	s_xor_b32 s1, s1, s0
	s_sub_i32 s0, s1, s0
	s_abs_i32 s2, s0
	s_mul_i32 s1, s0, s12
	s_mul_hi_u32 s3, s2, s39
	s_sub_i32 s1, s33, s1
	s_mul_i32 s4, s3, s98
	s_lshl_b32 s99, s1, 6
	s_ashr_i32 s1, s0, 31
	s_sub_i32 s2, s2, s4
	s_xor_b32 s1, s1, s38
	s_add_i32 s4, s3, 1
	s_sub_i32 s5, s2, s98
	s_cmp_ge_u32 s2, s98
	s_cselect_b32 s3, s4, s3
	s_cselect_b32 s2, s5, s2
	s_add_i32 s4, s3, 1
	s_cmp_ge_u32 s2, s98
	s_cselect_b32 s2, s4, s3
	s_xor_b32 s2, s2, s1
	s_sub_i32 s1, s2, s1
	s_mul_i32 s2, s1, s15
	s_lshl_b32 s44, s2, 6
	s_cmp_eq_u32 s1, s30
	s_cselect_b32 s4, s31, s15
	s_sub_i32 s2, s99, s20
	s_add_i32 s2, s2, 64
	s_max_i32 s96, s2, 0
	s_and_saveexec_b64 s[2:3], s[28:29]
	s_xor_b64 s[46:47], exec, s[2:3]
	s_cbranch_execz .LBB213_47
; %bb.8:                                ;   in Loop: Header=BB213_7 Depth=1
	s_mul_i32 s1, s1, s14
	s_sub_i32 s0, s0, s1
	s_lshl_b32 s0, s0, 7
	s_sub_i32 s5, s0, s21
	s_addk_i32 s5, 0x80
	s_max_i32 s1, s5, 0
	s_sub_i32 s0, s0, s1
	s_and_saveexec_b64 s[2:3], s[18:19]
	s_xor_b64 s[2:3], exec, s[2:3]
	s_cbranch_execz .LBB213_37
; %bb.9:                                ;   in Loop: Header=BB213_7 Depth=1
	s_and_saveexec_b64 s[48:49], s[34:35]
	s_cbranch_execz .LBB213_36
; %bb.10:                               ;   in Loop: Header=BB213_7 Depth=1
	global_load_dword v101, v65, s[78:79]
	v_mov_b32_e32 v63, 0
	v_cmp_gt_i32_e32 vcc, s4, v100
	v_mov_b32_e32 v62, v63
	v_mov_b32_e32 v61, v63
	v_mov_b32_e32 v60, v63
	v_mov_b32_e32 v59, v63
	v_mov_b32_e32 v58, v63
	v_mov_b32_e32 v57, v63
	v_mov_b32_e32 v56, v63
	v_mov_b32_e32 v55, v63
	v_mov_b32_e32 v54, v63
	v_mov_b32_e32 v53, v63
	v_mov_b32_e32 v52, v63
	v_mov_b32_e32 v51, v63
	v_mov_b32_e32 v50, v63
	v_mov_b32_e32 v49, v63
	v_mov_b32_e32 v48, v63
	v_mov_b32_e32 v47, v63
	v_mov_b32_e32 v46, v63
	v_mov_b32_e32 v45, v63
	v_mov_b32_e32 v44, v63
	v_mov_b32_e32 v43, v63
	v_mov_b32_e32 v42, v63
	v_mov_b32_e32 v41, v63
	v_mov_b32_e32 v40, v63
	v_mov_b32_e32 v39, v63
	v_mov_b32_e32 v38, v63
	v_mov_b32_e32 v37, v63
	v_mov_b32_e32 v36, v63
	v_mov_b32_e32 v35, v63
	v_mov_b32_e32 v34, v63
	v_mov_b32_e32 v33, v63
	v_mov_b32_e32 v32, v63
	v_mov_b32_e32 v31, v63
	v_mov_b32_e32 v30, v63
	v_mov_b32_e32 v29, v63
	v_mov_b32_e32 v28, v63
	v_mov_b32_e32 v27, v63
	v_mov_b32_e32 v26, v63
	v_mov_b32_e32 v25, v63
	v_mov_b32_e32 v24, v63
	v_mov_b32_e32 v23, v63
	v_mov_b32_e32 v22, v63
	v_mov_b32_e32 v21, v63
	v_mov_b32_e32 v20, v63
	v_mov_b32_e32 v19, v63
	v_mov_b32_e32 v18, v63
	v_mov_b32_e32 v17, v63
	v_mov_b32_e32 v16, v63
	v_mov_b32_e32 v15, v63
	v_mov_b32_e32 v14, v63
	v_mov_b32_e32 v13, v63
	v_mov_b32_e32 v12, v63
	v_mov_b32_e32 v11, v63
	v_mov_b32_e32 v10, v63
	v_mov_b32_e32 v9, v63
	v_mov_b32_e32 v8, v63
	v_mov_b32_e32 v7, v63
	v_mov_b32_e32 v6, v63
	v_mov_b32_e32 v5, v63
	v_mov_b32_e32 v4, v63
	v_mov_b32_e32 v3, v63
	v_mov_b32_e32 v2, v63
	v_mov_b32_e32 v1, v63
	v_mov_b32_e32 v0, v63
	s_and_saveexec_b64 s[6:7], vcc
	s_cbranch_execz .LBB213_29
; %bb.11:                               ;   in Loop: Header=BB213_7 Depth=1
	v_mov_b32_e32 v0, 0
	s_mov_b64 s[8:9], 0
	v_mov_b32_e32 v1, v0
	v_mov_b32_e32 v2, v0
	;; [unrolled: 1-line block ×63, first 2 shown]
	s_branch .LBB213_13
.LBB213_12:                             ;   in Loop: Header=BB213_13 Depth=2
	s_or_b64 exec, exec, s[10:11]
	v_add_u32_e32 v108, 0x1800, v105
	ds_read2_b32 v[106:107], v108 offset1:32
	v_add_u32_e32 v100, s27, v100
	s_waitcnt lgkmcnt(0)
	v_mfma_f32_32x32x16_fp8_fp8 v[0:15], v[76:77], v[106:107], v[0:15]
	ds_read2_b32 v[76:77], v108 offset0:128 offset1:160
	s_waitcnt lgkmcnt(0)
	v_mfma_f32_32x32x16_fp8_fp8 v[0:15], v[74:75], v[76:77], v[0:15]
	v_add_u32_e32 v76, 0x1c00, v105
	ds_read2_b32 v[74:75], v76 offset1:32
	ds_read2_b32 v[76:77], v76 offset0:128 offset1:160
	ds_write_b32 v103, v104 offset:49180
	s_waitcnt lgkmcnt(2)
	v_mfma_f32_32x32x16_fp8_fp8 v[0:15], v[72:73], v[74:75], v[0:15]
	v_add_u32_e32 v72, s27, v102
	v_add_u32_e32 v73, 2, v79
	v_cmp_lt_i32_e32 vcc, 3, v72
	s_nop 1
	v_cndmask_b32_e32 v79, v79, v73, vcc
	v_cmp_le_i32_e32 vcc, s4, v100
	s_waitcnt lgkmcnt(1)
	v_mfma_f32_32x32x16_fp8_fp8 v[0:15], v[70:71], v[76:77], v[0:15]
	s_or_b64 s[8:9], vcc, s[8:9]
	s_andn2_b64 exec, exec, s[8:9]
	s_cbranch_execz .LBB213_28
.LBB213_13:                             ;   Parent Loop BB213_7 Depth=1
                                        ; =>  This Loop Header: Depth=2
                                        ;       Child Loop BB213_15 Depth 3
                                        ;       Child Loop BB213_18 Depth 3
	;; [unrolled: 1-line block ×5, first 2 shown]
	v_cmp_gt_i32_e32 vcc, 4, v72
	s_nop 1
	v_cndmask_b32_e64 v70, -4, 0, vcc
	v_add_u32_e32 v102, v70, v72
	v_lshlrev_b32_e32 v103, 5, v102
	ds_read_b32 v70, v103 offset:49152
	s_waitcnt lgkmcnt(0)
	v_cmp_ne_u32_e32 vcc, v70, v79
	s_and_saveexec_b64 s[10:11], vcc
	s_cbranch_execz .LBB213_16
; %bb.14:                               ;   in Loop: Header=BB213_13 Depth=2
	s_mov_b64 s[12:13], 0
.LBB213_15:                             ;   Parent Loop BB213_7 Depth=1
                                        ;     Parent Loop BB213_13 Depth=2
                                        ; =>    This Inner Loop Header: Depth=3
	;;#ASMSTART
	s_sleep 0
	;;#ASMEND
	ds_read_b32 v70, v103 offset:49152
	s_waitcnt lgkmcnt(0)
	v_cmp_eq_u32_e32 vcc, v70, v79
	s_or_b64 s[12:13], vcc, s[12:13]
	s_andn2_b64 exec, exec, s[12:13]
	s_cbranch_execnz .LBB213_15
.LBB213_16:                             ;   in Loop: Header=BB213_13 Depth=2
	s_or_b64 exec, exec, s[10:11]
	v_lshl_add_u32 v70, v102, 11, v81
	ds_read2_b32 v[76:77], v70 offset1:32
	ds_read2_b32 v[74:75], v70 offset0:128 offset1:160
	v_add_u32_e32 v70, 0x400, v70
	ds_read2_b32 v[72:73], v70 offset1:32
	ds_read_b32 v105, v103 offset:49156
	ds_read2_b32 v[70:71], v70 offset0:128 offset1:160
	v_add_u32_e32 v104, 1, v79
	ds_write_b32 v103, v104 offset:49152
	s_waitcnt lgkmcnt(2)
	v_cmp_ne_u32_e32 vcc, v105, v79
	s_and_saveexec_b64 s[10:11], vcc
	s_cbranch_execz .LBB213_19
; %bb.17:                               ;   in Loop: Header=BB213_13 Depth=2
	s_mov_b64 s[12:13], 0
.LBB213_18:                             ;   Parent Loop BB213_7 Depth=1
                                        ;     Parent Loop BB213_13 Depth=2
                                        ; =>    This Inner Loop Header: Depth=3
	;;#ASMSTART
	s_sleep 0
	;;#ASMEND
	ds_read_b32 v105, v103 offset:49156
	s_waitcnt lgkmcnt(0)
	v_cmp_eq_u32_e32 vcc, v105, v79
	s_or_b64 s[12:13], vcc, s[12:13]
	s_andn2_b64 exec, exec, s[12:13]
	s_cbranch_execnz .LBB213_18
.LBB213_19:                             ;   in Loop: Header=BB213_13 Depth=2
	s_or_b64 exec, exec, s[10:11]
	v_lshlrev_b32_e32 v105, 13, v102
	v_or_b32_e32 v108, v82, v105
	ds_read2_b32 v[106:107], v108 offset1:32
	ds_write_b32 v103, v104 offset:49156
	s_waitcnt lgkmcnt(1)
	v_mfma_f32_32x32x16_fp8_fp8 v[48:63], v[76:77], v[106:107], v[48:63]
	ds_read2_b32 v[106:107], v108 offset0:128 offset1:160
	v_add_u32_e32 v108, 0x400, v108
	s_waitcnt lgkmcnt(0)
	v_mfma_f32_32x32x16_fp8_fp8 v[48:63], v[74:75], v[106:107], v[48:63]
	ds_read2_b32 v[106:107], v108 offset1:32
	s_waitcnt lgkmcnt(0)
	v_mfma_f32_32x32x16_fp8_fp8 v[48:63], v[72:73], v[106:107], v[48:63]
	ds_read2_b32 v[106:107], v108 offset0:128 offset1:160
	ds_read_b32 v108, v103 offset:49164
	s_waitcnt lgkmcnt(0)
	v_cmp_ne_u32_e32 vcc, v108, v79
	v_mfma_f32_32x32x16_fp8_fp8 v[48:63], v[70:71], v[106:107], v[48:63]
	s_and_saveexec_b64 s[10:11], vcc
	s_cbranch_execz .LBB213_22
; %bb.20:                               ;   in Loop: Header=BB213_13 Depth=2
	s_mov_b64 s[12:13], 0
.LBB213_21:                             ;   Parent Loop BB213_7 Depth=1
                                        ;     Parent Loop BB213_13 Depth=2
                                        ; =>    This Inner Loop Header: Depth=3
	;;#ASMSTART
	s_sleep 0
	;;#ASMEND
	ds_read_b32 v106, v103 offset:49164
	s_waitcnt lgkmcnt(0)
	v_cmp_eq_u32_e32 vcc, v106, v79
	s_or_b64 s[12:13], vcc, s[12:13]
	s_andn2_b64 exec, exec, s[12:13]
	s_cbranch_execnz .LBB213_21
.LBB213_22:                             ;   in Loop: Header=BB213_13 Depth=2
	s_or_b64 exec, exec, s[10:11]
	v_add_u32_e32 v105, v82, v105
	v_add_u32_e32 v108, 0x800, v105
	ds_read2_b32 v[106:107], v108 offset1:32
	ds_write_b32 v103, v104 offset:49164
	s_waitcnt lgkmcnt(1)
	v_mfma_f32_32x32x16_fp8_fp8 v[32:47], v[76:77], v[106:107], v[32:47]
	ds_read2_b32 v[106:107], v108 offset0:128 offset1:160
	v_add_u32_e32 v108, 0xc00, v105
	s_waitcnt lgkmcnt(0)
	v_mfma_f32_32x32x16_fp8_fp8 v[32:47], v[74:75], v[106:107], v[32:47]
	ds_read2_b32 v[106:107], v108 offset1:32
	s_waitcnt lgkmcnt(0)
	v_mfma_f32_32x32x16_fp8_fp8 v[32:47], v[72:73], v[106:107], v[32:47]
	ds_read2_b32 v[106:107], v108 offset0:128 offset1:160
	ds_read_b32 v108, v103 offset:49172
	s_waitcnt lgkmcnt(0)
	v_cmp_ne_u32_e32 vcc, v108, v79
	v_mfma_f32_32x32x16_fp8_fp8 v[32:47], v[70:71], v[106:107], v[32:47]
	s_and_saveexec_b64 s[10:11], vcc
	s_cbranch_execz .LBB213_25
; %bb.23:                               ;   in Loop: Header=BB213_13 Depth=2
	s_mov_b64 s[12:13], 0
.LBB213_24:                             ;   Parent Loop BB213_7 Depth=1
                                        ;     Parent Loop BB213_13 Depth=2
                                        ; =>    This Inner Loop Header: Depth=3
	;;#ASMSTART
	s_sleep 0
	;;#ASMEND
	ds_read_b32 v106, v103 offset:49172
	s_waitcnt lgkmcnt(0)
	v_cmp_eq_u32_e32 vcc, v106, v79
	s_or_b64 s[12:13], vcc, s[12:13]
	s_andn2_b64 exec, exec, s[12:13]
	s_cbranch_execnz .LBB213_24
.LBB213_25:                             ;   in Loop: Header=BB213_13 Depth=2
	s_or_b64 exec, exec, s[10:11]
	v_add_u32_e32 v108, 0x1000, v105
	ds_read2_b32 v[106:107], v108 offset1:32
	s_waitcnt lgkmcnt(0)
	v_mfma_f32_32x32x16_fp8_fp8 v[16:31], v[76:77], v[106:107], v[16:31]
	ds_read2_b32 v[106:107], v108 offset0:128 offset1:160
	v_add_u32_e32 v108, 0x1400, v105
	s_waitcnt lgkmcnt(0)
	v_mfma_f32_32x32x16_fp8_fp8 v[16:31], v[74:75], v[106:107], v[16:31]
	ds_read2_b32 v[106:107], v108 offset1:32
	s_waitcnt lgkmcnt(0)
	v_mfma_f32_32x32x16_fp8_fp8 v[16:31], v[72:73], v[106:107], v[16:31]
	ds_read_b32 v109, v103 offset:49180
	ds_read2_b32 v[106:107], v108 offset0:128 offset1:160
	ds_write_b32 v103, v104 offset:49172
	s_waitcnt lgkmcnt(2)
	v_cmp_ne_u32_e32 vcc, v109, v79
	s_waitcnt lgkmcnt(1)
	v_mfma_f32_32x32x16_fp8_fp8 v[16:31], v[70:71], v[106:107], v[16:31]
	s_and_saveexec_b64 s[10:11], vcc
	s_cbranch_execz .LBB213_12
; %bb.26:                               ;   in Loop: Header=BB213_13 Depth=2
	s_mov_b64 s[12:13], 0
.LBB213_27:                             ;   Parent Loop BB213_7 Depth=1
                                        ;     Parent Loop BB213_13 Depth=2
                                        ; =>    This Inner Loop Header: Depth=3
	;;#ASMSTART
	s_sleep 0
	;;#ASMEND
	ds_read_b32 v106, v103 offset:49180
	s_waitcnt lgkmcnt(0)
	v_cmp_eq_u32_e32 vcc, v106, v79
	s_or_b64 s[12:13], vcc, s[12:13]
	s_andn2_b64 exec, exec, s[12:13]
	s_cbranch_execnz .LBB213_27
	s_branch .LBB213_12
.LBB213_28:                             ;   in Loop: Header=BB213_7 Depth=1
	s_or_b64 exec, exec, s[8:9]
.LBB213_29:                             ;   in Loop: Header=BB213_7 Depth=1
	v_writelane_b32 v127, s48, 23
	s_nop 1
	v_writelane_b32 v127, s49, 24
	v_writelane_b32 v127, s46, 25
	s_nop 1
	v_writelane_b32 v127, s47, 26
	v_writelane_b32 v127, s44, 27
	s_or_b64 exec, exec, s[6:7]
	v_cmp_le_i32_e32 vcc, s5, v80
	v_cmp_eq_u32_e64 s[64:65], 1, v83
	v_cmp_eq_u32_e64 s[30:31], 2, v83
	s_waitcnt vmcnt(0)
	v_cndmask_b32_e32 v70, 0, v101, vcc
	v_pk_mul_f32 v[48:49], v[70:71], v[48:49] op_sel_hi:[0,1]
	v_pk_mul_f32 v[62:63], v[70:71], v[62:63] op_sel_hi:[0,1]
	;; [unrolled: 1-line block ×8, first 2 shown]
	v_cndmask_b32_e64 v70, v48, v49, s[64:65]
	v_cndmask_b32_e64 v70, v70, v50, s[30:31]
	v_cmp_eq_u32_e64 s[40:41], 3, v83
	v_cmp_eq_u32_e64 s[42:43], 4, v83
	v_cmp_eq_u32_e64 s[44:45], 5, v83
	v_cndmask_b32_e64 v70, v70, v51, s[40:41]
	v_cndmask_b32_e64 v70, v70, v52, s[42:43]
	v_cndmask_b32_e64 v70, v70, v53, s[44:45]
	v_cmp_eq_u32_e64 s[46:47], 6, v83
	v_cmp_eq_u32_e64 s[48:49], 7, v83
	v_cmp_eq_u32_e64 s[50:51], 8, v83
	v_cndmask_b32_e64 v70, v70, v54, s[46:47]
	v_cndmask_b32_e64 v70, v70, v55, s[48:49]
	v_cndmask_b32_e64 v70, v70, v56, s[50:51]
	v_cmp_eq_u32_e64 s[52:53], 9, v83
	v_cmp_eq_u32_e64 s[54:55], 10, v83
	v_cmp_eq_u32_e64 s[56:57], 11, v83
	v_cndmask_b32_e64 v70, v70, v57, s[52:53]
	v_cndmask_b32_e64 v70, v70, v58, s[54:55]
	v_cndmask_b32_e64 v70, v70, v59, s[56:57]
	v_cmp_eq_u32_e64 s[58:59], 12, v83
	v_cmp_eq_u32_e64 s[60:61], 13, v83
	v_cmp_eq_u32_e64 s[62:63], 14, v83
	v_cndmask_b32_e64 v70, v70, v60, s[58:59]
	v_cndmask_b32_e64 v70, v70, v61, s[60:61]
	v_cndmask_b32_e64 v70, v70, v62, s[62:63]
	v_cmp_eq_u32_e64 s[66:67], 15, v83
	s_mul_i32 s6, s99, s21
	s_ashr_i32 s7, s6, 31
	v_cndmask_b32_e64 v70, v70, v63, s[66:67]
	ds_bpermute_b32 v70, v99, v70
	s_lshl_b64 s[6:7], s[6:7], 1
	v_cmp_eq_u32_e64 s[36:37], 0, v83
	s_add_u32 s70, s76, s6
	v_cmp_eq_u32_e32 vcc, 1, v84
	s_waitcnt lgkmcnt(0)
	v_cndmask_b32_e64 v63, v63, v70, s[66:67]
	v_cndmask_b32_e64 v62, v62, v70, s[62:63]
	;; [unrolled: 1-line block ×16, first 2 shown]
	s_addc_u32 s71, s77, s7
	v_cndmask_b32_e32 v48, v70, v103, vcc
	v_cmp_eq_u32_e64 s[6:7], 2, v84
	v_cmp_eq_u32_e64 s[8:9], 3, v84
	v_cmp_eq_u32_e64 s[10:11], 4, v84
	v_cndmask_b32_e64 v48, v48, v102, s[6:7]
	v_cndmask_b32_e64 v48, v48, v77, s[8:9]
	v_cndmask_b32_e64 v48, v48, v76, s[10:11]
	v_cmp_eq_u32_e64 s[12:13], 5, v84
	v_cmp_eq_u32_e64 s[14:15], 6, v84
	v_cmp_eq_u32_e64 s[16:17], 7, v84
	v_cndmask_b32_e64 v48, v48, v75, s[12:13]
	v_cndmask_b32_e64 v48, v48, v74, s[14:15]
	v_cndmask_b32_e64 v48, v48, v73, s[16:17]
	;; [unrolled: 6-line block ×4, first 2 shown]
	v_cmp_eq_u32_e64 s[34:35], 14, v84
	v_cmp_eq_u32_e64 s[38:39], 15, v84
	s_ashr_i32 s1, s0, 31
	v_cndmask_b32_e64 v48, v48, v62, s[34:35]
	v_cndmask_b32_e64 v48, v48, v63, s[38:39]
	ds_bpermute_b32 v71, v99, v48
	s_lshl_b64 s[68:69], s[0:1], 1
	s_add_u32 s68, s70, s68
	s_addc_u32 s69, s71, s69
	v_writelane_b32 v127, s68, 28
	v_or_b32_e32 v48, 32, v80
	s_waitcnt lgkmcnt(0)
	v_cndmask_b32_e64 v55, v57, v71, s[76:77]
	v_writelane_b32 v127, s69, 29
	v_cndmask_b32_e64 v57, v73, v71, s[16:17]
	v_cmp_le_i32_e64 s[68:69], s5, v48
	v_or_b32_e32 v73, 64, v80
	v_cndmask_b32_e64 v49, v63, v71, s[38:39]
	v_cndmask_b32_e64 v48, 0, v101, s[68:69]
	v_cmp_le_i32_e64 s[68:69], s5, v73
	v_or_b32_e32 v73, 0x60, v80
	v_cndmask_b32_e64 v54, v58, v71, s[78:79]
	v_cndmask_b32_e64 v58, v74, v71, s[14:15]
	;; [unrolled: 1-line block ×3, first 2 shown]
	v_cmp_le_i32_e64 s[70:71], s5, v73
	v_cmp_eq_u32_e64 s[68:69], 0, v84
	v_pk_mul_f32 v[32:33], v[48:49], v[32:33] op_sel_hi:[0,1]
	v_pk_mul_f32 v[30:31], v[74:75], v[30:31] op_sel_hi:[0,1]
	v_pk_mul_f32 v[28:29], v[74:75], v[28:29] op_sel_hi:[0,1]
	v_pk_mul_f32 v[26:27], v[74:75], v[26:27] op_sel_hi:[0,1]
	v_pk_mul_f32 v[24:25], v[74:75], v[24:25] op_sel_hi:[0,1]
	v_pk_mul_f32 v[22:23], v[74:75], v[22:23] op_sel_hi:[0,1]
	v_pk_mul_f32 v[20:21], v[74:75], v[20:21] op_sel_hi:[0,1]
	v_pk_mul_f32 v[18:19], v[74:75], v[18:19] op_sel_hi:[0,1]
	v_pk_mul_f32 v[16:17], v[74:75], v[16:17] op_sel_hi:[0,1]
	v_cndmask_b32_e64 v74, 0, v101, s[70:71]
	v_cndmask_b32_e64 v50, v62, v71, s[34:35]
	;; [unrolled: 1-line block ×10, first 2 shown]
	v_cndmask_b32_e32 v63, v103, v71, vcc
	v_cndmask_b32_e64 v70, v70, v71, s[68:69]
	v_pk_mul_f32 v[46:47], v[48:49], v[46:47] op_sel_hi:[0,1]
	v_pk_mul_f32 v[44:45], v[48:49], v[44:45] op_sel_hi:[0,1]
	;; [unrolled: 1-line block ×7, first 2 shown]
	v_cndmask_b32_e64 v48, v32, v33, s[64:65]
	v_cndmask_b32_e64 v71, v16, v17, s[64:65]
	v_pk_mul_f32 v[0:1], v[74:75], v[0:1] op_sel_hi:[0,1]
	v_cndmask_b32_e64 v48, v48, v34, s[30:31]
	v_cndmask_b32_e64 v71, v71, v18, s[30:31]
	v_pk_mul_f32 v[14:15], v[74:75], v[14:15] op_sel_hi:[0,1]
	v_pk_mul_f32 v[12:13], v[74:75], v[12:13] op_sel_hi:[0,1]
	v_pk_mul_f32 v[10:11], v[74:75], v[10:11] op_sel_hi:[0,1]
	v_pk_mul_f32 v[8:9], v[74:75], v[8:9] op_sel_hi:[0,1]
	v_pk_mul_f32 v[6:7], v[74:75], v[6:7] op_sel_hi:[0,1]
	v_pk_mul_f32 v[4:5], v[74:75], v[4:5] op_sel_hi:[0,1]
	v_pk_mul_f32 v[2:3], v[74:75], v[2:3] op_sel_hi:[0,1]
	v_cndmask_b32_e64 v74, v0, v1, s[64:65]
	v_cndmask_b32_e64 v48, v48, v35, s[40:41]
	;; [unrolled: 1-line block ×40, first 2 shown]
	ds_bpermute_b32 v48, v99, v48
	ds_bpermute_b32 v71, v99, v71
	v_cndmask_b32_e64 v74, v74, v15, s[66:67]
	ds_bpermute_b32 v74, v99, v74
	v_cmp_eq_u32_e64 s[70:71], 1, v85
	s_waitcnt lgkmcnt(2)
	v_cndmask_b32_e64 v33, v33, v48, s[64:65]
	s_waitcnt lgkmcnt(1)
	v_cndmask_b32_e64 v17, v17, v71, s[64:65]
	v_cndmask_b32_e64 v73, v70, v63, s[70:71]
	v_cmp_eq_u32_e64 s[64:65], 2, v85
	v_cndmask_b32_e64 v47, v47, v48, s[66:67]
	v_cndmask_b32_e64 v31, v31, v71, s[66:67]
	;; [unrolled: 1-line block ×3, first 2 shown]
	s_waitcnt lgkmcnt(0)
	v_cndmask_b32_e64 v15, v15, v74, s[66:67]
	v_cmp_eq_u32_e64 s[66:67], 3, v85
	v_cndmask_b32_e64 v46, v46, v48, s[62:63]
	v_cndmask_b32_e64 v30, v30, v71, s[62:63]
	v_cndmask_b32_e64 v73, v73, v61, s[66:67]
	v_cndmask_b32_e64 v14, v14, v74, s[62:63]
	v_cmp_eq_u32_e64 s[62:63], 4, v85
	v_cndmask_b32_e64 v45, v45, v48, s[60:61]
	v_cndmask_b32_e64 v29, v29, v71, s[60:61]
	v_cndmask_b32_e64 v73, v73, v60, s[62:63]
	v_cndmask_b32_e64 v13, v13, v74, s[60:61]
	v_cmp_eq_u32_e64 s[60:61], 5, v85
	v_cndmask_b32_e64 v44, v44, v48, s[58:59]
	v_cndmask_b32_e64 v28, v28, v71, s[58:59]
	v_cndmask_b32_e64 v73, v73, v59, s[60:61]
	v_cndmask_b32_e64 v12, v12, v74, s[58:59]
	v_cmp_eq_u32_e64 s[58:59], 6, v85
	v_cndmask_b32_e64 v43, v43, v48, s[56:57]
	v_cndmask_b32_e64 v27, v27, v71, s[56:57]
	v_cndmask_b32_e64 v73, v73, v58, s[58:59]
	v_cndmask_b32_e64 v11, v11, v74, s[56:57]
	v_cmp_eq_u32_e64 s[56:57], 7, v85
	v_cmp_eq_u32_e64 s[72:73], 8, v85
	v_cndmask_b32_e64 v41, v41, v48, s[52:53]
	v_cndmask_b32_e64 v73, v73, v57, s[56:57]
	;; [unrolled: 1-line block ×5, first 2 shown]
	v_cmp_eq_u32_e64 s[52:53], 9, v85
	v_cndmask_b32_e64 v40, v40, v48, s[50:51]
	v_cndmask_b32_e64 v24, v24, v71, s[50:51]
	v_cndmask_b32_e64 v73, v73, v55, s[52:53]
	v_cndmask_b32_e64 v8, v8, v74, s[50:51]
	v_cmp_eq_u32_e64 s[50:51], 10, v85
	v_cndmask_b32_e64 v42, v42, v48, s[54:55]
	v_cndmask_b32_e64 v26, v26, v71, s[54:55]
	v_cndmask_b32_e64 v10, v10, v74, s[54:55]
	v_cndmask_b32_e64 v73, v73, v54, s[50:51]
	;; [unrolled: 5-line block ×3, first 2 shown]
	v_cmp_eq_u32_e64 s[48:49], 12, v85
	v_cmp_eq_u32_e64 s[74:75], 13, v85
	v_cndmask_b32_e64 v36, v36, v48, s[42:43]
	v_cndmask_b32_e64 v73, v73, v52, s[48:49]
	;; [unrolled: 1-line block ×5, first 2 shown]
	v_cmp_eq_u32_e64 s[42:43], 14, v85
	v_cndmask_b32_e64 v37, v37, v48, s[44:45]
	v_cndmask_b32_e64 v21, v21, v71, s[44:45]
	;; [unrolled: 1-line block ×4, first 2 shown]
	v_cmp_eq_u32_e64 s[44:45], 15, v85
	v_cndmask_b32_e64 v34, v34, v48, s[30:31]
	v_cndmask_b32_e64 v18, v18, v71, s[30:31]
	;; [unrolled: 1-line block ×3, first 2 shown]
	ds_bpermute_b32 v73, v99, v73
	v_cndmask_b32_e64 v2, v2, v74, s[30:31]
	v_cmp_ne_u32_e64 s[30:31], 0, v83
	v_cndmask_b32_e64 v32, v32, v48, s[36:37]
	v_cndmask_b32_e64 v38, v38, v48, s[46:47]
	;; [unrolled: 1-line block ×6, first 2 shown]
	v_cmp_eq_u32_e64 s[40:41], 0, v85
	v_cndmask_b32_e32 v48, v32, v33, vcc
	v_cndmask_b32_e64 v0, v0, v74, s[36:37]
	s_waitcnt lgkmcnt(0)
	v_cndmask_b32_e64 v49, v49, v73, s[44:45]
	v_cndmask_b32_e64 v50, v50, v73, s[42:43]
	;; [unrolled: 1-line block ×17, first 2 shown]
	v_cndmask_b32_e32 v73, v0, v1, vcc
	v_cndmask_b32_e64 v48, v48, v35, s[8:9]
	v_cndmask_b32_e64 v73, v73, v2, s[6:7]
	;; [unrolled: 1-line block ×22, first 2 shown]
	v_cndmask_b32_e32 v71, v16, v17, vcc
	v_cndmask_b32_e64 v73, v73, v11, s[80:81]
	v_cndmask_b32_e64 v48, v48, v45, s[28:29]
	;; [unrolled: 1-line block ×10, first 2 shown]
	ds_bpermute_b32 v48, v99, v48
	v_cndmask_b32_e64 v71, v71, v21, s[12:13]
	v_cndmask_b32_e64 v73, v73, v15, s[38:39]
	;; [unrolled: 1-line block ×3, first 2 shown]
	ds_bpermute_b32 v73, v99, v73
	v_cndmask_b32_e64 v71, v71, v23, s[16:17]
	v_cndmask_b32_e64 v71, v71, v24, s[18:19]
	;; [unrolled: 1-line block ×4, first 2 shown]
	s_waitcnt lgkmcnt(1)
	v_cndmask_b32_e32 v33, v33, v48, vcc
	v_cndmask_b32_e64 v32, v32, v48, s[68:69]
	v_cndmask_b32_e64 v71, v71, v27, s[80:81]
	;; [unrolled: 1-line block ×16, first 2 shown]
	s_waitcnt lgkmcnt(0)
	v_cndmask_b32_e32 v1, v1, v73, vcc
	v_cndmask_b32_e64 v48, v32, v33, s[70:71]
	v_cndmask_b32_e64 v0, v0, v73, s[68:69]
	v_cndmask_b32_e64 v71, v71, v28, s[82:83]
	v_cndmask_b32_e64 v15, v15, v73, s[38:39]
	v_cndmask_b32_e64 v14, v14, v73, s[34:35]
	v_cndmask_b32_e64 v13, v13, v73, s[28:29]
	v_cndmask_b32_e64 v12, v12, v73, s[82:83]
	v_cndmask_b32_e64 v11, v11, v73, s[80:81]
	v_cndmask_b32_e64 v10, v10, v73, s[78:79]
	v_cndmask_b32_e64 v9, v9, v73, s[76:77]
	v_cndmask_b32_e64 v8, v8, v73, s[18:19]
	v_cndmask_b32_e64 v7, v7, v73, s[16:17]
	v_cndmask_b32_e64 v6, v6, v73, s[14:15]
	v_cndmask_b32_e64 v5, v5, v73, s[12:13]
	v_cndmask_b32_e64 v4, v4, v73, s[10:11]
	v_cndmask_b32_e64 v3, v3, v73, s[8:9]
	v_cndmask_b32_e64 v2, v2, v73, s[6:7]
	v_cndmask_b32_e64 v48, v48, v34, s[64:65]
	v_cndmask_b32_e64 v73, v0, v1, s[70:71]
	v_cndmask_b32_e64 v71, v71, v29, s[28:29]
	v_cndmask_b32_e64 v48, v48, v35, s[66:67]
	v_cndmask_b32_e64 v73, v73, v2, s[64:65]
	v_cndmask_b32_e64 v71, v71, v30, s[34:35]
	v_cndmask_b32_e64 v48, v48, v36, s[62:63]
	v_cndmask_b32_e64 v73, v73, v3, s[66:67]
	v_cndmask_b32_e64 v71, v71, v31, s[38:39]
	v_cndmask_b32_e64 v48, v48, v37, s[60:61]
	v_cndmask_b32_e64 v73, v73, v4, s[62:63]
	ds_bpermute_b32 v71, v99, v71
	v_cndmask_b32_e64 v48, v48, v38, s[58:59]
	v_cndmask_b32_e64 v73, v73, v5, s[60:61]
	;; [unrolled: 1-line block ×8, first 2 shown]
	v_cmp_eq_u32_e64 s[30:31], 1, v86
	v_cndmask_b32_e64 v48, v48, v42, s[50:51]
	v_cndmask_b32_e64 v73, v73, v9, s[52:53]
	;; [unrolled: 1-line block ×3, first 2 shown]
	v_cmp_eq_u32_e64 s[36:37], 2, v86
	s_waitcnt lgkmcnt(0)
	v_cndmask_b32_e32 v17, v17, v71, vcc
	v_cndmask_b32_e64 v48, v48, v43, s[54:55]
	v_cndmask_b32_e64 v16, v16, v71, s[68:69]
	;; [unrolled: 1-line block ×6, first 2 shown]
	v_cmp_eq_u32_e64 s[38:39], 3, v86
	v_cndmask_b32_e64 v29, v29, v71, s[28:29]
	v_cndmask_b32_e64 v28, v28, v71, s[82:83]
	;; [unrolled: 1-line block ×16, first 2 shown]
	v_cmp_eq_u32_e64 s[28:29], 4, v86
	v_cndmask_b32_e64 v48, v48, v45, s[74:75]
	v_cndmask_b32_e64 v71, v71, v18, s[64:65]
	v_cndmask_b32_e64 v73, v73, v12, s[48:49]
	v_cndmask_b32_e64 v74, v74, v60, s[28:29]
	v_cmp_eq_u32_e64 s[84:85], 5, v86
	v_cndmask_b32_e64 v48, v48, v46, s[42:43]
	v_cndmask_b32_e64 v71, v71, v19, s[66:67]
	v_cndmask_b32_e64 v73, v73, v13, s[74:75]
	v_cndmask_b32_e64 v74, v74, v59, s[84:85]
	;; [unrolled: 5-line block ×3, first 2 shown]
	v_cmp_eq_u32_e64 s[88:89], 7, v86
	ds_bpermute_b32 v48, v99, v48
	v_cndmask_b32_e64 v71, v71, v21, s[60:61]
	v_cndmask_b32_e64 v73, v73, v15, s[44:45]
	;; [unrolled: 1-line block ×3, first 2 shown]
	v_cmp_eq_u32_e64 s[92:93], 8, v86
	v_cndmask_b32_e64 v71, v71, v22, s[58:59]
	ds_bpermute_b32 v73, v99, v73
	v_cndmask_b32_e64 v74, v74, v56, s[92:93]
	v_cmp_eq_u32_e64 s[18:19], 9, v86
	v_cndmask_b32_e64 v71, v71, v23, s[56:57]
	v_cmp_eq_u32_e64 s[16:17], 10, v86
	v_cndmask_b32_e64 v74, v74, v55, s[18:19]
	v_cndmask_b32_e64 v71, v71, v24, s[72:73]
	;; [unrolled: 1-line block ×3, first 2 shown]
	v_cmp_eq_u32_e64 s[14:15], 11, v86
	v_cndmask_b32_e64 v71, v71, v25, s[52:53]
	v_cmp_eq_u32_e64 s[12:13], 12, v86
	v_cndmask_b32_e64 v74, v74, v53, s[14:15]
	v_cndmask_b32_e64 v71, v71, v26, s[50:51]
	s_waitcnt lgkmcnt(1)
	v_cndmask_b32_e64 v33, v33, v48, s[70:71]
	v_cndmask_b32_e64 v32, v32, v48, s[40:41]
	;; [unrolled: 1-line block ×3, first 2 shown]
	v_cmp_eq_u32_e64 s[76:77], 13, v86
	v_cndmask_b32_e64 v71, v71, v27, s[54:55]
	v_cndmask_b32_e64 v47, v47, v48, s[44:45]
	;; [unrolled: 1-line block ×15, first 2 shown]
	s_waitcnt lgkmcnt(0)
	v_cndmask_b32_e64 v1, v1, v73, s[70:71]
	v_cndmask_b32_e64 v48, v32, v33, s[30:31]
	;; [unrolled: 1-line block ×4, first 2 shown]
	v_cmp_eq_u32_e64 s[10:11], 14, v86
	v_cndmask_b32_e64 v71, v71, v28, s[48:49]
	v_cndmask_b32_e64 v15, v15, v73, s[44:45]
	;; [unrolled: 1-line block ×18, first 2 shown]
	v_cmp_eq_u32_e64 s[6:7], 15, v86
	v_cndmask_b32_e64 v71, v71, v29, s[74:75]
	v_cndmask_b32_e64 v48, v48, v35, s[38:39]
	;; [unrolled: 1-line block ×7, first 2 shown]
	ds_bpermute_b32 v74, v99, v74
	v_cndmask_b32_e64 v71, v71, v31, s[44:45]
	v_cndmask_b32_e64 v48, v48, v37, s[84:85]
	;; [unrolled: 1-line block ×3, first 2 shown]
	ds_bpermute_b32 v71, v99, v71
	v_cndmask_b32_e64 v48, v48, v38, s[80:81]
	v_cndmask_b32_e64 v73, v73, v5, s[84:85]
	;; [unrolled: 1-line block ×6, first 2 shown]
	v_cmp_eq_u32_e64 s[8:9], 0, v86
	v_cndmask_b32_e64 v48, v48, v41, s[18:19]
	v_cndmask_b32_e64 v73, v73, v8, s[92:93]
	s_waitcnt lgkmcnt(1)
	v_cndmask_b32_e64 v63, v63, v74, s[30:31]
	v_cndmask_b32_e64 v70, v70, v74, s[8:9]
	v_cmp_eq_u32_e64 s[34:35], 1, v87
	v_cndmask_b32_e64 v48, v48, v42, s[16:17]
	v_cndmask_b32_e64 v73, v73, v9, s[18:19]
	;; [unrolled: 1-line block ×17, first 2 shown]
	s_waitcnt lgkmcnt(0)
	v_cndmask_b32_e64 v31, v31, v71, s[44:45]
	v_cmp_eq_u32_e64 s[44:45], 2, v87
	v_cndmask_b32_e64 v17, v17, v71, s[70:71]
	v_cndmask_b32_e64 v48, v48, v43, s[14:15]
	;; [unrolled: 1-line block ×6, first 2 shown]
	v_cmp_eq_u32_e64 s[46:47], 3, v87
	v_cndmask_b32_e64 v29, v29, v71, s[74:75]
	v_cndmask_b32_e64 v28, v28, v71, s[48:49]
	;; [unrolled: 1-line block ×16, first 2 shown]
	v_cmp_eq_u32_e64 s[42:43], 4, v87
	v_cndmask_b32_e64 v48, v48, v45, s[76:77]
	v_cndmask_b32_e64 v71, v71, v18, s[36:37]
	v_cndmask_b32_e64 v73, v73, v12, s[12:13]
	v_cndmask_b32_e64 v74, v74, v60, s[42:43]
	v_cmp_eq_u32_e64 s[48:49], 5, v87
	v_cndmask_b32_e64 v48, v48, v46, s[10:11]
	v_cndmask_b32_e64 v71, v71, v19, s[38:39]
	v_cndmask_b32_e64 v73, v73, v13, s[76:77]
	v_cndmask_b32_e64 v74, v74, v59, s[48:49]
	;; [unrolled: 5-line block ×3, first 2 shown]
	v_cmp_eq_u32_e64 s[68:69], 7, v87
	ds_bpermute_b32 v48, v99, v48
	v_cndmask_b32_e64 v71, v71, v21, s[84:85]
	v_cndmask_b32_e64 v73, v73, v15, s[6:7]
	v_cndmask_b32_e64 v74, v74, v57, s[68:69]
	v_cmp_eq_u32_e64 s[74:75], 8, v87
	v_cndmask_b32_e64 v71, v71, v22, s[80:81]
	ds_bpermute_b32 v73, v99, v73
	v_cndmask_b32_e64 v74, v74, v56, s[74:75]
	v_cmp_eq_u32_e64 s[72:73], 9, v87
	v_cndmask_b32_e64 v71, v71, v23, s[88:89]
	v_cmp_eq_u32_e64 s[56:57], 10, v87
	v_cndmask_b32_e64 v74, v74, v55, s[72:73]
	v_cndmask_b32_e64 v71, v71, v24, s[92:93]
	v_cndmask_b32_e64 v74, v74, v54, s[56:57]
	v_cmp_eq_u32_e64 s[78:79], 11, v87
	v_cndmask_b32_e64 v71, v71, v25, s[18:19]
	v_cmp_eq_u32_e64 s[60:61], 12, v87
	v_cndmask_b32_e64 v74, v74, v53, s[78:79]
	v_cndmask_b32_e64 v71, v71, v26, s[16:17]
	s_waitcnt lgkmcnt(1)
	v_cndmask_b32_e64 v33, v33, v48, s[30:31]
	v_cndmask_b32_e64 v32, v32, v48, s[8:9]
	;; [unrolled: 1-line block ×3, first 2 shown]
	v_cmp_eq_u32_e64 s[82:83], 13, v87
	v_cndmask_b32_e64 v71, v71, v27, s[14:15]
	v_cndmask_b32_e64 v34, v34, v48, s[36:37]
	s_waitcnt lgkmcnt(0)
	v_cndmask_b32_e64 v76, v1, v73, s[30:31]
	v_cndmask_b32_e64 v1, v32, v33, s[34:35]
	;; [unrolled: 1-line block ×3, first 2 shown]
	v_cmp_eq_u32_e64 s[86:87], 14, v87
	v_cndmask_b32_e64 v71, v71, v28, s[12:13]
	v_cndmask_b32_e64 v35, v35, v48, s[38:39]
	;; [unrolled: 1-line block ×4, first 2 shown]
	v_cmp_eq_u32_e64 s[90:91], 15, v87
	v_cndmask_b32_e64 v71, v71, v29, s[76:77]
	v_cndmask_b32_e64 v36, v36, v48, s[28:29]
	;; [unrolled: 1-line block ×7, first 2 shown]
	ds_bpermute_b32 v74, v99, v74
	v_cndmask_b32_e64 v71, v71, v31, s[6:7]
	v_cndmask_b32_e64 v38, v38, v48, s[80:81]
	;; [unrolled: 1-line block ×3, first 2 shown]
	ds_bpermute_b32 v71, v99, v71
	v_cndmask_b32_e64 v39, v39, v48, s[88:89]
	v_cndmask_b32_e64 v1, v1, v38, s[54:55]
	;; [unrolled: 1-line block ×6, first 2 shown]
	v_cmp_eq_u32_e64 s[50:51], 0, v87
	v_cndmask_b32_e64 v42, v42, v48, s[16:17]
	v_cndmask_b32_e64 v1, v1, v41, s[72:73]
	s_waitcnt lgkmcnt(1)
	v_cndmask_b32_e64 v63, v63, v74, s[34:35]
	v_cndmask_b32_e64 v70, v70, v74, s[50:51]
	v_cmp_eq_u32_e32 vcc, 1, v88
	v_cndmask_b32_e64 v43, v43, v48, s[14:15]
	v_cndmask_b32_e64 v1, v1, v42, s[56:57]
	;; [unrolled: 1-line block ×16, first 2 shown]
	v_cndmask_b32_e32 v74, v70, v63, vcc
	v_cndmask_b32_e64 v47, v47, v48, s[6:7]
	s_waitcnt lgkmcnt(0)
	v_cndmask_b32_e64 v31, v31, v71, s[6:7]
	v_cndmask_b32_e64 v15, v15, v73, s[6:7]
	v_cmp_eq_u32_e64 s[6:7], 2, v88
	v_cndmask_b32_e64 v44, v44, v48, s[12:13]
	v_cndmask_b32_e64 v1, v1, v43, s[78:79]
	;; [unrolled: 1-line block ×6, first 2 shown]
	v_cmp_eq_u32_e64 s[10:11], 3, v88
	v_cndmask_b32_e64 v45, v45, v48, s[76:77]
	v_cndmask_b32_e64 v1, v1, v44, s[60:61]
	;; [unrolled: 1-line block ×3, first 2 shown]
	v_cmp_eq_u32_e64 s[40:41], 4, v88
	v_cndmask_b32_e64 v1, v1, v45, s[82:83]
	v_cmp_eq_u32_e64 s[52:53], 5, v88
	v_cndmask_b32_e64 v74, v74, v60, s[40:41]
	v_cndmask_b32_e64 v1, v1, v46, s[86:87]
	;; [unrolled: 1-line block ×6, first 2 shown]
	v_cmp_eq_u32_e64 s[58:59], 6, v88
	v_cndmask_b32_e64 v10, v10, v73, s[16:17]
	v_cndmask_b32_e64 v9, v9, v73, s[18:19]
	;; [unrolled: 1-line block ×14, first 2 shown]
	v_cmp_eq_u32_e64 s[62:63], 7, v88
	v_cndmask_b32_e64 v18, v18, v71, s[36:37]
	ds_bpermute_b32 v48, v99, v1
	v_cndmask_b32_e64 v1, v16, v75, s[34:35]
	v_cndmask_b32_e64 v0, v73, v76, s[34:35]
	;; [unrolled: 1-line block ×3, first 2 shown]
	v_cmp_eq_u32_e64 s[70:71], 8, v88
	v_cndmask_b32_e64 v19, v19, v71, s[38:39]
	v_cndmask_b32_e64 v1, v1, v18, s[44:45]
	;; [unrolled: 1-line block ×5, first 2 shown]
	v_cmp_eq_u32_e64 s[76:77], 9, v88
	v_cndmask_b32_e64 v20, v20, v71, s[28:29]
	v_cndmask_b32_e64 v1, v1, v19, s[46:47]
	;; [unrolled: 1-line block ×4, first 2 shown]
	v_cmp_eq_u32_e64 s[66:67], 10, v88
	v_cndmask_b32_e64 v21, v21, v71, s[84:85]
	v_cndmask_b32_e64 v1, v1, v20, s[42:43]
	;; [unrolled: 1-line block ×5, first 2 shown]
	v_cmp_eq_u32_e64 s[64:65], 11, v88
	v_cndmask_b32_e64 v1, v1, v21, s[48:49]
	v_cndmask_b32_e64 v0, v0, v5, s[48:49]
	v_cndmask_b32_e64 v23, v23, v71, s[88:89]
	v_cndmask_b32_e64 v74, v74, v53, s[64:65]
	v_cmp_eq_u32_e64 s[80:81], 12, v88
	v_cndmask_b32_e64 v1, v1, v22, s[54:55]
	v_cndmask_b32_e64 v0, v0, v6, s[54:55]
	v_cndmask_b32_e64 v24, v24, v71, s[92:93]
	v_cndmask_b32_e64 v74, v74, v52, s[80:81]
	;; [unrolled: 5-line block ×5, first 2 shown]
	v_cndmask_b32_e64 v1, v1, v26, s[56:57]
	v_cndmask_b32_e64 v0, v0, v10, s[56:57]
	;; [unrolled: 1-line block ×3, first 2 shown]
	ds_bpermute_b32 v74, v99, v74
	v_cndmask_b32_e64 v1, v1, v27, s[78:79]
	v_cndmask_b32_e64 v0, v0, v11, s[78:79]
	;; [unrolled: 1-line block ×8, first 2 shown]
	v_cmp_eq_u32_e64 s[94:95], 0, v88
	v_cndmask_b32_e64 v1, v1, v31, s[90:91]
	v_cndmask_b32_e64 v0, v0, v15, s[90:91]
	s_waitcnt lgkmcnt(0)
	v_cndmask_b32_e64 v49, v49, v74, s[92:93]
	v_cndmask_b32_e64 v50, v50, v74, s[88:89]
	v_cndmask_b32_e64 v51, v51, v74, s[84:85]
	v_cndmask_b32_e64 v52, v52, v74, s[80:81]
	v_cndmask_b32_e64 v53, v53, v74, s[64:65]
	v_cndmask_b32_e64 v54, v54, v74, s[66:67]
	v_cndmask_b32_e64 v55, v55, v74, s[76:77]
	v_cndmask_b32_e64 v56, v56, v74, s[70:71]
	v_cndmask_b32_e64 v57, v57, v74, s[62:63]
	v_cndmask_b32_e64 v58, v58, v74, s[58:59]
	v_cndmask_b32_e64 v59, v59, v74, s[52:53]
	v_cndmask_b32_e64 v60, v60, v74, s[40:41]
	v_cndmask_b32_e64 v61, v61, v74, s[10:11]
	v_cndmask_b32_e64 v62, v62, v74, s[6:7]
	v_cndmask_b32_e32 v63, v63, v74, vcc
	v_cndmask_b32_e64 v70, v70, v74, s[94:95]
	ds_bpermute_b32 v71, v99, v1
	ds_bpermute_b32 v74, v99, v0
	v_cndmask_b32_e64 v93, v35, v48, s[46:47]
	v_cndmask_b32_e64 v126, v36, v48, s[42:43]
	;; [unrolled: 1-line block ×3, first 2 shown]
	s_waitcnt lgkmcnt(1)
	v_cndmask_b32_e64 v104, v29, v71, s[82:83]
	s_waitcnt lgkmcnt(0)
	v_cndmask_b32_e64 v107, v12, v74, s[60:61]
	v_cndmask_b32_e64 v12, v33, v48, s[34:35]
	;; [unrolled: 1-line block ×7, first 2 shown]
	v_cndmask_b32_e32 v19, v29, v12, vcc
	v_cndmask_b32_e64 v19, v19, v4, s[6:7]
	v_cndmask_b32_e64 v19, v19, v93, s[10:11]
	;; [unrolled: 1-line block ×30, first 2 shown]
	ds_bpermute_b32 v30, v99, v19
	v_cndmask_b32_e32 v19, v16, v13, vcc
	v_cndmask_b32_e64 v19, v19, v5, s[6:7]
	v_cndmask_b32_e64 v91, v20, v71, s[42:43]
	;; [unrolled: 1-line block ×15, first 2 shown]
	v_cmp_eq_u32_e64 s[8:9], 1, v89
	v_cndmask_b32_e64 v108, v27, v71, s[78:79]
	v_cndmask_b32_e64 v19, v19, v110, s[66:67]
	;; [unrolled: 1-line block ×3, first 2 shown]
	v_cmp_eq_u32_e64 s[12:13], 2, v89
	v_cndmask_b32_e64 v106, v28, v71, s[60:61]
	v_cndmask_b32_e64 v19, v19, v108, s[64:65]
	;; [unrolled: 1-line block ×3, first 2 shown]
	v_cmp_eq_u32_e64 s[14:15], 3, v89
	v_cndmask_b32_e64 v19, v19, v106, s[80:81]
	v_cmp_eq_u32_e64 s[16:17], 4, v89
	v_cndmask_b32_e64 v0, v0, v61, s[14:15]
	v_cndmask_b32_e64 v19, v19, v104, s[84:85]
	v_cndmask_b32_e64 v77, v31, v71, s[90:91]
	v_cndmask_b32_e64 v0, v0, v60, s[16:17]
	v_cmp_eq_u32_e64 s[18:19], 5, v89
	v_cndmask_b32_e64 v19, v19, v102, s[88:89]
	v_cndmask_b32_e64 v103, v14, v74, s[86:87]
	v_cndmask_b32_e64 v0, v0, v59, s[18:19]
	;; [unrolled: 5-line block ×3, first 2 shown]
	v_cndmask_b32_e64 v0, v0, v58, s[78:79]
	v_cmp_eq_u32_e64 s[82:83], 7, v89
	v_cndmask_b32_e64 v122, v6, v74, s[54:55]
	v_cndmask_b32_e64 v6, v2, v74, s[44:45]
	ds_bpermute_b32 v20, v99, v19
	v_cndmask_b32_e32 v19, v21, v14, vcc
	v_cndmask_b32_e64 v0, v0, v57, s[82:83]
	v_cndmask_b32_e64 v113, v9, v74, s[72:73]
	v_cmp_eq_u32_e64 s[72:73], 8, v89
	v_cndmask_b32_e64 v3, v3, v74, s[46:47]
	v_cndmask_b32_e64 v19, v19, v6, s[6:7]
	;; [unrolled: 1-line block ×3, first 2 shown]
	v_cmp_eq_u32_e64 s[28:29], 9, v89
	v_cndmask_b32_e64 v19, v19, v3, s[10:11]
	v_cmp_eq_u32_e64 s[30:31], 10, v89
	v_cndmask_b32_e64 v0, v0, v55, s[28:29]
	v_cndmask_b32_e64 v19, v19, v92, s[40:41]
	v_cndmask_b32_e64 v0, v0, v54, s[30:31]
	v_cmp_eq_u32_e64 s[36:37], 11, v89
	v_cndmask_b32_e64 v19, v19, v125, s[52:53]
	v_cndmask_b32_e64 v119, v7, v74, s[68:69]
	;; [unrolled: 4-line block ×3, first 2 shown]
	v_cndmask_b32_e64 v0, v0, v52, s[38:39]
	v_cmp_eq_u32_e64 s[42:43], 13, v89
	v_cndmask_b32_e64 v19, v19, v119, s[62:63]
	v_cmp_eq_u32_e64 s[46:47], 14, v89
	v_cndmask_b32_e64 v0, v0, v51, s[42:43]
	v_cndmask_b32_e64 v19, v19, v116, s[70:71]
	;; [unrolled: 1-line block ×4, first 2 shown]
	v_cmp_eq_u32_e64 s[44:45], 15, v89
	v_cndmask_b32_e64 v19, v19, v113, s[76:77]
	v_cndmask_b32_e64 v19, v19, v111, s[66:67]
	;; [unrolled: 1-line block ×3, first 2 shown]
	ds_bpermute_b32 v0, v99, v0
	v_cndmask_b32_e64 v19, v19, v109, s[64:65]
	v_cndmask_b32_e64 v19, v19, v107, s[80:81]
	;; [unrolled: 1-line block ×4, first 2 shown]
	v_cmp_eq_u32_e64 s[34:35], 0, v89
	v_cndmask_b32_e64 v19, v19, v101, s[92:93]
	s_waitcnt lgkmcnt(0)
	v_cndmask_b32_e64 v7, v49, v0, s[44:45]
	v_cndmask_b32_e64 v8, v50, v0, s[46:47]
	;; [unrolled: 1-line block ×16, first 2 shown]
	ds_bpermute_b32 v28, v99, v19
	v_cmp_eq_u32_e64 s[48:49], 1, v90
	v_cmp_eq_u32_e64 s[50:51], 2, v90
	;; [unrolled: 1-line block ×3, first 2 shown]
	v_cndmask_b32_e64 v33, v0, v18, s[48:49]
	v_cndmask_b32_e64 v34, v33, v17, s[50:51]
	;; [unrolled: 1-line block ×3, first 2 shown]
	v_cmp_eq_u32_e64 s[56:57], 4, v90
	v_cmp_eq_u32_e64 s[60:61], 5, v90
	v_cndmask_b32_e64 v57, v43, v30, s[64:65]
	v_cndmask_b32_e64 v39, v35, v1, s[56:57]
	;; [unrolled: 1-line block ×4, first 2 shown]
	s_waitcnt lgkmcnt(0)
	v_cndmask_b32_e64 v48, v109, v28, s[64:65]
	v_cmp_eq_u32_e64 s[64:65], 6, v90
	v_cndmask_b32_e64 v58, v42, v30, s[66:67]
	v_cndmask_b32_e64 v49, v111, v28, s[66:67]
	;; [unrolled: 1-line block ×4, first 2 shown]
	v_cmp_eq_u32_e64 s[66:67], 7, v90
	v_cmp_eq_u32_e64 s[68:69], 8, v90
	v_cndmask_b32_e64 v60, v114, v30, s[70:71]
	v_cndmask_b32_e64 v42, v43, v25, s[66:67]
	v_cndmask_b32_e64 v43, v42, v24, s[68:69]
	v_cndmask_b32_e64 v42, v115, v20, s[70:71]
	v_cndmask_b32_e64 v51, v116, v28, s[70:71]
	v_cmp_eq_u32_e64 s[70:71], 9, v90
	v_cndmask_b32_e64 v56, v44, v30, s[80:81]
	v_cndmask_b32_e64 v61, v117, v30, s[62:63]
	v_cndmask_b32_e64 v44, v43, v23, s[70:71]
	v_cndmask_b32_e64 v43, v118, v20, s[62:63]
	v_cndmask_b32_e64 v52, v119, v28, s[62:63]
	;; [unrolled: 6-line block ×3, first 2 shown]
	v_cndmask_b32_e64 v53, v122, v28, s[58:59]
	v_cmp_eq_u32_e64 s[58:59], 11, v90
	v_cndmask_b32_e64 v63, v123, v30, s[52:53]
	v_cndmask_b32_e64 v54, v125, v28, s[52:53]
	v_cndmask_b32_e64 v55, v45, v11, s[58:59]
	v_cndmask_b32_e64 v45, v124, v20, s[52:53]
	v_cmp_eq_u32_e64 s[52:53], 12, v90
	v_cndmask_b32_e64 v71, v126, v30, s[40:41]
	v_cndmask_b32_e64 v73, v91, v20, s[40:41]
	v_cndmask_b32_e64 v70, v55, v10, s[52:53]
	;; [unrolled: 5-line block ×4, first 2 shown]
	v_cndmask_b32_e64 v70, v4, v30, s[6:7]
	v_cndmask_b32_e64 v91, v6, v28, s[6:7]
	v_cmp_eq_u32_e64 s[6:7], 15, v90
	v_cndmask_b32_e32 v93, v12, v30, vcc
	v_cndmask_b32_e64 v59, v41, v30, s[76:77]
	v_cndmask_b32_e64 v3, v3, v7, s[6:7]
	ds_bpermute_b32 v92, v99, v3
	v_cndmask_b32_e64 v46, v46, v30, s[88:89]
	v_cndmask_b32_e64 v32, v101, v28, s[92:93]
	v_cndmask_b32_e32 v101, v13, v20, vcc
	v_cndmask_b32_e64 v36, v102, v20, s[88:89]
	s_waitcnt lgkmcnt(0)
	v_cndmask_b32_e64 v12, v10, v92, s[52:53]
	v_cndmask_b32_e64 v10, v22, v92, s[62:63]
	;; [unrolled: 1-line block ×20, first 2 shown]
	ds_bpermute_b32 v23, v99, v3
	v_cndmask_b32_e32 v102, v14, v28, vcc
	v_cndmask_b32_e64 v14, v8, v92, s[10:11]
	v_cndmask_b32_e64 v8, v24, v92, s[68:69]
	;; [unrolled: 1-line block ×4, first 2 shown]
	s_waitcnt lgkmcnt(0)
	v_cndmask_b32_e64 v18, v46, v23, s[46:47]
	v_cndmask_b32_e64 v24, v47, v23, s[42:43]
	;; [unrolled: 1-line block ×36, first 2 shown]
	ds_bpermute_b32 v71, v99, v22
	v_cndmask_b32_e64 v16, v16, v20, s[94:95]
	v_cndmask_b32_e64 v41, v112, v20, s[76:77]
	;; [unrolled: 1-line block ×4, first 2 shown]
	s_waitcnt lgkmcnt(0)
	v_cndmask_b32_e64 v31, v17, v71, s[6:7]
	v_cndmask_b32_e64 v17, v16, v101, s[8:9]
	;; [unrolled: 1-line block ×16, first 2 shown]
	ds_bpermute_b32 v17, v99, v17
	v_cmp_eq_u32_e32 vcc, 0, v90
	v_cndmask_b32_e64 v11, v11, v92, s[58:59]
	v_cndmask_b32_e64 v5, v27, v92, s[60:61]
	v_cndmask_b32_e32 v0, v0, v92, vcc
	v_cndmask_b32_e64 v20, v60, v71, s[56:57]
	s_waitcnt lgkmcnt(0)
	v_cndmask_b32_e64 v60, v73, v17, s[16:17]
	v_cndmask_b32_e64 v73, v75, v17, s[14:15]
	;; [unrolled: 1-line block ×39, first 2 shown]
	ds_bpermute_b32 v93, v99, v16
	v_cndmask_b32_e64 v33, v103, v28, s[88:89]
	v_cndmask_b32_e64 v34, v105, v28, s[84:85]
	;; [unrolled: 1-line block ×6, first 2 shown]
	s_waitcnt lgkmcnt(0)
	v_cndmask_b32_e64 v47, v46, v93, s[6:7]
	v_cndmask_b32_e64 v46, v36, v93, s[10:11]
	;; [unrolled: 1-line block ×19, first 2 shown]
	ds_bpermute_b32 v56, v99, v36
	v_cndmask_b32_e64 v43, v39, v93, s[58:59]
	v_cndmask_b32_e64 v39, v57, v93, s[66:67]
	;; [unrolled: 1-line block ×4, first 2 shown]
	s_waitcnt lgkmcnt(0)
	v_cndmask_b32_e64 v101, v102, v56, s[8:9]
	v_cndmask_b32_e64 v74, v74, v56, s[34:35]
	;; [unrolled: 1-line block ×9, first 2 shown]
	v_cndmask_b32_e32 v16, v70, v71, vcc
	v_cndmask_b32_e64 v71, v55, v56, s[16:17]
	v_cndmask_b32_e64 v32, v32, v76, s[54:55]
	;; [unrolled: 1-line block ×29, first 2 shown]
	ds_bpermute_b32 v102, v99, v32
	v_cndmask_b32_e64 v33, v77, v93, s[48:49]
	v_readlane_b32 s18, v127, 10
	v_readlane_b32 s28, v127, 12
	v_readlane_b32 s34, v127, 17
	s_waitcnt lgkmcnt(0)
	v_cndmask_b32_e64 v63, v57, v102, s[6:7]
	v_readlane_b32 s6, v127, 28
	v_cndmask_b32_e64 v62, v58, v102, s[10:11]
	v_cndmask_b32_e64 v58, v49, v102, s[62:63]
	;; [unrolled: 1-line block ×3, first 2 shown]
	v_readlane_b32 s7, v127, 29
	v_readlane_b32 s46, v127, 25
	;; [unrolled: 1-line block ×3, first 2 shown]
	v_subrev_u32_e32 v100, s4, v100
	s_mov_b32 s1, 0
	v_cndmask_b32_e64 v41, v41, v93, s[70:71]
	v_cndmask_b32_e64 v35, v73, v93, s[54:55]
	;; [unrolled: 1-line block ×3, first 2 shown]
	v_cndmask_b32_e32 v32, v92, v93, vcc
	v_cndmask_b32_e64 v61, v59, v102, s[40:41]
	v_cndmask_b32_e64 v60, v60, v102, s[52:53]
	v_cndmask_b32_e64 v59, v48, v102, s[58:59]
	v_cndmask_b32_e64 v57, v50, v102, s[70:71]
	v_cndmask_b32_e64 v56, v51, v102, s[68:69]
	v_cndmask_b32_e64 v55, v52, v102, s[66:67]
	v_cndmask_b32_e64 v54, v53, v102, s[64:65]
	v_cndmask_b32_e64 v53, v70, v102, s[60:61]
	v_cndmask_b32_e64 v52, v71, v102, s[56:57]
	v_cndmask_b32_e64 v51, v76, v102, s[54:55]
	v_cndmask_b32_e64 v50, v91, v102, s[50:51]
	v_cndmask_b32_e32 v48, v74, v102, vcc
	v_lshl_add_u64 v[70:71], s[6:7], 0, v[64:65]
	s_mov_b64 s[6:7], 0
	s_mov_b32 s5, 0
	v_readlane_b32 s19, v127, 11
	v_readlane_b32 s29, v127, 13
	;; [unrolled: 1-line block ×9, first 2 shown]
	s_mov_b64 s[40:41], 0x80
	s_mov_b64 s[42:43], 0xc0
	v_readlane_b32 s44, v127, 27
	v_readlane_b32 s47, v127, 26
	;; [unrolled: 1-line block ×3, first 2 shown]
                                        ; implicit-def: $sgpr8_sgpr9
	s_branch .LBB213_32
.LBB213_30:                             ;   in Loop: Header=BB213_32 Depth=2
	s_or_b64 exec, exec, s[12:13]
	s_andn2_b64 s[8:9], s[8:9], exec
	s_and_b64 s[12:13], s[14:15], exec
	s_or_b64 s[8:9], s[8:9], s[12:13]
.LBB213_31:                             ;   in Loop: Header=BB213_32 Depth=2
	s_or_b64 exec, exec, s[10:11]
	s_and_b64 s[10:11], exec, s[8:9]
	s_or_b64 s[6:7], s[10:11], s[6:7]
	s_andn2_b64 exec, exec, s[6:7]
	s_cbranch_execz .LBB213_35
.LBB213_32:                             ;   Parent Loop BB213_7 Depth=1
                                        ; =>  This Inner Loop Header: Depth=2
	s_and_b32 s12, s1, 24
	v_or_b32_e32 v73, s12, v97
	v_add_u32_e32 v74, s96, v73
	v_cmp_gt_u32_e32 vcc, 32, v74
	s_or_b64 s[8:9], s[8:9], exec
	s_and_saveexec_b64 s[10:11], vcc
	s_cbranch_execz .LBB213_31
; %bb.33:                               ;   in Loop: Header=BB213_32 Depth=2
	s_add_i32 s13, s5, 1
	s_set_gpr_idx_on s5, gpr_idx(SRC0)
	v_mov_b32_e32 v74, v0
	s_set_gpr_idx_off
	v_cvt_f16_f32_e32 v76, v74
	s_set_gpr_idx_on s13, gpr_idx(SRC0)
	v_mov_b32_e32 v74, v0
	s_set_gpr_idx_off
	v_cvt_f16_f32_sdwa v77, v74 dst_sel:WORD_1 dst_unused:UNUSED_PAD src0_sel:DWORD
	v_mul_lo_u32 v74, v73, s21
	v_ashrrev_i32_e32 v75, 31, v74
	v_lshl_add_u64 v[74:75], v[74:75], 1, v[70:71]
	v_or_b32_e32 v73, v77, v76
	;;#ASMSTART
	global_atomic_pk_add_f16 v[74:75], v73, off
	
	;;#ASMEND
	s_set_gpr_idx_on s5, gpr_idx(SRC0)
	v_mov_b32_e32 v73, v16
	s_set_gpr_idx_off
	v_cvt_f16_f32_e32 v73, v73
	s_set_gpr_idx_on s13, gpr_idx(SRC0)
	v_mov_b32_e32 v76, v16
	s_set_gpr_idx_off
	v_cvt_f16_f32_sdwa v91, v76 dst_sel:WORD_1 dst_unused:UNUSED_PAD src0_sel:DWORD
	v_lshl_add_u64 v[76:77], v[74:75], 0, 64
	s_mov_b64 s[14:15], -1
	v_or_b32_e32 v73, v91, v73
	;;#ASMSTART
	global_atomic_pk_add_f16 v[76:77], v73, off
	
	;;#ASMEND
	s_set_gpr_idx_on s5, gpr_idx(SRC0)
	v_mov_b32_e32 v73, v32
	s_set_gpr_idx_off
	v_cvt_f16_f32_e32 v73, v73
	s_set_gpr_idx_on s13, gpr_idx(SRC0)
	v_mov_b32_e32 v76, v32
	s_set_gpr_idx_off
	v_cvt_f16_f32_sdwa v91, v76 dst_sel:WORD_1 dst_unused:UNUSED_PAD src0_sel:DWORD
	v_lshl_add_u64 v[76:77], v[74:75], 0, s[40:41]
	v_lshl_add_u64 v[74:75], v[74:75], 0, s[42:43]
	v_or_b32_e32 v73, v91, v73
	;;#ASMSTART
	global_atomic_pk_add_f16 v[76:77], v73, off
	
	;;#ASMEND
	s_set_gpr_idx_on s5, gpr_idx(SRC0)
	v_mov_b32_e32 v73, v48
	s_set_gpr_idx_off
	v_cvt_f16_f32_e32 v73, v73
	s_set_gpr_idx_on s13, gpr_idx(SRC0)
	v_mov_b32_e32 v76, v48
	s_set_gpr_idx_off
	v_cvt_f16_f32_sdwa v76, v76 dst_sel:WORD_1 dst_unused:UNUSED_PAD src0_sel:DWORD
	s_nop 0
	v_or_b32_e32 v73, v76, v73
	;;#ASMSTART
	global_atomic_pk_add_f16 v[74:75], v73, off
	
	;;#ASMEND
	v_or_b32_e32 v73, s12, v98
	v_add_u32_e32 v74, s96, v73
	v_cmp_gt_u32_e32 vcc, 32, v74
	s_and_saveexec_b64 s[12:13], vcc
	s_cbranch_execz .LBB213_30
; %bb.34:                               ;   in Loop: Header=BB213_32 Depth=2
	s_add_i32 s14, s5, 2
	s_add_i32 s15, s5, 3
	s_set_gpr_idx_on s14, gpr_idx(SRC0)
	v_mov_b32_e32 v74, v0
	s_set_gpr_idx_off
	v_cvt_f16_f32_e32 v76, v74
	s_set_gpr_idx_on s15, gpr_idx(SRC0)
	v_mov_b32_e32 v74, v0
	s_set_gpr_idx_off
	v_cvt_f16_f32_sdwa v77, v74 dst_sel:WORD_1 dst_unused:UNUSED_PAD src0_sel:DWORD
	v_mul_lo_u32 v74, v73, s21
	v_ashrrev_i32_e32 v75, 31, v74
	v_lshl_add_u64 v[74:75], v[74:75], 1, v[70:71]
	v_or_b32_e32 v73, v77, v76
	;;#ASMSTART
	global_atomic_pk_add_f16 v[74:75], v73, off
	
	;;#ASMEND
	s_set_gpr_idx_on s14, gpr_idx(SRC0)
	v_mov_b32_e32 v73, v16
	s_set_gpr_idx_off
	v_cvt_f16_f32_e32 v73, v73
	s_set_gpr_idx_on s15, gpr_idx(SRC0)
	v_mov_b32_e32 v76, v16
	s_set_gpr_idx_off
	v_cvt_f16_f32_sdwa v91, v76 dst_sel:WORD_1 dst_unused:UNUSED_PAD src0_sel:DWORD
	v_lshl_add_u64 v[76:77], v[74:75], 0, 64
	s_add_i32 s5, s5, 4
	s_add_i32 s1, s1, 8
	v_or_b32_e32 v73, v91, v73
	;;#ASMSTART
	global_atomic_pk_add_f16 v[76:77], v73, off
	
	;;#ASMEND
	s_set_gpr_idx_on s14, gpr_idx(SRC0)
	v_mov_b32_e32 v73, v32
	s_set_gpr_idx_off
	v_cvt_f16_f32_e32 v73, v73
	s_set_gpr_idx_on s15, gpr_idx(SRC0)
	v_mov_b32_e32 v76, v32
	s_set_gpr_idx_off
	v_cvt_f16_f32_sdwa v91, v76 dst_sel:WORD_1 dst_unused:UNUSED_PAD src0_sel:DWORD
	v_lshl_add_u64 v[76:77], v[74:75], 0, s[40:41]
	s_cmp_eq_u32 s5, 16
	v_lshl_add_u64 v[74:75], v[74:75], 0, s[42:43]
	v_or_b32_e32 v73, v91, v73
	;;#ASMSTART
	global_atomic_pk_add_f16 v[76:77], v73, off
	
	;;#ASMEND
	s_set_gpr_idx_on s14, gpr_idx(SRC0)
	v_mov_b32_e32 v73, v48
	s_set_gpr_idx_off
	v_cvt_f16_f32_e32 v73, v73
	s_set_gpr_idx_on s15, gpr_idx(SRC0)
	v_mov_b32_e32 v76, v48
	s_set_gpr_idx_off
	v_cvt_f16_f32_sdwa v76, v76 dst_sel:WORD_1 dst_unused:UNUSED_PAD src0_sel:DWORD
	s_cselect_b64 s[14:15], -1, 0
	s_orn2_b64 s[14:15], s[14:15], exec
	v_or_b32_e32 v73, v76, v73
	;;#ASMSTART
	global_atomic_pk_add_f16 v[74:75], v73, off
	
	;;#ASMEND
	s_branch .LBB213_30
.LBB213_35:                             ;   in Loop: Header=BB213_7 Depth=1
	s_or_b64 exec, exec, s[6:7]
	v_readlane_b32 s72, v127, 2
	v_readlane_b32 s12, v127, 0
	;; [unrolled: 1-line block ×11, first 2 shown]
.LBB213_36:                             ;   in Loop: Header=BB213_7 Depth=1
	s_or_b64 exec, exec, s[48:49]
.LBB213_37:                             ;   in Loop: Header=BB213_7 Depth=1
	s_andn2_saveexec_b64 s[2:3], s[2:3]
	s_cbranch_execz .LBB213_46
; %bb.38:                               ;   in Loop: Header=BB213_7 Depth=1
	s_lshl_b32 s5, s4, 2
	v_cmp_gt_i32_e32 vcc, s5, v100
	s_and_saveexec_b64 s[6:7], vcc
	s_cbranch_execz .LBB213_45
; %bb.39:                               ;   in Loop: Header=BB213_7 Depth=1
	s_mul_i32 s0, s0, s23
	s_ashr_i32 s1, s0, 31
	s_add_u32 s0, s74, s0
	s_addc_u32 s1, s75, s1
	s_ashr_i32 s8, s44, 31
	s_add_u32 s0, s0, s44
	s_addc_u32 s1, s1, s8
	v_lshl_add_u64 v[0:1], s[0:1], 0, v[68:69]
	v_lshl_add_u64 v[8:9], v[0:1], 0, v[66:67]
	s_mov_b64 s[0:1], 0
	s_branch .LBB213_41
.LBB213_40:                             ;   in Loop: Header=BB213_41 Depth=2
	s_or_b64 exec, exec, s[8:9]
	v_lshl_or_b32 v12, v10, 11, v94
	;;#ASMSTART
	s_waitcnt vmcnt(1)
	;;#ASMEND
	ds_write2_b32 v12, v4, v5 offset1:32
	ds_write2_b32 v12, v6, v7 offset0:64 offset1:96
	v_add_u32_e32 v4, 0x400, v12
	v_add_u32_e32 v100, s26, v100
	;;#ASMSTART
	s_waitcnt vmcnt(0)
	;;#ASMEND
	ds_write2_b32 v4, v0, v1 offset1:32
	ds_write2_b32 v4, v2, v3 offset0:64 offset1:96
	v_add_u32_e32 v0, 1, v79
	v_add_u32_e32 v72, s26, v10
	v_cmp_le_i32_e32 vcc, s5, v100
	ds_write_b32 v11, v0 offset:32
	v_add_u32_e32 v0, 2, v79
	s_or_b64 s[0:1], vcc, s[0:1]
	v_cmp_lt_i32_e32 vcc, 15, v72
	s_nop 1
	v_cndmask_b32_e32 v79, v79, v0, vcc
	s_andn2_b64 exec, exec, s[0:1]
	s_cbranch_execz .LBB213_44
.LBB213_41:                             ;   Parent Loop BB213_7 Depth=1
                                        ; =>  This Loop Header: Depth=2
                                        ;       Child Loop BB213_43 Depth 3
	v_cmp_gt_i32_e32 vcc, 16, v72
	s_nop 1
	v_cndmask_b32_e64 v0, -16, 0, vcc
	v_add_u32_e32 v10, v0, v72
	v_ashrrev_i32_e32 v0, 31, v100
	v_lshrrev_b32_e32 v0, 30, v0
	v_add_u32_e32 v0, v100, v0
	v_and_b32_e32 v1, -4, v0
	v_lshlrev_b32_e32 v0, 4, v0
	v_sub_u32_e32 v2, v100, v1
	v_and_b32_e32 v0, 0xffffffc0, v0
	v_ashrrev_i32_e32 v1, 31, v0
	v_mul_lo_u32 v2, s24, v2
	v_lshl_add_u64 v[0:1], v[8:9], 0, v[0:1]
	v_ashrrev_i32_e32 v3, 31, v2
	v_lshl_add_u64 v[0:1], v[0:1], 0, v[2:3]
	v_lshlrev_b32_e32 v11, 2, v10
	;;#ASMSTART
	global_load_dwordx4 v[4:7], v[0:1], off offset:0   sc0 sc1 nt  
	global_load_dwordx4 v[0:3], v[0:1], off offset:32  sc0 sc1 nt  
	
	;;#ASMEND
	ds_read_b32 v12, v11 offset:49184
	v_add_u32_e32 v11, 0xc000, v11
	s_waitcnt lgkmcnt(0)
	v_cmp_ne_u32_e32 vcc, v12, v79
	s_and_saveexec_b64 s[8:9], vcc
	s_cbranch_execz .LBB213_40
; %bb.42:                               ;   in Loop: Header=BB213_41 Depth=2
	s_mov_b64 s[10:11], 0
.LBB213_43:                             ;   Parent Loop BB213_7 Depth=1
                                        ;     Parent Loop BB213_41 Depth=2
                                        ; =>    This Inner Loop Header: Depth=3
	;;#ASMSTART
	s_sleep 0
	;;#ASMEND
	ds_read_b32 v12, v11 offset:32
	s_waitcnt lgkmcnt(0)
	v_cmp_eq_u32_e32 vcc, v12, v79
	s_or_b64 s[10:11], vcc, s[10:11]
	s_andn2_b64 exec, exec, s[10:11]
	s_cbranch_execnz .LBB213_43
	s_branch .LBB213_40
.LBB213_44:                             ;   in Loop: Header=BB213_7 Depth=1
	s_or_b64 exec, exec, s[0:1]
.LBB213_45:                             ;   in Loop: Header=BB213_7 Depth=1
	s_or_b64 exec, exec, s[6:7]
	v_subrev_u32_e32 v100, s5, v100
.LBB213_46:                             ;   in Loop: Header=BB213_7 Depth=1
	s_or_b64 exec, exec, s[2:3]
.LBB213_47:                             ;   in Loop: Header=BB213_7 Depth=1
	s_andn2_saveexec_b64 s[0:1], s[46:47]
	s_cbranch_execz .LBB213_6
; %bb.48:                               ;   in Loop: Header=BB213_7 Depth=1
	s_lshl_b32 s10, s4, 1
	v_cmp_gt_i32_e32 vcc, s10, v100
	s_and_saveexec_b64 s[2:3], vcc
	s_cbranch_execz .LBB213_5
; %bb.49:                               ;   in Loop: Header=BB213_7 Depth=1
	s_mul_i32 s99, s99, s22
	s_ashr_i32 s4, s99, 31
	s_add_u32 s5, s72, s99
	v_add_u32_e32 v2, s96, v80
	s_addc_u32 s6, s73, s4
	s_ashr_i32 s7, s44, 31
	v_cmp_gt_u32_e32 vcc, 64, v2
	s_add_u32 s4, s5, s44
	s_addc_u32 s5, s6, s7
	v_cndmask_b32_e32 v0, 0, v95, vcc
	v_ashrrev_i32_e32 v1, 31, v0
	v_lshl_add_u64 v[0:1], s[4:5], 0, v[0:1]
	v_lshl_add_u64 v[8:9], v[0:1], 0, v[66:67]
	v_sub_u32_e32 v10, 63, v2
	s_mov_b64 s[4:5], 0
	s_branch .LBB213_51
.LBB213_50:                             ;   in Loop: Header=BB213_51 Depth=2
	s_or_b64 exec, exec, s[6:7]
	v_lshl_add_u32 v13, v11, 11, v96
	;;#ASMSTART
	s_waitcnt vmcnt(1)
	;;#ASMEND
	ds_write2_b32 v13, v4, v5 offset1:32
	ds_write2_b32 v13, v6, v7 offset0:64 offset1:96
	v_add_u32_e32 v4, 0x400, v13
	v_add_u32_e32 v100, s25, v100
	;;#ASMSTART
	s_waitcnt vmcnt(0)
	;;#ASMEND
	ds_write2_b32 v4, v0, v1 offset1:32
	ds_write2_b32 v4, v2, v3 offset0:64 offset1:96
	v_add_u32_e32 v0, 1, v79
	v_add_u32_e32 v72, s25, v11
	v_cmp_le_i32_e32 vcc, s10, v100
	ds_write_b32 v12, v0
	v_add_u32_e32 v0, 2, v79
	s_or_b64 s[4:5], vcc, s[4:5]
	v_cmp_lt_i32_e32 vcc, 7, v72
	s_nop 1
	v_cndmask_b32_e32 v79, v79, v0, vcc
	s_andn2_b64 exec, exec, s[4:5]
	s_cbranch_execz .LBB213_4
.LBB213_51:                             ;   Parent Loop BB213_7 Depth=1
                                        ; =>  This Loop Header: Depth=2
                                        ;       Child Loop BB213_53 Depth 3
	v_cmp_gt_i32_e32 vcc, 8, v72
	s_nop 1
	v_cndmask_b32_e64 v0, -8, 0, vcc
	v_add_u32_e32 v11, v0, v72
	v_lshrrev_b32_e32 v0, 31, v100
	v_add_u32_e32 v0, v100, v0
	v_and_b32_e32 v1, 0x7fffffe, v0
	v_sub_u32_e32 v1, v100, v1
	v_lshlrev_b32_e32 v1, 5, v1
	v_cmp_le_i32_e32 vcc, v1, v10
	v_lshlrev_b32_e32 v0, 5, v0
	v_and_b32_e32 v0, 0xffffffc0, v0
	v_cndmask_b32_e32 v2, 0, v1, vcc
	v_ashrrev_i32_e32 v1, 31, v0
	v_mul_lo_u32 v2, v2, s22
	v_lshl_add_u64 v[0:1], v[8:9], 0, v[0:1]
	v_ashrrev_i32_e32 v3, 31, v2
	v_lshl_add_u64 v[0:1], v[0:1], 0, v[2:3]
	v_lshlrev_b32_e32 v12, 2, v11
	;;#ASMSTART
	global_load_dwordx4 v[4:7], v[0:1], off offset:0   
	global_load_dwordx4 v[0:3], v[0:1], off offset:32  
	
	;;#ASMEND
	ds_read_b32 v13, v12 offset:49152
	v_add_u32_e32 v12, 0xc000, v12
	s_waitcnt lgkmcnt(0)
	v_cmp_ne_u32_e32 vcc, v13, v79
	s_and_saveexec_b64 s[6:7], vcc
	s_cbranch_execz .LBB213_50
; %bb.52:                               ;   in Loop: Header=BB213_51 Depth=2
	s_mov_b64 s[8:9], 0
.LBB213_53:                             ;   Parent Loop BB213_7 Depth=1
                                        ;     Parent Loop BB213_51 Depth=2
                                        ; =>    This Inner Loop Header: Depth=3
	;;#ASMSTART
	s_sleep 0
	;;#ASMEND
	ds_read_b32 v13, v12
	s_waitcnt lgkmcnt(0)
	v_cmp_eq_u32_e32 vcc, v13, v79
	s_or_b64 s[8:9], vcc, s[8:9]
	s_andn2_b64 exec, exec, s[8:9]
	s_cbranch_execnz .LBB213_53
	s_branch .LBB213_50
.LBB213_54:
	s_endpgm
	.section	.rodata,"a",@progbits
	.p2align	6, 0x0
	.amdhsa_kernel _Z19_skinny_gemm_kernelILi2ELi4ELi4ELi32ELi4EEvPKhS1_P6__halfPKfiiiiiiii
		.amdhsa_group_segment_fixed_size 49248
		.amdhsa_private_segment_fixed_size 0
		.amdhsa_kernarg_size 64
		.amdhsa_user_sgpr_count 2
		.amdhsa_user_sgpr_dispatch_ptr 0
		.amdhsa_user_sgpr_queue_ptr 0
		.amdhsa_user_sgpr_kernarg_segment_ptr 1
		.amdhsa_user_sgpr_dispatch_id 0
		.amdhsa_user_sgpr_kernarg_preload_length 0
		.amdhsa_user_sgpr_kernarg_preload_offset 0
		.amdhsa_user_sgpr_private_segment_size 0
		.amdhsa_uses_dynamic_stack 0
		.amdhsa_enable_private_segment 0
		.amdhsa_system_sgpr_workgroup_id_x 1
		.amdhsa_system_sgpr_workgroup_id_y 0
		.amdhsa_system_sgpr_workgroup_id_z 0
		.amdhsa_system_sgpr_workgroup_info 0
		.amdhsa_system_vgpr_workitem_id 0
		.amdhsa_next_free_vgpr 128
		.amdhsa_next_free_sgpr 100
		.amdhsa_accum_offset 128
		.amdhsa_reserve_vcc 1
		.amdhsa_float_round_mode_32 0
		.amdhsa_float_round_mode_16_64 0
		.amdhsa_float_denorm_mode_32 3
		.amdhsa_float_denorm_mode_16_64 3
		.amdhsa_dx10_clamp 1
		.amdhsa_ieee_mode 1
		.amdhsa_fp16_overflow 0
		.amdhsa_tg_split 0
		.amdhsa_exception_fp_ieee_invalid_op 0
		.amdhsa_exception_fp_denorm_src 0
		.amdhsa_exception_fp_ieee_div_zero 0
		.amdhsa_exception_fp_ieee_overflow 0
		.amdhsa_exception_fp_ieee_underflow 0
		.amdhsa_exception_fp_ieee_inexact 0
		.amdhsa_exception_int_div_zero 0
	.end_amdhsa_kernel
	.section	.text._Z19_skinny_gemm_kernelILi2ELi4ELi4ELi32ELi4EEvPKhS1_P6__halfPKfiiiiiiii,"axG",@progbits,_Z19_skinny_gemm_kernelILi2ELi4ELi4ELi32ELi4EEvPKhS1_P6__halfPKfiiiiiiii,comdat
.Lfunc_end213:
	.size	_Z19_skinny_gemm_kernelILi2ELi4ELi4ELi32ELi4EEvPKhS1_P6__halfPKfiiiiiiii, .Lfunc_end213-_Z19_skinny_gemm_kernelILi2ELi4ELi4ELi32ELi4EEvPKhS1_P6__halfPKfiiiiiiii
                                        ; -- End function
	.set _Z19_skinny_gemm_kernelILi2ELi4ELi4ELi32ELi4EEvPKhS1_P6__halfPKfiiiiiiii.num_vgpr, 128
	.set _Z19_skinny_gemm_kernelILi2ELi4ELi4ELi32ELi4EEvPKhS1_P6__halfPKfiiiiiiii.num_agpr, 0
	.set _Z19_skinny_gemm_kernelILi2ELi4ELi4ELi32ELi4EEvPKhS1_P6__halfPKfiiiiiiii.numbered_sgpr, 100
	.set _Z19_skinny_gemm_kernelILi2ELi4ELi4ELi32ELi4EEvPKhS1_P6__halfPKfiiiiiiii.num_named_barrier, 0
	.set _Z19_skinny_gemm_kernelILi2ELi4ELi4ELi32ELi4EEvPKhS1_P6__halfPKfiiiiiiii.private_seg_size, 0
	.set _Z19_skinny_gemm_kernelILi2ELi4ELi4ELi32ELi4EEvPKhS1_P6__halfPKfiiiiiiii.uses_vcc, 1
	.set _Z19_skinny_gemm_kernelILi2ELi4ELi4ELi32ELi4EEvPKhS1_P6__halfPKfiiiiiiii.uses_flat_scratch, 0
	.set _Z19_skinny_gemm_kernelILi2ELi4ELi4ELi32ELi4EEvPKhS1_P6__halfPKfiiiiiiii.has_dyn_sized_stack, 0
	.set _Z19_skinny_gemm_kernelILi2ELi4ELi4ELi32ELi4EEvPKhS1_P6__halfPKfiiiiiiii.has_recursion, 0
	.set _Z19_skinny_gemm_kernelILi2ELi4ELi4ELi32ELi4EEvPKhS1_P6__halfPKfiiiiiiii.has_indirect_call, 0
	.section	.AMDGPU.csdata,"",@progbits
; Kernel info:
; codeLenInByte = 14144
; TotalNumSgprs: 106
; NumVgprs: 128
; NumAgprs: 0
; TotalNumVgprs: 128
; ScratchSize: 0
; MemoryBound: 0
; FloatMode: 240
; IeeeMode: 1
; LDSByteSize: 49248 bytes/workgroup (compile time only)
; SGPRBlocks: 13
; VGPRBlocks: 15
; NumSGPRsForWavesPerEU: 106
; NumVGPRsForWavesPerEU: 128
; AccumOffset: 128
; Occupancy: 4
; WaveLimiterHint : 0
; COMPUTE_PGM_RSRC2:SCRATCH_EN: 0
; COMPUTE_PGM_RSRC2:USER_SGPR: 2
; COMPUTE_PGM_RSRC2:TRAP_HANDLER: 0
; COMPUTE_PGM_RSRC2:TGID_X_EN: 1
; COMPUTE_PGM_RSRC2:TGID_Y_EN: 0
; COMPUTE_PGM_RSRC2:TGID_Z_EN: 0
; COMPUTE_PGM_RSRC2:TIDIG_COMP_CNT: 0
; COMPUTE_PGM_RSRC3_GFX90A:ACCUM_OFFSET: 31
; COMPUTE_PGM_RSRC3_GFX90A:TG_SPLIT: 0
	.section	.text._Z19_skinny_gemm_kernelILi2ELi4ELi5ELi16ELi4EEvPKhS1_P6__halfPKfiiiiiiii,"axG",@progbits,_Z19_skinny_gemm_kernelILi2ELi4ELi5ELi16ELi4EEvPKhS1_P6__halfPKfiiiiiiii,comdat
	.protected	_Z19_skinny_gemm_kernelILi2ELi4ELi5ELi16ELi4EEvPKhS1_P6__halfPKfiiiiiiii ; -- Begin function _Z19_skinny_gemm_kernelILi2ELi4ELi5ELi16ELi4EEvPKhS1_P6__halfPKfiiiiiiii
	.globl	_Z19_skinny_gemm_kernelILi2ELi4ELi5ELi16ELi4EEvPKhS1_P6__halfPKfiiiiiiii
	.p2align	8
	.type	_Z19_skinny_gemm_kernelILi2ELi4ELi5ELi16ELi4EEvPKhS1_P6__halfPKfiiiiiiii,@function
_Z19_skinny_gemm_kernelILi2ELi4ELi5ELi16ELi4EEvPKhS1_P6__halfPKfiiiiiiii: ; @_Z19_skinny_gemm_kernelILi2ELi4ELi5ELi16ELi4EEvPKhS1_P6__halfPKfiiiiiiii
; %bb.0:
	v_cmp_gt_u32_e32 vcc, 30, v0
	v_lshlrev_b32_e32 v1, 2, v0
	s_and_saveexec_b64 s[4:5], vcc
; %bb.1:
	v_mov_b32_e32 v2, 0
	ds_write_b32 v1, v2 offset:61440
; %bb.2:
	s_or_b64 exec, exec, s[4:5]
	s_load_dwordx8 s[20:27], s[0:1], 0x20
	s_waitcnt lgkmcnt(0)
	s_barrier
	s_add_i32 s3, s20, 31
	s_ashr_i32 s5, s3, 31
	s_add_i32 s4, s21, 63
	s_lshr_b32 s5, s5, 27
	s_ashr_i32 s6, s4, 31
	s_add_i32 s3, s3, s5
	s_ashr_i32 s33, s3, 5
	s_lshr_b32 s3, s6, 26
	s_add_i32 s4, s4, s3
	s_ashr_i32 s52, s4, 6
	s_mul_i32 s3, s52, s33
	s_mul_i32 s3, s3, s24
	s_add_i32 s4, s3, 0x12f
	s_mul_hi_i32 s4, s4, 0x6bca1af3
	s_lshr_b32 s5, s4, 31
	s_ashr_i32 s4, s4, 7
	s_add_i32 s4, s4, s5
	s_add_i32 s5, s2, 1
	s_mul_i32 s5, s4, s5
	v_cvt_f64_i32_e32 v[2:3], s3
	v_cvt_f64_u32_e32 v[4:5], s5
	v_min_f64 v[2:3], v[2:3], v[4:5]
	v_cvt_i32_f64_e32 v33, v[2:3]
	s_mul_i32 s53, s4, s2
	v_cmp_ge_i32_e32 vcc, s53, v33
	s_cbranch_vccnz .LBB214_56
; %bb.3:
	v_lshrrev_b32_e32 v2, 6, v0
	s_add_i32 s4, s26, s25
	s_load_dwordx8 s[36:43], s[0:1], 0x0
	v_cmp_le_i32_e64 s[0:1], s4, v2
	v_mov_b32_e32 v3, s25
	v_cmp_le_i32_e64 s[2:3], s25, v2
	v_mov_b32_e32 v4, s26
	v_cndmask_b32_e64 v4, 0, v4, s[0:1]
	v_cndmask_b32_e64 v3, 0, v3, s[2:3]
	s_abs_i32 s5, s24
	v_add_u32_e32 v3, v3, v4
	v_cvt_f32_u32_e32 v4, s5
	v_sub_u32_e32 v44, v2, v3
	s_ashr_i32 s6, s22, 31
	s_lshr_b32 s6, s6, 25
	v_rcp_iflag_f32_e32 v3, v4
	s_sub_i32 s9, 0, s5
	s_add_i32 s6, s22, s6
	s_ashr_i32 s6, s6, 7
	v_mul_f32_e32 v3, 0x4f7ffffe, v3
	v_cvt_u32_f32_e32 v3, v3
	s_abs_i32 s8, s6
	s_xor_b32 s7, s6, s24
	s_ashr_i32 s7, s7, 31
	v_readfirstlane_b32 s10, v3
	s_mul_i32 s9, s9, s10
	s_mul_hi_u32 s9, s10, s9
	s_add_i32 s10, s10, s9
	s_mul_hi_u32 s9, s8, s10
	s_mul_i32 s10, s9, s5
	s_sub_i32 s8, s8, s10
	s_add_i32 s10, s9, 1
	s_sub_i32 s11, s8, s5
	s_cmp_ge_u32 s8, s5
	s_cselect_b32 s9, s10, s9
	s_cselect_b32 s8, s11, s8
	s_add_i32 s10, s9, 1
	s_cmp_ge_u32 s8, s5
	s_cselect_b32 s5, s10, s9
	s_xor_b32 s5, s5, s7
	s_sub_i32 s54, s5, s7
	s_add_i32 s24, s24, -1
	s_mul_i32 s5, s54, s24
	s_add_i32 s4, s4, s27
	s_sub_i32 s55, s6, s5
	v_cmp_gt_i32_e64 s[4:5], s4, v2
	v_lshlrev_b32_e32 v2, 1, v0
	v_lshlrev_b32_e32 v3, 4, v0
	v_and_b32_e32 v1, 60, v1
	v_and_b32_e32 v2, 64, v2
	;; [unrolled: 1-line block ×3, first 2 shown]
	v_or3_b32 v65, v1, v2, v4
	v_and_b32_e32 v1, 1, v0
	v_lshrrev_b32_e32 v4, 2, v0
	s_abs_i32 s56, s33
	v_and_or_b32 v72, v4, 12, v1
	v_cvt_f32_u32_e32 v4, s56
	v_lshlrev_b32_e32 v2, 1, v1
	v_and_b32_e32 v32, 14, v0
	v_sub_u32_e32 v2, v0, v2
	v_bitop3_b32 v67, v0, 1, v0 bitop3:0xc
	v_bitop3_b32 v68, v0, 3, 1 bitop3:0x6c
	v_and_b32_e32 v38, 48, v3
	v_bfe_u32 v74, v0, 2, 4
	v_and_b32_e32 v1, 60, v0
	v_lshlrev_b32_e32 v3, 8, v0
	v_lshlrev_b32_e32 v0, 6, v0
	v_and_b32_e32 v3, 0x200, v3
	v_and_b32_e32 v0, 64, v0
	v_or3_b32 v75, v1, v3, v0
	v_rcp_iflag_f32_e32 v0, v4
	s_abs_i32 s58, s52
	v_cvt_f32_u32_e32 v1, s58
	v_mad_u64_u32 v[34:35], s[6:7], s21, v72, v[32:33]
	v_mul_f32_e32 v0, 0x4f7ffffe, v0
	v_cvt_u32_f32_e32 v0, v0
	v_rcp_iflag_f32_e32 v1, v1
	s_sub_i32 s6, 0, s56
	v_add_u32_e32 v2, 1, v2
	v_readfirstlane_b32 s7, v0
	v_mul_f32_e32 v0, 0x4f7ffffe, v1
	v_cvt_u32_f32_e32 v0, v0
	s_mul_i32 s6, s6, s7
	s_mul_hi_u32 s6, s7, s6
	s_add_i32 s60, s7, s6
	s_sub_i32 s6, 0, s58
	v_readfirstlane_b32 s7, v0
	v_mbcnt_lo_u32_b32 v0, -1, 0
	v_and_b32_e32 v2, 63, v2
	s_mul_i32 s6, s6, s7
	v_mbcnt_hi_u32_b32 v0, -1, v0
	v_lshl_add_u32 v36, s21, 4, v34
	v_mul_lo_u32 v40, s23, v74
	s_mul_hi_u32 s6, s7, s6
	v_and_or_b32 v0, v0, 64, v2
	v_cndmask_b32_e64 v64, 0, 1, s[0:1]
	v_or_b32_e32 v66, 0xa000, v65
	s_ashr_i32 s29, s21, 31
	s_mov_b32 s28, s21
	v_or_b32_e32 v69, 16, v32
	v_or_b32_e32 v70, 32, v32
	;; [unrolled: 1-line block ×3, first 2 shown]
	v_ashrrev_i32_e32 v35, 31, v34
	v_or_b32_e32 v73, 16, v72
	v_ashrrev_i32_e32 v37, 31, v36
	v_ashrrev_i32_e32 v41, 31, v40
	v_mov_b32_e32 v39, 0
	s_lshl_b32 s57, s23, 4
	v_mul_lo_u32 v76, s22, v74
	v_or_b32_e32 v77, 0xa000, v75
	s_ashr_i32 s59, s33, 31
	s_ashr_i32 s61, s52, 31
	s_add_i32 s62, s7, s6
	s_mov_b64 s[30:31], 0x60
	v_lshlrev_b32_e32 v78, 2, v0
	v_not_b32_e32 v79, 19
	v_mov_b32_e32 v80, v44
	s_branch .LBB214_7
.LBB214_4:                              ;   in Loop: Header=BB214_7 Depth=1
	s_or_b64 exec, exec, s[10:11]
.LBB214_5:                              ;   in Loop: Header=BB214_7 Depth=1
	s_or_b64 exec, exec, s[8:9]
	v_subrev_u32_e32 v80, s16, v80
.LBB214_6:                              ;   in Loop: Header=BB214_7 Depth=1
	s_or_b64 exec, exec, s[6:7]
	s_add_i32 s53, s53, 1
	v_cmp_ge_i32_e32 vcc, s53, v33
	s_cbranch_vccnz .LBB214_56
.LBB214_7:                              ; =>This Loop Header: Depth=1
                                        ;     Child Loop BB214_13 Depth 2
                                        ;       Child Loop BB214_15 Depth 3
                                        ;       Child Loop BB214_18 Depth 3
	;; [unrolled: 1-line block ×6, first 2 shown]
                                        ;     Child Loop BB214_43 Depth 2
                                        ;       Child Loop BB214_45 Depth 3
                                        ;     Child Loop BB214_53 Depth 2
                                        ;       Child Loop BB214_55 Depth 3
	s_abs_i32 s7, s53
	s_mul_hi_u32 s8, s7, s60
	s_mul_i32 s9, s8, s56
	s_ashr_i32 s6, s53, 31
	s_sub_i32 s7, s7, s9
	s_xor_b32 s6, s6, s59
	s_add_i32 s9, s8, 1
	s_sub_i32 s10, s7, s56
	s_cmp_ge_u32 s7, s56
	s_cselect_b32 s8, s9, s8
	s_cselect_b32 s7, s10, s7
	s_add_i32 s9, s8, 1
	s_cmp_ge_u32 s7, s56
	s_cselect_b32 s7, s9, s8
	s_xor_b32 s7, s7, s6
	s_sub_i32 s6, s7, s6
	s_abs_i32 s8, s6
	s_mul_i32 s7, s6, s33
	s_mul_hi_u32 s9, s8, s62
	s_sub_i32 s7, s53, s7
	s_mul_i32 s10, s9, s58
	s_lshl_b32 s63, s7, 5
	s_ashr_i32 s7, s6, 31
	s_sub_i32 s8, s8, s10
	s_xor_b32 s7, s7, s61
	s_add_i32 s10, s9, 1
	s_sub_i32 s11, s8, s58
	s_cmp_ge_u32 s8, s58
	s_cselect_b32 s9, s10, s9
	s_cselect_b32 s8, s11, s8
	s_add_i32 s10, s9, 1
	s_cmp_ge_u32 s8, s58
	s_cselect_b32 s8, s10, s9
	s_xor_b32 s8, s8, s7
	s_sub_i32 s7, s8, s7
	s_mul_i32 s8, s7, s54
	s_lshl_b32 s64, s8, 7
	s_cmp_eq_u32 s7, s24
	s_cselect_b32 s66, s55, s54
	s_sub_i32 s8, s63, s20
	s_add_i32 s8, s8, 32
	s_max_i32 s65, s8, 0
	s_and_saveexec_b64 s[8:9], s[2:3]
	s_xor_b64 s[34:35], exec, s[8:9]
	s_cbranch_execz .LBB214_49
; %bb.8:                                ;   in Loop: Header=BB214_7 Depth=1
	s_mul_i32 s7, s7, s52
	s_sub_i32 s6, s6, s7
	s_lshl_b32 s6, s6, 6
	s_sub_i32 s45, s6, s21
	s_add_i32 s45, s45, 64
	s_max_i32 s7, s45, 0
	s_sub_i32 s44, s6, s7
	s_and_saveexec_b64 s[6:7], s[0:1]
	s_xor_b64 s[46:47], exec, s[6:7]
	s_cbranch_execz .LBB214_39
; %bb.9:                                ;   in Loop: Header=BB214_7 Depth=1
	s_and_saveexec_b64 s[48:49], s[4:5]
	s_cbranch_execz .LBB214_38
; %bb.10:                               ;   in Loop: Header=BB214_7 Depth=1
	s_waitcnt lgkmcnt(0)
	global_load_dword v81, v39, s[42:43]
	v_mov_b32_e32 v31, 0
	v_cmp_gt_i32_e32 vcc, s66, v80
	v_mov_b32_e32 v30, v31
	v_mov_b32_e32 v29, v31
	;; [unrolled: 1-line block ×31, first 2 shown]
	s_and_saveexec_b64 s[6:7], vcc
	s_cbranch_execz .LBB214_32
; %bb.11:                               ;   in Loop: Header=BB214_7 Depth=1
	v_mov_b32_e32 v4, 0
	s_mov_b64 s[8:9], 0
	v_mov_b32_e32 v5, v4
	v_mov_b32_e32 v6, v4
	;; [unrolled: 1-line block ×31, first 2 shown]
	s_branch .LBB214_13
.LBB214_12:                             ;   in Loop: Header=BB214_13 Depth=2
	s_or_b64 exec, exec, s[10:11]
	v_add_u32_e32 v59, 0x1800, v58
	ds_read2_b32 v[60:61], v59 offset1:32
	v_add_u32_e32 v62, 0x1c00, v58
	v_add_u32_e32 v80, s27, v80
	s_waitcnt lgkmcnt(0)
	v_mfma_f32_16x16x32_fp8_fp8 v[16:19], v[42:43], v[60:61], v[16:19]
	ds_read2_b32 v[42:43], v59 offset0:128 offset1:160
	ds_read2_b32 v[58:59], v62 offset1:32
	v_mfma_f32_16x16x32_fp8_fp8 v[4:7], v[52:53], v[60:61], v[4:7]
	s_waitcnt lgkmcnt(1)
	v_mfma_f32_16x16x32_fp8_fp8 v[16:19], v[44:45], v[42:43], v[16:19]
	v_add_u32_e32 v44, s27, v82
	v_cmp_lt_i32_e32 vcc, 4, v44
	v_mfma_f32_16x16x32_fp8_fp8 v[4:7], v[54:55], v[42:43], v[4:7]
	v_add_u32_e32 v42, 2, v64
	v_cndmask_b32_e32 v64, v64, v42, vcc
	v_cmp_le_i32_e32 vcc, s66, v80
	s_waitcnt lgkmcnt(0)
	v_mfma_f32_16x16x32_fp8_fp8 v[16:19], v[46:47], v[58:59], v[16:19]
	ds_read2_b32 v[46:47], v62 offset0:128 offset1:160
	s_or_b64 s[8:9], vcc, s[8:9]
	;;#ASMSTART
	s_waitcnt lgkmcnt(0)
	;;#ASMEND
	v_mfma_f32_16x16x32_fp8_fp8 v[4:7], v[56:57], v[58:59], v[4:7]
	ds_write_b32 v83, v84 offset:61492
	s_waitcnt lgkmcnt(1)
	v_mfma_f32_16x16x32_fp8_fp8 v[16:19], v[48:49], v[46:47], v[16:19]
	v_mfma_f32_16x16x32_fp8_fp8 v[4:7], v[50:51], v[46:47], v[4:7]
	s_andn2_b64 exec, exec, s[8:9]
	s_cbranch_execz .LBB214_31
.LBB214_13:                             ;   Parent Loop BB214_7 Depth=1
                                        ; =>  This Loop Header: Depth=2
                                        ;       Child Loop BB214_15 Depth 3
                                        ;       Child Loop BB214_18 Depth 3
	;; [unrolled: 1-line block ×6, first 2 shown]
	v_cmp_gt_i32_e32 vcc, 5, v44
	s_nop 1
	v_cndmask_b32_e64 v42, -5, 0, vcc
	v_add_u32_e32 v82, v42, v44
	v_lshlrev_b32_e32 v83, 4, v82
	ds_read_b32 v42, v83 offset:61480
	s_waitcnt lgkmcnt(0)
	v_cmp_ne_u32_e32 vcc, v42, v64
	s_and_saveexec_b64 s[10:11], vcc
	s_cbranch_execz .LBB214_16
; %bb.14:                               ;   in Loop: Header=BB214_13 Depth=2
	s_mov_b64 s[12:13], 0
.LBB214_15:                             ;   Parent Loop BB214_7 Depth=1
                                        ;     Parent Loop BB214_13 Depth=2
                                        ; =>    This Inner Loop Header: Depth=3
	;;#ASMSTART
	s_sleep 0
	;;#ASMEND
	ds_read_b32 v42, v83 offset:61480
	s_waitcnt lgkmcnt(0)
	v_cmp_eq_u32_e32 vcc, v42, v64
	s_or_b64 s[12:13], vcc, s[12:13]
	s_andn2_b64 exec, exec, s[12:13]
	s_cbranch_execnz .LBB214_15
.LBB214_16:                             ;   in Loop: Header=BB214_13 Depth=2
	s_or_b64 exec, exec, s[10:11]
	v_lshlrev_b32_e32 v85, 13, v82
	v_or_b32_e32 v42, v65, v85
	ds_read2_b32 v[50:51], v42 offset1:32
	ds_read2_b32 v[58:59], v42 offset0:128 offset1:160
	v_add_u32_e32 v42, 0x400, v42
	v_add_u32_e32 v84, 1, v64
	ds_read2_b32 v[62:63], v42 offset1:32
	ds_read2_b32 v[60:61], v42 offset0:128 offset1:160
	;;#ASMSTART
	s_waitcnt lgkmcnt(0)
	;;#ASMEND
	ds_write_b32 v83, v84 offset:61480
	v_lshlrev_b32_e32 v86, 3, v82
	ds_read_b32 v42, v86 offset:61440
	s_waitcnt lgkmcnt(0)
	v_cmp_ne_u32_e32 vcc, v42, v64
	s_and_saveexec_b64 s[10:11], vcc
	s_cbranch_execz .LBB214_19
; %bb.17:                               ;   in Loop: Header=BB214_13 Depth=2
	s_mov_b64 s[12:13], 0
.LBB214_18:                             ;   Parent Loop BB214_7 Depth=1
                                        ;     Parent Loop BB214_13 Depth=2
                                        ; =>    This Inner Loop Header: Depth=3
	;;#ASMSTART
	s_sleep 0
	;;#ASMEND
	ds_read_b32 v42, v86 offset:61440
	s_waitcnt lgkmcnt(0)
	v_cmp_eq_u32_e32 vcc, v42, v64
	s_or_b64 s[12:13], vcc, s[12:13]
	s_andn2_b64 exec, exec, s[12:13]
	s_cbranch_execnz .LBB214_18
.LBB214_19:                             ;   in Loop: Header=BB214_13 Depth=2
	s_or_b64 exec, exec, s[10:11]
	v_lshlrev_b32_e32 v42, 12, v82
	v_add_u32_e32 v56, v66, v42
	ds_read2_b32 v[42:43], v56 offset1:32
	ds_read2_b32 v[44:45], v56 offset0:128 offset1:160
	v_add_u32_e32 v48, 0x400, v56
	ds_read2_b32 v[46:47], v48 offset1:32
	ds_read2_b32 v[48:49], v48 offset0:128 offset1:160
	ds_read_b32 v52, v86 offset:61444
	ds_write_b32 v86, v84 offset:61440
	s_waitcnt lgkmcnt(5)
	v_mfma_f32_16x16x32_fp8_fp8 v[28:31], v[42:43], v[50:51], v[28:31]
	s_waitcnt lgkmcnt(1)
	v_cmp_ne_u32_e32 vcc, v52, v64
	v_mfma_f32_16x16x32_fp8_fp8 v[28:31], v[44:45], v[58:59], v[28:31]
	v_mfma_f32_16x16x32_fp8_fp8 v[28:31], v[46:47], v[62:63], v[28:31]
	;; [unrolled: 1-line block ×3, first 2 shown]
	s_and_saveexec_b64 s[10:11], vcc
	s_cbranch_execz .LBB214_22
; %bb.20:                               ;   in Loop: Header=BB214_13 Depth=2
	s_mov_b64 s[12:13], 0
.LBB214_21:                             ;   Parent Loop BB214_7 Depth=1
                                        ;     Parent Loop BB214_13 Depth=2
                                        ; =>    This Inner Loop Header: Depth=3
	;;#ASMSTART
	s_sleep 0
	;;#ASMEND
	ds_read_b32 v52, v86 offset:61444
	s_waitcnt lgkmcnt(0)
	v_cmp_eq_u32_e32 vcc, v52, v64
	s_or_b64 s[12:13], vcc, s[12:13]
	s_andn2_b64 exec, exec, s[12:13]
	s_cbranch_execnz .LBB214_21
.LBB214_22:                             ;   in Loop: Header=BB214_13 Depth=2
	s_or_b64 exec, exec, s[10:11]
	v_add_u32_e32 v54, 0x800, v56
	ds_read2_b32 v[52:53], v54 offset1:32
	ds_read2_b32 v[54:55], v54 offset0:128 offset1:160
	v_add_u32_e32 v87, 0xc00, v56
	ds_read2_b32 v[56:57], v87 offset1:32
	ds_write_b32 v86, v84 offset:61444
	s_waitcnt lgkmcnt(3)
	v_mfma_f32_16x16x32_fp8_fp8 v[12:15], v[52:53], v[50:51], v[12:15]
	ds_read2_b32 v[50:51], v87 offset0:128 offset1:160
	s_waitcnt lgkmcnt(3)
	v_mfma_f32_16x16x32_fp8_fp8 v[12:15], v[54:55], v[58:59], v[12:15]
	ds_read_b32 v58, v83 offset:61484
	s_waitcnt lgkmcnt(0)
	v_cmp_ne_u32_e32 vcc, v58, v64
	v_mfma_f32_16x16x32_fp8_fp8 v[12:15], v[56:57], v[62:63], v[12:15]
	v_mfma_f32_16x16x32_fp8_fp8 v[12:15], v[50:51], v[60:61], v[12:15]
	s_and_saveexec_b64 s[10:11], vcc
	s_cbranch_execz .LBB214_25
; %bb.23:                               ;   in Loop: Header=BB214_13 Depth=2
	s_mov_b64 s[12:13], 0
.LBB214_24:                             ;   Parent Loop BB214_7 Depth=1
                                        ;     Parent Loop BB214_13 Depth=2
                                        ; =>    This Inner Loop Header: Depth=3
	;;#ASMSTART
	s_sleep 0
	;;#ASMEND
	ds_read_b32 v58, v83 offset:61484
	s_waitcnt lgkmcnt(0)
	v_cmp_eq_u32_e32 vcc, v58, v64
	s_or_b64 s[12:13], vcc, s[12:13]
	s_andn2_b64 exec, exec, s[12:13]
	s_cbranch_execnz .LBB214_24
.LBB214_25:                             ;   in Loop: Header=BB214_13 Depth=2
	s_or_b64 exec, exec, s[10:11]
	v_add_u32_e32 v58, v65, v85
	v_add_u32_e32 v59, 0x800, v58
	ds_read2_b32 v[60:61], v59 offset1:32
	s_waitcnt lgkmcnt(0)
	v_mfma_f32_16x16x32_fp8_fp8 v[24:27], v[42:43], v[60:61], v[24:27]
	v_mfma_f32_16x16x32_fp8_fp8 v[8:11], v[52:53], v[60:61], v[8:11]
	ds_read2_b32 v[60:61], v59 offset0:128 offset1:160
	v_add_u32_e32 v59, 0xc00, v58
	ds_read2_b32 v[62:63], v59 offset1:32
	s_waitcnt lgkmcnt(1)
	v_mfma_f32_16x16x32_fp8_fp8 v[24:27], v[44:45], v[60:61], v[24:27]
	ds_read2_b32 v[86:87], v59 offset0:128 offset1:160
	;;#ASMSTART
	s_waitcnt lgkmcnt(0)
	;;#ASMEND
	ds_read_b32 v59, v83 offset:61488
	v_mfma_f32_16x16x32_fp8_fp8 v[8:11], v[54:55], v[60:61], v[8:11]
	ds_write_b32 v83, v84 offset:61484
	s_waitcnt lgkmcnt(1)
	v_cmp_ne_u32_e32 vcc, v59, v64
	v_mfma_f32_16x16x32_fp8_fp8 v[24:27], v[46:47], v[62:63], v[24:27]
	v_mfma_f32_16x16x32_fp8_fp8 v[8:11], v[56:57], v[62:63], v[8:11]
	;; [unrolled: 1-line block ×4, first 2 shown]
	s_and_saveexec_b64 s[10:11], vcc
	s_cbranch_execz .LBB214_28
; %bb.26:                               ;   in Loop: Header=BB214_13 Depth=2
	s_mov_b64 s[12:13], 0
.LBB214_27:                             ;   Parent Loop BB214_7 Depth=1
                                        ;     Parent Loop BB214_13 Depth=2
                                        ; =>    This Inner Loop Header: Depth=3
	;;#ASMSTART
	s_sleep 0
	;;#ASMEND
	ds_read_b32 v59, v83 offset:61488
	s_waitcnt lgkmcnt(0)
	v_cmp_eq_u32_e32 vcc, v59, v64
	s_or_b64 s[12:13], vcc, s[12:13]
	s_andn2_b64 exec, exec, s[12:13]
	s_cbranch_execnz .LBB214_27
.LBB214_28:                             ;   in Loop: Header=BB214_13 Depth=2
	s_or_b64 exec, exec, s[10:11]
	v_add_u32_e32 v59, 0x1000, v58
	ds_read2_b32 v[60:61], v59 offset1:32
	ds_read2_b32 v[62:63], v59 offset0:128 offset1:160
	v_add_u32_e32 v59, 0x1400, v58
	ds_read2_b32 v[86:87], v59 offset1:32
	ds_read2_b32 v[88:89], v59 offset0:128 offset1:160
	s_waitcnt lgkmcnt(3)
	v_mfma_f32_16x16x32_fp8_fp8 v[20:23], v[42:43], v[60:61], v[20:23]
	;;#ASMSTART
	s_waitcnt lgkmcnt(0)
	;;#ASMEND
	ds_read_b32 v59, v83 offset:61492
	ds_write_b32 v83, v84 offset:61488
	v_mfma_f32_16x16x32_fp8_fp8 v[0:3], v[52:53], v[60:61], v[0:3]
	s_waitcnt lgkmcnt(1)
	v_cmp_ne_u32_e32 vcc, v59, v64
	v_mfma_f32_16x16x32_fp8_fp8 v[20:23], v[44:45], v[62:63], v[20:23]
	v_mfma_f32_16x16x32_fp8_fp8 v[0:3], v[54:55], v[62:63], v[0:3]
	;; [unrolled: 1-line block ×6, first 2 shown]
	s_and_saveexec_b64 s[10:11], vcc
	s_cbranch_execz .LBB214_12
; %bb.29:                               ;   in Loop: Header=BB214_13 Depth=2
	s_mov_b64 s[12:13], 0
.LBB214_30:                             ;   Parent Loop BB214_7 Depth=1
                                        ;     Parent Loop BB214_13 Depth=2
                                        ; =>    This Inner Loop Header: Depth=3
	;;#ASMSTART
	s_sleep 0
	;;#ASMEND
	ds_read_b32 v59, v83 offset:61492
	s_waitcnt lgkmcnt(0)
	v_cmp_eq_u32_e32 vcc, v59, v64
	s_or_b64 s[12:13], vcc, s[12:13]
	s_andn2_b64 exec, exec, s[12:13]
	s_cbranch_execnz .LBB214_30
	s_branch .LBB214_12
.LBB214_31:                             ;   in Loop: Header=BB214_7 Depth=1
	s_or_b64 exec, exec, s[8:9]
.LBB214_32:                             ;   in Loop: Header=BB214_7 Depth=1
	s_or_b64 exec, exec, s[6:7]
	v_cmp_le_i32_e32 vcc, s45, v32
	v_cmp_eq_u32_e64 s[6:7], 2, v67
	v_cmp_eq_u32_e64 s[8:9], 3, v67
	s_waitcnt vmcnt(0)
	v_cndmask_b32_e32 v42, 0, v81, vcc
	v_pk_mul_f32 v[28:29], v[42:43], v[28:29] op_sel_hi:[0,1]
	v_cmp_eq_u32_e32 vcc, 1, v67
	v_pk_mul_f32 v[46:47], v[42:43], v[30:31] op_sel_hi:[0,1]
	v_cmp_eq_u32_e64 s[10:11], 0, v67
	v_cndmask_b32_e32 v30, v28, v29, vcc
	v_cndmask_b32_e64 v30, v30, v46, s[6:7]
	v_cndmask_b32_e64 v30, v30, v47, s[8:9]
	ds_bpermute_b32 v43, v78, v30
	v_cmp_le_i32_e64 s[14:15], s45, v69
	v_cmp_le_i32_e64 s[18:19], s45, v70
	v_cmp_eq_u32_e64 s[12:13], 1, v68
	v_cmp_eq_u32_e64 s[16:17], 3, v68
	s_waitcnt lgkmcnt(0)
	v_cndmask_b32_e64 v30, v47, v43, s[8:9]
	v_cndmask_b32_e64 v31, v46, v43, s[6:7]
	v_cndmask_b32_e32 v29, v29, v43, vcc
	v_cndmask_b32_e64 v43, v28, v43, s[10:11]
	v_cndmask_b32_e64 v28, 0, v81, s[14:15]
	v_pk_mul_f32 v[24:25], v[28:29], v[24:25] op_sel_hi:[0,1]
	v_pk_mul_f32 v[46:47], v[28:29], v[26:27] op_sel_hi:[0,1]
	v_cndmask_b32_e32 v26, v24, v25, vcc
	v_cndmask_b32_e64 v26, v26, v46, s[6:7]
	v_cndmask_b32_e64 v26, v26, v47, s[8:9]
	ds_bpermute_b32 v48, v78, v26
	v_cndmask_b32_e64 v45, v43, v29, s[12:13]
	v_cmp_eq_u32_e64 s[14:15], 2, v68
	s_waitcnt lgkmcnt(0)
	v_cndmask_b32_e32 v25, v25, v48, vcc
	v_cndmask_b32_e64 v49, v24, v48, s[10:11]
	v_cndmask_b32_e64 v24, 0, v81, s[18:19]
	v_pk_mul_f32 v[20:21], v[24:25], v[20:21] op_sel_hi:[0,1]
	v_cndmask_b32_e64 v26, v45, v31, s[14:15]
	v_cndmask_b32_e64 v27, v47, v48, s[8:9]
	;; [unrolled: 1-line block ×3, first 2 shown]
	v_pk_mul_f32 v[46:47], v[24:25], v[22:23] op_sel_hi:[0,1]
	v_cndmask_b32_e32 v22, v20, v21, vcc
	v_cndmask_b32_e64 v22, v22, v46, s[6:7]
	v_cndmask_b32_e64 v22, v22, v47, s[8:9]
	ds_bpermute_b32 v48, v78, v22
	v_cmp_le_i32_e64 s[18:19], s45, v71
	v_cndmask_b32_e64 v22, v49, v25, s[12:13]
	v_cndmask_b32_e64 v22, v22, v45, s[14:15]
	;; [unrolled: 1-line block ×3, first 2 shown]
	s_waitcnt lgkmcnt(0)
	v_cndmask_b32_e64 v51, v20, v48, s[10:11]
	v_cndmask_b32_e64 v20, 0, v81, s[18:19]
	v_pk_mul_f32 v[54:55], v[20:21], v[16:17] op_sel_hi:[0,1]
	v_pk_mul_f32 v[52:53], v[20:21], v[18:19] op_sel_hi:[0,1]
	v_cndmask_b32_e32 v16, v54, v55, vcc
	v_cndmask_b32_e64 v16, v16, v52, s[6:7]
	v_cndmask_b32_e64 v16, v16, v53, s[8:9]
	ds_bpermute_b32 v17, v78, v16
	v_cndmask_b32_e32 v50, v21, v48, vcc
	v_cndmask_b32_e64 v46, v46, v48, s[6:7]
	v_cndmask_b32_e64 v16, v51, v50, s[12:13]
	;; [unrolled: 1-line block ×5, first 2 shown]
	v_cmp_ne_u32_e32 vcc, 0, v67
	ds_bpermute_b32 v47, v78, v16
	s_waitcnt lgkmcnt(1)
	v_cndmask_b32_e64 v18, v53, v17, s[8:9]
	v_cndmask_b32_e64 v19, v52, v17, s[6:7]
	v_cndmask_b32_e32 v16, v55, v17, vcc
	v_cndmask_b32_e64 v17, v54, v17, s[10:11]
	v_cndmask_b32_e64 v21, v17, v16, s[12:13]
	;; [unrolled: 1-line block ×5, first 2 shown]
	ds_bpermute_b32 v26, v78, v26
	ds_bpermute_b32 v22, v78, v22
	;; [unrolled: 1-line block ×3, first 2 shown]
	v_add_u32_e32 v21, s65, v72
	v_cmp_gt_u32_e32 vcc, 32, v21
	s_and_saveexec_b64 s[18:19], vcc
	s_cbranch_execz .LBB214_37
; %bb.33:                               ;   in Loop: Header=BB214_7 Depth=1
	v_cmp_eq_u32_e64 s[8:9], 1, v68
	v_cmp_eq_u32_e64 s[10:11], 0, v68
	v_cmp_eq_u32_e32 vcc, 3, v68
	s_waitcnt lgkmcnt(2)
	v_cndmask_b32_e64 v29, v29, v26, s[8:9]
	s_waitcnt lgkmcnt(1)
	v_cndmask_b32_e64 v25, v25, v22, s[8:9]
	v_cndmask_b32_e64 v52, v50, v47, s[8:9]
	s_waitcnt lgkmcnt(0)
	v_cndmask_b32_e64 v54, v16, v48, s[8:9]
	s_mul_i32 s8, s63, s21
	s_ashr_i32 s9, s8, 31
	s_lshl_b64 s[8:9], s[8:9], 1
	v_cndmask_b32_e64 v43, v43, v26, s[10:11]
	v_cndmask_b32_e64 v49, v49, v22, s[10:11]
	;; [unrolled: 1-line block ×4, first 2 shown]
	s_add_u32 s10, s40, s8
	s_addc_u32 s11, s41, s9
	s_ashr_i32 s45, s44, 31
	v_cvt_f16_f32_e32 v43, v43
	v_cvt_f16_f32_sdwa v29, v29 dst_sel:WORD_1 dst_unused:UNUSED_PAD src0_sel:DWORD
	v_cvt_f16_f32_e32 v49, v49
	v_cvt_f16_f32_sdwa v25, v25 dst_sel:WORD_1 dst_unused:UNUSED_PAD src0_sel:DWORD
	s_lshl_b64 s[8:9], s[44:45], 1
	s_add_u32 s50, s10, s8
	s_addc_u32 s51, s11, s9
	v_lshl_add_u64 v[16:17], v[34:35], 1, s[50:51]
	v_or_b32_e32 v29, v29, v43
	v_or_b32_e32 v25, v25, v49
	;;#ASMSTART
	global_atomic_pk_add_f16 v[16:17], v29, off
	
	;;#ASMEND
	v_lshl_add_u64 v[50:51], v[16:17], 0, 32
	;;#ASMSTART
	global_atomic_pk_add_f16 v[50:51], v25, off
	
	;;#ASMEND
	v_cvt_f16_f32_e32 v25, v53
	v_cvt_f16_f32_sdwa v29, v52 dst_sel:WORD_1 dst_unused:UNUSED_PAD src0_sel:DWORD
	v_cvt_f16_f32_e32 v43, v55
	v_cvt_f16_f32_sdwa v49, v54 dst_sel:WORD_1 dst_unused:UNUSED_PAD src0_sel:DWORD
	v_cmp_eq_u32_e64 s[6:7], 2, v68
	v_lshl_add_u64 v[50:51], v[16:17], 0, 64
	v_or_b32_e32 v25, v29, v25
	v_cmp_gt_u32_e64 s[8:9], 30, v21
	;;#ASMSTART
	global_atomic_pk_add_f16 v[50:51], v25, off
	
	;;#ASMEND
	v_lshl_add_u64 v[50:51], v[16:17], 0, s[30:31]
	v_or_b32_e32 v25, v49, v43
	;;#ASMSTART
	global_atomic_pk_add_f16 v[50:51], v25, off
	
	;;#ASMEND
	s_and_b64 exec, exec, s[8:9]
	s_cbranch_execz .LBB214_37
; %bb.34:                               ;   in Loop: Header=BB214_7 Depth=1
	v_cndmask_b32_e32 v30, v30, v26, vcc
	v_cndmask_b32_e64 v26, v31, v26, s[6:7]
	v_cvt_f16_f32_e32 v26, v26
	v_cvt_f16_f32_sdwa v30, v30 dst_sel:WORD_1 dst_unused:UNUSED_PAD src0_sel:DWORD
	v_cndmask_b32_e32 v27, v27, v22, vcc
	v_cndmask_b32_e64 v22, v45, v22, s[6:7]
	v_cndmask_b32_e32 v23, v23, v47, vcc
	v_cndmask_b32_e64 v31, v46, v47, s[6:7]
	v_cndmask_b32_e32 v45, v18, v48, vcc
	v_or_b32_e32 v18, v30, v26
	v_cvt_f16_f32_e32 v22, v22
	v_cvt_f16_f32_sdwa v26, v27 dst_sel:WORD_1 dst_unused:UNUSED_PAD src0_sel:DWORD
	v_cvt_f16_f32_e32 v27, v31
	v_cvt_f16_f32_sdwa v23, v23 dst_sel:WORD_1 dst_unused:UNUSED_PAD src0_sel:DWORD
	v_lshl_add_u64 v[16:17], s[28:29], 2, v[16:17]
	v_or_b32_e32 v22, v26, v22
	v_mov_b32_e32 v43, v42
	v_cndmask_b32_e64 v46, v19, v48, s[6:7]
	;;#ASMSTART
	global_atomic_pk_add_f16 v[16:17], v18, off
	
	;;#ASMEND
	v_lshl_add_u64 v[18:19], v[16:17], 0, 32
	;;#ASMSTART
	global_atomic_pk_add_f16 v[18:19], v22, off
	
	;;#ASMEND
	v_or_b32_e32 v26, v23, v27
	v_mov_b32_e32 v22, v42
	v_mov_b32_e32 v23, v42
	v_pk_mul_f32 v[14:15], v[22:23], v[14:15]
	v_pk_mul_f32 v[22:23], v[42:43], v[12:13]
	v_cmp_eq_u32_e32 vcc, 1, v67
	v_mov_b32_e32 v29, v28
	v_lshl_add_u64 v[18:19], v[16:17], 0, 64
	v_cndmask_b32_e32 v12, v22, v23, vcc
	v_cmp_eq_u32_e64 s[6:7], 2, v67
	v_cmp_eq_u32_e64 s[8:9], 3, v67
	;;#ASMSTART
	global_atomic_pk_add_f16 v[18:19], v26, off
	
	;;#ASMEND
	v_lshl_add_u64 v[26:27], v[16:17], 0, s[30:31]
	v_cndmask_b32_e64 v12, v12, v14, s[6:7]
	v_mov_b32_e32 v16, v28
	v_mov_b32_e32 v17, v28
	v_pk_mul_f32 v[18:19], v[28:29], v[8:9]
	v_cndmask_b32_e64 v12, v12, v15, s[8:9]
	v_pk_mul_f32 v[10:11], v[16:17], v[10:11]
	v_cndmask_b32_e32 v8, v18, v19, vcc
	ds_bpermute_b32 v30, v78, v12
	v_cndmask_b32_e64 v8, v8, v10, s[6:7]
	v_cndmask_b32_e64 v8, v8, v11, s[8:9]
	ds_bpermute_b32 v17, v78, v8
	v_cmp_eq_u32_e64 s[10:11], 0, v67
	s_waitcnt lgkmcnt(1)
	v_cndmask_b32_e64 v12, v15, v30, s[8:9]
	v_cndmask_b32_e64 v13, v14, v30, s[6:7]
	v_cndmask_b32_e32 v14, v23, v30, vcc
	v_cndmask_b32_e64 v15, v22, v30, s[10:11]
	v_cmp_eq_u32_e64 s[12:13], 1, v68
	v_mov_b32_e32 v25, v24
	v_cmp_eq_u32_e64 s[14:15], 2, v68
	v_cndmask_b32_e64 v22, v15, v14, s[12:13]
	s_waitcnt lgkmcnt(0)
	v_cndmask_b32_e64 v9, v11, v17, s[8:9]
	v_cndmask_b32_e64 v8, v22, v13, s[14:15]
	;; [unrolled: 1-line block ×3, first 2 shown]
	v_cndmask_b32_e32 v16, v19, v17, vcc
	v_cndmask_b32_e64 v17, v18, v17, s[10:11]
	v_mov_b32_e32 v18, v24
	v_mov_b32_e32 v19, v24
	v_pk_mul_f32 v[22:23], v[24:25], v[0:1]
	v_pk_mul_f32 v[18:19], v[18:19], v[2:3]
	v_cndmask_b32_e32 v0, v22, v23, vcc
	v_cndmask_b32_e64 v0, v0, v18, s[6:7]
	v_cndmask_b32_e64 v0, v0, v19, s[8:9]
	ds_bpermute_b32 v1, v78, v0
	v_mov_b32_e32 v21, v20
	v_cndmask_b32_e64 v0, v17, v16, s[12:13]
	v_cmp_eq_u32_e64 s[16:17], 3, v68
	v_cndmask_b32_e64 v0, v0, v10, s[14:15]
	s_waitcnt lgkmcnt(0)
	v_cndmask_b32_e64 v3, v19, v1, s[8:9]
	v_cndmask_b32_e64 v11, v18, v1, s[6:7]
	v_mov_b32_e32 v18, v20
	v_mov_b32_e32 v19, v20
	v_pk_mul_f32 v[6:7], v[18:19], v[6:7]
	v_pk_mul_f32 v[18:19], v[20:21], v[4:5]
	v_cndmask_b32_e64 v0, v0, v9, s[16:17]
	v_cndmask_b32_e32 v4, v18, v19, vcc
	v_cndmask_b32_e64 v4, v4, v6, s[6:7]
	v_cndmask_b32_e64 v4, v4, v7, s[8:9]
	ds_bpermute_b32 v20, v78, v4
	ds_bpermute_b32 v2, v78, v0
	v_cndmask_b32_e32 v0, v23, v1, vcc
	v_cmp_ne_u32_e32 vcc, 0, v67
	v_cndmask_b32_e64 v1, v22, v1, s[10:11]
	s_waitcnt lgkmcnt(1)
	v_cndmask_b32_e64 v5, v7, v20, s[8:9]
	v_cndmask_b32_e64 v6, v6, v20, s[6:7]
	v_cndmask_b32_e32 v19, v19, v20, vcc
	v_cndmask_b32_e64 v20, v18, v20, s[10:11]
	v_cndmask_b32_e64 v4, v1, v0, s[12:13]
	;; [unrolled: 1-line block ×3, first 2 shown]
	v_cvt_f16_f32_e32 v31, v46
	v_cvt_f16_f32_sdwa v42, v45 dst_sel:WORD_1 dst_unused:UNUSED_PAD src0_sel:DWORD
	v_cndmask_b32_e64 v4, v4, v11, s[14:15]
	v_cndmask_b32_e64 v7, v7, v6, s[14:15]
	;; [unrolled: 1-line block ×5, first 2 shown]
	ds_bpermute_b32 v8, v78, v8
	ds_bpermute_b32 v4, v78, v4
	;; [unrolled: 1-line block ×3, first 2 shown]
	v_or_b32_e32 v18, v42, v31
	;;#ASMSTART
	global_atomic_pk_add_f16 v[26:27], v18, off
	
	;;#ASMEND
	v_add_u32_e32 v18, s65, v73
	v_cmp_gt_u32_e32 vcc, 32, v18
	s_and_b64 exec, exec, vcc
	s_cbranch_execz .LBB214_37
; %bb.35:                               ;   in Loop: Header=BB214_7 Depth=1
	v_cmp_eq_u32_e64 s[8:9], 1, v68
	v_cmp_eq_u32_e64 s[10:11], 0, v68
	v_cmp_eq_u32_e32 vcc, 3, v68
	s_waitcnt lgkmcnt(2)
	v_cndmask_b32_e64 v14, v14, v8, s[8:9]
	v_cndmask_b32_e64 v15, v15, v8, s[10:11]
	;; [unrolled: 1-line block ×4, first 2 shown]
	v_cvt_f16_f32_e32 v15, v15
	v_cvt_f16_f32_sdwa v14, v14 dst_sel:WORD_1 dst_unused:UNUSED_PAD src0_sel:DWORD
	v_cvt_f16_f32_e32 v17, v17
	v_cvt_f16_f32_sdwa v16, v16 dst_sel:WORD_1 dst_unused:UNUSED_PAD src0_sel:DWORD
	s_waitcnt lgkmcnt(1)
	v_cndmask_b32_e64 v21, v0, v4, s[8:9]
	v_cndmask_b32_e64 v22, v1, v4, s[10:11]
	v_lshl_add_u64 v[0:1], v[36:37], 1, s[50:51]
	v_or_b32_e32 v14, v14, v15
	v_or_b32_e32 v16, v16, v17
	s_waitcnt lgkmcnt(0)
	v_cndmask_b32_e64 v19, v19, v7, s[8:9]
	v_cndmask_b32_e64 v20, v20, v7, s[10:11]
	;;#ASMSTART
	global_atomic_pk_add_f16 v[0:1], v14, off
	
	;;#ASMEND
	v_lshl_add_u64 v[14:15], v[0:1], 0, 32
	;;#ASMSTART
	global_atomic_pk_add_f16 v[14:15], v16, off
	
	;;#ASMEND
	v_cvt_f16_f32_e32 v16, v22
	v_cvt_f16_f32_sdwa v17, v21 dst_sel:WORD_1 dst_unused:UNUSED_PAD src0_sel:DWORD
	v_cvt_f16_f32_e32 v20, v20
	v_cvt_f16_f32_sdwa v19, v19 dst_sel:WORD_1 dst_unused:UNUSED_PAD src0_sel:DWORD
	v_cmp_eq_u32_e64 s[6:7], 2, v68
	v_lshl_add_u64 v[14:15], v[0:1], 0, 64
	v_or_b32_e32 v16, v17, v16
	v_cmp_gt_u32_e64 s[8:9], 30, v18
	;;#ASMSTART
	global_atomic_pk_add_f16 v[14:15], v16, off
	
	;;#ASMEND
	v_lshl_add_u64 v[14:15], v[0:1], 0, s[30:31]
	v_or_b32_e32 v16, v19, v20
	;;#ASMSTART
	global_atomic_pk_add_f16 v[14:15], v16, off
	
	;;#ASMEND
	s_and_b64 exec, exec, s[8:9]
	s_cbranch_execz .LBB214_37
; %bb.36:                               ;   in Loop: Header=BB214_7 Depth=1
	v_cndmask_b32_e32 v12, v12, v8, vcc
	v_cndmask_b32_e64 v8, v13, v8, s[6:7]
	v_cndmask_b32_e32 v9, v9, v2, vcc
	v_cndmask_b32_e64 v2, v10, v2, s[6:7]
	v_cndmask_b32_e32 v10, v3, v4, vcc
	v_cndmask_b32_e32 v5, v5, v7, vcc
	v_cndmask_b32_e64 v6, v6, v7, s[6:7]
	v_cvt_f16_f32_e32 v3, v8
	v_cvt_f16_f32_sdwa v7, v12 dst_sel:WORD_1 dst_unused:UNUSED_PAD src0_sel:DWORD
	v_cvt_f16_f32_e32 v8, v2
	v_cvt_f16_f32_sdwa v9, v9 dst_sel:WORD_1 dst_unused:UNUSED_PAD src0_sel:DWORD
	v_cndmask_b32_e64 v4, v11, v4, s[6:7]
	v_lshl_add_u64 v[0:1], s[28:29], 2, v[0:1]
	v_or_b32_e32 v2, v7, v3
	v_or_b32_e32 v7, v9, v8
	;;#ASMSTART
	global_atomic_pk_add_f16 v[0:1], v2, off
	
	;;#ASMEND
	v_lshl_add_u64 v[2:3], v[0:1], 0, 32
	;;#ASMSTART
	global_atomic_pk_add_f16 v[2:3], v7, off
	
	;;#ASMEND
	v_cvt_f16_f32_e32 v4, v4
	v_cvt_f16_f32_sdwa v7, v10 dst_sel:WORD_1 dst_unused:UNUSED_PAD src0_sel:DWORD
	v_cvt_f16_f32_e32 v6, v6
	v_cvt_f16_f32_sdwa v5, v5 dst_sel:WORD_1 dst_unused:UNUSED_PAD src0_sel:DWORD
	v_lshl_add_u64 v[2:3], v[0:1], 0, 64
	v_or_b32_e32 v4, v7, v4
	;;#ASMSTART
	global_atomic_pk_add_f16 v[2:3], v4, off
	
	;;#ASMEND
	v_lshl_add_u64 v[0:1], v[0:1], 0, s[30:31]
	v_or_b32_e32 v2, v5, v6
	;;#ASMSTART
	global_atomic_pk_add_f16 v[0:1], v2, off
	
	;;#ASMEND
.LBB214_37:                             ;   in Loop: Header=BB214_7 Depth=1
	s_or_b64 exec, exec, s[18:19]
	v_subrev_u32_e32 v80, s66, v80
.LBB214_38:                             ;   in Loop: Header=BB214_7 Depth=1
	s_or_b64 exec, exec, s[48:49]
.LBB214_39:                             ;   in Loop: Header=BB214_7 Depth=1
	s_andn2_saveexec_b64 s[6:7], s[46:47]
	s_cbranch_execz .LBB214_48
; %bb.40:                               ;   in Loop: Header=BB214_7 Depth=1
	s_lshl_b32 s16, s66, 2
	v_cmp_gt_i32_e32 vcc, s16, v80
	s_and_saveexec_b64 s[8:9], vcc
	s_cbranch_execz .LBB214_47
; %bb.41:                               ;   in Loop: Header=BB214_7 Depth=1
	s_mul_i32 s10, s44, s23
	s_ashr_i32 s11, s10, 31
	s_waitcnt lgkmcnt(0)
	s_add_u32 s10, s38, s10
	s_addc_u32 s11, s39, s11
	s_ashr_i32 s12, s64, 31
	s_add_u32 s10, s10, s64
	s_addc_u32 s11, s11, s12
	v_lshl_add_u64 v[0:1], s[10:11], 0, v[40:41]
	v_lshl_add_u64 v[8:9], v[0:1], 0, v[38:39]
	s_mov_b64 s[10:11], 0
	s_branch .LBB214_43
.LBB214_42:                             ;   in Loop: Header=BB214_43 Depth=2
	s_or_b64 exec, exec, s[12:13]
	v_lshl_or_b32 v12, v10, 11, v75
	;;#ASMSTART
	s_waitcnt vmcnt(1)
	;;#ASMEND
	ds_write2_b32 v12, v4, v5 offset1:32
	ds_write2_b32 v12, v6, v7 offset0:64 offset1:96
	v_add_u32_e32 v4, 0x400, v12
	v_add_u32_e32 v80, s26, v80
	;;#ASMSTART
	s_waitcnt vmcnt(0)
	;;#ASMEND
	ds_write2_b32 v4, v0, v1 offset1:32
	ds_write2_b32 v4, v2, v3 offset0:64 offset1:96
	v_add_u32_e32 v0, 1, v64
	v_add_u32_e32 v44, s26, v10
	v_cmp_le_i32_e32 vcc, s16, v80
	ds_write_b32 v11, v0 offset:40
	v_add_u32_e32 v0, 2, v64
	s_or_b64 s[10:11], vcc, s[10:11]
	v_cmp_lt_i32_e32 vcc, 19, v44
	s_nop 1
	v_cndmask_b32_e32 v64, v64, v0, vcc
	s_andn2_b64 exec, exec, s[10:11]
	s_cbranch_execz .LBB214_46
.LBB214_43:                             ;   Parent Loop BB214_7 Depth=1
                                        ; =>  This Loop Header: Depth=2
                                        ;       Child Loop BB214_45 Depth 3
	v_cmp_gt_i32_e32 vcc, 20, v44
	s_nop 1
	v_cndmask_b32_e64 v0, v79, 0, vcc
	v_add_u32_e32 v10, v0, v44
	v_ashrrev_i32_e32 v0, 31, v80
	v_lshrrev_b32_e32 v0, 30, v0
	v_add_u32_e32 v0, v80, v0
	v_and_b32_e32 v1, -4, v0
	v_lshlrev_b32_e32 v0, 5, v0
	v_sub_u32_e32 v2, v80, v1
	v_and_b32_e32 v0, 0xffffff80, v0
	v_ashrrev_i32_e32 v1, 31, v0
	v_mul_lo_u32 v2, s57, v2
	v_lshl_add_u64 v[0:1], v[8:9], 0, v[0:1]
	v_ashrrev_i32_e32 v3, 31, v2
	v_lshl_add_u64 v[0:1], v[0:1], 0, v[2:3]
	v_lshlrev_b32_e32 v11, 2, v10
	;;#ASMSTART
	global_load_dwordx4 v[4:7], v[0:1], off offset:0   sc0 sc1 nt  
	global_load_dwordx4 v[0:3], v[0:1], off offset:64  sc0 sc1 nt  
	
	;;#ASMEND
	ds_read_b32 v12, v11 offset:61480
	v_add_u32_e32 v11, 0xf000, v11
	s_waitcnt lgkmcnt(0)
	v_cmp_ne_u32_e32 vcc, v12, v64
	s_and_saveexec_b64 s[12:13], vcc
	s_cbranch_execz .LBB214_42
; %bb.44:                               ;   in Loop: Header=BB214_43 Depth=2
	s_mov_b64 s[14:15], 0
.LBB214_45:                             ;   Parent Loop BB214_7 Depth=1
                                        ;     Parent Loop BB214_43 Depth=2
                                        ; =>    This Inner Loop Header: Depth=3
	;;#ASMSTART
	s_sleep 0
	;;#ASMEND
	ds_read_b32 v12, v11 offset:40
	s_waitcnt lgkmcnt(0)
	v_cmp_eq_u32_e32 vcc, v12, v64
	s_or_b64 s[14:15], vcc, s[14:15]
	s_andn2_b64 exec, exec, s[14:15]
	s_cbranch_execnz .LBB214_45
	s_branch .LBB214_42
.LBB214_46:                             ;   in Loop: Header=BB214_7 Depth=1
	s_or_b64 exec, exec, s[10:11]
.LBB214_47:                             ;   in Loop: Header=BB214_7 Depth=1
	s_or_b64 exec, exec, s[8:9]
	v_subrev_u32_e32 v80, s16, v80
.LBB214_48:                             ;   in Loop: Header=BB214_7 Depth=1
	s_or_b64 exec, exec, s[6:7]
.LBB214_49:                             ;   in Loop: Header=BB214_7 Depth=1
	s_andn2_saveexec_b64 s[6:7], s[34:35]
	s_cbranch_execz .LBB214_6
; %bb.50:                               ;   in Loop: Header=BB214_7 Depth=1
	s_lshl_b32 s16, s66, 1
	v_cmp_gt_i32_e32 vcc, s16, v80
	s_and_saveexec_b64 s[8:9], vcc
	s_cbranch_execz .LBB214_5
; %bb.51:                               ;   in Loop: Header=BB214_7 Depth=1
	s_mul_i32 s63, s63, s22
	s_ashr_i32 s10, s63, 31
	s_waitcnt lgkmcnt(0)
	s_add_u32 s11, s36, s63
	v_add_u32_e32 v2, s65, v74
	s_addc_u32 s12, s37, s10
	s_ashr_i32 s13, s64, 31
	v_cmp_gt_u32_e32 vcc, 32, v2
	s_add_u32 s10, s11, s64
	s_addc_u32 s11, s12, s13
	v_cndmask_b32_e32 v0, 0, v76, vcc
	v_ashrrev_i32_e32 v1, 31, v0
	v_lshl_add_u64 v[0:1], s[10:11], 0, v[0:1]
	v_lshl_add_u64 v[8:9], v[0:1], 0, v[38:39]
	v_sub_u32_e32 v10, 31, v2
	s_mov_b64 s[10:11], 0
	s_branch .LBB214_53
.LBB214_52:                             ;   in Loop: Header=BB214_53 Depth=2
	s_or_b64 exec, exec, s[12:13]
	v_lshl_add_u32 v13, v11, 11, v77
	;;#ASMSTART
	s_waitcnt vmcnt(1)
	;;#ASMEND
	ds_write2_b32 v13, v4, v5 offset1:32
	ds_write2_b32 v13, v6, v7 offset0:64 offset1:96
	v_add_u32_e32 v4, 0x400, v13
	v_add_u32_e32 v80, s25, v80
	;;#ASMSTART
	s_waitcnt vmcnt(0)
	;;#ASMEND
	ds_write2_b32 v4, v0, v1 offset1:32
	ds_write2_b32 v4, v2, v3 offset0:64 offset1:96
	v_add_u32_e32 v0, 1, v64
	v_add_u32_e32 v44, s25, v11
	v_cmp_le_i32_e32 vcc, s16, v80
	ds_write_b32 v12, v0
	v_add_u32_e32 v0, 2, v64
	s_or_b64 s[10:11], vcc, s[10:11]
	v_cmp_lt_i32_e32 vcc, 9, v44
	s_nop 1
	v_cndmask_b32_e32 v64, v64, v0, vcc
	s_andn2_b64 exec, exec, s[10:11]
	s_cbranch_execz .LBB214_4
.LBB214_53:                             ;   Parent Loop BB214_7 Depth=1
                                        ; =>  This Loop Header: Depth=2
                                        ;       Child Loop BB214_55 Depth 3
	v_cmp_gt_i32_e32 vcc, 10, v44
	s_nop 1
	v_cndmask_b32_e64 v0, -10, 0, vcc
	v_add_u32_e32 v11, v0, v44
	v_lshrrev_b32_e32 v0, 31, v80
	v_add_u32_e32 v0, v80, v0
	v_and_b32_e32 v1, 0xffffffe, v0
	v_sub_u32_e32 v1, v80, v1
	v_lshlrev_b32_e32 v1, 4, v1
	v_cmp_le_i32_e32 vcc, v1, v10
	v_lshlrev_b32_e32 v0, 6, v0
	v_and_b32_e32 v0, 0xffffff80, v0
	v_cndmask_b32_e32 v2, 0, v1, vcc
	v_ashrrev_i32_e32 v1, 31, v0
	v_mul_lo_u32 v2, v2, s22
	v_lshl_add_u64 v[0:1], v[8:9], 0, v[0:1]
	v_ashrrev_i32_e32 v3, 31, v2
	v_lshl_add_u64 v[0:1], v[0:1], 0, v[2:3]
	v_lshlrev_b32_e32 v12, 2, v11
	;;#ASMSTART
	global_load_dwordx4 v[4:7], v[0:1], off offset:0   
	global_load_dwordx4 v[0:3], v[0:1], off offset:64  
	
	;;#ASMEND
	ds_read_b32 v13, v12 offset:61440
	v_add_u32_e32 v12, 0xf000, v12
	s_waitcnt lgkmcnt(0)
	v_cmp_ne_u32_e32 vcc, v13, v64
	s_and_saveexec_b64 s[12:13], vcc
	s_cbranch_execz .LBB214_52
; %bb.54:                               ;   in Loop: Header=BB214_53 Depth=2
	s_mov_b64 s[14:15], 0
.LBB214_55:                             ;   Parent Loop BB214_7 Depth=1
                                        ;     Parent Loop BB214_53 Depth=2
                                        ; =>    This Inner Loop Header: Depth=3
	;;#ASMSTART
	s_sleep 0
	;;#ASMEND
	ds_read_b32 v13, v12
	s_waitcnt lgkmcnt(0)
	v_cmp_eq_u32_e32 vcc, v13, v64
	s_or_b64 s[14:15], vcc, s[14:15]
	s_andn2_b64 exec, exec, s[14:15]
	s_cbranch_execnz .LBB214_55
	s_branch .LBB214_52
.LBB214_56:
	s_endpgm
	.section	.rodata,"a",@progbits
	.p2align	6, 0x0
	.amdhsa_kernel _Z19_skinny_gemm_kernelILi2ELi4ELi5ELi16ELi4EEvPKhS1_P6__halfPKfiiiiiiii
		.amdhsa_group_segment_fixed_size 61560
		.amdhsa_private_segment_fixed_size 0
		.amdhsa_kernarg_size 64
		.amdhsa_user_sgpr_count 2
		.amdhsa_user_sgpr_dispatch_ptr 0
		.amdhsa_user_sgpr_queue_ptr 0
		.amdhsa_user_sgpr_kernarg_segment_ptr 1
		.amdhsa_user_sgpr_dispatch_id 0
		.amdhsa_user_sgpr_kernarg_preload_length 0
		.amdhsa_user_sgpr_kernarg_preload_offset 0
		.amdhsa_user_sgpr_private_segment_size 0
		.amdhsa_uses_dynamic_stack 0
		.amdhsa_enable_private_segment 0
		.amdhsa_system_sgpr_workgroup_id_x 1
		.amdhsa_system_sgpr_workgroup_id_y 0
		.amdhsa_system_sgpr_workgroup_id_z 0
		.amdhsa_system_sgpr_workgroup_info 0
		.amdhsa_system_vgpr_workitem_id 0
		.amdhsa_next_free_vgpr 90
		.amdhsa_next_free_sgpr 67
		.amdhsa_accum_offset 92
		.amdhsa_reserve_vcc 1
		.amdhsa_float_round_mode_32 0
		.amdhsa_float_round_mode_16_64 0
		.amdhsa_float_denorm_mode_32 3
		.amdhsa_float_denorm_mode_16_64 3
		.amdhsa_dx10_clamp 1
		.amdhsa_ieee_mode 1
		.amdhsa_fp16_overflow 0
		.amdhsa_tg_split 0
		.amdhsa_exception_fp_ieee_invalid_op 0
		.amdhsa_exception_fp_denorm_src 0
		.amdhsa_exception_fp_ieee_div_zero 0
		.amdhsa_exception_fp_ieee_overflow 0
		.amdhsa_exception_fp_ieee_underflow 0
		.amdhsa_exception_fp_ieee_inexact 0
		.amdhsa_exception_int_div_zero 0
	.end_amdhsa_kernel
	.section	.text._Z19_skinny_gemm_kernelILi2ELi4ELi5ELi16ELi4EEvPKhS1_P6__halfPKfiiiiiiii,"axG",@progbits,_Z19_skinny_gemm_kernelILi2ELi4ELi5ELi16ELi4EEvPKhS1_P6__halfPKfiiiiiiii,comdat
.Lfunc_end214:
	.size	_Z19_skinny_gemm_kernelILi2ELi4ELi5ELi16ELi4EEvPKhS1_P6__halfPKfiiiiiiii, .Lfunc_end214-_Z19_skinny_gemm_kernelILi2ELi4ELi5ELi16ELi4EEvPKhS1_P6__halfPKfiiiiiiii
                                        ; -- End function
	.set _Z19_skinny_gemm_kernelILi2ELi4ELi5ELi16ELi4EEvPKhS1_P6__halfPKfiiiiiiii.num_vgpr, 90
	.set _Z19_skinny_gemm_kernelILi2ELi4ELi5ELi16ELi4EEvPKhS1_P6__halfPKfiiiiiiii.num_agpr, 0
	.set _Z19_skinny_gemm_kernelILi2ELi4ELi5ELi16ELi4EEvPKhS1_P6__halfPKfiiiiiiii.numbered_sgpr, 67
	.set _Z19_skinny_gemm_kernelILi2ELi4ELi5ELi16ELi4EEvPKhS1_P6__halfPKfiiiiiiii.num_named_barrier, 0
	.set _Z19_skinny_gemm_kernelILi2ELi4ELi5ELi16ELi4EEvPKhS1_P6__halfPKfiiiiiiii.private_seg_size, 0
	.set _Z19_skinny_gemm_kernelILi2ELi4ELi5ELi16ELi4EEvPKhS1_P6__halfPKfiiiiiiii.uses_vcc, 1
	.set _Z19_skinny_gemm_kernelILi2ELi4ELi5ELi16ELi4EEvPKhS1_P6__halfPKfiiiiiiii.uses_flat_scratch, 0
	.set _Z19_skinny_gemm_kernelILi2ELi4ELi5ELi16ELi4EEvPKhS1_P6__halfPKfiiiiiiii.has_dyn_sized_stack, 0
	.set _Z19_skinny_gemm_kernelILi2ELi4ELi5ELi16ELi4EEvPKhS1_P6__halfPKfiiiiiiii.has_recursion, 0
	.set _Z19_skinny_gemm_kernelILi2ELi4ELi5ELi16ELi4EEvPKhS1_P6__halfPKfiiiiiiii.has_indirect_call, 0
	.section	.AMDGPU.csdata,"",@progbits
; Kernel info:
; codeLenInByte = 5556
; TotalNumSgprs: 73
; NumVgprs: 90
; NumAgprs: 0
; TotalNumVgprs: 90
; ScratchSize: 0
; MemoryBound: 0
; FloatMode: 240
; IeeeMode: 1
; LDSByteSize: 61560 bytes/workgroup (compile time only)
; SGPRBlocks: 9
; VGPRBlocks: 11
; NumSGPRsForWavesPerEU: 73
; NumVGPRsForWavesPerEU: 90
; AccumOffset: 92
; Occupancy: 5
; WaveLimiterHint : 0
; COMPUTE_PGM_RSRC2:SCRATCH_EN: 0
; COMPUTE_PGM_RSRC2:USER_SGPR: 2
; COMPUTE_PGM_RSRC2:TRAP_HANDLER: 0
; COMPUTE_PGM_RSRC2:TGID_X_EN: 1
; COMPUTE_PGM_RSRC2:TGID_Y_EN: 0
; COMPUTE_PGM_RSRC2:TGID_Z_EN: 0
; COMPUTE_PGM_RSRC2:TIDIG_COMP_CNT: 0
; COMPUTE_PGM_RSRC3_GFX90A:ACCUM_OFFSET: 22
; COMPUTE_PGM_RSRC3_GFX90A:TG_SPLIT: 0
	.section	.text._Z19_skinny_gemm_kernelILi2ELi4ELi5ELi32ELi4EEvPKhS1_P6__halfPKfiiiiiiii,"axG",@progbits,_Z19_skinny_gemm_kernelILi2ELi4ELi5ELi32ELi4EEvPKhS1_P6__halfPKfiiiiiiii,comdat
	.protected	_Z19_skinny_gemm_kernelILi2ELi4ELi5ELi32ELi4EEvPKhS1_P6__halfPKfiiiiiiii ; -- Begin function _Z19_skinny_gemm_kernelILi2ELi4ELi5ELi32ELi4EEvPKhS1_P6__halfPKfiiiiiiii
	.globl	_Z19_skinny_gemm_kernelILi2ELi4ELi5ELi32ELi4EEvPKhS1_P6__halfPKfiiiiiiii
	.p2align	8
	.type	_Z19_skinny_gemm_kernelILi2ELi4ELi5ELi32ELi4EEvPKhS1_P6__halfPKfiiiiiiii,@function
_Z19_skinny_gemm_kernelILi2ELi4ELi5ELi32ELi4EEvPKhS1_P6__halfPKfiiiiiiii: ; @_Z19_skinny_gemm_kernelILi2ELi4ELi5ELi32ELi4EEvPKhS1_P6__halfPKfiiiiiiii
; %bb.0:
	v_cmp_gt_u32_e32 vcc, 30, v0
	s_and_saveexec_b64 s[4:5], vcc
; %bb.1:
	v_lshlrev_b32_e32 v1, 2, v0
	v_mov_b32_e32 v2, 0
	ds_write_b32 v1, v2 offset:61440
; %bb.2:
	s_or_b64 exec, exec, s[4:5]
	s_load_dwordx8 s[20:27], s[0:1], 0x20
	s_waitcnt lgkmcnt(0)
	s_barrier
	s_add_i32 s3, s20, 63
	s_ashr_i32 s5, s3, 31
	s_add_i32 s4, s21, 0x7f
	s_lshr_b32 s5, s5, 26
	s_ashr_i32 s6, s4, 31
	s_add_i32 s3, s3, s5
	s_ashr_i32 s12, s3, 6
	s_lshr_b32 s3, s6, 25
	s_add_i32 s4, s4, s3
	s_ashr_i32 s14, s4, 7
	s_mul_i32 s3, s14, s12
	s_mul_i32 s3, s3, s24
	s_add_i32 s4, s3, 0x12f
	s_mul_hi_i32 s4, s4, 0x6bca1af3
	s_lshr_b32 s5, s4, 31
	s_ashr_i32 s4, s4, 7
	s_add_i32 s4, s4, s5
	s_add_i32 s5, s2, 1
	s_mul_i32 s5, s4, s5
	v_cvt_f64_i32_e32 v[2:3], s3
	v_cvt_f64_u32_e32 v[4:5], s5
	v_min_f64 v[2:3], v[2:3], v[4:5]
	v_cvt_i32_f64_e32 v78, v[2:3]
	s_mul_i32 s33, s4, s2
	v_cmp_ge_i32_e32 vcc, s33, v78
	s_cbranch_vccnz .LBB215_54
; %bb.3:
	s_load_dwordx8 s[72:79], s[0:1], 0x0
	v_lshrrev_b32_e32 v1, 6, v0
	s_add_i32 s0, s26, s25
	v_cmp_le_i32_e64 s[18:19], s0, v1
	v_mov_b32_e32 v2, s25
	v_cmp_le_i32_e64 s[28:29], s25, v1
	v_mov_b32_e32 v3, s26
	v_cndmask_b32_e64 v3, 0, v3, s[18:19]
	v_cndmask_b32_e64 v2, 0, v2, s[28:29]
	s_abs_i32 s1, s24
	v_add_u32_e32 v2, v2, v3
	v_cvt_f32_u32_e32 v3, s1
	v_sub_u32_e32 v72, v1, v2
	s_ashr_i32 s2, s22, 31
	s_lshr_b32 s2, s2, 26
	v_rcp_iflag_f32_e32 v2, v3
	s_sub_i32 s5, 0, s1
	s_add_i32 s2, s22, s2
	s_ashr_i32 s2, s2, 6
	v_mul_f32_e32 v2, 0x4f7ffffe, v2
	v_cvt_u32_f32_e32 v2, v2
	s_abs_i32 s4, s2
	s_xor_b32 s3, s2, s24
	s_ashr_i32 s3, s3, 31
	v_readfirstlane_b32 s6, v2
	s_mul_i32 s5, s5, s6
	s_mul_hi_u32 s5, s6, s5
	s_add_i32 s6, s6, s5
	s_mul_hi_u32 s5, s4, s6
	s_mul_i32 s6, s5, s1
	s_sub_i32 s4, s4, s6
	s_add_i32 s6, s5, 1
	s_sub_i32 s7, s4, s1
	s_cmp_ge_u32 s4, s1
	s_cselect_b32 s5, s6, s5
	s_cselect_b32 s4, s7, s4
	s_add_i32 s6, s5, 1
	s_cmp_ge_u32 s4, s1
	s_cselect_b32 s1, s6, s5
	s_add_i32 s0, s0, s27
	v_and_b32_e32 v80, 31, v0
	v_lshrrev_b32_e32 v2, 3, v0
	v_cmp_gt_i32_e64 s[34:35], s0, v1
	v_lshlrev_b32_e32 v1, 2, v80
	v_and_b32_e32 v3, 4, v2
	v_lshlrev_b32_e32 v2, 6, v3
	v_or_b32_e32 v4, 0xa000, v1
	v_and_b32_e32 v5, 1, v0
	v_or_b32_e32 v81, v4, v2
	v_or_b32_e32 v82, v1, v2
	v_lshlrev_b32_e32 v2, 1, v5
	v_lshrrev_b32_e32 v7, 1, v0
	s_abs_i32 s97, s12
	v_sub_u32_e32 v2, v0, v2
	v_and_b32_e32 v66, 16, v7
	v_cvt_f32_u32_e32 v7, s97
	v_add_u32_e32 v2, 1, v2
	v_and_b32_e32 v6, 63, v2
	v_bitop3_b32 v83, v0, 1, v0 bitop3:0xc
	v_bitop3_b32 v84, v0, 3, 1 bitop3:0x6c
	;; [unrolled: 1-line block ×8, first 2 shown]
	v_and_b32_e32 v2, 30, v0
	v_lshlrev_b32_e32 v0, 4, v0
                                        ; implicit-def: $vgpr127 : SGPR spill to VGPR lane
	v_and_b32_e32 v0, 0x200, v0
	v_writelane_b32 v127, s12, 0
	v_or_b32_e32 v94, v1, v0
	v_rcp_iflag_f32_e32 v1, v7
	v_writelane_b32 v127, s14, 1
	s_waitcnt lgkmcnt(0)
	v_writelane_b32 v127, s72, 2
	s_abs_i32 s98, s14
	v_or_b32_e32 v96, v4, v0
	v_writelane_b32 v127, s73, 3
	v_writelane_b32 v127, s74, 4
	v_mul_f32_e32 v0, 0x4f7ffffe, v1
	v_cvt_f32_u32_e32 v1, s98
	v_writelane_b32 v127, s75, 5
	v_writelane_b32 v127, s76, 6
	;; [unrolled: 1-line block ×4, first 2 shown]
	v_cvt_u32_f32_e32 v0, v0
	v_rcp_iflag_f32_e32 v1, v1
	v_writelane_b32 v127, s79, 9
	v_cndmask_b32_e64 v79, 0, 1, s[18:19]
	s_xor_b32 s1, s1, s3
	v_writelane_b32 v127, s18, 10
	s_sub_i32 s15, s1, s3
	s_add_i32 s30, s24, -1
	v_writelane_b32 v127, s19, 11
	s_mul_i32 s1, s15, s30
	v_writelane_b32 v127, s28, 12
	s_sub_i32 s31, s2, s1
	v_readfirstlane_b32 s1, v0
	v_mul_f32_e32 v0, 0x4f7ffffe, v1
	v_writelane_b32 v127, s29, 13
	v_cvt_u32_f32_e32 v0, v0
	v_writelane_b32 v127, s15, 14
	s_sub_i32 s0, 0, s97
	v_writelane_b32 v127, s30, 15
	s_mul_i32 s0, s0, s1
	v_writelane_b32 v127, s31, 16
	s_mul_hi_u32 s0, s1, s0
	v_writelane_b32 v127, s34, 17
	s_ashr_i32 s36, s12, 31
	s_add_i32 s37, s1, s0
	s_sub_i32 s0, 0, s98
	v_readfirstlane_b32 s1, v0
	v_writelane_b32 v127, s35, 18
	s_mul_i32 s0, s0, s1
	v_mbcnt_lo_u32_b32 v0, -1, 0
	v_writelane_b32 v127, s36, 19
	s_ashr_i32 s38, s14, 31
	s_mul_hi_u32 s0, s1, s0
	v_mbcnt_hi_u32_b32 v0, -1, v0
	v_writelane_b32 v127, s37, 20
	v_mov_b32_e32 v65, 0
	v_mul_lo_u32 v8, s23, v80
	v_or_b32_e32 v97, v5, v3
	s_add_i32 s39, s1, s0
	v_and_or_b32 v0, v0, 64, v6
	v_writelane_b32 v127, s38, 21
	v_ashrrev_i32_e32 v9, 31, v8
	v_mov_b32_e32 v67, v65
	s_lshl_b32 s24, s23, 5
	v_mul_lo_u32 v95, s22, v80
	v_or_b32_e32 v98, 2, v97
	v_lshlrev_b32_e32 v64, 1, v2
	v_lshlrev_b32_e32 v99, 2, v0
	v_not_b32_e32 v100, 19
	v_mov_b32_e32 v101, v72
	v_writelane_b32 v127, s39, 22
	scratch_store_dwordx2 off, v[8:9], off  ; 8-byte Folded Spill
	s_branch .LBB215_7
.LBB215_4:                              ;   in Loop: Header=BB215_7 Depth=1
	s_or_b64 exec, exec, s[4:5]
.LBB215_5:                              ;   in Loop: Header=BB215_7 Depth=1
	s_or_b64 exec, exec, s[2:3]
	v_subrev_u32_e32 v101, s10, v101
.LBB215_6:                              ;   in Loop: Header=BB215_7 Depth=1
	s_or_b64 exec, exec, s[0:1]
	s_add_i32 s33, s33, 1
	v_cmp_ge_i32_e32 vcc, s33, v78
	s_cbranch_vccnz .LBB215_54
.LBB215_7:                              ; =>This Loop Header: Depth=1
                                        ;     Child Loop BB215_13 Depth 2
                                        ;       Child Loop BB215_15 Depth 3
                                        ;       Child Loop BB215_18 Depth 3
	;; [unrolled: 1-line block ×5, first 2 shown]
                                        ;     Child Loop BB215_32 Depth 2
                                        ;     Child Loop BB215_41 Depth 2
                                        ;       Child Loop BB215_43 Depth 3
                                        ;     Child Loop BB215_51 Depth 2
                                        ;       Child Loop BB215_53 Depth 3
	s_abs_i32 s1, s33
	s_mul_hi_u32 s2, s1, s37
	s_mul_i32 s3, s2, s97
	s_ashr_i32 s0, s33, 31
	s_sub_i32 s1, s1, s3
	s_xor_b32 s0, s0, s36
	s_add_i32 s3, s2, 1
	s_sub_i32 s4, s1, s97
	s_cmp_ge_u32 s1, s97
	s_cselect_b32 s2, s3, s2
	s_cselect_b32 s1, s4, s1
	s_add_i32 s3, s2, 1
	s_cmp_ge_u32 s1, s97
	s_cselect_b32 s1, s3, s2
	s_xor_b32 s1, s1, s0
	s_sub_i32 s0, s1, s0
	s_abs_i32 s2, s0
	s_mul_i32 s1, s0, s12
	s_mul_hi_u32 s3, s2, s39
	s_sub_i32 s1, s33, s1
	s_mul_i32 s4, s3, s98
	s_lshl_b32 s99, s1, 6
	s_ashr_i32 s1, s0, 31
	s_sub_i32 s2, s2, s4
	s_xor_b32 s1, s1, s38
	s_add_i32 s4, s3, 1
	s_sub_i32 s5, s2, s98
	s_cmp_ge_u32 s2, s98
	s_cselect_b32 s3, s4, s3
	s_cselect_b32 s2, s5, s2
	s_add_i32 s4, s3, 1
	s_cmp_ge_u32 s2, s98
	s_cselect_b32 s2, s4, s3
	s_xor_b32 s2, s2, s1
	s_sub_i32 s1, s2, s1
	s_mul_i32 s2, s1, s15
	s_lshl_b32 s44, s2, 6
	s_cmp_eq_u32 s1, s30
	s_cselect_b32 s4, s31, s15
	s_sub_i32 s2, s99, s20
	s_add_i32 s2, s2, 64
	s_max_i32 s96, s2, 0
	s_and_saveexec_b64 s[2:3], s[28:29]
	s_xor_b64 s[46:47], exec, s[2:3]
	s_cbranch_execz .LBB215_47
; %bb.8:                                ;   in Loop: Header=BB215_7 Depth=1
	s_mul_i32 s1, s1, s14
	s_sub_i32 s0, s0, s1
	s_lshl_b32 s0, s0, 7
	s_sub_i32 s5, s0, s21
	s_addk_i32 s5, 0x80
	s_max_i32 s1, s5, 0
	s_sub_i32 s0, s0, s1
	s_and_saveexec_b64 s[2:3], s[18:19]
	s_xor_b64 s[2:3], exec, s[2:3]
	s_cbranch_execz .LBB215_37
; %bb.9:                                ;   in Loop: Header=BB215_7 Depth=1
	s_and_saveexec_b64 s[48:49], s[34:35]
	s_cbranch_execz .LBB215_36
; %bb.10:                               ;   in Loop: Header=BB215_7 Depth=1
	global_load_dword v102, v65, s[78:79]
	v_mov_b32_e32 v63, 0
	v_cmp_gt_i32_e32 vcc, s4, v101
	v_mov_b32_e32 v62, v63
	v_mov_b32_e32 v61, v63
	v_mov_b32_e32 v60, v63
	v_mov_b32_e32 v59, v63
	v_mov_b32_e32 v58, v63
	v_mov_b32_e32 v57, v63
	v_mov_b32_e32 v56, v63
	v_mov_b32_e32 v55, v63
	v_mov_b32_e32 v54, v63
	v_mov_b32_e32 v53, v63
	v_mov_b32_e32 v52, v63
	v_mov_b32_e32 v51, v63
	v_mov_b32_e32 v50, v63
	v_mov_b32_e32 v49, v63
	v_mov_b32_e32 v48, v63
	v_mov_b32_e32 v47, v63
	v_mov_b32_e32 v46, v63
	v_mov_b32_e32 v45, v63
	v_mov_b32_e32 v44, v63
	v_mov_b32_e32 v43, v63
	v_mov_b32_e32 v42, v63
	v_mov_b32_e32 v41, v63
	v_mov_b32_e32 v40, v63
	v_mov_b32_e32 v39, v63
	v_mov_b32_e32 v38, v63
	v_mov_b32_e32 v37, v63
	v_mov_b32_e32 v36, v63
	v_mov_b32_e32 v35, v63
	v_mov_b32_e32 v34, v63
	v_mov_b32_e32 v33, v63
	v_mov_b32_e32 v32, v63
	v_mov_b32_e32 v31, v63
	v_mov_b32_e32 v30, v63
	v_mov_b32_e32 v29, v63
	v_mov_b32_e32 v28, v63
	v_mov_b32_e32 v27, v63
	v_mov_b32_e32 v26, v63
	v_mov_b32_e32 v25, v63
	v_mov_b32_e32 v24, v63
	v_mov_b32_e32 v23, v63
	v_mov_b32_e32 v22, v63
	v_mov_b32_e32 v21, v63
	v_mov_b32_e32 v20, v63
	v_mov_b32_e32 v19, v63
	v_mov_b32_e32 v18, v63
	v_mov_b32_e32 v17, v63
	v_mov_b32_e32 v16, v63
	v_mov_b32_e32 v15, v63
	v_mov_b32_e32 v14, v63
	v_mov_b32_e32 v13, v63
	v_mov_b32_e32 v12, v63
	v_mov_b32_e32 v11, v63
	v_mov_b32_e32 v10, v63
	v_mov_b32_e32 v9, v63
	v_mov_b32_e32 v8, v63
	v_mov_b32_e32 v7, v63
	v_mov_b32_e32 v6, v63
	v_mov_b32_e32 v5, v63
	v_mov_b32_e32 v4, v63
	v_mov_b32_e32 v3, v63
	v_mov_b32_e32 v2, v63
	v_mov_b32_e32 v1, v63
	v_mov_b32_e32 v0, v63
	s_and_saveexec_b64 s[6:7], vcc
	s_cbranch_execz .LBB215_29
; %bb.11:                               ;   in Loop: Header=BB215_7 Depth=1
	v_mov_b32_e32 v0, 0
	s_mov_b64 s[8:9], 0
	v_mov_b32_e32 v1, v0
	v_mov_b32_e32 v2, v0
	;; [unrolled: 1-line block ×63, first 2 shown]
	s_branch .LBB215_13
.LBB215_12:                             ;   in Loop: Header=BB215_13 Depth=2
	s_or_b64 exec, exec, s[10:11]
	v_add_u32_e32 v107, 0x1800, v106
	ds_read2_b32 v[108:109], v107 offset1:32
	v_add_u32_e32 v101, s27, v101
	s_waitcnt lgkmcnt(0)
	v_mfma_f32_32x32x16_fp8_fp8 v[0:15], v[76:77], v[108:109], v[0:15]
	ds_read2_b32 v[76:77], v107 offset0:128 offset1:160
	s_waitcnt lgkmcnt(0)
	v_mfma_f32_32x32x16_fp8_fp8 v[0:15], v[74:75], v[76:77], v[0:15]
	v_add_u32_e32 v76, 0x1c00, v106
	ds_read2_b32 v[74:75], v76 offset1:32
	ds_read2_b32 v[76:77], v76 offset0:128 offset1:160
	ds_write_b32 v104, v105 offset:61468
	s_waitcnt lgkmcnt(2)
	v_mfma_f32_32x32x16_fp8_fp8 v[0:15], v[72:73], v[74:75], v[0:15]
	v_add_u32_e32 v72, s27, v103
	v_add_u32_e32 v73, 2, v79
	v_cmp_lt_i32_e32 vcc, 4, v72
	s_nop 1
	v_cndmask_b32_e32 v79, v79, v73, vcc
	v_cmp_le_i32_e32 vcc, s4, v101
	s_waitcnt lgkmcnt(1)
	v_mfma_f32_32x32x16_fp8_fp8 v[0:15], v[70:71], v[76:77], v[0:15]
	s_or_b64 s[8:9], vcc, s[8:9]
	s_andn2_b64 exec, exec, s[8:9]
	s_cbranch_execz .LBB215_28
.LBB215_13:                             ;   Parent Loop BB215_7 Depth=1
                                        ; =>  This Loop Header: Depth=2
                                        ;       Child Loop BB215_15 Depth 3
                                        ;       Child Loop BB215_18 Depth 3
	;; [unrolled: 1-line block ×5, first 2 shown]
	v_cmp_gt_i32_e32 vcc, 5, v72
	s_nop 1
	v_cndmask_b32_e64 v70, -5, 0, vcc
	v_add_u32_e32 v103, v70, v72
	v_lshlrev_b32_e32 v104, 5, v103
	ds_read_b32 v70, v104 offset:61440
	s_waitcnt lgkmcnt(0)
	v_cmp_ne_u32_e32 vcc, v70, v79
	s_and_saveexec_b64 s[10:11], vcc
	s_cbranch_execz .LBB215_16
; %bb.14:                               ;   in Loop: Header=BB215_13 Depth=2
	s_mov_b64 s[12:13], 0
.LBB215_15:                             ;   Parent Loop BB215_7 Depth=1
                                        ;     Parent Loop BB215_13 Depth=2
                                        ; =>    This Inner Loop Header: Depth=3
	;;#ASMSTART
	s_sleep 0
	;;#ASMEND
	ds_read_b32 v70, v104 offset:61440
	s_waitcnt lgkmcnt(0)
	v_cmp_eq_u32_e32 vcc, v70, v79
	s_or_b64 s[12:13], vcc, s[12:13]
	s_andn2_b64 exec, exec, s[12:13]
	s_cbranch_execnz .LBB215_15
.LBB215_16:                             ;   in Loop: Header=BB215_13 Depth=2
	s_or_b64 exec, exec, s[10:11]
	v_lshl_add_u32 v70, v103, 11, v81
	ds_read2_b32 v[76:77], v70 offset1:32
	ds_read2_b32 v[74:75], v70 offset0:128 offset1:160
	v_add_u32_e32 v70, 0x400, v70
	ds_read2_b32 v[72:73], v70 offset1:32
	ds_read_b32 v106, v104 offset:61444
	ds_read2_b32 v[70:71], v70 offset0:128 offset1:160
	v_add_u32_e32 v105, 1, v79
	ds_write_b32 v104, v105 offset:61440
	s_waitcnt lgkmcnt(2)
	v_cmp_ne_u32_e32 vcc, v106, v79
	s_and_saveexec_b64 s[10:11], vcc
	s_cbranch_execz .LBB215_19
; %bb.17:                               ;   in Loop: Header=BB215_13 Depth=2
	s_mov_b64 s[12:13], 0
.LBB215_18:                             ;   Parent Loop BB215_7 Depth=1
                                        ;     Parent Loop BB215_13 Depth=2
                                        ; =>    This Inner Loop Header: Depth=3
	;;#ASMSTART
	s_sleep 0
	;;#ASMEND
	ds_read_b32 v106, v104 offset:61444
	s_waitcnt lgkmcnt(0)
	v_cmp_eq_u32_e32 vcc, v106, v79
	s_or_b64 s[12:13], vcc, s[12:13]
	s_andn2_b64 exec, exec, s[12:13]
	s_cbranch_execnz .LBB215_18
.LBB215_19:                             ;   in Loop: Header=BB215_13 Depth=2
	s_or_b64 exec, exec, s[10:11]
	v_lshlrev_b32_e32 v106, 13, v103
	v_or_b32_e32 v107, v82, v106
	ds_read2_b32 v[108:109], v107 offset1:32
	ds_write_b32 v104, v105 offset:61444
	s_waitcnt lgkmcnt(1)
	v_mfma_f32_32x32x16_fp8_fp8 v[48:63], v[76:77], v[108:109], v[48:63]
	ds_read2_b32 v[108:109], v107 offset0:128 offset1:160
	v_add_u32_e32 v107, 0x400, v107
	s_waitcnt lgkmcnt(0)
	v_mfma_f32_32x32x16_fp8_fp8 v[48:63], v[74:75], v[108:109], v[48:63]
	ds_read2_b32 v[108:109], v107 offset1:32
	s_waitcnt lgkmcnt(0)
	v_mfma_f32_32x32x16_fp8_fp8 v[48:63], v[72:73], v[108:109], v[48:63]
	ds_read2_b32 v[108:109], v107 offset0:128 offset1:160
	ds_read_b32 v107, v104 offset:61452
	s_waitcnt lgkmcnt(0)
	v_cmp_ne_u32_e32 vcc, v107, v79
	v_mfma_f32_32x32x16_fp8_fp8 v[48:63], v[70:71], v[108:109], v[48:63]
	s_and_saveexec_b64 s[10:11], vcc
	s_cbranch_execz .LBB215_22
; %bb.20:                               ;   in Loop: Header=BB215_13 Depth=2
	s_mov_b64 s[12:13], 0
.LBB215_21:                             ;   Parent Loop BB215_7 Depth=1
                                        ;     Parent Loop BB215_13 Depth=2
                                        ; =>    This Inner Loop Header: Depth=3
	;;#ASMSTART
	s_sleep 0
	;;#ASMEND
	ds_read_b32 v107, v104 offset:61452
	s_waitcnt lgkmcnt(0)
	v_cmp_eq_u32_e32 vcc, v107, v79
	s_or_b64 s[12:13], vcc, s[12:13]
	s_andn2_b64 exec, exec, s[12:13]
	s_cbranch_execnz .LBB215_21
.LBB215_22:                             ;   in Loop: Header=BB215_13 Depth=2
	s_or_b64 exec, exec, s[10:11]
	v_add_u32_e32 v106, v82, v106
	v_add_u32_e32 v107, 0x800, v106
	ds_read2_b32 v[108:109], v107 offset1:32
	ds_write_b32 v104, v105 offset:61452
	s_waitcnt lgkmcnt(1)
	v_mfma_f32_32x32x16_fp8_fp8 v[32:47], v[76:77], v[108:109], v[32:47]
	ds_read2_b32 v[108:109], v107 offset0:128 offset1:160
	v_add_u32_e32 v107, 0xc00, v106
	s_waitcnt lgkmcnt(0)
	v_mfma_f32_32x32x16_fp8_fp8 v[32:47], v[74:75], v[108:109], v[32:47]
	ds_read2_b32 v[108:109], v107 offset1:32
	s_waitcnt lgkmcnt(0)
	v_mfma_f32_32x32x16_fp8_fp8 v[32:47], v[72:73], v[108:109], v[32:47]
	ds_read2_b32 v[108:109], v107 offset0:128 offset1:160
	ds_read_b32 v107, v104 offset:61460
	s_waitcnt lgkmcnt(0)
	v_cmp_ne_u32_e32 vcc, v107, v79
	v_mfma_f32_32x32x16_fp8_fp8 v[32:47], v[70:71], v[108:109], v[32:47]
	s_and_saveexec_b64 s[10:11], vcc
	s_cbranch_execz .LBB215_25
; %bb.23:                               ;   in Loop: Header=BB215_13 Depth=2
	s_mov_b64 s[12:13], 0
.LBB215_24:                             ;   Parent Loop BB215_7 Depth=1
                                        ;     Parent Loop BB215_13 Depth=2
                                        ; =>    This Inner Loop Header: Depth=3
	;;#ASMSTART
	s_sleep 0
	;;#ASMEND
	ds_read_b32 v107, v104 offset:61460
	s_waitcnt lgkmcnt(0)
	v_cmp_eq_u32_e32 vcc, v107, v79
	s_or_b64 s[12:13], vcc, s[12:13]
	s_andn2_b64 exec, exec, s[12:13]
	s_cbranch_execnz .LBB215_24
.LBB215_25:                             ;   in Loop: Header=BB215_13 Depth=2
	s_or_b64 exec, exec, s[10:11]
	v_add_u32_e32 v107, 0x1000, v106
	ds_read2_b32 v[108:109], v107 offset1:32
	s_waitcnt lgkmcnt(0)
	v_mfma_f32_32x32x16_fp8_fp8 v[16:31], v[76:77], v[108:109], v[16:31]
	ds_read2_b32 v[108:109], v107 offset0:128 offset1:160
	v_add_u32_e32 v107, 0x1400, v106
	s_waitcnt lgkmcnt(0)
	v_mfma_f32_32x32x16_fp8_fp8 v[16:31], v[74:75], v[108:109], v[16:31]
	ds_read2_b32 v[108:109], v107 offset1:32
	s_waitcnt lgkmcnt(0)
	v_mfma_f32_32x32x16_fp8_fp8 v[16:31], v[72:73], v[108:109], v[16:31]
	ds_read_b32 v110, v104 offset:61468
	ds_read2_b32 v[108:109], v107 offset0:128 offset1:160
	ds_write_b32 v104, v105 offset:61460
	s_waitcnt lgkmcnt(2)
	v_cmp_ne_u32_e32 vcc, v110, v79
	s_waitcnt lgkmcnt(1)
	v_mfma_f32_32x32x16_fp8_fp8 v[16:31], v[70:71], v[108:109], v[16:31]
	s_and_saveexec_b64 s[10:11], vcc
	s_cbranch_execz .LBB215_12
; %bb.26:                               ;   in Loop: Header=BB215_13 Depth=2
	s_mov_b64 s[12:13], 0
.LBB215_27:                             ;   Parent Loop BB215_7 Depth=1
                                        ;     Parent Loop BB215_13 Depth=2
                                        ; =>    This Inner Loop Header: Depth=3
	;;#ASMSTART
	s_sleep 0
	;;#ASMEND
	ds_read_b32 v107, v104 offset:61468
	s_waitcnt lgkmcnt(0)
	v_cmp_eq_u32_e32 vcc, v107, v79
	s_or_b64 s[12:13], vcc, s[12:13]
	s_andn2_b64 exec, exec, s[12:13]
	s_cbranch_execnz .LBB215_27
	s_branch .LBB215_12
.LBB215_28:                             ;   in Loop: Header=BB215_7 Depth=1
	s_or_b64 exec, exec, s[8:9]
.LBB215_29:                             ;   in Loop: Header=BB215_7 Depth=1
	v_writelane_b32 v127, s48, 23
	s_nop 1
	v_writelane_b32 v127, s49, 24
	v_writelane_b32 v127, s46, 25
	s_nop 1
	v_writelane_b32 v127, s47, 26
	v_writelane_b32 v127, s44, 27
	s_or_b64 exec, exec, s[6:7]
	v_cmp_le_i32_e32 vcc, s5, v80
	v_cmp_eq_u32_e64 s[64:65], 1, v83
	v_cmp_eq_u32_e64 s[30:31], 2, v83
	s_waitcnt vmcnt(0)
	v_cndmask_b32_e32 v70, 0, v102, vcc
	v_pk_mul_f32 v[48:49], v[70:71], v[48:49] op_sel_hi:[0,1]
	v_pk_mul_f32 v[62:63], v[70:71], v[62:63] op_sel_hi:[0,1]
	;; [unrolled: 1-line block ×8, first 2 shown]
	v_cndmask_b32_e64 v70, v48, v49, s[64:65]
	v_cndmask_b32_e64 v70, v70, v50, s[30:31]
	v_cmp_eq_u32_e64 s[40:41], 3, v83
	v_cmp_eq_u32_e64 s[42:43], 4, v83
	v_cmp_eq_u32_e64 s[44:45], 5, v83
	v_cndmask_b32_e64 v70, v70, v51, s[40:41]
	v_cndmask_b32_e64 v70, v70, v52, s[42:43]
	v_cndmask_b32_e64 v70, v70, v53, s[44:45]
	v_cmp_eq_u32_e64 s[46:47], 6, v83
	v_cmp_eq_u32_e64 s[48:49], 7, v83
	v_cmp_eq_u32_e64 s[50:51], 8, v83
	v_cndmask_b32_e64 v70, v70, v54, s[46:47]
	;; [unrolled: 6-line block ×4, first 2 shown]
	v_cndmask_b32_e64 v70, v70, v61, s[60:61]
	v_cndmask_b32_e64 v70, v70, v62, s[62:63]
	v_cmp_eq_u32_e64 s[66:67], 15, v83
	s_mul_i32 s6, s99, s21
	s_ashr_i32 s7, s6, 31
	v_cndmask_b32_e64 v70, v70, v63, s[66:67]
	ds_bpermute_b32 v70, v99, v70
	s_lshl_b64 s[6:7], s[6:7], 1
	v_cmp_eq_u32_e64 s[36:37], 0, v83
	s_add_u32 s70, s76, s6
	v_cmp_eq_u32_e32 vcc, 1, v84
	s_waitcnt lgkmcnt(0)
	v_cndmask_b32_e64 v63, v63, v70, s[66:67]
	v_cndmask_b32_e64 v62, v62, v70, s[62:63]
	;; [unrolled: 1-line block ×16, first 2 shown]
	s_addc_u32 s71, s77, s7
	v_cndmask_b32_e32 v48, v70, v104, vcc
	v_cmp_eq_u32_e64 s[6:7], 2, v84
	v_cmp_eq_u32_e64 s[8:9], 3, v84
	v_cmp_eq_u32_e64 s[10:11], 4, v84
	v_cndmask_b32_e64 v48, v48, v103, s[6:7]
	v_cndmask_b32_e64 v48, v48, v77, s[8:9]
	v_cndmask_b32_e64 v48, v48, v76, s[10:11]
	v_cmp_eq_u32_e64 s[12:13], 5, v84
	v_cmp_eq_u32_e64 s[14:15], 6, v84
	v_cmp_eq_u32_e64 s[16:17], 7, v84
	v_cndmask_b32_e64 v48, v48, v75, s[12:13]
	v_cndmask_b32_e64 v48, v48, v74, s[14:15]
	v_cndmask_b32_e64 v48, v48, v73, s[16:17]
	;; [unrolled: 6-line block ×4, first 2 shown]
	v_cmp_eq_u32_e64 s[34:35], 14, v84
	v_cmp_eq_u32_e64 s[38:39], 15, v84
	s_ashr_i32 s1, s0, 31
	v_cndmask_b32_e64 v48, v48, v62, s[34:35]
	v_cndmask_b32_e64 v48, v48, v63, s[38:39]
	s_lshl_b64 s[68:69], s[0:1], 1
	ds_bpermute_b32 v71, v99, v48
	s_add_u32 s68, s70, s68
	s_addc_u32 s69, s71, s69
	v_writelane_b32 v127, s68, 28
	v_or_b32_e32 v48, 32, v80
	v_or_b32_e32 v68, 64, v80
	v_writelane_b32 v127, s69, 29
	v_cmp_le_i32_e64 s[68:69], s5, v48
	s_waitcnt lgkmcnt(0)
	v_cndmask_b32_e64 v49, v63, v71, s[38:39]
	v_cndmask_b32_e64 v54, v58, v71, s[78:79]
	;; [unrolled: 1-line block ×3, first 2 shown]
	v_cmp_le_i32_e64 s[68:69], s5, v68
	v_or_b32_e32 v68, 0x60, v80
	v_cndmask_b32_e64 v58, v74, v71, s[14:15]
	v_cndmask_b32_e64 v74, 0, v102, s[68:69]
	v_cmp_le_i32_e64 s[70:71], s5, v68
	v_cmp_eq_u32_e64 s[68:69], 0, v84
	v_pk_mul_f32 v[32:33], v[48:49], v[32:33] op_sel_hi:[0,1]
	v_pk_mul_f32 v[30:31], v[74:75], v[30:31] op_sel_hi:[0,1]
	;; [unrolled: 1-line block ×9, first 2 shown]
	v_cndmask_b32_e64 v74, 0, v102, s[70:71]
	v_cndmask_b32_e64 v50, v62, v71, s[34:35]
	;; [unrolled: 1-line block ×12, first 2 shown]
	v_cndmask_b32_e32 v63, v104, v71, vcc
	v_cndmask_b32_e64 v70, v70, v71, s[68:69]
	v_pk_mul_f32 v[46:47], v[48:49], v[46:47] op_sel_hi:[0,1]
	v_pk_mul_f32 v[44:45], v[48:49], v[44:45] op_sel_hi:[0,1]
	;; [unrolled: 1-line block ×7, first 2 shown]
	v_cndmask_b32_e64 v48, v32, v33, s[64:65]
	v_cndmask_b32_e64 v71, v16, v17, s[64:65]
	v_pk_mul_f32 v[0:1], v[74:75], v[0:1] op_sel_hi:[0,1]
	v_cndmask_b32_e64 v48, v48, v34, s[30:31]
	v_cndmask_b32_e64 v71, v71, v18, s[30:31]
	v_pk_mul_f32 v[14:15], v[74:75], v[14:15] op_sel_hi:[0,1]
	v_pk_mul_f32 v[12:13], v[74:75], v[12:13] op_sel_hi:[0,1]
	;; [unrolled: 1-line block ×7, first 2 shown]
	v_cndmask_b32_e64 v74, v0, v1, s[64:65]
	v_cndmask_b32_e64 v48, v48, v35, s[40:41]
	;; [unrolled: 1-line block ×40, first 2 shown]
	ds_bpermute_b32 v48, v99, v48
	ds_bpermute_b32 v71, v99, v71
	v_cndmask_b32_e64 v74, v74, v15, s[66:67]
	ds_bpermute_b32 v74, v99, v74
	v_cmp_eq_u32_e64 s[70:71], 1, v85
	s_waitcnt lgkmcnt(2)
	v_cndmask_b32_e64 v33, v33, v48, s[64:65]
	s_waitcnt lgkmcnt(1)
	v_cndmask_b32_e64 v17, v17, v71, s[64:65]
	v_cndmask_b32_e64 v73, v70, v63, s[70:71]
	v_cmp_eq_u32_e64 s[64:65], 2, v85
	v_cndmask_b32_e64 v47, v47, v48, s[66:67]
	v_cndmask_b32_e64 v31, v31, v71, s[66:67]
	;; [unrolled: 1-line block ×3, first 2 shown]
	s_waitcnt lgkmcnt(0)
	v_cndmask_b32_e64 v15, v15, v74, s[66:67]
	v_cmp_eq_u32_e64 s[66:67], 3, v85
	v_cndmask_b32_e64 v46, v46, v48, s[62:63]
	v_cndmask_b32_e64 v30, v30, v71, s[62:63]
	v_cndmask_b32_e64 v73, v73, v61, s[66:67]
	v_cndmask_b32_e64 v14, v14, v74, s[62:63]
	v_cmp_eq_u32_e64 s[62:63], 4, v85
	v_cndmask_b32_e64 v45, v45, v48, s[60:61]
	v_cndmask_b32_e64 v29, v29, v71, s[60:61]
	v_cndmask_b32_e64 v73, v73, v60, s[62:63]
	;; [unrolled: 5-line block ×4, first 2 shown]
	v_cndmask_b32_e64 v11, v11, v74, s[56:57]
	v_cmp_eq_u32_e64 s[56:57], 7, v85
	v_cmp_eq_u32_e64 s[72:73], 8, v85
	v_cndmask_b32_e64 v41, v41, v48, s[52:53]
	v_cndmask_b32_e64 v73, v73, v57, s[56:57]
	;; [unrolled: 1-line block ×5, first 2 shown]
	v_cmp_eq_u32_e64 s[52:53], 9, v85
	v_cndmask_b32_e64 v40, v40, v48, s[50:51]
	v_cndmask_b32_e64 v24, v24, v71, s[50:51]
	v_cndmask_b32_e64 v73, v73, v55, s[52:53]
	v_cndmask_b32_e64 v8, v8, v74, s[50:51]
	v_cmp_eq_u32_e64 s[50:51], 10, v85
	v_cndmask_b32_e64 v42, v42, v48, s[54:55]
	v_cndmask_b32_e64 v26, v26, v71, s[54:55]
	v_cndmask_b32_e64 v10, v10, v74, s[54:55]
	v_cndmask_b32_e64 v73, v73, v54, s[50:51]
	v_cmp_eq_u32_e64 s[54:55], 11, v85
	v_cndmask_b32_e64 v39, v39, v48, s[48:49]
	v_cndmask_b32_e64 v23, v23, v71, s[48:49]
	v_cndmask_b32_e64 v7, v7, v74, s[48:49]
	v_cndmask_b32_e64 v73, v73, v53, s[54:55]
	v_cmp_eq_u32_e64 s[48:49], 12, v85
	v_cmp_eq_u32_e64 s[74:75], 13, v85
	v_cndmask_b32_e64 v36, v36, v48, s[42:43]
	v_cndmask_b32_e64 v73, v73, v52, s[48:49]
	;; [unrolled: 1-line block ×5, first 2 shown]
	v_cmp_eq_u32_e64 s[42:43], 14, v85
	v_cndmask_b32_e64 v37, v37, v48, s[44:45]
	v_cndmask_b32_e64 v21, v21, v71, s[44:45]
	;; [unrolled: 1-line block ×4, first 2 shown]
	v_cmp_eq_u32_e64 s[44:45], 15, v85
	v_cndmask_b32_e64 v34, v34, v48, s[30:31]
	v_cndmask_b32_e64 v18, v18, v71, s[30:31]
	;; [unrolled: 1-line block ×3, first 2 shown]
	ds_bpermute_b32 v73, v99, v73
	v_cndmask_b32_e64 v2, v2, v74, s[30:31]
	v_cmp_ne_u32_e64 s[30:31], 0, v83
	v_cndmask_b32_e64 v32, v32, v48, s[36:37]
	v_cndmask_b32_e64 v38, v38, v48, s[46:47]
	;; [unrolled: 1-line block ×6, first 2 shown]
	v_cmp_eq_u32_e64 s[40:41], 0, v85
	v_cndmask_b32_e32 v48, v32, v33, vcc
	v_cndmask_b32_e64 v0, v0, v74, s[36:37]
	s_waitcnt lgkmcnt(0)
	v_cndmask_b32_e64 v49, v49, v73, s[44:45]
	v_cndmask_b32_e64 v50, v50, v73, s[42:43]
	;; [unrolled: 1-line block ×17, first 2 shown]
	v_cndmask_b32_e32 v73, v0, v1, vcc
	v_cndmask_b32_e64 v48, v48, v35, s[8:9]
	v_cndmask_b32_e64 v73, v73, v2, s[6:7]
	;; [unrolled: 1-line block ×22, first 2 shown]
	v_cndmask_b32_e32 v71, v16, v17, vcc
	v_cndmask_b32_e64 v73, v73, v11, s[80:81]
	v_cndmask_b32_e64 v48, v48, v45, s[28:29]
	;; [unrolled: 1-line block ×10, first 2 shown]
	ds_bpermute_b32 v48, v99, v48
	v_cndmask_b32_e64 v71, v71, v21, s[12:13]
	v_cndmask_b32_e64 v73, v73, v15, s[38:39]
	;; [unrolled: 1-line block ×3, first 2 shown]
	ds_bpermute_b32 v73, v99, v73
	v_cndmask_b32_e64 v71, v71, v23, s[16:17]
	v_cndmask_b32_e64 v71, v71, v24, s[18:19]
	v_cndmask_b32_e64 v71, v71, v25, s[76:77]
	v_cndmask_b32_e64 v71, v71, v26, s[78:79]
	s_waitcnt lgkmcnt(1)
	v_cndmask_b32_e32 v33, v33, v48, vcc
	v_cndmask_b32_e64 v32, v32, v48, s[68:69]
	v_cndmask_b32_e64 v71, v71, v27, s[80:81]
	;; [unrolled: 1-line block ×16, first 2 shown]
	s_waitcnt lgkmcnt(0)
	v_cndmask_b32_e32 v1, v1, v73, vcc
	v_cndmask_b32_e64 v48, v32, v33, s[70:71]
	v_cndmask_b32_e64 v0, v0, v73, s[68:69]
	v_cndmask_b32_e64 v71, v71, v28, s[82:83]
	v_cndmask_b32_e64 v15, v15, v73, s[38:39]
	v_cndmask_b32_e64 v14, v14, v73, s[34:35]
	v_cndmask_b32_e64 v13, v13, v73, s[28:29]
	v_cndmask_b32_e64 v12, v12, v73, s[82:83]
	v_cndmask_b32_e64 v11, v11, v73, s[80:81]
	v_cndmask_b32_e64 v10, v10, v73, s[78:79]
	v_cndmask_b32_e64 v9, v9, v73, s[76:77]
	v_cndmask_b32_e64 v8, v8, v73, s[18:19]
	v_cndmask_b32_e64 v7, v7, v73, s[16:17]
	v_cndmask_b32_e64 v6, v6, v73, s[14:15]
	v_cndmask_b32_e64 v5, v5, v73, s[12:13]
	v_cndmask_b32_e64 v4, v4, v73, s[10:11]
	v_cndmask_b32_e64 v3, v3, v73, s[8:9]
	v_cndmask_b32_e64 v2, v2, v73, s[6:7]
	v_cndmask_b32_e64 v48, v48, v34, s[64:65]
	v_cndmask_b32_e64 v73, v0, v1, s[70:71]
	v_cndmask_b32_e64 v71, v71, v29, s[28:29]
	v_cndmask_b32_e64 v48, v48, v35, s[66:67]
	v_cndmask_b32_e64 v73, v73, v2, s[64:65]
	v_cndmask_b32_e64 v71, v71, v30, s[34:35]
	v_cndmask_b32_e64 v48, v48, v36, s[62:63]
	v_cndmask_b32_e64 v73, v73, v3, s[66:67]
	v_cndmask_b32_e64 v71, v71, v31, s[38:39]
	v_cndmask_b32_e64 v48, v48, v37, s[60:61]
	v_cndmask_b32_e64 v73, v73, v4, s[62:63]
	ds_bpermute_b32 v71, v99, v71
	v_cndmask_b32_e64 v48, v48, v38, s[58:59]
	v_cndmask_b32_e64 v73, v73, v5, s[60:61]
	;; [unrolled: 1-line block ×8, first 2 shown]
	v_cmp_eq_u32_e64 s[30:31], 1, v86
	v_cndmask_b32_e64 v48, v48, v42, s[50:51]
	v_cndmask_b32_e64 v73, v73, v9, s[52:53]
	;; [unrolled: 1-line block ×3, first 2 shown]
	v_cmp_eq_u32_e64 s[36:37], 2, v86
	s_waitcnt lgkmcnt(0)
	v_cndmask_b32_e32 v17, v17, v71, vcc
	v_cndmask_b32_e64 v48, v48, v43, s[54:55]
	v_cndmask_b32_e64 v16, v16, v71, s[68:69]
	;; [unrolled: 1-line block ×6, first 2 shown]
	v_cmp_eq_u32_e64 s[38:39], 3, v86
	v_cndmask_b32_e64 v29, v29, v71, s[28:29]
	v_cndmask_b32_e64 v28, v28, v71, s[82:83]
	v_cndmask_b32_e64 v27, v27, v71, s[80:81]
	v_cndmask_b32_e64 v26, v26, v71, s[78:79]
	v_cndmask_b32_e64 v25, v25, v71, s[76:77]
	v_cndmask_b32_e64 v24, v24, v71, s[18:19]
	v_cndmask_b32_e64 v23, v23, v71, s[16:17]
	v_cndmask_b32_e64 v22, v22, v71, s[14:15]
	v_cndmask_b32_e64 v21, v21, v71, s[12:13]
	v_cndmask_b32_e64 v20, v20, v71, s[10:11]
	v_cndmask_b32_e64 v19, v19, v71, s[8:9]
	v_cndmask_b32_e64 v18, v18, v71, s[6:7]
	v_cndmask_b32_e64 v48, v48, v44, s[48:49]
	v_cndmask_b32_e64 v71, v16, v17, s[70:71]
	v_cndmask_b32_e64 v73, v73, v11, s[54:55]
	v_cndmask_b32_e64 v74, v74, v61, s[38:39]
	v_cmp_eq_u32_e64 s[28:29], 4, v86
	v_cndmask_b32_e64 v48, v48, v45, s[74:75]
	v_cndmask_b32_e64 v71, v71, v18, s[64:65]
	v_cndmask_b32_e64 v73, v73, v12, s[48:49]
	v_cndmask_b32_e64 v74, v74, v60, s[28:29]
	v_cmp_eq_u32_e64 s[84:85], 5, v86
	v_cndmask_b32_e64 v48, v48, v46, s[42:43]
	v_cndmask_b32_e64 v71, v71, v19, s[66:67]
	v_cndmask_b32_e64 v73, v73, v13, s[74:75]
	v_cndmask_b32_e64 v74, v74, v59, s[84:85]
	;; [unrolled: 5-line block ×3, first 2 shown]
	v_cmp_eq_u32_e64 s[88:89], 7, v86
	ds_bpermute_b32 v48, v99, v48
	v_cndmask_b32_e64 v71, v71, v21, s[60:61]
	v_cndmask_b32_e64 v73, v73, v15, s[44:45]
	v_cndmask_b32_e64 v74, v74, v57, s[88:89]
	v_cmp_eq_u32_e64 s[92:93], 8, v86
	v_cndmask_b32_e64 v71, v71, v22, s[58:59]
	ds_bpermute_b32 v73, v99, v73
	v_cndmask_b32_e64 v74, v74, v56, s[92:93]
	v_cmp_eq_u32_e64 s[18:19], 9, v86
	v_cndmask_b32_e64 v71, v71, v23, s[56:57]
	v_cmp_eq_u32_e64 s[16:17], 10, v86
	v_cndmask_b32_e64 v74, v74, v55, s[18:19]
	v_cndmask_b32_e64 v71, v71, v24, s[72:73]
	;; [unrolled: 1-line block ×3, first 2 shown]
	v_cmp_eq_u32_e64 s[14:15], 11, v86
	v_cndmask_b32_e64 v71, v71, v25, s[52:53]
	v_cmp_eq_u32_e64 s[12:13], 12, v86
	v_cndmask_b32_e64 v74, v74, v53, s[14:15]
	v_cndmask_b32_e64 v71, v71, v26, s[50:51]
	s_waitcnt lgkmcnt(1)
	v_cndmask_b32_e64 v33, v33, v48, s[70:71]
	v_cndmask_b32_e64 v32, v32, v48, s[40:41]
	;; [unrolled: 1-line block ×3, first 2 shown]
	v_cmp_eq_u32_e64 s[76:77], 13, v86
	v_cndmask_b32_e64 v71, v71, v27, s[54:55]
	v_cndmask_b32_e64 v47, v47, v48, s[44:45]
	;; [unrolled: 1-line block ×15, first 2 shown]
	s_waitcnt lgkmcnt(0)
	v_cndmask_b32_e64 v1, v1, v73, s[70:71]
	v_cndmask_b32_e64 v48, v32, v33, s[30:31]
	;; [unrolled: 1-line block ×4, first 2 shown]
	v_cmp_eq_u32_e64 s[10:11], 14, v86
	v_cndmask_b32_e64 v71, v71, v28, s[48:49]
	v_cndmask_b32_e64 v15, v15, v73, s[44:45]
	;; [unrolled: 1-line block ×18, first 2 shown]
	v_cmp_eq_u32_e64 s[6:7], 15, v86
	v_cndmask_b32_e64 v71, v71, v29, s[74:75]
	v_cndmask_b32_e64 v48, v48, v35, s[38:39]
	;; [unrolled: 1-line block ×7, first 2 shown]
	ds_bpermute_b32 v74, v99, v74
	v_cndmask_b32_e64 v71, v71, v31, s[44:45]
	v_cndmask_b32_e64 v48, v48, v37, s[84:85]
	;; [unrolled: 1-line block ×3, first 2 shown]
	ds_bpermute_b32 v71, v99, v71
	v_cndmask_b32_e64 v48, v48, v38, s[80:81]
	v_cndmask_b32_e64 v73, v73, v5, s[84:85]
	;; [unrolled: 1-line block ×6, first 2 shown]
	v_cmp_eq_u32_e64 s[8:9], 0, v86
	v_cndmask_b32_e64 v48, v48, v41, s[18:19]
	v_cndmask_b32_e64 v73, v73, v8, s[92:93]
	s_waitcnt lgkmcnt(1)
	v_cndmask_b32_e64 v63, v63, v74, s[30:31]
	v_cndmask_b32_e64 v70, v70, v74, s[8:9]
	v_cmp_eq_u32_e64 s[34:35], 1, v87
	v_cndmask_b32_e64 v48, v48, v42, s[16:17]
	v_cndmask_b32_e64 v73, v73, v9, s[18:19]
	;; [unrolled: 1-line block ×17, first 2 shown]
	s_waitcnt lgkmcnt(0)
	v_cndmask_b32_e64 v31, v31, v71, s[44:45]
	v_cmp_eq_u32_e64 s[44:45], 2, v87
	v_cndmask_b32_e64 v17, v17, v71, s[70:71]
	v_cndmask_b32_e64 v48, v48, v43, s[14:15]
	v_cndmask_b32_e64 v16, v16, v71, s[40:41]
	v_cndmask_b32_e64 v73, v73, v10, s[16:17]
	v_cndmask_b32_e64 v74, v74, v62, s[44:45]
	v_cndmask_b32_e64 v30, v30, v71, s[42:43]
	v_cmp_eq_u32_e64 s[46:47], 3, v87
	v_cndmask_b32_e64 v29, v29, v71, s[74:75]
	v_cndmask_b32_e64 v28, v28, v71, s[48:49]
	;; [unrolled: 1-line block ×16, first 2 shown]
	v_cmp_eq_u32_e64 s[42:43], 4, v87
	v_cndmask_b32_e64 v48, v48, v45, s[76:77]
	v_cndmask_b32_e64 v71, v71, v18, s[36:37]
	v_cndmask_b32_e64 v73, v73, v12, s[12:13]
	v_cndmask_b32_e64 v74, v74, v60, s[42:43]
	v_cmp_eq_u32_e64 s[48:49], 5, v87
	v_cndmask_b32_e64 v48, v48, v46, s[10:11]
	v_cndmask_b32_e64 v71, v71, v19, s[38:39]
	v_cndmask_b32_e64 v73, v73, v13, s[76:77]
	v_cndmask_b32_e64 v74, v74, v59, s[48:49]
	;; [unrolled: 5-line block ×3, first 2 shown]
	v_cmp_eq_u32_e64 s[68:69], 7, v87
	ds_bpermute_b32 v48, v99, v48
	v_cndmask_b32_e64 v71, v71, v21, s[84:85]
	v_cndmask_b32_e64 v73, v73, v15, s[6:7]
	v_cndmask_b32_e64 v74, v74, v57, s[68:69]
	v_cmp_eq_u32_e64 s[74:75], 8, v87
	v_cndmask_b32_e64 v71, v71, v22, s[80:81]
	ds_bpermute_b32 v73, v99, v73
	v_cndmask_b32_e64 v74, v74, v56, s[74:75]
	v_cmp_eq_u32_e64 s[72:73], 9, v87
	v_cndmask_b32_e64 v71, v71, v23, s[88:89]
	v_cmp_eq_u32_e64 s[56:57], 10, v87
	v_cndmask_b32_e64 v74, v74, v55, s[72:73]
	v_cndmask_b32_e64 v71, v71, v24, s[92:93]
	;; [unrolled: 1-line block ×3, first 2 shown]
	v_cmp_eq_u32_e64 s[78:79], 11, v87
	v_cndmask_b32_e64 v71, v71, v25, s[18:19]
	v_cmp_eq_u32_e64 s[60:61], 12, v87
	v_cndmask_b32_e64 v74, v74, v53, s[78:79]
	v_cndmask_b32_e64 v71, v71, v26, s[16:17]
	s_waitcnt lgkmcnt(1)
	v_cndmask_b32_e64 v33, v33, v48, s[30:31]
	v_cndmask_b32_e64 v32, v32, v48, s[8:9]
	;; [unrolled: 1-line block ×3, first 2 shown]
	v_cmp_eq_u32_e64 s[82:83], 13, v87
	v_cndmask_b32_e64 v71, v71, v27, s[14:15]
	v_cndmask_b32_e64 v34, v34, v48, s[36:37]
	s_waitcnt lgkmcnt(0)
	v_cndmask_b32_e64 v76, v1, v73, s[30:31]
	v_cndmask_b32_e64 v1, v32, v33, s[34:35]
	;; [unrolled: 1-line block ×3, first 2 shown]
	v_cmp_eq_u32_e64 s[86:87], 14, v87
	v_cndmask_b32_e64 v71, v71, v28, s[12:13]
	v_cndmask_b32_e64 v35, v35, v48, s[38:39]
	;; [unrolled: 1-line block ×4, first 2 shown]
	v_cmp_eq_u32_e64 s[90:91], 15, v87
	v_cndmask_b32_e64 v71, v71, v29, s[76:77]
	v_cndmask_b32_e64 v36, v36, v48, s[28:29]
	v_cndmask_b32_e64 v1, v1, v35, s[46:47]
	v_cndmask_b32_e64 v74, v74, v49, s[90:91]
	v_cndmask_b32_e64 v71, v71, v30, s[10:11]
	v_cndmask_b32_e64 v37, v37, v48, s[84:85]
	v_cndmask_b32_e64 v1, v1, v36, s[42:43]
	ds_bpermute_b32 v74, v99, v74
	v_cndmask_b32_e64 v71, v71, v31, s[6:7]
	v_cndmask_b32_e64 v38, v38, v48, s[80:81]
	;; [unrolled: 1-line block ×3, first 2 shown]
	ds_bpermute_b32 v71, v99, v71
	v_cndmask_b32_e64 v39, v39, v48, s[88:89]
	v_cndmask_b32_e64 v1, v1, v38, s[54:55]
	;; [unrolled: 1-line block ×6, first 2 shown]
	v_cmp_eq_u32_e64 s[50:51], 0, v87
	v_cndmask_b32_e64 v42, v42, v48, s[16:17]
	v_cndmask_b32_e64 v1, v1, v41, s[72:73]
	s_waitcnt lgkmcnt(1)
	v_cndmask_b32_e64 v63, v63, v74, s[34:35]
	v_cndmask_b32_e64 v70, v70, v74, s[50:51]
	v_cmp_eq_u32_e32 vcc, 1, v88
	v_cndmask_b32_e64 v43, v43, v48, s[14:15]
	v_cndmask_b32_e64 v1, v1, v42, s[56:57]
	;; [unrolled: 1-line block ×16, first 2 shown]
	v_cndmask_b32_e32 v74, v70, v63, vcc
	v_cndmask_b32_e64 v47, v47, v48, s[6:7]
	s_waitcnt lgkmcnt(0)
	v_cndmask_b32_e64 v31, v31, v71, s[6:7]
	v_cndmask_b32_e64 v15, v15, v73, s[6:7]
	v_cmp_eq_u32_e64 s[6:7], 2, v88
	v_cndmask_b32_e64 v44, v44, v48, s[12:13]
	v_cndmask_b32_e64 v1, v1, v43, s[78:79]
	;; [unrolled: 1-line block ×6, first 2 shown]
	v_cmp_eq_u32_e64 s[10:11], 3, v88
	v_cndmask_b32_e64 v45, v45, v48, s[76:77]
	v_cndmask_b32_e64 v1, v1, v44, s[60:61]
	;; [unrolled: 1-line block ×3, first 2 shown]
	v_cmp_eq_u32_e64 s[40:41], 4, v88
	v_cndmask_b32_e64 v1, v1, v45, s[82:83]
	v_cmp_eq_u32_e64 s[52:53], 5, v88
	v_cndmask_b32_e64 v74, v74, v60, s[40:41]
	v_cndmask_b32_e64 v1, v1, v46, s[86:87]
	;; [unrolled: 1-line block ×6, first 2 shown]
	v_cmp_eq_u32_e64 s[58:59], 6, v88
	v_cndmask_b32_e64 v10, v10, v73, s[16:17]
	v_cndmask_b32_e64 v9, v9, v73, s[18:19]
	;; [unrolled: 1-line block ×14, first 2 shown]
	v_cmp_eq_u32_e64 s[62:63], 7, v88
	v_cndmask_b32_e64 v18, v18, v71, s[36:37]
	ds_bpermute_b32 v48, v99, v1
	v_cndmask_b32_e64 v1, v16, v75, s[34:35]
	v_cndmask_b32_e64 v0, v73, v76, s[34:35]
	;; [unrolled: 1-line block ×3, first 2 shown]
	v_cmp_eq_u32_e64 s[70:71], 8, v88
	v_cndmask_b32_e64 v19, v19, v71, s[38:39]
	v_cndmask_b32_e64 v1, v1, v18, s[44:45]
	;; [unrolled: 1-line block ×5, first 2 shown]
	v_cmp_eq_u32_e64 s[76:77], 9, v88
	v_cndmask_b32_e64 v20, v20, v71, s[28:29]
	v_cndmask_b32_e64 v1, v1, v19, s[46:47]
	;; [unrolled: 1-line block ×4, first 2 shown]
	v_cmp_eq_u32_e64 s[66:67], 10, v88
	v_cndmask_b32_e64 v21, v21, v71, s[84:85]
	v_cndmask_b32_e64 v1, v1, v20, s[42:43]
	;; [unrolled: 1-line block ×5, first 2 shown]
	v_cmp_eq_u32_e64 s[64:65], 11, v88
	v_cndmask_b32_e64 v1, v1, v21, s[48:49]
	v_cndmask_b32_e64 v0, v0, v5, s[48:49]
	v_cndmask_b32_e64 v23, v23, v71, s[88:89]
	v_cndmask_b32_e64 v74, v74, v53, s[64:65]
	v_cmp_eq_u32_e64 s[80:81], 12, v88
	v_cndmask_b32_e64 v1, v1, v22, s[54:55]
	v_cndmask_b32_e64 v0, v0, v6, s[54:55]
	v_cndmask_b32_e64 v24, v24, v71, s[92:93]
	v_cndmask_b32_e64 v74, v74, v52, s[80:81]
	;; [unrolled: 5-line block ×5, first 2 shown]
	v_cndmask_b32_e64 v1, v1, v26, s[56:57]
	v_cndmask_b32_e64 v0, v0, v10, s[56:57]
	;; [unrolled: 1-line block ×3, first 2 shown]
	ds_bpermute_b32 v74, v99, v74
	v_cndmask_b32_e64 v1, v1, v27, s[78:79]
	v_cndmask_b32_e64 v0, v0, v11, s[78:79]
	;; [unrolled: 1-line block ×8, first 2 shown]
	v_cmp_eq_u32_e64 s[94:95], 0, v88
	v_cndmask_b32_e64 v1, v1, v31, s[90:91]
	v_cndmask_b32_e64 v0, v0, v15, s[90:91]
	s_waitcnt lgkmcnt(0)
	v_cndmask_b32_e64 v49, v49, v74, s[92:93]
	v_cndmask_b32_e64 v50, v50, v74, s[88:89]
	;; [unrolled: 1-line block ×14, first 2 shown]
	v_cndmask_b32_e32 v63, v63, v74, vcc
	v_cndmask_b32_e64 v70, v70, v74, s[94:95]
	ds_bpermute_b32 v71, v99, v1
	ds_bpermute_b32 v74, v99, v0
	v_cndmask_b32_e64 v68, v35, v48, s[46:47]
	v_cndmask_b32_e64 v91, v36, v48, s[42:43]
	;; [unrolled: 1-line block ×3, first 2 shown]
	s_waitcnt lgkmcnt(1)
	v_cndmask_b32_e64 v105, v29, v71, s[82:83]
	s_waitcnt lgkmcnt(0)
	v_cndmask_b32_e64 v108, v12, v74, s[60:61]
	v_cndmask_b32_e64 v12, v33, v48, s[34:35]
	;; [unrolled: 1-line block ×7, first 2 shown]
	v_cndmask_b32_e32 v19, v29, v12, vcc
	v_cndmask_b32_e64 v19, v19, v4, s[6:7]
	v_cndmask_b32_e64 v19, v19, v68, s[10:11]
	;; [unrolled: 1-line block ×30, first 2 shown]
	ds_bpermute_b32 v30, v99, v19
	v_cndmask_b32_e32 v19, v16, v13, vcc
	v_cndmask_b32_e64 v19, v19, v5, s[6:7]
	v_cndmask_b32_e64 v92, v20, v71, s[42:43]
	;; [unrolled: 1-line block ×15, first 2 shown]
	v_cmp_eq_u32_e64 s[8:9], 1, v89
	v_cndmask_b32_e64 v109, v27, v71, s[78:79]
	v_cndmask_b32_e64 v19, v19, v111, s[66:67]
	;; [unrolled: 1-line block ×3, first 2 shown]
	v_cmp_eq_u32_e64 s[12:13], 2, v89
	v_cndmask_b32_e64 v107, v28, v71, s[60:61]
	v_cndmask_b32_e64 v19, v19, v109, s[64:65]
	;; [unrolled: 1-line block ×3, first 2 shown]
	v_cmp_eq_u32_e64 s[14:15], 3, v89
	v_cndmask_b32_e64 v19, v19, v107, s[80:81]
	v_cmp_eq_u32_e64 s[16:17], 4, v89
	v_cndmask_b32_e64 v0, v0, v61, s[14:15]
	v_cndmask_b32_e64 v19, v19, v105, s[84:85]
	v_cndmask_b32_e64 v77, v31, v71, s[90:91]
	v_cndmask_b32_e64 v0, v0, v60, s[16:17]
	v_cmp_eq_u32_e64 s[18:19], 5, v89
	v_cndmask_b32_e64 v19, v19, v103, s[88:89]
	v_cndmask_b32_e64 v104, v14, v74, s[86:87]
	v_cndmask_b32_e64 v0, v0, v59, s[18:19]
	;; [unrolled: 5-line block ×3, first 2 shown]
	v_cndmask_b32_e64 v0, v0, v58, s[78:79]
	v_cmp_eq_u32_e64 s[82:83], 7, v89
	v_cndmask_b32_e64 v123, v6, v74, s[54:55]
	v_cndmask_b32_e64 v6, v2, v74, s[44:45]
	ds_bpermute_b32 v20, v99, v19
	v_cndmask_b32_e32 v19, v21, v14, vcc
	v_cndmask_b32_e64 v0, v0, v57, s[82:83]
	v_cndmask_b32_e64 v114, v9, v74, s[72:73]
	v_cmp_eq_u32_e64 s[72:73], 8, v89
	v_cndmask_b32_e64 v3, v3, v74, s[46:47]
	v_cndmask_b32_e64 v19, v19, v6, s[6:7]
	;; [unrolled: 1-line block ×3, first 2 shown]
	v_cmp_eq_u32_e64 s[28:29], 9, v89
	v_cndmask_b32_e64 v19, v19, v3, s[10:11]
	v_cmp_eq_u32_e64 s[30:31], 10, v89
	v_cndmask_b32_e64 v0, v0, v55, s[28:29]
	v_cndmask_b32_e64 v19, v19, v93, s[40:41]
	v_cndmask_b32_e64 v0, v0, v54, s[30:31]
	v_cmp_eq_u32_e64 s[36:37], 11, v89
	v_cndmask_b32_e64 v19, v19, v126, s[52:53]
	v_cndmask_b32_e64 v120, v7, v74, s[68:69]
	;; [unrolled: 4-line block ×3, first 2 shown]
	v_cndmask_b32_e64 v0, v0, v52, s[38:39]
	v_cmp_eq_u32_e64 s[42:43], 13, v89
	v_cndmask_b32_e64 v19, v19, v120, s[62:63]
	v_cmp_eq_u32_e64 s[46:47], 14, v89
	v_cndmask_b32_e64 v0, v0, v51, s[42:43]
	v_cndmask_b32_e64 v19, v19, v117, s[70:71]
	;; [unrolled: 1-line block ×4, first 2 shown]
	v_cmp_eq_u32_e64 s[44:45], 15, v89
	v_cndmask_b32_e64 v19, v19, v114, s[76:77]
	v_cndmask_b32_e64 v19, v19, v112, s[66:67]
	;; [unrolled: 1-line block ×3, first 2 shown]
	ds_bpermute_b32 v0, v99, v0
	v_cndmask_b32_e64 v19, v19, v110, s[64:65]
	v_cndmask_b32_e64 v19, v19, v108, s[80:81]
	;; [unrolled: 1-line block ×4, first 2 shown]
	v_cmp_eq_u32_e64 s[34:35], 0, v89
	v_cndmask_b32_e64 v19, v19, v102, s[92:93]
	s_waitcnt lgkmcnt(0)
	v_cndmask_b32_e64 v7, v49, v0, s[44:45]
	v_cndmask_b32_e64 v8, v50, v0, s[46:47]
	;; [unrolled: 1-line block ×16, first 2 shown]
	ds_bpermute_b32 v28, v99, v19
	v_cmp_eq_u32_e64 s[48:49], 1, v90
	v_cmp_eq_u32_e64 s[50:51], 2, v90
	;; [unrolled: 1-line block ×3, first 2 shown]
	v_cndmask_b32_e64 v33, v0, v18, s[48:49]
	v_cndmask_b32_e64 v34, v33, v17, s[50:51]
	;; [unrolled: 1-line block ×3, first 2 shown]
	v_cmp_eq_u32_e64 s[56:57], 4, v90
	v_cmp_eq_u32_e64 s[60:61], 5, v90
	v_cndmask_b32_e64 v57, v43, v30, s[64:65]
	v_cndmask_b32_e64 v39, v35, v1, s[56:57]
	;; [unrolled: 1-line block ×4, first 2 shown]
	s_waitcnt lgkmcnt(0)
	v_cndmask_b32_e64 v48, v110, v28, s[64:65]
	v_cmp_eq_u32_e64 s[64:65], 6, v90
	v_cndmask_b32_e64 v58, v42, v30, s[66:67]
	v_cndmask_b32_e64 v49, v112, v28, s[66:67]
	;; [unrolled: 1-line block ×4, first 2 shown]
	v_cmp_eq_u32_e64 s[66:67], 7, v90
	v_cmp_eq_u32_e64 s[68:69], 8, v90
	v_cndmask_b32_e64 v60, v115, v30, s[70:71]
	v_cndmask_b32_e64 v42, v43, v25, s[66:67]
	v_cndmask_b32_e64 v43, v42, v24, s[68:69]
	v_cndmask_b32_e64 v42, v116, v20, s[70:71]
	v_cndmask_b32_e64 v51, v117, v28, s[70:71]
	v_cmp_eq_u32_e64 s[70:71], 9, v90
	v_cndmask_b32_e64 v56, v44, v30, s[80:81]
	v_cndmask_b32_e64 v61, v118, v30, s[62:63]
	v_cndmask_b32_e64 v44, v43, v23, s[70:71]
	v_cndmask_b32_e64 v43, v119, v20, s[62:63]
	v_cndmask_b32_e64 v52, v120, v28, s[62:63]
	;; [unrolled: 6-line block ×3, first 2 shown]
	v_cndmask_b32_e64 v53, v123, v28, s[58:59]
	v_cmp_eq_u32_e64 s[58:59], 11, v90
	v_cndmask_b32_e64 v63, v124, v30, s[52:53]
	v_cndmask_b32_e64 v54, v126, v28, s[52:53]
	v_cndmask_b32_e64 v55, v45, v11, s[58:59]
	v_cndmask_b32_e64 v45, v125, v20, s[52:53]
	v_cmp_eq_u32_e64 s[52:53], 12, v90
	v_cndmask_b32_e64 v70, v91, v30, s[40:41]
	v_cndmask_b32_e64 v71, v92, v20, s[40:41]
	v_cndmask_b32_e64 v69, v55, v10, s[52:53]
	;; [unrolled: 5-line block ×4, first 2 shown]
	v_cndmask_b32_e64 v69, v4, v30, s[6:7]
	v_cmp_eq_u32_e64 s[6:7], 15, v90
	v_cndmask_b32_e64 v19, v77, v20, s[92:93]
	v_cndmask_b32_e32 v91, v12, v30, vcc
	v_cndmask_b32_e64 v3, v3, v7, s[6:7]
	ds_bpermute_b32 v77, v99, v3
	v_cndmask_b32_e64 v59, v41, v30, s[76:77]
	v_cndmask_b32_e64 v46, v46, v30, s[88:89]
	v_cndmask_b32_e32 v92, v13, v20, vcc
	v_cndmask_b32_e32 v93, v14, v28, vcc
	s_waitcnt lgkmcnt(0)
	v_cndmask_b32_e64 v12, v10, v77, s[52:53]
	v_cndmask_b32_e64 v10, v22, v77, s[62:63]
	;; [unrolled: 1-line block ×20, first 2 shown]
	ds_bpermute_b32 v23, v99, v3
	v_cndmask_b32_e64 v14, v8, v77, s[10:11]
	v_cndmask_b32_e64 v8, v24, v77, s[68:69]
	;; [unrolled: 1-line block ×4, first 2 shown]
	s_waitcnt lgkmcnt(0)
	v_cndmask_b32_e64 v24, v47, v23, s[42:43]
	v_cndmask_b32_e64 v26, v57, v23, s[36:37]
	;; [unrolled: 1-line block ×36, first 2 shown]
	ds_bpermute_b32 v69, v99, v22
	v_cndmask_b32_e64 v16, v16, v20, s[94:95]
	v_cndmask_b32_e64 v41, v113, v20, s[76:77]
	;; [unrolled: 1-line block ×4, first 2 shown]
	s_waitcnt lgkmcnt(0)
	v_cndmask_b32_e64 v31, v17, v69, s[6:7]
	v_cndmask_b32_e64 v17, v16, v92, s[8:9]
	;; [unrolled: 1-line block ×17, first 2 shown]
	ds_bpermute_b32 v17, v99, v17
	v_cmp_eq_u32_e32 vcc, 0, v90
	v_cndmask_b32_e64 v11, v11, v77, s[58:59]
	v_cndmask_b32_e64 v5, v27, v77, s[60:61]
	v_cndmask_b32_e32 v0, v0, v77, vcc
	v_cndmask_b32_e64 v20, v60, v69, s[56:57]
	s_waitcnt lgkmcnt(0)
	v_cndmask_b32_e64 v60, v71, v17, s[16:17]
	v_cndmask_b32_e64 v71, v73, v17, s[14:15]
	;; [unrolled: 1-line block ×39, first 2 shown]
	ds_bpermute_b32 v91, v99, v16
	v_cndmask_b32_e64 v32, v102, v28, s[92:93]
	v_cndmask_b32_e64 v33, v104, v28, s[88:89]
	;; [unrolled: 1-line block ×7, first 2 shown]
	s_waitcnt lgkmcnt(0)
	v_cndmask_b32_e64 v47, v46, v91, s[6:7]
	v_cndmask_b32_e64 v46, v36, v91, s[10:11]
	;; [unrolled: 1-line block ×19, first 2 shown]
	ds_bpermute_b32 v56, v99, v36
	v_cndmask_b32_e64 v43, v39, v91, s[58:59]
	v_cndmask_b32_e64 v39, v57, v91, s[66:67]
	;; [unrolled: 1-line block ×4, first 2 shown]
	s_waitcnt lgkmcnt(0)
	v_cndmask_b32_e64 v92, v93, v56, s[8:9]
	v_cndmask_b32_e64 v70, v70, v56, s[34:35]
	;; [unrolled: 1-line block ×9, first 2 shown]
	v_cndmask_b32_e32 v16, v68, v69, vcc
	v_cndmask_b32_e64 v69, v55, v56, s[16:17]
	v_cndmask_b32_e64 v32, v32, v74, s[54:55]
	;; [unrolled: 1-line block ×29, first 2 shown]
	ds_bpermute_b32 v93, v99, v32
	v_cndmask_b32_e64 v33, v75, v91, s[48:49]
	v_readlane_b32 s18, v127, 10
	v_readlane_b32 s28, v127, 12
	;; [unrolled: 1-line block ×3, first 2 shown]
	s_waitcnt lgkmcnt(0)
	v_cndmask_b32_e64 v63, v57, v93, s[6:7]
	v_readlane_b32 s6, v127, 28
	v_cndmask_b32_e64 v62, v58, v93, s[10:11]
	v_cndmask_b32_e64 v58, v49, v93, s[62:63]
	;; [unrolled: 1-line block ×3, first 2 shown]
	v_readlane_b32 s7, v127, 29
	v_readlane_b32 s46, v127, 25
	;; [unrolled: 1-line block ×3, first 2 shown]
	v_subrev_u32_e32 v101, s4, v101
	s_mov_b32 s1, 0
	v_cndmask_b32_e64 v41, v41, v91, s[70:71]
	v_cndmask_b32_e64 v35, v71, v91, s[54:55]
	;; [unrolled: 1-line block ×3, first 2 shown]
	v_cndmask_b32_e32 v32, v77, v91, vcc
	v_cndmask_b32_e64 v61, v59, v93, s[40:41]
	v_cndmask_b32_e64 v60, v60, v93, s[52:53]
	;; [unrolled: 1-line block ×11, first 2 shown]
	v_cndmask_b32_e32 v48, v70, v93, vcc
	v_lshl_add_u64 v[70:71], s[6:7], 0, v[64:65]
	s_mov_b64 s[6:7], 0
	s_mov_b32 s5, 0
	v_readlane_b32 s19, v127, 11
	v_readlane_b32 s29, v127, 13
	;; [unrolled: 1-line block ×9, first 2 shown]
	s_mov_b64 s[40:41], 0x80
	s_mov_b64 s[42:43], 0xc0
	v_readlane_b32 s44, v127, 27
	v_readlane_b32 s47, v127, 26
	;; [unrolled: 1-line block ×3, first 2 shown]
                                        ; implicit-def: $sgpr8_sgpr9
	s_branch .LBB215_32
.LBB215_30:                             ;   in Loop: Header=BB215_32 Depth=2
	s_or_b64 exec, exec, s[12:13]
	s_andn2_b64 s[8:9], s[8:9], exec
	s_and_b64 s[12:13], s[14:15], exec
	s_or_b64 s[8:9], s[8:9], s[12:13]
.LBB215_31:                             ;   in Loop: Header=BB215_32 Depth=2
	s_or_b64 exec, exec, s[10:11]
	s_and_b64 s[10:11], exec, s[8:9]
	s_or_b64 s[6:7], s[10:11], s[6:7]
	s_andn2_b64 exec, exec, s[6:7]
	s_cbranch_execz .LBB215_35
.LBB215_32:                             ;   Parent Loop BB215_7 Depth=1
                                        ; =>  This Inner Loop Header: Depth=2
	s_and_b32 s12, s1, 24
	v_or_b32_e32 v73, s12, v97
	v_add_u32_e32 v68, s96, v73
	v_cmp_gt_u32_e32 vcc, 32, v68
	s_or_b64 s[8:9], s[8:9], exec
	s_and_saveexec_b64 s[10:11], vcc
	s_cbranch_execz .LBB215_31
; %bb.33:                               ;   in Loop: Header=BB215_32 Depth=2
	s_add_i32 s13, s5, 1
	s_set_gpr_idx_on s5, gpr_idx(SRC0)
	v_mov_b32_e32 v68, v0
	s_set_gpr_idx_off
	v_cvt_f16_f32_e32 v68, v68
	s_set_gpr_idx_on s13, gpr_idx(SRC0)
	v_mov_b32_e32 v69, v0
	s_set_gpr_idx_off
	v_cvt_f16_f32_sdwa v69, v69 dst_sel:WORD_1 dst_unused:UNUSED_PAD src0_sel:DWORD
	v_mul_lo_u32 v74, v73, s21
	v_ashrrev_i32_e32 v75, 31, v74
	v_lshl_add_u64 v[74:75], v[74:75], 1, v[70:71]
	v_or_b32_e32 v68, v69, v68
	;;#ASMSTART
	global_atomic_pk_add_f16 v[74:75], v68, off
	
	;;#ASMEND
	s_set_gpr_idx_on s5, gpr_idx(SRC0)
	v_mov_b32_e32 v68, v16
	s_set_gpr_idx_off
	v_cvt_f16_f32_e32 v68, v68
	s_set_gpr_idx_on s13, gpr_idx(SRC0)
	v_mov_b32_e32 v69, v16
	s_set_gpr_idx_off
	v_cvt_f16_f32_sdwa v69, v69 dst_sel:WORD_1 dst_unused:UNUSED_PAD src0_sel:DWORD
	v_lshl_add_u64 v[76:77], v[74:75], 0, 64
	v_or_b32_e32 v73, s12, v98
	s_mov_b64 s[14:15], -1
	v_or_b32_e32 v68, v69, v68
	;;#ASMSTART
	global_atomic_pk_add_f16 v[76:77], v68, off
	
	;;#ASMEND
	s_set_gpr_idx_on s5, gpr_idx(SRC0)
	v_mov_b32_e32 v68, v32
	s_set_gpr_idx_off
	v_cvt_f16_f32_e32 v68, v68
	s_set_gpr_idx_on s13, gpr_idx(SRC0)
	v_mov_b32_e32 v69, v32
	s_set_gpr_idx_off
	v_cvt_f16_f32_sdwa v69, v69 dst_sel:WORD_1 dst_unused:UNUSED_PAD src0_sel:DWORD
	v_lshl_add_u64 v[76:77], v[74:75], 0, s[40:41]
	v_lshl_add_u64 v[74:75], v[74:75], 0, s[42:43]
	v_or_b32_e32 v68, v69, v68
	;;#ASMSTART
	global_atomic_pk_add_f16 v[76:77], v68, off
	
	;;#ASMEND
	s_set_gpr_idx_on s5, gpr_idx(SRC0)
	v_mov_b32_e32 v68, v48
	s_set_gpr_idx_off
	v_cvt_f16_f32_e32 v68, v68
	s_set_gpr_idx_on s13, gpr_idx(SRC0)
	v_mov_b32_e32 v69, v48
	s_set_gpr_idx_off
	v_cvt_f16_f32_sdwa v69, v69 dst_sel:WORD_1 dst_unused:UNUSED_PAD src0_sel:DWORD
	s_nop 0
	v_or_b32_e32 v68, v69, v68
	;;#ASMSTART
	global_atomic_pk_add_f16 v[74:75], v68, off
	
	;;#ASMEND
	v_add_u32_e32 v68, s96, v73
	v_cmp_gt_u32_e32 vcc, 32, v68
	s_and_saveexec_b64 s[12:13], vcc
	s_cbranch_execz .LBB215_30
; %bb.34:                               ;   in Loop: Header=BB215_32 Depth=2
	s_add_i32 s14, s5, 2
	s_add_i32 s15, s5, 3
	s_set_gpr_idx_on s14, gpr_idx(SRC0)
	v_mov_b32_e32 v68, v0
	s_set_gpr_idx_off
	v_cvt_f16_f32_e32 v68, v68
	s_set_gpr_idx_on s15, gpr_idx(SRC0)
	v_mov_b32_e32 v69, v0
	s_set_gpr_idx_off
	v_cvt_f16_f32_sdwa v69, v69 dst_sel:WORD_1 dst_unused:UNUSED_PAD src0_sel:DWORD
	v_mul_lo_u32 v74, v73, s21
	v_ashrrev_i32_e32 v75, 31, v74
	v_lshl_add_u64 v[74:75], v[74:75], 1, v[70:71]
	v_or_b32_e32 v68, v69, v68
	;;#ASMSTART
	global_atomic_pk_add_f16 v[74:75], v68, off
	
	;;#ASMEND
	s_set_gpr_idx_on s14, gpr_idx(SRC0)
	v_mov_b32_e32 v68, v16
	s_set_gpr_idx_off
	v_cvt_f16_f32_e32 v68, v68
	s_set_gpr_idx_on s15, gpr_idx(SRC0)
	v_mov_b32_e32 v69, v16
	s_set_gpr_idx_off
	v_cvt_f16_f32_sdwa v69, v69 dst_sel:WORD_1 dst_unused:UNUSED_PAD src0_sel:DWORD
	v_lshl_add_u64 v[76:77], v[74:75], 0, 64
	s_add_i32 s5, s5, 4
	s_add_i32 s1, s1, 8
	v_or_b32_e32 v68, v69, v68
	;;#ASMSTART
	global_atomic_pk_add_f16 v[76:77], v68, off
	
	;;#ASMEND
	s_set_gpr_idx_on s14, gpr_idx(SRC0)
	v_mov_b32_e32 v68, v32
	s_set_gpr_idx_off
	v_cvt_f16_f32_e32 v68, v68
	s_set_gpr_idx_on s15, gpr_idx(SRC0)
	v_mov_b32_e32 v69, v32
	s_set_gpr_idx_off
	v_cvt_f16_f32_sdwa v69, v69 dst_sel:WORD_1 dst_unused:UNUSED_PAD src0_sel:DWORD
	v_lshl_add_u64 v[76:77], v[74:75], 0, s[40:41]
	s_cmp_eq_u32 s5, 16
	v_lshl_add_u64 v[74:75], v[74:75], 0, s[42:43]
	v_or_b32_e32 v68, v69, v68
	;;#ASMSTART
	global_atomic_pk_add_f16 v[76:77], v68, off
	
	;;#ASMEND
	s_set_gpr_idx_on s14, gpr_idx(SRC0)
	v_mov_b32_e32 v68, v48
	s_set_gpr_idx_off
	v_cvt_f16_f32_e32 v68, v68
	s_set_gpr_idx_on s15, gpr_idx(SRC0)
	v_mov_b32_e32 v69, v48
	s_set_gpr_idx_off
	v_cvt_f16_f32_sdwa v69, v69 dst_sel:WORD_1 dst_unused:UNUSED_PAD src0_sel:DWORD
	s_cselect_b64 s[14:15], -1, 0
	s_orn2_b64 s[14:15], s[14:15], exec
	v_or_b32_e32 v68, v69, v68
	;;#ASMSTART
	global_atomic_pk_add_f16 v[74:75], v68, off
	
	;;#ASMEND
	s_branch .LBB215_30
.LBB215_35:                             ;   in Loop: Header=BB215_7 Depth=1
	s_or_b64 exec, exec, s[6:7]
	v_readlane_b32 s72, v127, 2
	v_readlane_b32 s12, v127, 0
	;; [unrolled: 1-line block ×11, first 2 shown]
.LBB215_36:                             ;   in Loop: Header=BB215_7 Depth=1
	s_or_b64 exec, exec, s[48:49]
.LBB215_37:                             ;   in Loop: Header=BB215_7 Depth=1
	s_andn2_saveexec_b64 s[2:3], s[2:3]
	s_cbranch_execz .LBB215_46
; %bb.38:                               ;   in Loop: Header=BB215_7 Depth=1
	s_lshl_b32 s5, s4, 2
	v_cmp_gt_i32_e32 vcc, s5, v101
	s_and_saveexec_b64 s[6:7], vcc
	s_cbranch_execz .LBB215_45
; %bb.39:                               ;   in Loop: Header=BB215_7 Depth=1
	scratch_load_dwordx2 v[0:1], off, off   ; 8-byte Folded Reload
	s_mul_i32 s0, s0, s23
	s_ashr_i32 s1, s0, 31
	s_add_u32 s0, s74, s0
	s_addc_u32 s1, s75, s1
	s_ashr_i32 s8, s44, 31
	s_add_u32 s0, s0, s44
	s_addc_u32 s1, s1, s8
	s_waitcnt vmcnt(0)
	v_lshl_add_u64 v[0:1], s[0:1], 0, v[0:1]
	v_lshl_add_u64 v[8:9], v[0:1], 0, v[66:67]
	s_mov_b64 s[0:1], 0
	s_branch .LBB215_41
.LBB215_40:                             ;   in Loop: Header=BB215_41 Depth=2
	s_or_b64 exec, exec, s[8:9]
	v_lshl_or_b32 v12, v10, 11, v94
	;;#ASMSTART
	s_waitcnt vmcnt(1)
	;;#ASMEND
	ds_write2_b32 v12, v4, v5 offset1:32
	ds_write2_b32 v12, v6, v7 offset0:64 offset1:96
	v_add_u32_e32 v4, 0x400, v12
	v_add_u32_e32 v101, s26, v101
	;;#ASMSTART
	s_waitcnt vmcnt(0)
	;;#ASMEND
	ds_write2_b32 v4, v0, v1 offset1:32
	ds_write2_b32 v4, v2, v3 offset0:64 offset1:96
	v_add_u32_e32 v0, 1, v79
	v_add_u32_e32 v72, s26, v10
	v_cmp_le_i32_e32 vcc, s5, v101
	ds_write_b32 v11, v0 offset:40
	v_add_u32_e32 v0, 2, v79
	s_or_b64 s[0:1], vcc, s[0:1]
	v_cmp_lt_i32_e32 vcc, 19, v72
	s_nop 1
	v_cndmask_b32_e32 v79, v79, v0, vcc
	s_andn2_b64 exec, exec, s[0:1]
	s_cbranch_execz .LBB215_44
.LBB215_41:                             ;   Parent Loop BB215_7 Depth=1
                                        ; =>  This Loop Header: Depth=2
                                        ;       Child Loop BB215_43 Depth 3
	v_cmp_gt_i32_e32 vcc, 20, v72
	s_nop 1
	v_cndmask_b32_e64 v0, v100, 0, vcc
	v_add_u32_e32 v10, v0, v72
	v_ashrrev_i32_e32 v0, 31, v101
	v_lshrrev_b32_e32 v0, 30, v0
	v_add_u32_e32 v0, v101, v0
	v_and_b32_e32 v1, -4, v0
	v_lshlrev_b32_e32 v0, 4, v0
	v_sub_u32_e32 v2, v101, v1
	v_and_b32_e32 v0, 0xffffffc0, v0
	v_ashrrev_i32_e32 v1, 31, v0
	v_mul_lo_u32 v2, s24, v2
	v_lshl_add_u64 v[0:1], v[8:9], 0, v[0:1]
	v_ashrrev_i32_e32 v3, 31, v2
	v_lshl_add_u64 v[0:1], v[0:1], 0, v[2:3]
	v_lshlrev_b32_e32 v11, 2, v10
	;;#ASMSTART
	global_load_dwordx4 v[4:7], v[0:1], off offset:0   sc0 sc1 nt  
	global_load_dwordx4 v[0:3], v[0:1], off offset:32  sc0 sc1 nt  
	
	;;#ASMEND
	ds_read_b32 v12, v11 offset:61480
	v_add_u32_e32 v11, 0xf000, v11
	s_waitcnt lgkmcnt(0)
	v_cmp_ne_u32_e32 vcc, v12, v79
	s_and_saveexec_b64 s[8:9], vcc
	s_cbranch_execz .LBB215_40
; %bb.42:                               ;   in Loop: Header=BB215_41 Depth=2
	s_mov_b64 s[10:11], 0
.LBB215_43:                             ;   Parent Loop BB215_7 Depth=1
                                        ;     Parent Loop BB215_41 Depth=2
                                        ; =>    This Inner Loop Header: Depth=3
	;;#ASMSTART
	s_sleep 0
	;;#ASMEND
	ds_read_b32 v12, v11 offset:40
	s_waitcnt lgkmcnt(0)
	v_cmp_eq_u32_e32 vcc, v12, v79
	s_or_b64 s[10:11], vcc, s[10:11]
	s_andn2_b64 exec, exec, s[10:11]
	s_cbranch_execnz .LBB215_43
	s_branch .LBB215_40
.LBB215_44:                             ;   in Loop: Header=BB215_7 Depth=1
	s_or_b64 exec, exec, s[0:1]
.LBB215_45:                             ;   in Loop: Header=BB215_7 Depth=1
	s_or_b64 exec, exec, s[6:7]
	v_subrev_u32_e32 v101, s5, v101
.LBB215_46:                             ;   in Loop: Header=BB215_7 Depth=1
	s_or_b64 exec, exec, s[2:3]
.LBB215_47:                             ;   in Loop: Header=BB215_7 Depth=1
	s_andn2_saveexec_b64 s[0:1], s[46:47]
	s_cbranch_execz .LBB215_6
; %bb.48:                               ;   in Loop: Header=BB215_7 Depth=1
	s_lshl_b32 s10, s4, 1
	v_cmp_gt_i32_e32 vcc, s10, v101
	s_and_saveexec_b64 s[2:3], vcc
	s_cbranch_execz .LBB215_5
; %bb.49:                               ;   in Loop: Header=BB215_7 Depth=1
	s_mul_i32 s99, s99, s22
	s_ashr_i32 s4, s99, 31
	s_add_u32 s5, s72, s99
	v_add_u32_e32 v2, s96, v80
	s_addc_u32 s6, s73, s4
	s_ashr_i32 s7, s44, 31
	v_cmp_gt_u32_e32 vcc, 64, v2
	s_add_u32 s4, s5, s44
	s_addc_u32 s5, s6, s7
	v_cndmask_b32_e32 v0, 0, v95, vcc
	v_ashrrev_i32_e32 v1, 31, v0
	v_lshl_add_u64 v[0:1], s[4:5], 0, v[0:1]
	v_lshl_add_u64 v[8:9], v[0:1], 0, v[66:67]
	v_sub_u32_e32 v10, 63, v2
	s_mov_b64 s[4:5], 0
	s_branch .LBB215_51
.LBB215_50:                             ;   in Loop: Header=BB215_51 Depth=2
	s_or_b64 exec, exec, s[6:7]
	v_lshl_add_u32 v13, v11, 11, v96
	;;#ASMSTART
	s_waitcnt vmcnt(1)
	;;#ASMEND
	ds_write2_b32 v13, v4, v5 offset1:32
	ds_write2_b32 v13, v6, v7 offset0:64 offset1:96
	v_add_u32_e32 v4, 0x400, v13
	v_add_u32_e32 v101, s25, v101
	;;#ASMSTART
	s_waitcnt vmcnt(0)
	;;#ASMEND
	ds_write2_b32 v4, v0, v1 offset1:32
	ds_write2_b32 v4, v2, v3 offset0:64 offset1:96
	v_add_u32_e32 v0, 1, v79
	v_add_u32_e32 v72, s25, v11
	v_cmp_le_i32_e32 vcc, s10, v101
	ds_write_b32 v12, v0
	v_add_u32_e32 v0, 2, v79
	s_or_b64 s[4:5], vcc, s[4:5]
	v_cmp_lt_i32_e32 vcc, 9, v72
	s_nop 1
	v_cndmask_b32_e32 v79, v79, v0, vcc
	s_andn2_b64 exec, exec, s[4:5]
	s_cbranch_execz .LBB215_4
.LBB215_51:                             ;   Parent Loop BB215_7 Depth=1
                                        ; =>  This Loop Header: Depth=2
                                        ;       Child Loop BB215_53 Depth 3
	v_cmp_gt_i32_e32 vcc, 10, v72
	s_nop 1
	v_cndmask_b32_e64 v0, -10, 0, vcc
	v_add_u32_e32 v11, v0, v72
	v_lshrrev_b32_e32 v0, 31, v101
	v_add_u32_e32 v0, v101, v0
	v_and_b32_e32 v1, 0x7fffffe, v0
	v_sub_u32_e32 v1, v101, v1
	v_lshlrev_b32_e32 v1, 5, v1
	v_cmp_le_i32_e32 vcc, v1, v10
	v_lshlrev_b32_e32 v0, 5, v0
	v_and_b32_e32 v0, 0xffffffc0, v0
	v_cndmask_b32_e32 v2, 0, v1, vcc
	v_ashrrev_i32_e32 v1, 31, v0
	v_mul_lo_u32 v2, v2, s22
	v_lshl_add_u64 v[0:1], v[8:9], 0, v[0:1]
	v_ashrrev_i32_e32 v3, 31, v2
	v_lshl_add_u64 v[0:1], v[0:1], 0, v[2:3]
	v_lshlrev_b32_e32 v12, 2, v11
	;;#ASMSTART
	global_load_dwordx4 v[4:7], v[0:1], off offset:0   
	global_load_dwordx4 v[0:3], v[0:1], off offset:32  
	
	;;#ASMEND
	ds_read_b32 v13, v12 offset:61440
	v_add_u32_e32 v12, 0xf000, v12
	s_waitcnt lgkmcnt(0)
	v_cmp_ne_u32_e32 vcc, v13, v79
	s_and_saveexec_b64 s[6:7], vcc
	s_cbranch_execz .LBB215_50
; %bb.52:                               ;   in Loop: Header=BB215_51 Depth=2
	s_mov_b64 s[8:9], 0
.LBB215_53:                             ;   Parent Loop BB215_7 Depth=1
                                        ;     Parent Loop BB215_51 Depth=2
                                        ; =>    This Inner Loop Header: Depth=3
	;;#ASMSTART
	s_sleep 0
	;;#ASMEND
	ds_read_b32 v13, v12
	s_waitcnt lgkmcnt(0)
	v_cmp_eq_u32_e32 vcc, v13, v79
	s_or_b64 s[8:9], vcc, s[8:9]
	s_andn2_b64 exec, exec, s[8:9]
	s_cbranch_execnz .LBB215_53
	s_branch .LBB215_50
.LBB215_54:
	s_endpgm
	.section	.rodata,"a",@progbits
	.p2align	6, 0x0
	.amdhsa_kernel _Z19_skinny_gemm_kernelILi2ELi4ELi5ELi32ELi4EEvPKhS1_P6__halfPKfiiiiiiii
		.amdhsa_group_segment_fixed_size 61560
		.amdhsa_private_segment_fixed_size 12
		.amdhsa_kernarg_size 64
		.amdhsa_user_sgpr_count 2
		.amdhsa_user_sgpr_dispatch_ptr 0
		.amdhsa_user_sgpr_queue_ptr 0
		.amdhsa_user_sgpr_kernarg_segment_ptr 1
		.amdhsa_user_sgpr_dispatch_id 0
		.amdhsa_user_sgpr_kernarg_preload_length 0
		.amdhsa_user_sgpr_kernarg_preload_offset 0
		.amdhsa_user_sgpr_private_segment_size 0
		.amdhsa_uses_dynamic_stack 0
		.amdhsa_enable_private_segment 1
		.amdhsa_system_sgpr_workgroup_id_x 1
		.amdhsa_system_sgpr_workgroup_id_y 0
		.amdhsa_system_sgpr_workgroup_id_z 0
		.amdhsa_system_sgpr_workgroup_info 0
		.amdhsa_system_vgpr_workitem_id 0
		.amdhsa_next_free_vgpr 128
		.amdhsa_next_free_sgpr 100
		.amdhsa_accum_offset 128
		.amdhsa_reserve_vcc 1
		.amdhsa_float_round_mode_32 0
		.amdhsa_float_round_mode_16_64 0
		.amdhsa_float_denorm_mode_32 3
		.amdhsa_float_denorm_mode_16_64 3
		.amdhsa_dx10_clamp 1
		.amdhsa_ieee_mode 1
		.amdhsa_fp16_overflow 0
		.amdhsa_tg_split 0
		.amdhsa_exception_fp_ieee_invalid_op 0
		.amdhsa_exception_fp_denorm_src 0
		.amdhsa_exception_fp_ieee_div_zero 0
		.amdhsa_exception_fp_ieee_overflow 0
		.amdhsa_exception_fp_ieee_underflow 0
		.amdhsa_exception_fp_ieee_inexact 0
		.amdhsa_exception_int_div_zero 0
	.end_amdhsa_kernel
	.section	.text._Z19_skinny_gemm_kernelILi2ELi4ELi5ELi32ELi4EEvPKhS1_P6__halfPKfiiiiiiii,"axG",@progbits,_Z19_skinny_gemm_kernelILi2ELi4ELi5ELi32ELi4EEvPKhS1_P6__halfPKfiiiiiiii,comdat
.Lfunc_end215:
	.size	_Z19_skinny_gemm_kernelILi2ELi4ELi5ELi32ELi4EEvPKhS1_P6__halfPKfiiiiiiii, .Lfunc_end215-_Z19_skinny_gemm_kernelILi2ELi4ELi5ELi32ELi4EEvPKhS1_P6__halfPKfiiiiiiii
                                        ; -- End function
	.set _Z19_skinny_gemm_kernelILi2ELi4ELi5ELi32ELi4EEvPKhS1_P6__halfPKfiiiiiiii.num_vgpr, 128
	.set _Z19_skinny_gemm_kernelILi2ELi4ELi5ELi32ELi4EEvPKhS1_P6__halfPKfiiiiiiii.num_agpr, 0
	.set _Z19_skinny_gemm_kernelILi2ELi4ELi5ELi32ELi4EEvPKhS1_P6__halfPKfiiiiiiii.numbered_sgpr, 100
	.set _Z19_skinny_gemm_kernelILi2ELi4ELi5ELi32ELi4EEvPKhS1_P6__halfPKfiiiiiiii.num_named_barrier, 0
	.set _Z19_skinny_gemm_kernelILi2ELi4ELi5ELi32ELi4EEvPKhS1_P6__halfPKfiiiiiiii.private_seg_size, 12
	.set _Z19_skinny_gemm_kernelILi2ELi4ELi5ELi32ELi4EEvPKhS1_P6__halfPKfiiiiiiii.uses_vcc, 1
	.set _Z19_skinny_gemm_kernelILi2ELi4ELi5ELi32ELi4EEvPKhS1_P6__halfPKfiiiiiiii.uses_flat_scratch, 0
	.set _Z19_skinny_gemm_kernelILi2ELi4ELi5ELi32ELi4EEvPKhS1_P6__halfPKfiiiiiiii.has_dyn_sized_stack, 0
	.set _Z19_skinny_gemm_kernelILi2ELi4ELi5ELi32ELi4EEvPKhS1_P6__halfPKfiiiiiiii.has_recursion, 0
	.set _Z19_skinny_gemm_kernelILi2ELi4ELi5ELi32ELi4EEvPKhS1_P6__halfPKfiiiiiiii.has_indirect_call, 0
	.section	.AMDGPU.csdata,"",@progbits
; Kernel info:
; codeLenInByte = 14168
; TotalNumSgprs: 106
; NumVgprs: 128
; NumAgprs: 0
; TotalNumVgprs: 128
; ScratchSize: 12
; MemoryBound: 0
; FloatMode: 240
; IeeeMode: 1
; LDSByteSize: 61560 bytes/workgroup (compile time only)
; SGPRBlocks: 13
; VGPRBlocks: 15
; NumSGPRsForWavesPerEU: 106
; NumVGPRsForWavesPerEU: 128
; AccumOffset: 128
; Occupancy: 4
; WaveLimiterHint : 0
; COMPUTE_PGM_RSRC2:SCRATCH_EN: 1
; COMPUTE_PGM_RSRC2:USER_SGPR: 2
; COMPUTE_PGM_RSRC2:TRAP_HANDLER: 0
; COMPUTE_PGM_RSRC2:TGID_X_EN: 1
; COMPUTE_PGM_RSRC2:TGID_Y_EN: 0
; COMPUTE_PGM_RSRC2:TGID_Z_EN: 0
; COMPUTE_PGM_RSRC2:TIDIG_COMP_CNT: 0
; COMPUTE_PGM_RSRC3_GFX90A:ACCUM_OFFSET: 31
; COMPUTE_PGM_RSRC3_GFX90A:TG_SPLIT: 0
	.section	.text._Z19_skinny_gemm_kernelILi2ELi5ELi1ELi16ELi4EEvPKhS1_P6__halfPKfiiiiiiii,"axG",@progbits,_Z19_skinny_gemm_kernelILi2ELi5ELi1ELi16ELi4EEvPKhS1_P6__halfPKfiiiiiiii,comdat
	.protected	_Z19_skinny_gemm_kernelILi2ELi5ELi1ELi16ELi4EEvPKhS1_P6__halfPKfiiiiiiii ; -- Begin function _Z19_skinny_gemm_kernelILi2ELi5ELi1ELi16ELi4EEvPKhS1_P6__halfPKfiiiiiiii
	.globl	_Z19_skinny_gemm_kernelILi2ELi5ELi1ELi16ELi4EEvPKhS1_P6__halfPKfiiiiiiii
	.p2align	8
	.type	_Z19_skinny_gemm_kernelILi2ELi5ELi1ELi16ELi4EEvPKhS1_P6__halfPKfiiiiiiii,@function
_Z19_skinny_gemm_kernelILi2ELi5ELi1ELi16ELi4EEvPKhS1_P6__halfPKfiiiiiiii: ; @_Z19_skinny_gemm_kernelILi2ELi5ELi1ELi16ELi4EEvPKhS1_P6__halfPKfiiiiiiii
; %bb.0:
	v_cmp_gt_u32_e32 vcc, 7, v0
	v_lshlrev_b32_e32 v1, 2, v0
	s_and_saveexec_b64 s[4:5], vcc
; %bb.1:
	v_mov_b32_e32 v2, 0
	ds_write_b32 v1, v2 offset:14336
; %bb.2:
	s_or_b64 exec, exec, s[4:5]
	s_load_dwordx8 s[20:27], s[0:1], 0x20
	s_mov_b32 s56, 0x66666667
	s_waitcnt lgkmcnt(0)
	s_barrier
	s_add_i32 s3, s20, 31
	s_ashr_i32 s5, s3, 31
	s_lshr_b32 s5, s5, 27
	s_add_i32 s4, s21, 0x4f
	s_add_i32 s3, s3, s5
	s_ashr_i32 s33, s3, 5
	s_mul_hi_i32 s3, s4, 0x66666667
	s_lshr_b32 s4, s3, 31
	s_ashr_i32 s54, s3, 5
	s_add_i32 s54, s54, s4
	s_mul_i32 s3, s54, s33
	s_mul_i32 s3, s3, s24
	s_add_i32 s4, s3, 0x12f
	s_mul_hi_i32 s4, s4, 0x6bca1af3
	s_lshr_b32 s5, s4, 31
	s_ashr_i32 s4, s4, 7
	s_add_i32 s4, s4, s5
	s_add_i32 s5, s2, 1
	s_mul_i32 s5, s4, s5
	v_cvt_f64_i32_e32 v[2:3], s3
	v_cvt_f64_u32_e32 v[4:5], s5
	v_min_f64 v[2:3], v[2:3], v[4:5]
	v_cvt_i32_f64_e32 v41, v[2:3]
	s_mul_i32 s55, s4, s2
	v_cmp_ge_i32_e32 vcc, s55, v41
	s_cbranch_vccnz .LBB216_59
; %bb.3:
	v_lshrrev_b32_e32 v2, 6, v0
	s_add_i32 s4, s26, s25
	s_load_dwordx8 s[36:43], s[0:1], 0x0
	v_cmp_le_i32_e64 s[0:1], s4, v2
	v_mov_b32_e32 v3, s25
	v_cmp_le_i32_e64 s[2:3], s25, v2
	v_mov_b32_e32 v4, s26
	v_cndmask_b32_e64 v4, 0, v4, s[0:1]
	v_cndmask_b32_e64 v3, 0, v3, s[2:3]
	s_abs_i32 s5, s24
	v_add_u32_e32 v3, v3, v4
	v_cvt_f32_u32_e32 v4, s5
	v_sub_u32_e32 v52, v2, v3
	s_ashr_i32 s6, s22, 31
	s_lshr_b32 s6, s6, 25
	v_rcp_iflag_f32_e32 v3, v4
	s_sub_i32 s9, 0, s5
	s_add_i32 s6, s22, s6
	s_ashr_i32 s6, s6, 7
	v_mul_f32_e32 v3, 0x4f7ffffe, v3
	v_cvt_u32_f32_e32 v3, v3
	s_abs_i32 s8, s6
	s_xor_b32 s7, s6, s24
	s_ashr_i32 s7, s7, 31
	v_readfirstlane_b32 s10, v3
	s_mul_i32 s9, s9, s10
	s_mul_hi_u32 s9, s10, s9
	s_add_i32 s10, s10, s9
	s_mul_hi_u32 s9, s8, s10
	s_mul_i32 s10, s9, s5
	s_sub_i32 s8, s8, s10
	s_add_i32 s10, s9, 1
	s_sub_i32 s11, s8, s5
	s_cmp_ge_u32 s8, s5
	s_cselect_b32 s9, s10, s9
	s_cselect_b32 s8, s11, s8
	s_add_i32 s10, s9, 1
	s_cmp_ge_u32 s8, s5
	s_cselect_b32 s5, s10, s9
	s_xor_b32 s5, s5, s7
	s_sub_i32 s57, s5, s7
	s_add_i32 s24, s24, -1
	s_mul_i32 s5, s57, s24
	s_add_i32 s4, s4, s27
	s_sub_i32 s58, s6, s5
	v_cmp_gt_i32_e64 s[4:5], s4, v2
	v_lshlrev_b32_e32 v2, 1, v0
	v_lshlrev_b32_e32 v3, 4, v0
	v_and_b32_e32 v1, 60, v1
	v_and_b32_e32 v2, 64, v2
	;; [unrolled: 1-line block ×3, first 2 shown]
	v_or3_b32 v73, v1, v2, v4
	v_and_b32_e32 v1, 1, v0
	v_lshrrev_b32_e32 v4, 2, v0
	s_abs_i32 s60, s33
	v_and_or_b32 v77, v4, 12, v1
	v_cvt_f32_u32_e32 v4, s60
	v_lshlrev_b32_e32 v2, 1, v1
	v_and_b32_e32 v40, 14, v0
	v_sub_u32_e32 v2, v0, v2
	v_bitop3_b32 v74, v0, 1, v0 bitop3:0xc
	v_bitop3_b32 v75, v0, 3, 1 bitop3:0x6c
	v_and_b32_e32 v46, 48, v3
	v_bfe_u32 v79, v0, 2, 4
	v_and_b32_e32 v1, 60, v0
	v_lshlrev_b32_e32 v3, 8, v0
	v_lshlrev_b32_e32 v0, 6, v0
	v_and_b32_e32 v3, 0x200, v3
	v_and_b32_e32 v0, 64, v0
	v_or3_b32 v80, v1, v3, v0
	v_rcp_iflag_f32_e32 v0, v4
	s_abs_i32 s62, s54
	v_cvt_f32_u32_e32 v1, s62
	v_mad_u64_u32 v[42:43], s[6:7], s21, v77, v[40:41]
	v_mul_f32_e32 v0, 0x4f7ffffe, v0
	v_cvt_u32_f32_e32 v0, v0
	v_rcp_iflag_f32_e32 v1, v1
	s_sub_i32 s6, 0, s60
	v_add_u32_e32 v2, 1, v2
	v_readfirstlane_b32 s7, v0
	v_mul_f32_e32 v0, 0x4f7ffffe, v1
	v_cvt_u32_f32_e32 v0, v0
	s_mul_i32 s6, s6, s7
	s_mul_hi_u32 s6, s7, s6
	s_add_i32 s64, s7, s6
	s_sub_i32 s6, 0, s62
	v_readfirstlane_b32 s7, v0
	v_mbcnt_lo_u32_b32 v0, -1, 0
	v_and_b32_e32 v2, 63, v2
	s_mul_i32 s6, s6, s7
	v_mbcnt_hi_u32_b32 v0, -1, v0
	v_lshl_add_u32 v44, s21, 4, v42
	v_mul_lo_u32 v48, s23, v79
	s_mul_hi_u32 s6, s7, s6
	v_and_or_b32 v0, v0, 64, v2
	v_cndmask_b32_e64 v72, 0, 1, s[0:1]
	s_movk_i32 s59, 0x2800
	s_ashr_i32 s29, s21, 31
	s_mov_b32 s28, s21
	v_or_b32_e32 v76, 64, v40
	v_ashrrev_i32_e32 v43, 31, v42
	v_or_b32_e32 v78, 16, v77
	v_ashrrev_i32_e32 v45, 31, v44
	v_ashrrev_i32_e32 v49, 31, v48
	v_mov_b32_e32 v47, 0
	s_lshl_b32 s61, s23, 4
	v_mul_lo_u32 v81, s22, v79
	v_or_b32_e32 v82, 0x2800, v80
	s_ashr_i32 s63, s33, 31
	s_ashr_i32 s65, s54, 31
	s_add_i32 s66, s7, s6
	s_mov_b64 s[30:31], 0x60
	s_mov_b64 s[34:35], 0x80
	v_lshlrev_b32_e32 v83, 2, v0
	v_mov_b32_e32 v84, v52
	s_branch .LBB216_7
.LBB216_4:                              ;   in Loop: Header=BB216_7 Depth=1
	s_or_b64 exec, exec, s[10:11]
.LBB216_5:                              ;   in Loop: Header=BB216_7 Depth=1
	s_or_b64 exec, exec, s[8:9]
	v_subrev_u32_e32 v84, s16, v84
.LBB216_6:                              ;   in Loop: Header=BB216_7 Depth=1
	s_or_b64 exec, exec, s[6:7]
	s_add_i32 s55, s55, 1
	v_cmp_ge_i32_e32 vcc, s55, v41
	s_cbranch_vccnz .LBB216_59
.LBB216_7:                              ; =>This Loop Header: Depth=1
                                        ;     Child Loop BB216_13 Depth 2
                                        ;       Child Loop BB216_15 Depth 3
                                        ;       Child Loop BB216_18 Depth 3
	;; [unrolled: 1-line block ×7, first 2 shown]
                                        ;     Child Loop BB216_46 Depth 2
                                        ;       Child Loop BB216_48 Depth 3
                                        ;     Child Loop BB216_56 Depth 2
                                        ;       Child Loop BB216_58 Depth 3
	s_abs_i32 s7, s55
	s_mul_hi_u32 s8, s7, s64
	s_mul_i32 s9, s8, s60
	s_ashr_i32 s6, s55, 31
	s_sub_i32 s7, s7, s9
	s_xor_b32 s6, s6, s63
	s_add_i32 s9, s8, 1
	s_sub_i32 s10, s7, s60
	s_cmp_ge_u32 s7, s60
	s_cselect_b32 s8, s9, s8
	s_cselect_b32 s7, s10, s7
	s_add_i32 s9, s8, 1
	s_cmp_ge_u32 s7, s60
	s_cselect_b32 s7, s9, s8
	s_xor_b32 s7, s7, s6
	s_sub_i32 s6, s7, s6
	s_abs_i32 s8, s6
	s_mul_i32 s7, s6, s33
	s_mul_hi_u32 s9, s8, s66
	s_sub_i32 s7, s55, s7
	s_mul_i32 s10, s9, s62
	s_lshl_b32 s67, s7, 5
	s_ashr_i32 s7, s6, 31
	s_sub_i32 s8, s8, s10
	s_xor_b32 s7, s7, s65
	s_add_i32 s10, s9, 1
	s_sub_i32 s11, s8, s62
	s_cmp_ge_u32 s8, s62
	s_cselect_b32 s9, s10, s9
	s_cselect_b32 s8, s11, s8
	s_add_i32 s10, s9, 1
	s_cmp_ge_u32 s8, s62
	s_cselect_b32 s8, s10, s9
	s_xor_b32 s8, s8, s7
	s_sub_i32 s7, s8, s7
	s_mul_i32 s8, s7, s57
	s_lshl_b32 s68, s8, 7
	s_cmp_eq_u32 s7, s24
	s_cselect_b32 s70, s58, s57
	s_sub_i32 s8, s67, s20
	s_add_i32 s8, s8, 32
	s_max_i32 s69, s8, 0
	s_and_saveexec_b64 s[8:9], s[2:3]
	s_xor_b64 s[44:45], exec, s[8:9]
	s_cbranch_execz .LBB216_52
; %bb.8:                                ;   in Loop: Header=BB216_7 Depth=1
	s_mul_i32 s7, s7, s54
	s_sub_i32 s6, s6, s7
	s_mulk_i32 s6, 0x50
	s_sub_i32 s47, s6, s21
	s_addk_i32 s47, 0x50
	s_max_i32 s7, s47, 0
	s_sub_i32 s46, s6, s7
	s_and_saveexec_b64 s[6:7], s[0:1]
	s_xor_b64 s[48:49], exec, s[6:7]
	s_cbranch_execz .LBB216_42
; %bb.9:                                ;   in Loop: Header=BB216_7 Depth=1
	s_and_saveexec_b64 s[50:51], s[4:5]
	s_cbranch_execz .LBB216_41
; %bb.10:                               ;   in Loop: Header=BB216_7 Depth=1
	s_waitcnt lgkmcnt(0)
	global_load_dword v85, v47, s[42:43]
	v_mov_b32_e32 v39, 0
	v_cmp_gt_i32_e32 vcc, s70, v84
	v_mov_b32_e32 v38, v39
	v_mov_b32_e32 v37, v39
	;; [unrolled: 1-line block ×39, first 2 shown]
	s_and_saveexec_b64 s[6:7], vcc
	s_cbranch_execz .LBB216_35
; %bb.11:                               ;   in Loop: Header=BB216_7 Depth=1
	v_mov_b32_e32 v4, 0
	s_mov_b64 s[8:9], 0
	v_mov_b32_e32 v5, v4
	v_mov_b32_e32 v6, v4
	;; [unrolled: 1-line block ×39, first 2 shown]
	s_branch .LBB216_13
.LBB216_12:                             ;   in Loop: Header=BB216_13 Depth=2
	s_or_b64 exec, exec, s[10:11]
	v_add_u32_e32 v67, 0x2000, v66
	ds_read2_b32 v[68:69], v67 offset1:32
	v_add_u32_e32 v70, 0x2400, v66
	v_add_u32_e32 v84, s27, v84
	s_waitcnt lgkmcnt(0)
	v_mfma_f32_16x16x32_fp8_fp8 v[20:23], v[50:51], v[68:69], v[20:23]
	ds_read2_b32 v[50:51], v67 offset0:128 offset1:160
	ds_read2_b32 v[66:67], v70 offset1:32
	v_mfma_f32_16x16x32_fp8_fp8 v[4:7], v[60:61], v[68:69], v[4:7]
	s_waitcnt lgkmcnt(1)
	v_mfma_f32_16x16x32_fp8_fp8 v[20:23], v[52:53], v[50:51], v[20:23]
	v_add_u32_e32 v52, s27, v86
	v_cmp_lt_i32_e32 vcc, 0, v52
	v_mfma_f32_16x16x32_fp8_fp8 v[4:7], v[62:63], v[50:51], v[4:7]
	v_add_u32_e32 v50, 2, v72
	v_cndmask_b32_e32 v72, v72, v50, vcc
	v_cmp_le_i32_e32 vcc, s70, v84
	s_waitcnt lgkmcnt(0)
	v_mfma_f32_16x16x32_fp8_fp8 v[20:23], v[54:55], v[66:67], v[20:23]
	ds_read2_b32 v[54:55], v70 offset0:128 offset1:160
	s_or_b64 s[8:9], vcc, s[8:9]
	;;#ASMSTART
	s_waitcnt lgkmcnt(0)
	;;#ASMEND
	v_mfma_f32_16x16x32_fp8_fp8 v[4:7], v[64:65], v[66:67], v[4:7]
	ds_write_b32 v87, v88 offset:14360
	s_waitcnt lgkmcnt(1)
	v_mfma_f32_16x16x32_fp8_fp8 v[20:23], v[56:57], v[54:55], v[20:23]
	v_mfma_f32_16x16x32_fp8_fp8 v[4:7], v[58:59], v[54:55], v[4:7]
	s_andn2_b64 exec, exec, s[8:9]
	s_cbranch_execz .LBB216_34
.LBB216_13:                             ;   Parent Loop BB216_7 Depth=1
                                        ; =>  This Loop Header: Depth=2
                                        ;       Child Loop BB216_15 Depth 3
                                        ;       Child Loop BB216_18 Depth 3
	;; [unrolled: 1-line block ×7, first 2 shown]
	v_cmp_lt_i32_e32 vcc, 0, v52
	s_nop 1
	v_subbrev_co_u32_e32 v86, vcc, 0, v52, vcc
	v_mul_lo_u32 v87, v86, 20
	ds_read_b32 v50, v87 offset:14344
	s_waitcnt lgkmcnt(0)
	v_cmp_ne_u32_e32 vcc, v50, v72
	s_and_saveexec_b64 s[10:11], vcc
	s_cbranch_execz .LBB216_16
; %bb.14:                               ;   in Loop: Header=BB216_13 Depth=2
	s_mov_b64 s[12:13], 0
.LBB216_15:                             ;   Parent Loop BB216_7 Depth=1
                                        ;     Parent Loop BB216_13 Depth=2
                                        ; =>    This Inner Loop Header: Depth=3
	;;#ASMSTART
	s_sleep 0
	;;#ASMEND
	ds_read_b32 v50, v87 offset:14344
	s_waitcnt lgkmcnt(0)
	v_cmp_eq_u32_e32 vcc, v50, v72
	s_or_b64 s[12:13], vcc, s[12:13]
	s_andn2_b64 exec, exec, s[12:13]
	s_cbranch_execnz .LBB216_15
.LBB216_16:                             ;   in Loop: Header=BB216_13 Depth=2
	s_or_b64 exec, exec, s[10:11]
	v_mul_lo_u32 v89, v86, s59
	v_or_b32_e32 v50, v73, v89
	ds_read2_b32 v[58:59], v50 offset1:32
	ds_read2_b32 v[66:67], v50 offset0:128 offset1:160
	v_add_u32_e32 v50, 0x400, v50
	v_add_u32_e32 v88, 1, v72
	ds_read2_b32 v[70:71], v50 offset1:32
	ds_read2_b32 v[68:69], v50 offset0:128 offset1:160
	;;#ASMSTART
	s_waitcnt lgkmcnt(0)
	;;#ASMEND
	ds_write_b32 v87, v88 offset:14344
	v_lshlrev_b32_e32 v90, 3, v86
	ds_read_b32 v50, v90 offset:14336
	s_waitcnt lgkmcnt(0)
	v_cmp_ne_u32_e32 vcc, v50, v72
	s_and_saveexec_b64 s[10:11], vcc
	s_cbranch_execz .LBB216_19
; %bb.17:                               ;   in Loop: Header=BB216_13 Depth=2
	s_mov_b64 s[12:13], 0
.LBB216_18:                             ;   Parent Loop BB216_7 Depth=1
                                        ;     Parent Loop BB216_13 Depth=2
                                        ; =>    This Inner Loop Header: Depth=3
	;;#ASMSTART
	s_sleep 0
	;;#ASMEND
	ds_read_b32 v50, v90 offset:14336
	s_waitcnt lgkmcnt(0)
	v_cmp_eq_u32_e32 vcc, v50, v72
	s_or_b64 s[12:13], vcc, s[12:13]
	s_andn2_b64 exec, exec, s[12:13]
	s_cbranch_execnz .LBB216_18
.LBB216_19:                             ;   in Loop: Header=BB216_13 Depth=2
	s_or_b64 exec, exec, s[10:11]
	v_lshlrev_b32_e32 v50, 12, v86
	v_or_b32_e32 v51, 0x2800, v73
	v_add_u32_e32 v64, v51, v50
	ds_read2_b32 v[50:51], v64 offset1:32
	ds_read2_b32 v[52:53], v64 offset0:128 offset1:160
	v_add_u32_e32 v56, 0x400, v64
	ds_read2_b32 v[54:55], v56 offset1:32
	ds_read2_b32 v[56:57], v56 offset0:128 offset1:160
	ds_read_b32 v60, v90 offset:14340
	ds_write_b32 v90, v88 offset:14336
	s_waitcnt lgkmcnt(5)
	v_mfma_f32_16x16x32_fp8_fp8 v[36:39], v[50:51], v[58:59], v[36:39]
	s_waitcnt lgkmcnt(1)
	v_cmp_ne_u32_e32 vcc, v60, v72
	v_mfma_f32_16x16x32_fp8_fp8 v[36:39], v[52:53], v[66:67], v[36:39]
	v_mfma_f32_16x16x32_fp8_fp8 v[36:39], v[54:55], v[70:71], v[36:39]
	;; [unrolled: 1-line block ×3, first 2 shown]
	s_and_saveexec_b64 s[10:11], vcc
	s_cbranch_execz .LBB216_22
; %bb.20:                               ;   in Loop: Header=BB216_13 Depth=2
	s_mov_b64 s[12:13], 0
.LBB216_21:                             ;   Parent Loop BB216_7 Depth=1
                                        ;     Parent Loop BB216_13 Depth=2
                                        ; =>    This Inner Loop Header: Depth=3
	;;#ASMSTART
	s_sleep 0
	;;#ASMEND
	ds_read_b32 v60, v90 offset:14340
	s_waitcnt lgkmcnt(0)
	v_cmp_eq_u32_e32 vcc, v60, v72
	s_or_b64 s[12:13], vcc, s[12:13]
	s_andn2_b64 exec, exec, s[12:13]
	s_cbranch_execnz .LBB216_21
.LBB216_22:                             ;   in Loop: Header=BB216_13 Depth=2
	s_or_b64 exec, exec, s[10:11]
	v_add_u32_e32 v62, 0x800, v64
	ds_read2_b32 v[60:61], v62 offset1:32
	ds_read2_b32 v[62:63], v62 offset0:128 offset1:160
	v_add_u32_e32 v91, 0xc00, v64
	ds_read2_b32 v[64:65], v91 offset1:32
	ds_write_b32 v90, v88 offset:14340
	s_waitcnt lgkmcnt(3)
	v_mfma_f32_16x16x32_fp8_fp8 v[16:19], v[60:61], v[58:59], v[16:19]
	ds_read2_b32 v[58:59], v91 offset0:128 offset1:160
	s_waitcnt lgkmcnt(3)
	v_mfma_f32_16x16x32_fp8_fp8 v[16:19], v[62:63], v[66:67], v[16:19]
	ds_read_b32 v66, v87 offset:14348
	s_waitcnt lgkmcnt(0)
	v_cmp_ne_u32_e32 vcc, v66, v72
	v_mfma_f32_16x16x32_fp8_fp8 v[16:19], v[64:65], v[70:71], v[16:19]
	v_mfma_f32_16x16x32_fp8_fp8 v[16:19], v[58:59], v[68:69], v[16:19]
	s_and_saveexec_b64 s[10:11], vcc
	s_cbranch_execz .LBB216_25
; %bb.23:                               ;   in Loop: Header=BB216_13 Depth=2
	s_mov_b64 s[12:13], 0
.LBB216_24:                             ;   Parent Loop BB216_7 Depth=1
                                        ;     Parent Loop BB216_13 Depth=2
                                        ; =>    This Inner Loop Header: Depth=3
	;;#ASMSTART
	s_sleep 0
	;;#ASMEND
	ds_read_b32 v66, v87 offset:14348
	s_waitcnt lgkmcnt(0)
	v_cmp_eq_u32_e32 vcc, v66, v72
	s_or_b64 s[12:13], vcc, s[12:13]
	s_andn2_b64 exec, exec, s[12:13]
	s_cbranch_execnz .LBB216_24
.LBB216_25:                             ;   in Loop: Header=BB216_13 Depth=2
	s_or_b64 exec, exec, s[10:11]
	v_add_u32_e32 v66, v73, v89
	v_add_u32_e32 v67, 0x800, v66
	ds_read2_b32 v[68:69], v67 offset1:32
	s_waitcnt lgkmcnt(0)
	v_mfma_f32_16x16x32_fp8_fp8 v[32:35], v[50:51], v[68:69], v[32:35]
	v_mfma_f32_16x16x32_fp8_fp8 v[12:15], v[60:61], v[68:69], v[12:15]
	ds_read2_b32 v[68:69], v67 offset0:128 offset1:160
	v_add_u32_e32 v67, 0xc00, v66
	ds_read2_b32 v[70:71], v67 offset1:32
	s_waitcnt lgkmcnt(1)
	v_mfma_f32_16x16x32_fp8_fp8 v[32:35], v[52:53], v[68:69], v[32:35]
	ds_read2_b32 v[90:91], v67 offset0:128 offset1:160
	;;#ASMSTART
	s_waitcnt lgkmcnt(0)
	;;#ASMEND
	ds_read_b32 v67, v87 offset:14352
	v_mfma_f32_16x16x32_fp8_fp8 v[12:15], v[62:63], v[68:69], v[12:15]
	ds_write_b32 v87, v88 offset:14348
	s_waitcnt lgkmcnt(1)
	v_cmp_ne_u32_e32 vcc, v67, v72
	v_mfma_f32_16x16x32_fp8_fp8 v[32:35], v[54:55], v[70:71], v[32:35]
	v_mfma_f32_16x16x32_fp8_fp8 v[12:15], v[64:65], v[70:71], v[12:15]
	;; [unrolled: 1-line block ×4, first 2 shown]
	s_and_saveexec_b64 s[10:11], vcc
	s_cbranch_execz .LBB216_28
; %bb.26:                               ;   in Loop: Header=BB216_13 Depth=2
	s_mov_b64 s[12:13], 0
.LBB216_27:                             ;   Parent Loop BB216_7 Depth=1
                                        ;     Parent Loop BB216_13 Depth=2
                                        ; =>    This Inner Loop Header: Depth=3
	;;#ASMSTART
	s_sleep 0
	;;#ASMEND
	ds_read_b32 v67, v87 offset:14352
	s_waitcnt lgkmcnt(0)
	v_cmp_eq_u32_e32 vcc, v67, v72
	s_or_b64 s[12:13], vcc, s[12:13]
	s_andn2_b64 exec, exec, s[12:13]
	s_cbranch_execnz .LBB216_27
.LBB216_28:                             ;   in Loop: Header=BB216_13 Depth=2
	s_or_b64 exec, exec, s[10:11]
	v_add_u32_e32 v67, 0x1000, v66
	ds_read2_b32 v[68:69], v67 offset1:32
	ds_read2_b32 v[70:71], v67 offset0:128 offset1:160
	v_add_u32_e32 v67, 0x1400, v66
	ds_read2_b32 v[90:91], v67 offset1:32
	ds_read2_b32 v[92:93], v67 offset0:128 offset1:160
	s_waitcnt lgkmcnt(3)
	v_mfma_f32_16x16x32_fp8_fp8 v[28:31], v[50:51], v[68:69], v[28:31]
	;;#ASMSTART
	s_waitcnt lgkmcnt(0)
	;;#ASMEND
	ds_read_b32 v67, v87 offset:14356
	ds_write_b32 v87, v88 offset:14352
	v_mfma_f32_16x16x32_fp8_fp8 v[8:11], v[60:61], v[68:69], v[8:11]
	s_waitcnt lgkmcnt(1)
	v_cmp_ne_u32_e32 vcc, v67, v72
	v_mfma_f32_16x16x32_fp8_fp8 v[28:31], v[52:53], v[70:71], v[28:31]
	v_mfma_f32_16x16x32_fp8_fp8 v[8:11], v[62:63], v[70:71], v[8:11]
	;; [unrolled: 1-line block ×6, first 2 shown]
	s_and_saveexec_b64 s[10:11], vcc
	s_cbranch_execz .LBB216_31
; %bb.29:                               ;   in Loop: Header=BB216_13 Depth=2
	s_mov_b64 s[12:13], 0
.LBB216_30:                             ;   Parent Loop BB216_7 Depth=1
                                        ;     Parent Loop BB216_13 Depth=2
                                        ; =>    This Inner Loop Header: Depth=3
	;;#ASMSTART
	s_sleep 0
	;;#ASMEND
	ds_read_b32 v67, v87 offset:14356
	s_waitcnt lgkmcnt(0)
	v_cmp_eq_u32_e32 vcc, v67, v72
	s_or_b64 s[12:13], vcc, s[12:13]
	s_andn2_b64 exec, exec, s[12:13]
	s_cbranch_execnz .LBB216_30
.LBB216_31:                             ;   in Loop: Header=BB216_13 Depth=2
	s_or_b64 exec, exec, s[10:11]
	v_add_u32_e32 v67, 0x1800, v66
	ds_read2_b32 v[68:69], v67 offset1:32
	ds_read2_b32 v[70:71], v67 offset0:128 offset1:160
	v_add_u32_e32 v67, 0x1c00, v66
	ds_read2_b32 v[90:91], v67 offset1:32
	ds_read2_b32 v[92:93], v67 offset0:128 offset1:160
	s_waitcnt lgkmcnt(3)
	v_mfma_f32_16x16x32_fp8_fp8 v[24:27], v[50:51], v[68:69], v[24:27]
	;;#ASMSTART
	s_waitcnt lgkmcnt(0)
	;;#ASMEND
	ds_read_b32 v67, v87 offset:14360
	ds_write_b32 v87, v88 offset:14356
	v_mfma_f32_16x16x32_fp8_fp8 v[0:3], v[60:61], v[68:69], v[0:3]
	s_waitcnt lgkmcnt(1)
	v_cmp_ne_u32_e32 vcc, v67, v72
	v_mfma_f32_16x16x32_fp8_fp8 v[24:27], v[52:53], v[70:71], v[24:27]
	v_mfma_f32_16x16x32_fp8_fp8 v[0:3], v[62:63], v[70:71], v[0:3]
	v_mfma_f32_16x16x32_fp8_fp8 v[24:27], v[54:55], v[90:91], v[24:27]
	v_mfma_f32_16x16x32_fp8_fp8 v[0:3], v[64:65], v[90:91], v[0:3]
	v_mfma_f32_16x16x32_fp8_fp8 v[24:27], v[56:57], v[92:93], v[24:27]
	v_mfma_f32_16x16x32_fp8_fp8 v[0:3], v[58:59], v[92:93], v[0:3]
	s_and_saveexec_b64 s[10:11], vcc
	s_cbranch_execz .LBB216_12
; %bb.32:                               ;   in Loop: Header=BB216_13 Depth=2
	s_mov_b64 s[12:13], 0
.LBB216_33:                             ;   Parent Loop BB216_7 Depth=1
                                        ;     Parent Loop BB216_13 Depth=2
                                        ; =>    This Inner Loop Header: Depth=3
	;;#ASMSTART
	s_sleep 0
	;;#ASMEND
	ds_read_b32 v67, v87 offset:14360
	s_waitcnt lgkmcnt(0)
	v_cmp_eq_u32_e32 vcc, v67, v72
	s_or_b64 s[12:13], vcc, s[12:13]
	s_andn2_b64 exec, exec, s[12:13]
	s_cbranch_execnz .LBB216_33
	s_branch .LBB216_12
.LBB216_34:                             ;   in Loop: Header=BB216_7 Depth=1
	s_or_b64 exec, exec, s[8:9]
.LBB216_35:                             ;   in Loop: Header=BB216_7 Depth=1
	s_or_b64 exec, exec, s[6:7]
	v_cmp_le_i32_e32 vcc, s47, v40
	v_cmp_eq_u32_e64 s[12:13], 1, v74
	v_cmp_eq_u32_e64 s[6:7], 3, v74
	s_waitcnt vmcnt(0)
	v_cndmask_b32_e32 v50, 0, v85, vcc
	v_pk_mul_f32 v[36:37], v[50:51], v[36:37] op_sel_hi:[0,1]
	v_pk_mul_f32 v[54:55], v[50:51], v[38:39] op_sel_hi:[0,1]
	v_cndmask_b32_e64 v38, v36, v37, s[12:13]
	v_cmp_eq_u32_e32 vcc, 2, v74
	v_cmp_eq_u32_e64 s[8:9], 0, v74
	v_cmp_eq_u32_e64 s[10:11], 1, v75
	v_cndmask_b32_e32 v38, v38, v54, vcc
	v_cndmask_b32_e64 v38, v38, v55, s[6:7]
	ds_bpermute_b32 v51, v83, v38
	v_cmp_eq_u32_e64 s[16:17], 3, v75
	s_waitcnt lgkmcnt(0)
	v_cndmask_b32_e64 v38, v55, v51, s[6:7]
	v_cndmask_b32_e32 v39, v54, v51, vcc
	v_cndmask_b32_e64 v37, v37, v51, s[12:13]
	v_cndmask_b32_e64 v51, v36, v51, s[8:9]
	v_or_b32_e32 v36, 16, v40
	v_cmp_le_i32_e64 s[14:15], s47, v36
	v_cndmask_b32_e64 v53, v51, v37, s[10:11]
	s_nop 0
	v_cndmask_b32_e64 v36, 0, v85, s[14:15]
	v_pk_mul_f32 v[32:33], v[36:37], v[32:33] op_sel_hi:[0,1]
	v_pk_mul_f32 v[54:55], v[36:37], v[34:35] op_sel_hi:[0,1]
	v_cndmask_b32_e64 v34, v32, v33, s[12:13]
	v_cndmask_b32_e32 v34, v34, v54, vcc
	v_cndmask_b32_e64 v34, v34, v55, s[6:7]
	ds_bpermute_b32 v56, v83, v34
	v_cmp_eq_u32_e64 s[14:15], 2, v75
	s_waitcnt lgkmcnt(0)
	v_cndmask_b32_e64 v57, v32, v56, s[8:9]
	v_or_b32_e32 v32, 32, v40
	v_cmp_le_i32_e64 s[18:19], s47, v32
	v_cndmask_b32_e64 v33, v33, v56, s[12:13]
	v_cndmask_b32_e64 v34, v53, v39, s[14:15]
	v_cndmask_b32_e64 v32, 0, v85, s[18:19]
	v_pk_mul_f32 v[28:29], v[32:33], v[28:29] op_sel_hi:[0,1]
	v_cndmask_b32_e64 v35, v55, v56, s[6:7]
	v_cndmask_b32_e32 v53, v54, v56, vcc
	v_pk_mul_f32 v[54:55], v[32:33], v[30:31] op_sel_hi:[0,1]
	v_cndmask_b32_e64 v30, v28, v29, s[12:13]
	v_cndmask_b32_e32 v30, v30, v54, vcc
	v_cndmask_b32_e64 v30, v30, v55, s[6:7]
	ds_bpermute_b32 v56, v83, v30
	v_cndmask_b32_e64 v30, v57, v33, s[10:11]
	v_cndmask_b32_e64 v30, v30, v53, s[14:15]
	v_cndmask_b32_e64 v34, v34, v38, s[16:17]
	v_cndmask_b32_e64 v30, v30, v35, s[16:17]
	s_waitcnt lgkmcnt(0)
	v_cndmask_b32_e64 v59, v28, v56, s[8:9]
	v_or_b32_e32 v28, 48, v40
	v_cmp_le_i32_e64 s[18:19], s47, v28
	v_cndmask_b32_e64 v29, v29, v56, s[12:13]
	v_cndmask_b32_e64 v31, v55, v56, s[6:7]
	;; [unrolled: 1-line block ×3, first 2 shown]
	v_pk_mul_f32 v[24:25], v[28:29], v[24:25] op_sel_hi:[0,1]
	v_pk_mul_f32 v[60:61], v[28:29], v[26:27] op_sel_hi:[0,1]
	v_cndmask_b32_e64 v26, v24, v25, s[12:13]
	v_cndmask_b32_e32 v26, v26, v60, vcc
	v_cndmask_b32_e64 v26, v26, v61, s[6:7]
	v_cndmask_b32_e32 v54, v54, v56, vcc
	ds_bpermute_b32 v56, v83, v26
	v_cmp_le_i32_e64 s[18:19], s47, v76
	v_cndmask_b32_e64 v26, v59, v29, s[10:11]
	v_cndmask_b32_e64 v26, v26, v54, s[14:15]
	;; [unrolled: 1-line block ×3, first 2 shown]
	s_waitcnt lgkmcnt(0)
	v_cndmask_b32_e64 v27, v61, v56, s[6:7]
	v_cndmask_b32_e64 v61, v24, v56, s[8:9]
	;; [unrolled: 1-line block ×3, first 2 shown]
	v_pk_mul_f32 v[64:65], v[24:25], v[20:21] op_sel_hi:[0,1]
	v_pk_mul_f32 v[62:63], v[24:25], v[22:23] op_sel_hi:[0,1]
	v_cndmask_b32_e64 v20, v64, v65, s[12:13]
	v_cndmask_b32_e32 v20, v20, v62, vcc
	v_cndmask_b32_e64 v20, v20, v63, s[6:7]
	ds_bpermute_b32 v21, v83, v20
	v_cndmask_b32_e32 v55, v60, v56, vcc
	v_cndmask_b32_e64 v60, v25, v56, s[12:13]
	v_cndmask_b32_e64 v20, v61, v60, s[10:11]
	;; [unrolled: 1-line block ×4, first 2 shown]
	s_waitcnt lgkmcnt(0)
	v_cndmask_b32_e32 v56, v62, v21, vcc
	v_cmp_ne_u32_e32 vcc, 0, v74
	ds_bpermute_b32 v22, v83, v20
	v_cndmask_b32_e64 v23, v63, v21, s[6:7]
	v_cndmask_b32_e32 v20, v65, v21, vcc
	v_cndmask_b32_e64 v21, v64, v21, s[8:9]
	v_cndmask_b32_e64 v25, v21, v20, s[10:11]
	;; [unrolled: 1-line block ×4, first 2 shown]
	ds_bpermute_b32 v34, v83, v34
	ds_bpermute_b32 v30, v83, v30
	;; [unrolled: 1-line block ×4, first 2 shown]
	v_add_u32_e32 v25, s69, v77
	v_cmp_gt_u32_e32 vcc, 32, v25
	s_and_saveexec_b64 s[18:19], vcc
	s_cbranch_execz .LBB216_40
; %bb.36:                               ;   in Loop: Header=BB216_7 Depth=1
	v_cmp_eq_u32_e64 s[8:9], 1, v75
	v_cmp_eq_u32_e64 s[10:11], 0, v75
	v_cmp_eq_u32_e32 vcc, 3, v75
	s_waitcnt lgkmcnt(3)
	v_cndmask_b32_e64 v37, v37, v34, s[8:9]
	s_waitcnt lgkmcnt(2)
	v_cndmask_b32_e64 v33, v33, v30, s[8:9]
	;; [unrolled: 2-line block ×3, first 2 shown]
	v_cndmask_b32_e64 v62, v60, v22, s[8:9]
	s_waitcnt lgkmcnt(0)
	v_cndmask_b32_e64 v64, v20, v58, s[8:9]
	s_mul_i32 s8, s67, s21
	s_ashr_i32 s9, s8, 31
	v_cndmask_b32_e64 v51, v51, v34, s[10:11]
	s_lshl_b64 s[8:9], s[8:9], 1
	v_cndmask_b32_e64 v57, v57, v30, s[10:11]
	v_cndmask_b32_e64 v59, v59, v26, s[10:11]
	;; [unrolled: 1-line block ×4, first 2 shown]
	s_add_u32 s10, s40, s8
	v_cvt_f16_f32_e32 v51, v51
	v_cvt_f16_f32_sdwa v37, v37 dst_sel:WORD_1 dst_unused:UNUSED_PAD src0_sel:DWORD
	s_addc_u32 s11, s41, s9
	s_ashr_i32 s47, s46, 31
	s_lshl_b64 s[8:9], s[46:47], 1
	s_add_u32 s52, s10, s8
	s_addc_u32 s53, s11, s9
	v_or_b32_e32 v37, v37, v51
	v_lshl_add_u64 v[20:21], v[42:43], 1, s[52:53]
	;;#ASMSTART
	global_atomic_pk_add_f16 v[20:21], v37, off
	
	;;#ASMEND
	v_cvt_f16_f32_e32 v37, v57
	v_cvt_f16_f32_sdwa v33, v33 dst_sel:WORD_1 dst_unused:UNUSED_PAD src0_sel:DWORD
	v_cvt_f16_f32_e32 v51, v59
	v_cvt_f16_f32_sdwa v29, v29 dst_sel:WORD_1 dst_unused:UNUSED_PAD src0_sel:DWORD
	v_lshl_add_u64 v[60:61], v[20:21], 0, 32
	v_or_b32_e32 v33, v33, v37
	;;#ASMSTART
	global_atomic_pk_add_f16 v[60:61], v33, off
	
	;;#ASMEND
	v_or_b32_e32 v29, v29, v51
	v_lshl_add_u64 v[60:61], v[20:21], 0, 64
	;;#ASMSTART
	global_atomic_pk_add_f16 v[60:61], v29, off
	
	;;#ASMEND
	v_cvt_f16_f32_e32 v29, v63
	v_cvt_f16_f32_sdwa v33, v62 dst_sel:WORD_1 dst_unused:UNUSED_PAD src0_sel:DWORD
	v_cvt_f16_f32_e32 v37, v65
	v_cvt_f16_f32_sdwa v51, v64 dst_sel:WORD_1 dst_unused:UNUSED_PAD src0_sel:DWORD
	v_cmp_eq_u32_e64 s[6:7], 2, v75
	v_lshl_add_u64 v[60:61], v[20:21], 0, s[30:31]
	v_or_b32_e32 v29, v33, v29
	v_cmp_gt_u32_e64 s[8:9], 30, v25
	;;#ASMSTART
	global_atomic_pk_add_f16 v[60:61], v29, off
	
	;;#ASMEND
	v_lshl_add_u64 v[60:61], v[20:21], 0, s[34:35]
	v_or_b32_e32 v29, v51, v37
	;;#ASMSTART
	global_atomic_pk_add_f16 v[60:61], v29, off
	
	;;#ASMEND
	s_and_b64 exec, exec, s[8:9]
	s_cbranch_execz .LBB216_40
; %bb.37:                               ;   in Loop: Header=BB216_7 Depth=1
	v_cndmask_b32_e32 v38, v38, v34, vcc
	v_cndmask_b32_e64 v34, v39, v34, s[6:7]
	v_cndmask_b32_e32 v35, v35, v30, vcc
	v_cndmask_b32_e64 v30, v53, v30, s[6:7]
	;; [unrolled: 2-line block ×3, first 2 shown]
	v_cndmask_b32_e32 v53, v23, v58, vcc
	v_cvt_f16_f32_e32 v22, v34
	v_cvt_f16_f32_sdwa v23, v38 dst_sel:WORD_1 dst_unused:UNUSED_PAD src0_sel:DWORD
	v_cvt_f16_f32_e32 v30, v30
	v_cvt_f16_f32_sdwa v34, v35 dst_sel:WORD_1 dst_unused:UNUSED_PAD src0_sel:DWORD
	v_cndmask_b32_e32 v31, v31, v26, vcc
	v_cndmask_b32_e64 v26, v54, v26, s[6:7]
	v_lshl_add_u64 v[20:21], s[28:29], 2, v[20:21]
	v_or_b32_e32 v22, v23, v22
	v_or_b32_e32 v30, v34, v30
	;;#ASMSTART
	global_atomic_pk_add_f16 v[20:21], v22, off
	
	;;#ASMEND
	v_lshl_add_u64 v[22:23], v[20:21], 0, 32
	;;#ASMSTART
	global_atomic_pk_add_f16 v[22:23], v30, off
	
	;;#ASMEND
	v_cvt_f16_f32_e32 v26, v26
	v_cvt_f16_f32_sdwa v30, v31 dst_sel:WORD_1 dst_unused:UNUSED_PAD src0_sel:DWORD
	v_cvt_f16_f32_e32 v31, v39
	v_cvt_f16_f32_sdwa v27, v27 dst_sel:WORD_1 dst_unused:UNUSED_PAD src0_sel:DWORD
	v_mov_b32_e32 v51, v50
	v_or_b32_e32 v26, v30, v26
	v_lshl_add_u64 v[22:23], v[20:21], 0, 64
	;;#ASMSTART
	global_atomic_pk_add_f16 v[22:23], v26, off
	
	;;#ASMEND
	v_or_b32_e32 v30, v27, v31
	v_mov_b32_e32 v26, v50
	v_mov_b32_e32 v27, v50
	v_pk_mul_f32 v[18:19], v[26:27], v[18:19]
	v_pk_mul_f32 v[26:27], v[50:51], v[16:17]
	v_cmp_eq_u32_e64 s[8:9], 1, v74
	v_mov_b32_e32 v37, v36
	v_lshl_add_u64 v[22:23], v[20:21], 0, s[30:31]
	v_cndmask_b32_e64 v16, v26, v27, s[8:9]
	v_cmp_eq_u32_e32 vcc, 2, v74
	;;#ASMSTART
	global_atomic_pk_add_f16 v[22:23], v30, off
	
	;;#ASMEND
	v_lshl_add_u64 v[30:31], v[20:21], 0, s[34:35]
	v_mov_b32_e32 v20, v36
	v_mov_b32_e32 v21, v36
	v_cndmask_b32_e64 v54, v56, v58, s[6:7]
	v_cndmask_b32_e32 v16, v16, v18, vcc
	v_cmp_eq_u32_e64 s[6:7], 3, v74
	v_pk_mul_f32 v[14:15], v[20:21], v[14:15]
	v_pk_mul_f32 v[20:21], v[36:37], v[12:13]
	v_cndmask_b32_e64 v16, v16, v19, s[6:7]
	v_cndmask_b32_e64 v12, v20, v21, s[8:9]
	ds_bpermute_b32 v34, v83, v16
	v_cndmask_b32_e32 v12, v12, v14, vcc
	v_cndmask_b32_e64 v12, v12, v15, s[6:7]
	ds_bpermute_b32 v23, v83, v12
	v_cmp_eq_u32_e64 s[10:11], 0, v74
	s_waitcnt lgkmcnt(1)
	v_cndmask_b32_e64 v16, v19, v34, s[6:7]
	v_cndmask_b32_e32 v17, v18, v34, vcc
	v_cndmask_b32_e64 v18, v27, v34, s[8:9]
	v_cndmask_b32_e64 v19, v26, v34, s[10:11]
	v_cmp_eq_u32_e64 s[12:13], 1, v75
	v_cmp_eq_u32_e64 s[14:15], 2, v75
	v_mov_b32_e32 v33, v32
	v_cndmask_b32_e64 v22, v19, v18, s[12:13]
	v_cndmask_b32_e64 v12, v22, v17, s[14:15]
	s_waitcnt lgkmcnt(0)
	v_cndmask_b32_e64 v13, v15, v23, s[6:7]
	v_cndmask_b32_e32 v14, v14, v23, vcc
	v_cndmask_b32_e64 v15, v21, v23, s[8:9]
	v_cndmask_b32_e64 v20, v20, v23, s[10:11]
	v_mov_b32_e32 v22, v32
	v_mov_b32_e32 v23, v32
	v_pk_mul_f32 v[10:11], v[22:23], v[10:11]
	v_pk_mul_f32 v[22:23], v[32:33], v[8:9]
	v_mov_b32_e32 v29, v28
	v_cndmask_b32_e64 v8, v22, v23, s[8:9]
	v_cndmask_b32_e32 v8, v8, v10, vcc
	v_cndmask_b32_e64 v8, v8, v11, s[6:7]
	ds_bpermute_b32 v26, v83, v8
	v_mov_b32_e32 v27, v28
	v_cmp_eq_u32_e64 s[16:17], 3, v75
	v_mov_b32_e32 v25, v24
	v_cndmask_b32_e64 v8, v20, v15, s[12:13]
	s_waitcnt lgkmcnt(0)
	v_cndmask_b32_e64 v9, v11, v26, s[6:7]
	v_cndmask_b32_e32 v10, v10, v26, vcc
	v_cndmask_b32_e64 v21, v23, v26, s[8:9]
	v_cndmask_b32_e64 v22, v22, v26, s[10:11]
	v_mov_b32_e32 v26, v28
	v_pk_mul_f32 v[28:29], v[28:29], v[0:1]
	v_pk_mul_f32 v[26:27], v[26:27], v[2:3]
	v_cndmask_b32_e64 v0, v28, v29, s[8:9]
	v_cndmask_b32_e32 v0, v0, v26, vcc
	v_cndmask_b32_e64 v0, v0, v27, s[6:7]
	ds_bpermute_b32 v1, v83, v0
	v_cndmask_b32_e64 v0, v22, v21, s[12:13]
	v_cndmask_b32_e64 v0, v0, v10, s[14:15]
	;; [unrolled: 1-line block ×3, first 2 shown]
	ds_bpermute_b32 v2, v83, v0
	s_waitcnt lgkmcnt(1)
	v_cndmask_b32_e64 v3, v27, v1, s[6:7]
	v_cndmask_b32_e32 v11, v26, v1, vcc
	v_cndmask_b32_e64 v0, v29, v1, s[8:9]
	v_cndmask_b32_e64 v1, v28, v1, s[10:11]
	v_mov_b32_e32 v26, v24
	v_mov_b32_e32 v27, v24
	v_pk_mul_f32 v[28:29], v[24:25], v[4:5]
	v_pk_mul_f32 v[26:27], v[26:27], v[6:7]
	v_cndmask_b32_e64 v4, v28, v29, s[8:9]
	v_cndmask_b32_e32 v4, v4, v26, vcc
	v_cndmask_b32_e64 v4, v4, v27, s[6:7]
	ds_bpermute_b32 v7, v83, v4
	v_cndmask_b32_e64 v4, v1, v0, s[12:13]
	v_cndmask_b32_e64 v4, v4, v11, s[14:15]
	;; [unrolled: 1-line block ×3, first 2 shown]
	ds_bpermute_b32 v6, v83, v4
	s_waitcnt lgkmcnt(1)
	v_cndmask_b32_e32 v5, v26, v7, vcc
	v_cmp_ne_u32_e32 vcc, 0, v74
	v_cndmask_b32_e64 v25, v28, v7, s[10:11]
	v_cndmask_b32_e64 v4, v27, v7, s[6:7]
	v_cndmask_b32_e32 v24, v29, v7, vcc
	v_cndmask_b32_e64 v7, v25, v24, s[12:13]
	v_cvt_f16_f32_e32 v35, v54
	v_cvt_f16_f32_sdwa v38, v53 dst_sel:WORD_1 dst_unused:UNUSED_PAD src0_sel:DWORD
	v_cndmask_b32_e64 v8, v8, v14, s[14:15]
	v_cndmask_b32_e64 v7, v7, v5, s[14:15]
	;; [unrolled: 1-line block ×5, first 2 shown]
	ds_bpermute_b32 v12, v83, v12
	ds_bpermute_b32 v8, v83, v8
	ds_bpermute_b32 v7, v83, v7
	v_or_b32_e32 v23, v38, v35
	;;#ASMSTART
	global_atomic_pk_add_f16 v[30:31], v23, off
	
	;;#ASMEND
	v_add_u32_e32 v23, s69, v78
	v_cmp_gt_u32_e32 vcc, 32, v23
	s_and_b64 exec, exec, vcc
	s_cbranch_execz .LBB216_40
; %bb.38:                               ;   in Loop: Header=BB216_7 Depth=1
	v_cmp_eq_u32_e64 s[8:9], 1, v75
	v_cmp_eq_u32_e64 s[10:11], 0, v75
	v_cmp_eq_u32_e32 vcc, 3, v75
	s_waitcnt lgkmcnt(2)
	v_cndmask_b32_e64 v18, v18, v12, s[8:9]
	v_cndmask_b32_e64 v19, v19, v12, s[10:11]
	s_waitcnt lgkmcnt(1)
	v_cndmask_b32_e64 v15, v15, v8, s[8:9]
	v_cndmask_b32_e64 v20, v20, v8, s[10:11]
	;; [unrolled: 1-line block ×4, first 2 shown]
	v_cvt_f16_f32_e32 v19, v19
	v_cvt_f16_f32_sdwa v18, v18 dst_sel:WORD_1 dst_unused:UNUSED_PAD src0_sel:DWORD
	v_cvt_f16_f32_e32 v20, v20
	v_cvt_f16_f32_sdwa v15, v15 dst_sel:WORD_1 dst_unused:UNUSED_PAD src0_sel:DWORD
	;; [unrolled: 2-line block ×3, first 2 shown]
	v_cndmask_b32_e64 v26, v0, v6, s[8:9]
	v_cndmask_b32_e64 v27, v1, v6, s[10:11]
	v_lshl_add_u64 v[0:1], v[44:45], 1, s[52:53]
	v_or_b32_e32 v18, v18, v19
	v_or_b32_e32 v15, v15, v20
	;;#ASMSTART
	global_atomic_pk_add_f16 v[0:1], v18, off
	
	;;#ASMEND
	v_lshl_add_u64 v[18:19], v[0:1], 0, 32
	;;#ASMSTART
	global_atomic_pk_add_f16 v[18:19], v15, off
	
	;;#ASMEND
	v_or_b32_e32 v15, v21, v22
	s_waitcnt lgkmcnt(0)
	v_cndmask_b32_e64 v24, v24, v7, s[8:9]
	v_cndmask_b32_e64 v25, v25, v7, s[10:11]
	v_lshl_add_u64 v[18:19], v[0:1], 0, 64
	;;#ASMSTART
	global_atomic_pk_add_f16 v[18:19], v15, off
	
	;;#ASMEND
	v_cvt_f16_f32_e32 v15, v27
	v_cvt_f16_f32_sdwa v20, v26 dst_sel:WORD_1 dst_unused:UNUSED_PAD src0_sel:DWORD
	v_cvt_f16_f32_e32 v21, v25
	v_cvt_f16_f32_sdwa v22, v24 dst_sel:WORD_1 dst_unused:UNUSED_PAD src0_sel:DWORD
	v_cmp_eq_u32_e64 s[6:7], 2, v75
	v_lshl_add_u64 v[18:19], v[0:1], 0, s[30:31]
	v_or_b32_e32 v15, v20, v15
	v_cmp_gt_u32_e64 s[8:9], 30, v23
	;;#ASMSTART
	global_atomic_pk_add_f16 v[18:19], v15, off
	
	;;#ASMEND
	v_lshl_add_u64 v[18:19], v[0:1], 0, s[34:35]
	v_or_b32_e32 v15, v22, v21
	;;#ASMSTART
	global_atomic_pk_add_f16 v[18:19], v15, off
	
	;;#ASMEND
	s_and_b64 exec, exec, s[8:9]
	s_cbranch_execz .LBB216_40
; %bb.39:                               ;   in Loop: Header=BB216_7 Depth=1
	v_cndmask_b32_e32 v15, v16, v12, vcc
	v_cndmask_b32_e64 v12, v17, v12, s[6:7]
	v_cndmask_b32_e32 v13, v13, v8, vcc
	v_cndmask_b32_e64 v8, v14, v8, s[6:7]
	;; [unrolled: 2-line block ×3, first 2 shown]
	v_cndmask_b32_e32 v14, v3, v6, vcc
	v_cvt_f16_f32_e32 v2, v12
	v_cvt_f16_f32_sdwa v3, v15 dst_sel:WORD_1 dst_unused:UNUSED_PAD src0_sel:DWORD
	v_cndmask_b32_e32 v4, v4, v7, vcc
	v_cndmask_b32_e64 v5, v5, v7, s[6:7]
	v_cvt_f16_f32_e32 v7, v8
	v_cvt_f16_f32_sdwa v8, v13 dst_sel:WORD_1 dst_unused:UNUSED_PAD src0_sel:DWORD
	v_cvt_f16_f32_e32 v10, v10
	v_cvt_f16_f32_sdwa v9, v9 dst_sel:WORD_1 dst_unused:UNUSED_PAD src0_sel:DWORD
	v_lshl_add_u64 v[0:1], s[28:29], 2, v[0:1]
	v_or_b32_e32 v2, v3, v2
	v_or_b32_e32 v7, v8, v7
	v_cndmask_b32_e64 v6, v11, v6, s[6:7]
	;;#ASMSTART
	global_atomic_pk_add_f16 v[0:1], v2, off
	
	;;#ASMEND
	v_lshl_add_u64 v[2:3], v[0:1], 0, 32
	;;#ASMSTART
	global_atomic_pk_add_f16 v[2:3], v7, off
	
	;;#ASMEND
	v_or_b32_e32 v7, v9, v10
	v_lshl_add_u64 v[2:3], v[0:1], 0, 64
	;;#ASMSTART
	global_atomic_pk_add_f16 v[2:3], v7, off
	
	;;#ASMEND
	v_cvt_f16_f32_e32 v6, v6
	v_cvt_f16_f32_sdwa v7, v14 dst_sel:WORD_1 dst_unused:UNUSED_PAD src0_sel:DWORD
	v_cvt_f16_f32_e32 v5, v5
	v_cvt_f16_f32_sdwa v4, v4 dst_sel:WORD_1 dst_unused:UNUSED_PAD src0_sel:DWORD
	v_lshl_add_u64 v[2:3], v[0:1], 0, s[30:31]
	v_or_b32_e32 v6, v7, v6
	;;#ASMSTART
	global_atomic_pk_add_f16 v[2:3], v6, off
	
	;;#ASMEND
	v_lshl_add_u64 v[0:1], v[0:1], 0, s[34:35]
	v_or_b32_e32 v2, v4, v5
	;;#ASMSTART
	global_atomic_pk_add_f16 v[0:1], v2, off
	
	;;#ASMEND
.LBB216_40:                             ;   in Loop: Header=BB216_7 Depth=1
	s_or_b64 exec, exec, s[18:19]
	v_subrev_u32_e32 v84, s70, v84
.LBB216_41:                             ;   in Loop: Header=BB216_7 Depth=1
	s_or_b64 exec, exec, s[50:51]
.LBB216_42:                             ;   in Loop: Header=BB216_7 Depth=1
	s_andn2_saveexec_b64 s[6:7], s[48:49]
	s_cbranch_execz .LBB216_51
; %bb.43:                               ;   in Loop: Header=BB216_7 Depth=1
	s_mul_i32 s16, s70, 5
	v_cmp_gt_i32_e32 vcc, s16, v84
	s_and_saveexec_b64 s[8:9], vcc
	s_cbranch_execz .LBB216_50
; %bb.44:                               ;   in Loop: Header=BB216_7 Depth=1
	s_mul_i32 s10, s46, s23
	s_ashr_i32 s11, s10, 31
	s_waitcnt lgkmcnt(0)
	s_add_u32 s10, s38, s10
	s_addc_u32 s11, s39, s11
	s_ashr_i32 s12, s68, 31
	s_add_u32 s10, s10, s68
	s_addc_u32 s11, s11, s12
	v_lshl_add_u64 v[0:1], s[10:11], 0, v[48:49]
	v_lshl_add_u64 v[8:9], v[0:1], 0, v[46:47]
	s_mov_b64 s[10:11], 0
	s_branch .LBB216_46
.LBB216_45:                             ;   in Loop: Header=BB216_46 Depth=2
	s_or_b64 exec, exec, s[12:13]
	v_lshl_or_b32 v12, v10, 11, v80
	;;#ASMSTART
	s_waitcnt vmcnt(1)
	;;#ASMEND
	ds_write2_b32 v12, v4, v5 offset1:32
	ds_write2_b32 v12, v6, v7 offset0:64 offset1:96
	v_add_u32_e32 v4, 0x400, v12
	v_add_u32_e32 v84, s26, v84
	;;#ASMSTART
	s_waitcnt vmcnt(0)
	;;#ASMEND
	ds_write2_b32 v4, v0, v1 offset1:32
	ds_write2_b32 v4, v2, v3 offset0:64 offset1:96
	v_add_u32_e32 v0, 1, v72
	v_add_u32_e32 v52, s26, v10
	v_cmp_le_i32_e32 vcc, s16, v84
	ds_write_b32 v11, v0 offset:8
	v_add_u32_e32 v0, 2, v72
	s_or_b64 s[10:11], vcc, s[10:11]
	v_cmp_lt_i32_e32 vcc, 4, v52
	s_nop 1
	v_cndmask_b32_e32 v72, v72, v0, vcc
	s_andn2_b64 exec, exec, s[10:11]
	s_cbranch_execz .LBB216_49
.LBB216_46:                             ;   Parent Loop BB216_7 Depth=1
                                        ; =>  This Loop Header: Depth=2
                                        ;       Child Loop BB216_48 Depth 3
	v_cmp_gt_i32_e32 vcc, 5, v52
	s_nop 1
	v_cndmask_b32_e64 v0, -5, 0, vcc
	v_add_u32_e32 v10, v0, v52
	v_mul_hi_i32 v0, v84, s56
	v_lshrrev_b32_e32 v1, 31, v0
	v_ashrrev_i32_e32 v0, 1, v0
	v_add_u32_e32 v0, v0, v1
	v_lshl_add_u32 v1, v0, 2, v0
	v_sub_u32_e32 v2, v84, v1
	v_lshlrev_b32_e32 v0, 7, v0
	v_ashrrev_i32_e32 v1, 31, v0
	v_mul_lo_u32 v2, s61, v2
	v_lshl_add_u64 v[0:1], v[8:9], 0, v[0:1]
	v_ashrrev_i32_e32 v3, 31, v2
	v_lshl_add_u64 v[0:1], v[0:1], 0, v[2:3]
	v_lshlrev_b32_e32 v11, 2, v10
	;;#ASMSTART
	global_load_dwordx4 v[4:7], v[0:1], off offset:0   sc0 sc1 nt  
	global_load_dwordx4 v[0:3], v[0:1], off offset:64  sc0 sc1 nt  
	
	;;#ASMEND
	ds_read_b32 v12, v11 offset:14344
	v_add_u32_e32 v11, 0x3800, v11
	s_waitcnt lgkmcnt(0)
	v_cmp_ne_u32_e32 vcc, v12, v72
	s_and_saveexec_b64 s[12:13], vcc
	s_cbranch_execz .LBB216_45
; %bb.47:                               ;   in Loop: Header=BB216_46 Depth=2
	s_mov_b64 s[14:15], 0
.LBB216_48:                             ;   Parent Loop BB216_7 Depth=1
                                        ;     Parent Loop BB216_46 Depth=2
                                        ; =>    This Inner Loop Header: Depth=3
	;;#ASMSTART
	s_sleep 0
	;;#ASMEND
	ds_read_b32 v12, v11 offset:8
	s_waitcnt lgkmcnt(0)
	v_cmp_eq_u32_e32 vcc, v12, v72
	s_or_b64 s[14:15], vcc, s[14:15]
	s_andn2_b64 exec, exec, s[14:15]
	s_cbranch_execnz .LBB216_48
	s_branch .LBB216_45
.LBB216_49:                             ;   in Loop: Header=BB216_7 Depth=1
	s_or_b64 exec, exec, s[10:11]
.LBB216_50:                             ;   in Loop: Header=BB216_7 Depth=1
	s_or_b64 exec, exec, s[8:9]
	v_subrev_u32_e32 v84, s16, v84
.LBB216_51:                             ;   in Loop: Header=BB216_7 Depth=1
	s_or_b64 exec, exec, s[6:7]
.LBB216_52:                             ;   in Loop: Header=BB216_7 Depth=1
	s_andn2_saveexec_b64 s[6:7], s[44:45]
	s_cbranch_execz .LBB216_6
; %bb.53:                               ;   in Loop: Header=BB216_7 Depth=1
	s_lshl_b32 s16, s70, 1
	v_cmp_gt_i32_e32 vcc, s16, v84
	s_and_saveexec_b64 s[8:9], vcc
	s_cbranch_execz .LBB216_5
; %bb.54:                               ;   in Loop: Header=BB216_7 Depth=1
	s_mul_i32 s67, s67, s22
	s_ashr_i32 s10, s67, 31
	s_waitcnt lgkmcnt(0)
	s_add_u32 s11, s36, s67
	v_add_u32_e32 v2, s69, v79
	s_addc_u32 s12, s37, s10
	s_ashr_i32 s13, s68, 31
	v_cmp_gt_u32_e32 vcc, 32, v2
	s_add_u32 s10, s11, s68
	s_addc_u32 s11, s12, s13
	v_cndmask_b32_e32 v0, 0, v81, vcc
	v_ashrrev_i32_e32 v1, 31, v0
	v_lshl_add_u64 v[0:1], s[10:11], 0, v[0:1]
	v_lshl_add_u64 v[8:9], v[0:1], 0, v[46:47]
	v_sub_u32_e32 v10, 31, v2
	s_mov_b64 s[10:11], 0
	s_branch .LBB216_56
.LBB216_55:                             ;   in Loop: Header=BB216_56 Depth=2
	s_or_b64 exec, exec, s[12:13]
	v_lshl_add_u32 v13, v11, 11, v82
	;;#ASMSTART
	s_waitcnt vmcnt(1)
	;;#ASMEND
	ds_write2_b32 v13, v4, v5 offset1:32
	ds_write2_b32 v13, v6, v7 offset0:64 offset1:96
	v_add_u32_e32 v4, 0x400, v13
	v_add_u32_e32 v84, s25, v84
	;;#ASMSTART
	s_waitcnt vmcnt(0)
	;;#ASMEND
	ds_write2_b32 v4, v0, v1 offset1:32
	ds_write2_b32 v4, v2, v3 offset0:64 offset1:96
	v_add_u32_e32 v0, 1, v72
	v_add_u32_e32 v52, s25, v11
	v_cmp_le_i32_e32 vcc, s16, v84
	ds_write_b32 v12, v0
	v_add_u32_e32 v0, 2, v72
	s_or_b64 s[10:11], vcc, s[10:11]
	v_cmp_lt_i32_e32 vcc, 1, v52
	s_nop 1
	v_cndmask_b32_e32 v72, v72, v0, vcc
	s_andn2_b64 exec, exec, s[10:11]
	s_cbranch_execz .LBB216_4
.LBB216_56:                             ;   Parent Loop BB216_7 Depth=1
                                        ; =>  This Loop Header: Depth=2
                                        ;       Child Loop BB216_58 Depth 3
	v_cmp_gt_i32_e32 vcc, 2, v52
	s_nop 1
	v_cndmask_b32_e64 v0, -2, 0, vcc
	v_add_u32_e32 v11, v0, v52
	v_lshrrev_b32_e32 v0, 31, v84
	v_add_u32_e32 v0, v84, v0
	v_and_b32_e32 v1, 0xffffffe, v0
	v_sub_u32_e32 v1, v84, v1
	v_lshlrev_b32_e32 v1, 4, v1
	v_cmp_le_i32_e32 vcc, v1, v10
	v_lshlrev_b32_e32 v0, 6, v0
	v_and_b32_e32 v0, 0xffffff80, v0
	v_cndmask_b32_e32 v2, 0, v1, vcc
	v_ashrrev_i32_e32 v1, 31, v0
	v_mul_lo_u32 v2, v2, s22
	v_lshl_add_u64 v[0:1], v[8:9], 0, v[0:1]
	v_ashrrev_i32_e32 v3, 31, v2
	v_lshl_add_u64 v[0:1], v[0:1], 0, v[2:3]
	v_lshlrev_b32_e32 v12, 2, v11
	;;#ASMSTART
	global_load_dwordx4 v[4:7], v[0:1], off offset:0   
	global_load_dwordx4 v[0:3], v[0:1], off offset:64  
	
	;;#ASMEND
	ds_read_b32 v13, v12 offset:14336
	v_add_u32_e32 v12, 0x3800, v12
	s_waitcnt lgkmcnt(0)
	v_cmp_ne_u32_e32 vcc, v13, v72
	s_and_saveexec_b64 s[12:13], vcc
	s_cbranch_execz .LBB216_55
; %bb.57:                               ;   in Loop: Header=BB216_56 Depth=2
	s_mov_b64 s[14:15], 0
.LBB216_58:                             ;   Parent Loop BB216_7 Depth=1
                                        ;     Parent Loop BB216_56 Depth=2
                                        ; =>    This Inner Loop Header: Depth=3
	;;#ASMSTART
	s_sleep 0
	;;#ASMEND
	ds_read_b32 v13, v12
	s_waitcnt lgkmcnt(0)
	v_cmp_eq_u32_e32 vcc, v13, v72
	s_or_b64 s[14:15], vcc, s[14:15]
	s_andn2_b64 exec, exec, s[14:15]
	s_cbranch_execnz .LBB216_58
	s_branch .LBB216_55
.LBB216_59:
	s_endpgm
	.section	.rodata,"a",@progbits
	.p2align	6, 0x0
	.amdhsa_kernel _Z19_skinny_gemm_kernelILi2ELi5ELi1ELi16ELi4EEvPKhS1_P6__halfPKfiiiiiiii
		.amdhsa_group_segment_fixed_size 14364
		.amdhsa_private_segment_fixed_size 0
		.amdhsa_kernarg_size 64
		.amdhsa_user_sgpr_count 2
		.amdhsa_user_sgpr_dispatch_ptr 0
		.amdhsa_user_sgpr_queue_ptr 0
		.amdhsa_user_sgpr_kernarg_segment_ptr 1
		.amdhsa_user_sgpr_dispatch_id 0
		.amdhsa_user_sgpr_kernarg_preload_length 0
		.amdhsa_user_sgpr_kernarg_preload_offset 0
		.amdhsa_user_sgpr_private_segment_size 0
		.amdhsa_uses_dynamic_stack 0
		.amdhsa_enable_private_segment 0
		.amdhsa_system_sgpr_workgroup_id_x 1
		.amdhsa_system_sgpr_workgroup_id_y 0
		.amdhsa_system_sgpr_workgroup_id_z 0
		.amdhsa_system_sgpr_workgroup_info 0
		.amdhsa_system_vgpr_workitem_id 0
		.amdhsa_next_free_vgpr 94
		.amdhsa_next_free_sgpr 71
		.amdhsa_accum_offset 96
		.amdhsa_reserve_vcc 1
		.amdhsa_float_round_mode_32 0
		.amdhsa_float_round_mode_16_64 0
		.amdhsa_float_denorm_mode_32 3
		.amdhsa_float_denorm_mode_16_64 3
		.amdhsa_dx10_clamp 1
		.amdhsa_ieee_mode 1
		.amdhsa_fp16_overflow 0
		.amdhsa_tg_split 0
		.amdhsa_exception_fp_ieee_invalid_op 0
		.amdhsa_exception_fp_denorm_src 0
		.amdhsa_exception_fp_ieee_div_zero 0
		.amdhsa_exception_fp_ieee_overflow 0
		.amdhsa_exception_fp_ieee_underflow 0
		.amdhsa_exception_fp_ieee_inexact 0
		.amdhsa_exception_int_div_zero 0
	.end_amdhsa_kernel
	.section	.text._Z19_skinny_gemm_kernelILi2ELi5ELi1ELi16ELi4EEvPKhS1_P6__halfPKfiiiiiiii,"axG",@progbits,_Z19_skinny_gemm_kernelILi2ELi5ELi1ELi16ELi4EEvPKhS1_P6__halfPKfiiiiiiii,comdat
.Lfunc_end216:
	.size	_Z19_skinny_gemm_kernelILi2ELi5ELi1ELi16ELi4EEvPKhS1_P6__halfPKfiiiiiiii, .Lfunc_end216-_Z19_skinny_gemm_kernelILi2ELi5ELi1ELi16ELi4EEvPKhS1_P6__halfPKfiiiiiiii
                                        ; -- End function
	.set _Z19_skinny_gemm_kernelILi2ELi5ELi1ELi16ELi4EEvPKhS1_P6__halfPKfiiiiiiii.num_vgpr, 94
	.set _Z19_skinny_gemm_kernelILi2ELi5ELi1ELi16ELi4EEvPKhS1_P6__halfPKfiiiiiiii.num_agpr, 0
	.set _Z19_skinny_gemm_kernelILi2ELi5ELi1ELi16ELi4EEvPKhS1_P6__halfPKfiiiiiiii.numbered_sgpr, 71
	.set _Z19_skinny_gemm_kernelILi2ELi5ELi1ELi16ELi4EEvPKhS1_P6__halfPKfiiiiiiii.num_named_barrier, 0
	.set _Z19_skinny_gemm_kernelILi2ELi5ELi1ELi16ELi4EEvPKhS1_P6__halfPKfiiiiiiii.private_seg_size, 0
	.set _Z19_skinny_gemm_kernelILi2ELi5ELi1ELi16ELi4EEvPKhS1_P6__halfPKfiiiiiiii.uses_vcc, 1
	.set _Z19_skinny_gemm_kernelILi2ELi5ELi1ELi16ELi4EEvPKhS1_P6__halfPKfiiiiiiii.uses_flat_scratch, 0
	.set _Z19_skinny_gemm_kernelILi2ELi5ELi1ELi16ELi4EEvPKhS1_P6__halfPKfiiiiiiii.has_dyn_sized_stack, 0
	.set _Z19_skinny_gemm_kernelILi2ELi5ELi1ELi16ELi4EEvPKhS1_P6__halfPKfiiiiiiii.has_recursion, 0
	.set _Z19_skinny_gemm_kernelILi2ELi5ELi1ELi16ELi4EEvPKhS1_P6__halfPKfiiiiiiii.has_indirect_call, 0
	.section	.AMDGPU.csdata,"",@progbits
; Kernel info:
; codeLenInByte = 6328
; TotalNumSgprs: 77
; NumVgprs: 94
; NumAgprs: 0
; TotalNumVgprs: 94
; ScratchSize: 0
; MemoryBound: 0
; FloatMode: 240
; IeeeMode: 1
; LDSByteSize: 14364 bytes/workgroup (compile time only)
; SGPRBlocks: 9
; VGPRBlocks: 11
; NumSGPRsForWavesPerEU: 77
; NumVGPRsForWavesPerEU: 94
; AccumOffset: 96
; Occupancy: 5
; WaveLimiterHint : 0
; COMPUTE_PGM_RSRC2:SCRATCH_EN: 0
; COMPUTE_PGM_RSRC2:USER_SGPR: 2
; COMPUTE_PGM_RSRC2:TRAP_HANDLER: 0
; COMPUTE_PGM_RSRC2:TGID_X_EN: 1
; COMPUTE_PGM_RSRC2:TGID_Y_EN: 0
; COMPUTE_PGM_RSRC2:TGID_Z_EN: 0
; COMPUTE_PGM_RSRC2:TIDIG_COMP_CNT: 0
; COMPUTE_PGM_RSRC3_GFX90A:ACCUM_OFFSET: 23
; COMPUTE_PGM_RSRC3_GFX90A:TG_SPLIT: 0
	.section	.text._Z19_skinny_gemm_kernelILi2ELi5ELi1ELi16ELi8EEvPKhS1_P6__halfPKfiiiiiiii,"axG",@progbits,_Z19_skinny_gemm_kernelILi2ELi5ELi1ELi16ELi8EEvPKhS1_P6__halfPKfiiiiiiii,comdat
	.protected	_Z19_skinny_gemm_kernelILi2ELi5ELi1ELi16ELi8EEvPKhS1_P6__halfPKfiiiiiiii ; -- Begin function _Z19_skinny_gemm_kernelILi2ELi5ELi1ELi16ELi8EEvPKhS1_P6__halfPKfiiiiiiii
	.globl	_Z19_skinny_gemm_kernelILi2ELi5ELi1ELi16ELi8EEvPKhS1_P6__halfPKfiiiiiiii
	.p2align	8
	.type	_Z19_skinny_gemm_kernelILi2ELi5ELi1ELi16ELi8EEvPKhS1_P6__halfPKfiiiiiiii,@function
_Z19_skinny_gemm_kernelILi2ELi5ELi1ELi16ELi8EEvPKhS1_P6__halfPKfiiiiiiii: ; @_Z19_skinny_gemm_kernelILi2ELi5ELi1ELi16ELi8EEvPKhS1_P6__halfPKfiiiiiiii
; %bb.0:
	v_cmp_gt_u32_e32 vcc, 7, v0
	v_lshlrev_b32_e32 v1, 2, v0
	s_and_saveexec_b64 s[4:5], vcc
; %bb.1:
	v_mov_b32_e32 v2, 0
	ds_write_b32 v1, v2 offset:28672
; %bb.2:
	s_or_b64 exec, exec, s[4:5]
	s_load_dwordx8 s[20:27], s[0:1], 0x20
	s_mov_b32 s56, 0x66666667
	s_waitcnt lgkmcnt(0)
	s_barrier
	s_add_i32 s3, s20, 31
	s_ashr_i32 s5, s3, 31
	s_lshr_b32 s5, s5, 27
	s_add_i32 s4, s21, 0x4f
	s_add_i32 s3, s3, s5
	s_ashr_i32 s33, s3, 5
	s_mul_hi_i32 s3, s4, 0x66666667
	s_lshr_b32 s4, s3, 31
	s_ashr_i32 s54, s3, 5
	s_add_i32 s54, s54, s4
	s_mul_i32 s3, s54, s33
	s_mul_i32 s3, s3, s24
	s_add_i32 s4, s3, 0x12f
	s_mul_hi_i32 s4, s4, 0x6bca1af3
	s_lshr_b32 s5, s4, 31
	s_ashr_i32 s4, s4, 7
	s_add_i32 s4, s4, s5
	s_add_i32 s5, s2, 1
	s_mul_i32 s5, s4, s5
	v_cvt_f64_i32_e32 v[2:3], s3
	v_cvt_f64_u32_e32 v[4:5], s5
	v_min_f64 v[2:3], v[2:3], v[4:5]
	v_cvt_i32_f64_e32 v41, v[2:3]
	s_mul_i32 s55, s4, s2
	v_cmp_ge_i32_e32 vcc, s55, v41
	s_cbranch_vccnz .LBB217_59
; %bb.3:
	v_lshrrev_b32_e32 v2, 6, v0
	s_add_i32 s4, s26, s25
	s_load_dwordx8 s[36:43], s[0:1], 0x0
	v_cmp_le_i32_e64 s[0:1], s4, v2
	v_mov_b32_e32 v3, s25
	v_cmp_le_i32_e64 s[2:3], s25, v2
	v_mov_b32_e32 v4, s26
	v_cndmask_b32_e64 v4, 0, v4, s[0:1]
	v_cndmask_b32_e64 v3, 0, v3, s[2:3]
	s_abs_i32 s5, s24
	v_add_u32_e32 v3, v3, v4
	v_cvt_f32_u32_e32 v4, s5
	v_sub_u32_e32 v52, v2, v3
	s_ashr_i32 s6, s22, 31
	s_lshr_b32 s6, s6, 24
	v_rcp_iflag_f32_e32 v3, v4
	s_sub_i32 s9, 0, s5
	s_add_i32 s6, s22, s6
	s_ashr_i32 s6, s6, 8
	v_mul_f32_e32 v3, 0x4f7ffffe, v3
	v_cvt_u32_f32_e32 v3, v3
	s_abs_i32 s8, s6
	s_xor_b32 s7, s6, s24
	s_ashr_i32 s7, s7, 31
	v_readfirstlane_b32 s10, v3
	s_mul_i32 s9, s9, s10
	s_mul_hi_u32 s9, s10, s9
	s_add_i32 s10, s10, s9
	s_mul_hi_u32 s9, s8, s10
	s_mul_i32 s10, s9, s5
	s_sub_i32 s8, s8, s10
	s_add_i32 s10, s9, 1
	s_sub_i32 s11, s8, s5
	s_cmp_ge_u32 s8, s5
	s_cselect_b32 s9, s10, s9
	s_cselect_b32 s8, s11, s8
	s_add_i32 s10, s9, 1
	s_cmp_ge_u32 s8, s5
	s_cselect_b32 s5, s10, s9
	s_xor_b32 s5, s5, s7
	s_sub_i32 s57, s5, s7
	s_add_i32 s24, s24, -1
	s_mul_i32 s5, s57, s24
	s_add_i32 s4, s4, s27
	s_sub_i32 s58, s6, s5
	v_cmp_gt_i32_e64 s[4:5], s4, v2
	v_lshlrev_b32_e32 v2, 1, v0
	v_lshlrev_b32_e32 v3, 4, v0
	v_and_b32_e32 v1, 60, v1
	v_and_b32_e32 v2, 64, v2
	;; [unrolled: 1-line block ×3, first 2 shown]
	v_or3_b32 v91, v1, v2, v4
	v_and_b32_e32 v1, 1, v0
	v_lshrrev_b32_e32 v4, 2, v0
	s_abs_i32 s60, s33
	v_and_or_b32 v99, v4, 12, v1
	v_cvt_f32_u32_e32 v4, s60
	v_lshlrev_b32_e32 v2, 1, v1
	v_and_b32_e32 v40, 14, v0
	v_sub_u32_e32 v2, v0, v2
	v_bitop3_b32 v93, v0, 1, v0 bitop3:0xc
	v_bitop3_b32 v94, v0, 3, 1 bitop3:0x6c
	v_and_b32_e32 v46, 48, v3
	v_bfe_u32 v101, v0, 2, 4
	v_and_b32_e32 v1, 60, v0
	v_lshlrev_b32_e32 v3, 8, v0
	v_lshlrev_b32_e32 v0, 6, v0
	v_and_b32_e32 v3, 0x200, v3
	v_and_b32_e32 v0, 64, v0
	v_or3_b32 v102, v1, v3, v0
	v_rcp_iflag_f32_e32 v0, v4
	s_abs_i32 s62, s54
	v_cvt_f32_u32_e32 v1, s62
	v_mad_u64_u32 v[42:43], s[6:7], s21, v99, v[40:41]
	v_mul_f32_e32 v0, 0x4f7ffffe, v0
	v_cvt_u32_f32_e32 v0, v0
	v_rcp_iflag_f32_e32 v1, v1
	s_sub_i32 s6, 0, s60
	v_add_u32_e32 v2, 1, v2
	v_readfirstlane_b32 s7, v0
	v_mul_f32_e32 v0, 0x4f7ffffe, v1
	v_cvt_u32_f32_e32 v0, v0
	s_mul_i32 s6, s6, s7
	s_mul_hi_u32 s6, s7, s6
	s_add_i32 s64, s7, s6
	s_sub_i32 s6, 0, s62
	v_readfirstlane_b32 s7, v0
	v_mbcnt_lo_u32_b32 v0, -1, 0
	v_and_b32_e32 v2, 63, v2
	s_mul_i32 s6, s6, s7
	v_mbcnt_hi_u32_b32 v0, -1, v0
	v_lshl_add_u32 v44, s21, 4, v42
	v_mul_lo_u32 v48, s23, v101
	s_mul_hi_u32 s6, s7, s6
	v_and_or_b32 v0, v0, 64, v2
	v_cndmask_b32_e64 v90, 0, 1, s[0:1]
	s_movk_i32 s59, 0x5000
	v_or_b32_e32 v92, 0x5000, v91
	s_ashr_i32 s29, s21, 31
	s_mov_b32 s28, s21
	v_or_b32_e32 v95, 16, v40
	v_or_b32_e32 v96, 32, v40
	;; [unrolled: 1-line block ×4, first 2 shown]
	v_ashrrev_i32_e32 v43, 31, v42
	v_or_b32_e32 v100, 16, v99
	v_ashrrev_i32_e32 v45, 31, v44
	v_ashrrev_i32_e32 v49, 31, v48
	v_mov_b32_e32 v47, 0
	s_lshl_b32 s61, s23, 4
	v_mul_lo_u32 v103, s22, v101
	v_or_b32_e32 v104, 0x5000, v102
	s_ashr_i32 s63, s33, 31
	s_ashr_i32 s65, s54, 31
	s_add_i32 s66, s7, s6
	s_mov_b64 s[30:31], 0x60
	s_mov_b64 s[34:35], 0x80
	v_lshlrev_b32_e32 v105, 2, v0
	v_mov_b32_e32 v106, v52
	s_branch .LBB217_7
.LBB217_4:                              ;   in Loop: Header=BB217_7 Depth=1
	s_or_b64 exec, exec, s[10:11]
.LBB217_5:                              ;   in Loop: Header=BB217_7 Depth=1
	s_or_b64 exec, exec, s[8:9]
	v_subrev_u32_e32 v106, s16, v106
.LBB217_6:                              ;   in Loop: Header=BB217_7 Depth=1
	s_or_b64 exec, exec, s[6:7]
	s_add_i32 s55, s55, 1
	v_cmp_ge_i32_e32 vcc, s55, v41
	s_cbranch_vccnz .LBB217_59
.LBB217_7:                              ; =>This Loop Header: Depth=1
                                        ;     Child Loop BB217_13 Depth 2
                                        ;       Child Loop BB217_15 Depth 3
                                        ;       Child Loop BB217_18 Depth 3
	;; [unrolled: 1-line block ×7, first 2 shown]
                                        ;     Child Loop BB217_46 Depth 2
                                        ;       Child Loop BB217_48 Depth 3
                                        ;     Child Loop BB217_56 Depth 2
                                        ;       Child Loop BB217_58 Depth 3
	s_abs_i32 s7, s55
	s_mul_hi_u32 s8, s7, s64
	s_mul_i32 s9, s8, s60
	s_ashr_i32 s6, s55, 31
	s_sub_i32 s7, s7, s9
	s_xor_b32 s6, s6, s63
	s_add_i32 s9, s8, 1
	s_sub_i32 s10, s7, s60
	s_cmp_ge_u32 s7, s60
	s_cselect_b32 s8, s9, s8
	s_cselect_b32 s7, s10, s7
	s_add_i32 s9, s8, 1
	s_cmp_ge_u32 s7, s60
	s_cselect_b32 s7, s9, s8
	s_xor_b32 s7, s7, s6
	s_sub_i32 s6, s7, s6
	s_abs_i32 s8, s6
	s_mul_i32 s7, s6, s33
	s_mul_hi_u32 s9, s8, s66
	s_sub_i32 s7, s55, s7
	s_mul_i32 s10, s9, s62
	s_lshl_b32 s67, s7, 5
	s_ashr_i32 s7, s6, 31
	s_sub_i32 s8, s8, s10
	s_xor_b32 s7, s7, s65
	s_add_i32 s10, s9, 1
	s_sub_i32 s11, s8, s62
	s_cmp_ge_u32 s8, s62
	s_cselect_b32 s9, s10, s9
	s_cselect_b32 s8, s11, s8
	s_add_i32 s10, s9, 1
	s_cmp_ge_u32 s8, s62
	s_cselect_b32 s8, s10, s9
	s_xor_b32 s8, s8, s7
	s_sub_i32 s7, s8, s7
	s_mul_i32 s8, s7, s57
	s_lshl_b32 s68, s8, 8
	s_cmp_eq_u32 s7, s24
	s_cselect_b32 s70, s58, s57
	s_sub_i32 s8, s67, s20
	s_add_i32 s8, s8, 32
	s_max_i32 s69, s8, 0
	s_and_saveexec_b64 s[8:9], s[2:3]
	s_xor_b64 s[44:45], exec, s[8:9]
	s_cbranch_execz .LBB217_52
; %bb.8:                                ;   in Loop: Header=BB217_7 Depth=1
	s_mul_i32 s7, s7, s54
	s_sub_i32 s6, s6, s7
	s_mulk_i32 s6, 0x50
	s_sub_i32 s47, s6, s21
	s_addk_i32 s47, 0x50
	s_max_i32 s7, s47, 0
	s_sub_i32 s46, s6, s7
	s_and_saveexec_b64 s[6:7], s[0:1]
	s_xor_b64 s[48:49], exec, s[6:7]
	s_cbranch_execz .LBB217_42
; %bb.9:                                ;   in Loop: Header=BB217_7 Depth=1
	s_and_saveexec_b64 s[50:51], s[4:5]
	s_cbranch_execz .LBB217_41
; %bb.10:                               ;   in Loop: Header=BB217_7 Depth=1
	s_waitcnt lgkmcnt(0)
	global_load_dword v107, v47, s[42:43]
	v_mov_b32_e32 v39, 0
	v_cmp_gt_i32_e32 vcc, s70, v106
	v_mov_b32_e32 v38, v39
	v_mov_b32_e32 v37, v39
	;; [unrolled: 1-line block ×39, first 2 shown]
	s_and_saveexec_b64 s[6:7], vcc
	s_cbranch_execz .LBB217_35
; %bb.11:                               ;   in Loop: Header=BB217_7 Depth=1
	v_mov_b32_e32 v4, 0
	s_mov_b64 s[8:9], 0
	v_mov_b32_e32 v5, v4
	v_mov_b32_e32 v6, v4
	;; [unrolled: 1-line block ×39, first 2 shown]
	s_branch .LBB217_13
.LBB217_12:                             ;   in Loop: Header=BB217_13 Depth=2
	s_or_b64 exec, exec, s[10:11]
	v_add_u32_e32 v84, 0x4000, v110
	ds_read2_b32 v[82:83], v84 offset1:32
	v_add_u32_e32 v106, s27, v106
	s_waitcnt lgkmcnt(0)
	v_mfma_f32_16x16x32_fp8_fp8 v[20:23], v[50:51], v[82:83], v[20:23]
	ds_read2_b32 v[50:51], v84 offset0:128 offset1:160
	v_add_u32_e32 v84, 0x4400, v110
	v_mfma_f32_16x16x32_fp8_fp8 v[4:7], v[68:69], v[82:83], v[4:7]
	s_waitcnt lgkmcnt(0)
	v_mfma_f32_16x16x32_fp8_fp8 v[20:23], v[52:53], v[50:51], v[20:23]
	ds_read2_b32 v[52:53], v84 offset1:32
	s_waitcnt lgkmcnt(0)
	v_mfma_f32_16x16x32_fp8_fp8 v[20:23], v[58:59], v[52:53], v[20:23]
	ds_read2_b32 v[58:59], v84 offset0:128 offset1:160
	v_add_u32_e32 v84, 0x4800, v110
	v_mfma_f32_16x16x32_fp8_fp8 v[4:7], v[70:71], v[50:51], v[4:7]
	v_add_u32_e32 v50, 2, v90
	s_waitcnt lgkmcnt(0)
	v_mfma_f32_16x16x32_fp8_fp8 v[20:23], v[54:55], v[58:59], v[20:23]
	ds_read2_b32 v[54:55], v84 offset1:32
	v_mfma_f32_16x16x32_fp8_fp8 v[4:7], v[74:75], v[52:53], v[4:7]
	v_add_u32_e32 v52, s27, v108
	v_cmp_lt_i32_e32 vcc, 0, v52
	v_mfma_f32_16x16x32_fp8_fp8 v[4:7], v[76:77], v[58:59], v[4:7]
	s_nop 0
	v_cndmask_b32_e32 v90, v90, v50, vcc
	v_cmp_le_i32_e32 vcc, s70, v106
	s_or_b64 s[8:9], vcc, s[8:9]
	s_waitcnt lgkmcnt(0)
	v_mfma_f32_16x16x32_fp8_fp8 v[20:23], v[60:61], v[54:55], v[20:23]
	ds_read2_b32 v[60:61], v84 offset0:128 offset1:160
	v_add_u32_e32 v84, 0x4c00, v110
	v_mfma_f32_16x16x32_fp8_fp8 v[4:7], v[78:79], v[54:55], v[4:7]
	s_waitcnt lgkmcnt(0)
	v_mfma_f32_16x16x32_fp8_fp8 v[20:23], v[56:57], v[60:61], v[20:23]
	ds_read2_b32 v[56:57], v84 offset1:32
	v_mfma_f32_16x16x32_fp8_fp8 v[4:7], v[80:81], v[60:61], v[4:7]
	s_waitcnt lgkmcnt(0)
	v_mfma_f32_16x16x32_fp8_fp8 v[20:23], v[62:63], v[56:57], v[20:23]
	ds_read2_b32 v[62:63], v84 offset0:128 offset1:160
	;;#ASMSTART
	s_waitcnt lgkmcnt(0)
	;;#ASMEND
	ds_write_b32 v109, v111 offset:28696
	v_mfma_f32_16x16x32_fp8_fp8 v[4:7], v[72:73], v[56:57], v[4:7]
	s_waitcnt lgkmcnt(1)
	v_mfma_f32_16x16x32_fp8_fp8 v[20:23], v[64:65], v[62:63], v[20:23]
	v_mfma_f32_16x16x32_fp8_fp8 v[4:7], v[66:67], v[62:63], v[4:7]
	s_andn2_b64 exec, exec, s[8:9]
	s_cbranch_execz .LBB217_34
.LBB217_13:                             ;   Parent Loop BB217_7 Depth=1
                                        ; =>  This Loop Header: Depth=2
                                        ;       Child Loop BB217_15 Depth 3
                                        ;       Child Loop BB217_18 Depth 3
	;; [unrolled: 1-line block ×7, first 2 shown]
	v_cmp_lt_i32_e32 vcc, 0, v52
	s_nop 1
	v_subbrev_co_u32_e32 v108, vcc, 0, v52, vcc
	v_mul_lo_u32 v109, v108, 20
	ds_read_b32 v50, v109 offset:28680
	s_waitcnt lgkmcnt(0)
	v_cmp_ne_u32_e32 vcc, v50, v90
	s_and_saveexec_b64 s[10:11], vcc
	s_cbranch_execz .LBB217_16
; %bb.14:                               ;   in Loop: Header=BB217_13 Depth=2
	s_mov_b64 s[12:13], 0
.LBB217_15:                             ;   Parent Loop BB217_7 Depth=1
                                        ;     Parent Loop BB217_13 Depth=2
                                        ; =>    This Inner Loop Header: Depth=3
	;;#ASMSTART
	s_sleep 0
	;;#ASMEND
	ds_read_b32 v50, v109 offset:28680
	s_waitcnt lgkmcnt(0)
	v_cmp_eq_u32_e32 vcc, v50, v90
	s_or_b64 s[12:13], vcc, s[12:13]
	s_andn2_b64 exec, exec, s[12:13]
	s_cbranch_execnz .LBB217_15
.LBB217_16:                             ;   in Loop: Header=BB217_13 Depth=2
	s_or_b64 exec, exec, s[10:11]
	v_mul_lo_u32 v50, v108, s59
	v_or_b32_e32 v110, v91, v50
	v_add_u32_e32 v50, 0x400, v110
	ds_read2_b32 v[66:67], v110 offset1:32
	ds_read2_b32 v[72:73], v110 offset0:128 offset1:160
	ds_read2_b32 v[78:79], v50 offset1:32
	ds_read2_b32 v[80:81], v50 offset0:128 offset1:160
	v_add_u32_e32 v50, 0x800, v110
	ds_read2_b32 v[82:83], v50 offset1:32
	ds_read2_b32 v[84:85], v50 offset0:128 offset1:160
	v_add_u32_e32 v50, 0xc00, v110
	v_add_u32_e32 v111, 1, v90
	ds_read2_b32 v[88:89], v50 offset1:32
	ds_read2_b32 v[86:87], v50 offset0:128 offset1:160
	;;#ASMSTART
	s_waitcnt lgkmcnt(0)
	;;#ASMEND
	ds_write_b32 v109, v111 offset:28680
	v_lshlrev_b32_e32 v112, 3, v108
	ds_read_b32 v50, v112 offset:28672
	s_waitcnt lgkmcnt(0)
	v_cmp_ne_u32_e32 vcc, v50, v90
	s_and_saveexec_b64 s[10:11], vcc
	s_cbranch_execz .LBB217_19
; %bb.17:                               ;   in Loop: Header=BB217_13 Depth=2
	s_mov_b64 s[12:13], 0
.LBB217_18:                             ;   Parent Loop BB217_7 Depth=1
                                        ;     Parent Loop BB217_13 Depth=2
                                        ; =>    This Inner Loop Header: Depth=3
	;;#ASMSTART
	s_sleep 0
	;;#ASMEND
	ds_read_b32 v50, v112 offset:28672
	s_waitcnt lgkmcnt(0)
	v_cmp_eq_u32_e32 vcc, v50, v90
	s_or_b64 s[12:13], vcc, s[12:13]
	s_andn2_b64 exec, exec, s[12:13]
	s_cbranch_execnz .LBB217_18
.LBB217_19:                             ;   in Loop: Header=BB217_13 Depth=2
	s_or_b64 exec, exec, s[10:11]
	v_lshlrev_b32_e32 v50, 13, v108
	v_add_u32_e32 v113, v92, v50
	ds_read2_b32 v[50:51], v113 offset1:32
	ds_read2_b32 v[52:53], v113 offset0:128 offset1:160
	v_add_u32_e32 v54, 0x400, v113
	ds_read2_b32 v[58:59], v54 offset1:32
	ds_read2_b32 v[54:55], v54 offset0:128 offset1:160
	v_add_u32_e32 v56, 0x800, v113
	ds_read2_b32 v[60:61], v56 offset1:32
	ds_read2_b32 v[56:57], v56 offset0:128 offset1:160
	v_add_u32_e32 v64, 0xc00, v113
	s_waitcnt lgkmcnt(5)
	v_mfma_f32_16x16x32_fp8_fp8 v[36:39], v[50:51], v[66:67], v[36:39]
	ds_read2_b32 v[62:63], v64 offset1:32
	ds_read2_b32 v[64:65], v64 offset0:128 offset1:160
	ds_read_b32 v68, v112 offset:28676
	ds_write_b32 v112, v111 offset:28672
	s_waitcnt lgkmcnt(8)
	v_mfma_f32_16x16x32_fp8_fp8 v[36:39], v[52:53], v[72:73], v[36:39]
	s_waitcnt lgkmcnt(1)
	v_cmp_ne_u32_e32 vcc, v68, v90
	v_mfma_f32_16x16x32_fp8_fp8 v[36:39], v[58:59], v[78:79], v[36:39]
	v_mfma_f32_16x16x32_fp8_fp8 v[36:39], v[54:55], v[80:81], v[36:39]
	;; [unrolled: 1-line block ×6, first 2 shown]
	s_and_saveexec_b64 s[10:11], vcc
	s_cbranch_execz .LBB217_22
; %bb.20:                               ;   in Loop: Header=BB217_13 Depth=2
	s_mov_b64 s[12:13], 0
.LBB217_21:                             ;   Parent Loop BB217_7 Depth=1
                                        ;     Parent Loop BB217_13 Depth=2
                                        ; =>    This Inner Loop Header: Depth=3
	;;#ASMSTART
	s_sleep 0
	;;#ASMEND
	ds_read_b32 v68, v112 offset:28676
	s_waitcnt lgkmcnt(0)
	v_cmp_eq_u32_e32 vcc, v68, v90
	s_or_b64 s[12:13], vcc, s[12:13]
	s_andn2_b64 exec, exec, s[12:13]
	s_cbranch_execnz .LBB217_21
.LBB217_22:                             ;   in Loop: Header=BB217_13 Depth=2
	s_or_b64 exec, exec, s[10:11]
	v_add_u32_e32 v70, 0x1000, v113
	ds_read2_b32 v[68:69], v70 offset1:32
	ds_read2_b32 v[70:71], v70 offset0:128 offset1:160
	v_add_u32_e32 v76, 0x1400, v113
	ds_read2_b32 v[74:75], v76 offset1:32
	ds_read2_b32 v[76:77], v76 offset0:128 offset1:160
	s_waitcnt lgkmcnt(3)
	v_mfma_f32_16x16x32_fp8_fp8 v[16:19], v[68:69], v[66:67], v[16:19]
	v_add_u32_e32 v66, 0x1800, v113
	ds_write_b32 v112, v111 offset:28676
	s_waitcnt lgkmcnt(3)
	v_mfma_f32_16x16x32_fp8_fp8 v[16:19], v[70:71], v[72:73], v[16:19]
	s_waitcnt lgkmcnt(2)
	v_mfma_f32_16x16x32_fp8_fp8 v[16:19], v[74:75], v[78:79], v[16:19]
	ds_read2_b32 v[78:79], v66 offset1:32
	s_waitcnt lgkmcnt(2)
	v_mfma_f32_16x16x32_fp8_fp8 v[16:19], v[76:77], v[80:81], v[16:19]
	ds_read2_b32 v[80:81], v66 offset0:128 offset1:160
	v_add_u32_e32 v66, 0x1c00, v113
	ds_read2_b32 v[72:73], v66 offset1:32
	ds_read2_b32 v[66:67], v66 offset0:128 offset1:160
	s_waitcnt lgkmcnt(3)
	v_mfma_f32_16x16x32_fp8_fp8 v[16:19], v[78:79], v[82:83], v[16:19]
	ds_read_b32 v82, v109 offset:28684
	s_waitcnt lgkmcnt(0)
	v_cmp_ne_u32_e32 vcc, v82, v90
	v_mfma_f32_16x16x32_fp8_fp8 v[16:19], v[80:81], v[84:85], v[16:19]
	v_mfma_f32_16x16x32_fp8_fp8 v[16:19], v[72:73], v[88:89], v[16:19]
	v_mfma_f32_16x16x32_fp8_fp8 v[16:19], v[66:67], v[86:87], v[16:19]
	s_and_saveexec_b64 s[10:11], vcc
	s_cbranch_execz .LBB217_25
; %bb.23:                               ;   in Loop: Header=BB217_13 Depth=2
	s_mov_b64 s[12:13], 0
.LBB217_24:                             ;   Parent Loop BB217_7 Depth=1
                                        ;     Parent Loop BB217_13 Depth=2
                                        ; =>    This Inner Loop Header: Depth=3
	;;#ASMSTART
	s_sleep 0
	;;#ASMEND
	ds_read_b32 v82, v109 offset:28684
	s_waitcnt lgkmcnt(0)
	v_cmp_eq_u32_e32 vcc, v82, v90
	s_or_b64 s[12:13], vcc, s[12:13]
	s_andn2_b64 exec, exec, s[12:13]
	s_cbranch_execnz .LBB217_24
.LBB217_25:                             ;   in Loop: Header=BB217_13 Depth=2
	s_or_b64 exec, exec, s[10:11]
	v_add_u32_e32 v84, 0x1000, v110
	ds_read2_b32 v[82:83], v84 offset1:32
	ds_read2_b32 v[84:85], v84 offset0:128 offset1:160
	v_add_u32_e32 v88, 0x1400, v110
	ds_read2_b32 v[86:87], v88 offset1:32
	ds_read2_b32 v[88:89], v88 offset0:128 offset1:160
	s_waitcnt lgkmcnt(3)
	v_mfma_f32_16x16x32_fp8_fp8 v[32:35], v[50:51], v[82:83], v[32:35]
	v_add_u32_e32 v114, 0x1800, v110
	ds_read2_b32 v[112:113], v114 offset1:32
	ds_read2_b32 v[114:115], v114 offset0:128 offset1:160
	v_mfma_f32_16x16x32_fp8_fp8 v[12:15], v[68:69], v[82:83], v[12:15]
	v_add_u32_e32 v118, 0x1c00, v110
	ds_read2_b32 v[116:117], v118 offset1:32
	ds_read2_b32 v[118:119], v118 offset0:128 offset1:160
	s_waitcnt lgkmcnt(6)
	v_mfma_f32_16x16x32_fp8_fp8 v[32:35], v[52:53], v[84:85], v[32:35]
	;;#ASMSTART
	s_waitcnt lgkmcnt(0)
	;;#ASMEND
	ds_read_b32 v82, v109 offset:28688
	ds_write_b32 v109, v111 offset:28684
	v_mfma_f32_16x16x32_fp8_fp8 v[12:15], v[70:71], v[84:85], v[12:15]
	s_waitcnt lgkmcnt(1)
	v_cmp_ne_u32_e32 vcc, v82, v90
	v_mfma_f32_16x16x32_fp8_fp8 v[32:35], v[58:59], v[86:87], v[32:35]
	v_mfma_f32_16x16x32_fp8_fp8 v[12:15], v[74:75], v[86:87], v[12:15]
	v_mfma_f32_16x16x32_fp8_fp8 v[32:35], v[54:55], v[88:89], v[32:35]
	v_mfma_f32_16x16x32_fp8_fp8 v[12:15], v[76:77], v[88:89], v[12:15]
	v_mfma_f32_16x16x32_fp8_fp8 v[32:35], v[60:61], v[112:113], v[32:35]
	v_mfma_f32_16x16x32_fp8_fp8 v[12:15], v[78:79], v[112:113], v[12:15]
	v_mfma_f32_16x16x32_fp8_fp8 v[32:35], v[56:57], v[114:115], v[32:35]
	v_mfma_f32_16x16x32_fp8_fp8 v[12:15], v[80:81], v[114:115], v[12:15]
	v_mfma_f32_16x16x32_fp8_fp8 v[32:35], v[62:63], v[116:117], v[32:35]
	v_mfma_f32_16x16x32_fp8_fp8 v[12:15], v[72:73], v[116:117], v[12:15]
	v_mfma_f32_16x16x32_fp8_fp8 v[32:35], v[64:65], v[118:119], v[32:35]
	v_mfma_f32_16x16x32_fp8_fp8 v[12:15], v[66:67], v[118:119], v[12:15]
	s_and_saveexec_b64 s[10:11], vcc
	s_cbranch_execz .LBB217_28
; %bb.26:                               ;   in Loop: Header=BB217_13 Depth=2
	s_mov_b64 s[12:13], 0
.LBB217_27:                             ;   Parent Loop BB217_7 Depth=1
                                        ;     Parent Loop BB217_13 Depth=2
                                        ; =>    This Inner Loop Header: Depth=3
	;;#ASMSTART
	s_sleep 0
	;;#ASMEND
	ds_read_b32 v82, v109 offset:28688
	s_waitcnt lgkmcnt(0)
	v_cmp_eq_u32_e32 vcc, v82, v90
	s_or_b64 s[12:13], vcc, s[12:13]
	s_andn2_b64 exec, exec, s[12:13]
	s_cbranch_execnz .LBB217_27
.LBB217_28:                             ;   in Loop: Header=BB217_13 Depth=2
	s_or_b64 exec, exec, s[10:11]
	v_add_u32_e32 v84, 0x2000, v110
	ds_read2_b32 v[82:83], v84 offset1:32
	ds_read2_b32 v[84:85], v84 offset0:128 offset1:160
	v_add_u32_e32 v88, 0x2400, v110
	ds_read2_b32 v[86:87], v88 offset1:32
	ds_read2_b32 v[88:89], v88 offset0:128 offset1:160
	s_waitcnt lgkmcnt(3)
	v_mfma_f32_16x16x32_fp8_fp8 v[28:31], v[50:51], v[82:83], v[28:31]
	v_add_u32_e32 v114, 0x2800, v110
	ds_read2_b32 v[112:113], v114 offset1:32
	ds_read2_b32 v[114:115], v114 offset0:128 offset1:160
	v_mfma_f32_16x16x32_fp8_fp8 v[8:11], v[68:69], v[82:83], v[8:11]
	v_add_u32_e32 v118, 0x2c00, v110
	ds_read2_b32 v[116:117], v118 offset1:32
	ds_read2_b32 v[118:119], v118 offset0:128 offset1:160
	s_waitcnt lgkmcnt(6)
	v_mfma_f32_16x16x32_fp8_fp8 v[28:31], v[52:53], v[84:85], v[28:31]
	;;#ASMSTART
	s_waitcnt lgkmcnt(0)
	;;#ASMEND
	ds_read_b32 v82, v109 offset:28692
	ds_write_b32 v109, v111 offset:28688
	v_mfma_f32_16x16x32_fp8_fp8 v[8:11], v[70:71], v[84:85], v[8:11]
	s_waitcnt lgkmcnt(1)
	v_cmp_ne_u32_e32 vcc, v82, v90
	v_mfma_f32_16x16x32_fp8_fp8 v[28:31], v[58:59], v[86:87], v[28:31]
	v_mfma_f32_16x16x32_fp8_fp8 v[8:11], v[74:75], v[86:87], v[8:11]
	v_mfma_f32_16x16x32_fp8_fp8 v[28:31], v[54:55], v[88:89], v[28:31]
	v_mfma_f32_16x16x32_fp8_fp8 v[8:11], v[76:77], v[88:89], v[8:11]
	v_mfma_f32_16x16x32_fp8_fp8 v[28:31], v[60:61], v[112:113], v[28:31]
	v_mfma_f32_16x16x32_fp8_fp8 v[8:11], v[78:79], v[112:113], v[8:11]
	v_mfma_f32_16x16x32_fp8_fp8 v[28:31], v[56:57], v[114:115], v[28:31]
	v_mfma_f32_16x16x32_fp8_fp8 v[8:11], v[80:81], v[114:115], v[8:11]
	v_mfma_f32_16x16x32_fp8_fp8 v[28:31], v[62:63], v[116:117], v[28:31]
	;; [unrolled: 55-line block ×3, first 2 shown]
	v_mfma_f32_16x16x32_fp8_fp8 v[0:3], v[72:73], v[116:117], v[0:3]
	v_mfma_f32_16x16x32_fp8_fp8 v[24:27], v[64:65], v[118:119], v[24:27]
	;; [unrolled: 1-line block ×3, first 2 shown]
	s_and_saveexec_b64 s[10:11], vcc
	s_cbranch_execz .LBB217_12
; %bb.32:                               ;   in Loop: Header=BB217_13 Depth=2
	s_mov_b64 s[12:13], 0
.LBB217_33:                             ;   Parent Loop BB217_7 Depth=1
                                        ;     Parent Loop BB217_13 Depth=2
                                        ; =>    This Inner Loop Header: Depth=3
	;;#ASMSTART
	s_sleep 0
	;;#ASMEND
	ds_read_b32 v82, v109 offset:28696
	s_waitcnt lgkmcnt(0)
	v_cmp_eq_u32_e32 vcc, v82, v90
	s_or_b64 s[12:13], vcc, s[12:13]
	s_andn2_b64 exec, exec, s[12:13]
	s_cbranch_execnz .LBB217_33
	s_branch .LBB217_12
.LBB217_34:                             ;   in Loop: Header=BB217_7 Depth=1
	s_or_b64 exec, exec, s[8:9]
.LBB217_35:                             ;   in Loop: Header=BB217_7 Depth=1
	s_or_b64 exec, exec, s[6:7]
	v_cmp_le_i32_e32 vcc, s47, v40
	v_cmp_eq_u32_e64 s[12:13], 1, v93
	v_cmp_eq_u32_e64 s[6:7], 3, v93
	s_waitcnt vmcnt(0)
	v_cndmask_b32_e32 v50, 0, v107, vcc
	v_pk_mul_f32 v[36:37], v[50:51], v[36:37] op_sel_hi:[0,1]
	v_pk_mul_f32 v[54:55], v[50:51], v[38:39] op_sel_hi:[0,1]
	v_cndmask_b32_e64 v38, v36, v37, s[12:13]
	v_cmp_eq_u32_e32 vcc, 2, v93
	v_cmp_eq_u32_e64 s[8:9], 0, v93
	v_cmp_le_i32_e64 s[14:15], s47, v95
	v_cndmask_b32_e32 v38, v38, v54, vcc
	v_cndmask_b32_e64 v38, v38, v55, s[6:7]
	ds_bpermute_b32 v51, v105, v38
	v_cmp_le_i32_e64 s[18:19], s47, v96
	v_cmp_eq_u32_e64 s[10:11], 1, v94
	v_cmp_eq_u32_e64 s[16:17], 3, v94
	s_waitcnt lgkmcnt(0)
	v_cndmask_b32_e64 v38, v55, v51, s[6:7]
	v_cndmask_b32_e32 v39, v54, v51, vcc
	v_cndmask_b32_e64 v37, v37, v51, s[12:13]
	v_cndmask_b32_e64 v51, v36, v51, s[8:9]
	;; [unrolled: 1-line block ×3, first 2 shown]
	v_pk_mul_f32 v[32:33], v[36:37], v[32:33] op_sel_hi:[0,1]
	v_pk_mul_f32 v[54:55], v[36:37], v[34:35] op_sel_hi:[0,1]
	v_cndmask_b32_e64 v34, v32, v33, s[12:13]
	v_cndmask_b32_e32 v34, v34, v54, vcc
	v_cndmask_b32_e64 v34, v34, v55, s[6:7]
	ds_bpermute_b32 v56, v105, v34
	v_cndmask_b32_e64 v53, v51, v37, s[10:11]
	v_cmp_eq_u32_e64 s[14:15], 2, v94
	s_waitcnt lgkmcnt(0)
	v_cndmask_b32_e64 v33, v33, v56, s[12:13]
	v_cndmask_b32_e64 v58, v32, v56, s[8:9]
	;; [unrolled: 1-line block ×3, first 2 shown]
	v_pk_mul_f32 v[28:29], v[32:33], v[28:29] op_sel_hi:[0,1]
	v_cndmask_b32_e64 v34, v53, v39, s[14:15]
	v_cndmask_b32_e64 v35, v55, v56, s[6:7]
	v_cndmask_b32_e32 v53, v54, v56, vcc
	v_pk_mul_f32 v[54:55], v[32:33], v[30:31] op_sel_hi:[0,1]
	v_cndmask_b32_e64 v30, v28, v29, s[12:13]
	v_cndmask_b32_e32 v30, v30, v54, vcc
	v_cndmask_b32_e64 v30, v30, v55, s[6:7]
	ds_bpermute_b32 v56, v105, v30
	v_cmp_le_i32_e64 s[18:19], s47, v97
	v_cndmask_b32_e64 v30, v58, v33, s[10:11]
	v_cndmask_b32_e64 v30, v30, v53, s[14:15]
	v_cndmask_b32_e64 v34, v34, v38, s[16:17]
	s_waitcnt lgkmcnt(0)
	v_cndmask_b32_e64 v29, v29, v56, s[12:13]
	v_cndmask_b32_e64 v59, v28, v56, s[8:9]
	;; [unrolled: 1-line block ×3, first 2 shown]
	v_pk_mul_f32 v[24:25], v[28:29], v[24:25] op_sel_hi:[0,1]
	v_cndmask_b32_e64 v31, v55, v56, s[6:7]
	v_cndmask_b32_e32 v54, v54, v56, vcc
	v_pk_mul_f32 v[56:57], v[28:29], v[26:27] op_sel_hi:[0,1]
	v_cndmask_b32_e64 v26, v24, v25, s[12:13]
	v_cndmask_b32_e32 v26, v26, v56, vcc
	v_cndmask_b32_e64 v26, v26, v57, s[6:7]
	ds_bpermute_b32 v61, v105, v26
	v_cmp_le_i32_e64 s[18:19], s47, v98
	v_cndmask_b32_e64 v26, v59, v29, s[10:11]
	v_cndmask_b32_e64 v26, v26, v54, s[14:15]
	;; [unrolled: 1-line block ×3, first 2 shown]
	s_waitcnt lgkmcnt(0)
	v_cndmask_b32_e64 v27, v57, v61, s[6:7]
	v_cndmask_b32_e32 v55, v56, v61, vcc
	v_cndmask_b32_e64 v60, v25, v61, s[12:13]
	v_cndmask_b32_e64 v61, v24, v61, s[8:9]
	;; [unrolled: 1-line block ×3, first 2 shown]
	v_pk_mul_f32 v[62:63], v[24:25], v[20:21] op_sel_hi:[0,1]
	v_pk_mul_f32 v[56:57], v[24:25], v[22:23] op_sel_hi:[0,1]
	v_cndmask_b32_e64 v20, v62, v63, s[12:13]
	v_cndmask_b32_e32 v20, v20, v56, vcc
	v_cndmask_b32_e64 v20, v20, v57, s[6:7]
	ds_bpermute_b32 v21, v105, v20
	v_cndmask_b32_e64 v20, v61, v60, s[10:11]
	v_cndmask_b32_e64 v20, v20, v55, s[14:15]
	;; [unrolled: 1-line block ×3, first 2 shown]
	ds_bpermute_b32 v22, v105, v20
	s_waitcnt lgkmcnt(1)
	v_cndmask_b32_e32 v56, v56, v21, vcc
	v_cmp_ne_u32_e32 vcc, 0, v93
	v_cndmask_b32_e64 v23, v57, v21, s[6:7]
	v_cndmask_b32_e64 v26, v26, v31, s[16:17]
	v_cndmask_b32_e32 v20, v63, v21, vcc
	v_cndmask_b32_e64 v21, v62, v21, s[8:9]
	v_cndmask_b32_e64 v25, v21, v20, s[10:11]
	;; [unrolled: 1-line block ×4, first 2 shown]
	ds_bpermute_b32 v34, v105, v34
	ds_bpermute_b32 v30, v105, v30
	ds_bpermute_b32 v26, v105, v26
	ds_bpermute_b32 v57, v105, v25
	v_add_u32_e32 v25, s69, v99
	v_cmp_gt_u32_e32 vcc, 32, v25
	s_and_saveexec_b64 s[18:19], vcc
	s_cbranch_execz .LBB217_40
; %bb.36:                               ;   in Loop: Header=BB217_7 Depth=1
	v_cmp_eq_u32_e64 s[8:9], 1, v94
	v_cmp_eq_u32_e64 s[10:11], 0, v94
	v_cmp_eq_u32_e32 vcc, 3, v94
	s_waitcnt lgkmcnt(3)
	v_cndmask_b32_e64 v37, v37, v34, s[8:9]
	s_waitcnt lgkmcnt(2)
	v_cndmask_b32_e64 v33, v33, v30, s[8:9]
	;; [unrolled: 2-line block ×3, first 2 shown]
	v_cndmask_b32_e64 v60, v60, v22, s[8:9]
	s_waitcnt lgkmcnt(0)
	v_cndmask_b32_e64 v63, v20, v57, s[8:9]
	s_mul_i32 s8, s67, s21
	s_ashr_i32 s9, s8, 31
	v_cndmask_b32_e64 v51, v51, v34, s[10:11]
	s_lshl_b64 s[8:9], s[8:9], 1
	v_cndmask_b32_e64 v58, v58, v30, s[10:11]
	v_cndmask_b32_e64 v62, v59, v26, s[10:11]
	;; [unrolled: 1-line block ×4, first 2 shown]
	s_add_u32 s10, s40, s8
	v_cvt_f16_f32_e32 v51, v51
	v_cvt_f16_f32_sdwa v37, v37 dst_sel:WORD_1 dst_unused:UNUSED_PAD src0_sel:DWORD
	s_addc_u32 s11, s41, s9
	s_ashr_i32 s47, s46, 31
	s_lshl_b64 s[8:9], s[46:47], 1
	s_add_u32 s52, s10, s8
	s_addc_u32 s53, s11, s9
	v_or_b32_e32 v37, v37, v51
	v_lshl_add_u64 v[20:21], v[42:43], 1, s[52:53]
	;;#ASMSTART
	global_atomic_pk_add_f16 v[20:21], v37, off
	
	;;#ASMEND
	v_cvt_f16_f32_e32 v37, v58
	v_cvt_f16_f32_sdwa v33, v33 dst_sel:WORD_1 dst_unused:UNUSED_PAD src0_sel:DWORD
	v_cvt_f16_f32_e32 v51, v62
	v_cvt_f16_f32_sdwa v29, v29 dst_sel:WORD_1 dst_unused:UNUSED_PAD src0_sel:DWORD
	v_lshl_add_u64 v[58:59], v[20:21], 0, 32
	v_or_b32_e32 v33, v33, v37
	;;#ASMSTART
	global_atomic_pk_add_f16 v[58:59], v33, off
	
	;;#ASMEND
	v_or_b32_e32 v29, v29, v51
	v_lshl_add_u64 v[58:59], v[20:21], 0, 64
	;;#ASMSTART
	global_atomic_pk_add_f16 v[58:59], v29, off
	
	;;#ASMEND
	v_cvt_f16_f32_e32 v29, v61
	v_cvt_f16_f32_sdwa v33, v60 dst_sel:WORD_1 dst_unused:UNUSED_PAD src0_sel:DWORD
	v_cvt_f16_f32_e32 v37, v64
	v_cvt_f16_f32_sdwa v51, v63 dst_sel:WORD_1 dst_unused:UNUSED_PAD src0_sel:DWORD
	v_cmp_eq_u32_e64 s[6:7], 2, v94
	v_lshl_add_u64 v[58:59], v[20:21], 0, s[30:31]
	v_or_b32_e32 v29, v33, v29
	v_cmp_gt_u32_e64 s[8:9], 30, v25
	;;#ASMSTART
	global_atomic_pk_add_f16 v[58:59], v29, off
	
	;;#ASMEND
	v_lshl_add_u64 v[58:59], v[20:21], 0, s[34:35]
	v_or_b32_e32 v29, v51, v37
	;;#ASMSTART
	global_atomic_pk_add_f16 v[58:59], v29, off
	
	;;#ASMEND
	s_and_b64 exec, exec, s[8:9]
	s_cbranch_execz .LBB217_40
; %bb.37:                               ;   in Loop: Header=BB217_7 Depth=1
	v_cndmask_b32_e32 v38, v38, v34, vcc
	v_cndmask_b32_e64 v34, v39, v34, s[6:7]
	v_cndmask_b32_e32 v35, v35, v30, vcc
	v_cndmask_b32_e64 v30, v53, v30, s[6:7]
	;; [unrolled: 2-line block ×3, first 2 shown]
	v_cndmask_b32_e32 v53, v23, v57, vcc
	v_cvt_f16_f32_e32 v22, v34
	v_cvt_f16_f32_sdwa v23, v38 dst_sel:WORD_1 dst_unused:UNUSED_PAD src0_sel:DWORD
	v_cvt_f16_f32_e32 v30, v30
	v_cvt_f16_f32_sdwa v34, v35 dst_sel:WORD_1 dst_unused:UNUSED_PAD src0_sel:DWORD
	v_cndmask_b32_e32 v31, v31, v26, vcc
	v_cndmask_b32_e64 v26, v54, v26, s[6:7]
	v_lshl_add_u64 v[20:21], s[28:29], 2, v[20:21]
	v_or_b32_e32 v22, v23, v22
	v_or_b32_e32 v30, v34, v30
	;;#ASMSTART
	global_atomic_pk_add_f16 v[20:21], v22, off
	
	;;#ASMEND
	v_lshl_add_u64 v[22:23], v[20:21], 0, 32
	;;#ASMSTART
	global_atomic_pk_add_f16 v[22:23], v30, off
	
	;;#ASMEND
	v_cvt_f16_f32_e32 v26, v26
	v_cvt_f16_f32_sdwa v30, v31 dst_sel:WORD_1 dst_unused:UNUSED_PAD src0_sel:DWORD
	v_cvt_f16_f32_e32 v31, v39
	v_cvt_f16_f32_sdwa v27, v27 dst_sel:WORD_1 dst_unused:UNUSED_PAD src0_sel:DWORD
	v_mov_b32_e32 v51, v50
	v_or_b32_e32 v26, v30, v26
	v_lshl_add_u64 v[22:23], v[20:21], 0, 64
	;;#ASMSTART
	global_atomic_pk_add_f16 v[22:23], v26, off
	
	;;#ASMEND
	v_or_b32_e32 v30, v27, v31
	v_mov_b32_e32 v26, v50
	v_mov_b32_e32 v27, v50
	v_pk_mul_f32 v[18:19], v[26:27], v[18:19]
	v_pk_mul_f32 v[26:27], v[50:51], v[16:17]
	v_cmp_eq_u32_e64 s[8:9], 1, v93
	v_mov_b32_e32 v37, v36
	v_lshl_add_u64 v[22:23], v[20:21], 0, s[30:31]
	v_cndmask_b32_e64 v16, v26, v27, s[8:9]
	v_cmp_eq_u32_e32 vcc, 2, v93
	;;#ASMSTART
	global_atomic_pk_add_f16 v[22:23], v30, off
	
	;;#ASMEND
	v_lshl_add_u64 v[30:31], v[20:21], 0, s[34:35]
	v_mov_b32_e32 v20, v36
	v_mov_b32_e32 v21, v36
	v_cndmask_b32_e64 v54, v56, v57, s[6:7]
	v_cndmask_b32_e32 v16, v16, v18, vcc
	v_cmp_eq_u32_e64 s[6:7], 3, v93
	v_pk_mul_f32 v[14:15], v[20:21], v[14:15]
	v_pk_mul_f32 v[20:21], v[36:37], v[12:13]
	v_cndmask_b32_e64 v16, v16, v19, s[6:7]
	v_cndmask_b32_e64 v12, v20, v21, s[8:9]
	ds_bpermute_b32 v34, v105, v16
	v_cndmask_b32_e32 v12, v12, v14, vcc
	v_cndmask_b32_e64 v12, v12, v15, s[6:7]
	ds_bpermute_b32 v23, v105, v12
	v_cmp_eq_u32_e64 s[10:11], 0, v93
	s_waitcnt lgkmcnt(1)
	v_cndmask_b32_e64 v16, v19, v34, s[6:7]
	v_cndmask_b32_e32 v17, v18, v34, vcc
	v_cndmask_b32_e64 v18, v27, v34, s[8:9]
	v_cndmask_b32_e64 v19, v26, v34, s[10:11]
	v_cmp_eq_u32_e64 s[12:13], 1, v94
	v_cmp_eq_u32_e64 s[14:15], 2, v94
	v_mov_b32_e32 v33, v32
	v_cndmask_b32_e64 v22, v19, v18, s[12:13]
	v_cndmask_b32_e64 v12, v22, v17, s[14:15]
	s_waitcnt lgkmcnt(0)
	v_cndmask_b32_e64 v13, v15, v23, s[6:7]
	v_cndmask_b32_e32 v14, v14, v23, vcc
	v_cndmask_b32_e64 v15, v21, v23, s[8:9]
	v_cndmask_b32_e64 v20, v20, v23, s[10:11]
	v_mov_b32_e32 v22, v32
	v_mov_b32_e32 v23, v32
	v_pk_mul_f32 v[10:11], v[22:23], v[10:11]
	v_pk_mul_f32 v[22:23], v[32:33], v[8:9]
	v_mov_b32_e32 v29, v28
	v_cndmask_b32_e64 v8, v22, v23, s[8:9]
	v_cndmask_b32_e32 v8, v8, v10, vcc
	v_cndmask_b32_e64 v8, v8, v11, s[6:7]
	ds_bpermute_b32 v26, v105, v8
	v_mov_b32_e32 v27, v28
	v_cmp_eq_u32_e64 s[16:17], 3, v94
	v_mov_b32_e32 v25, v24
	v_cndmask_b32_e64 v8, v20, v15, s[12:13]
	s_waitcnt lgkmcnt(0)
	v_cndmask_b32_e64 v9, v11, v26, s[6:7]
	v_cndmask_b32_e32 v10, v10, v26, vcc
	v_cndmask_b32_e64 v21, v23, v26, s[8:9]
	v_cndmask_b32_e64 v22, v22, v26, s[10:11]
	v_mov_b32_e32 v26, v28
	v_pk_mul_f32 v[28:29], v[28:29], v[0:1]
	v_pk_mul_f32 v[26:27], v[26:27], v[2:3]
	v_cndmask_b32_e64 v0, v28, v29, s[8:9]
	v_cndmask_b32_e32 v0, v0, v26, vcc
	v_cndmask_b32_e64 v0, v0, v27, s[6:7]
	ds_bpermute_b32 v1, v105, v0
	v_cndmask_b32_e64 v0, v22, v21, s[12:13]
	v_cndmask_b32_e64 v0, v0, v10, s[14:15]
	;; [unrolled: 1-line block ×3, first 2 shown]
	ds_bpermute_b32 v2, v105, v0
	s_waitcnt lgkmcnt(1)
	v_cndmask_b32_e64 v3, v27, v1, s[6:7]
	v_cndmask_b32_e32 v11, v26, v1, vcc
	v_cndmask_b32_e64 v0, v29, v1, s[8:9]
	v_cndmask_b32_e64 v1, v28, v1, s[10:11]
	v_mov_b32_e32 v26, v24
	v_mov_b32_e32 v27, v24
	v_pk_mul_f32 v[28:29], v[24:25], v[4:5]
	v_pk_mul_f32 v[26:27], v[26:27], v[6:7]
	v_cndmask_b32_e64 v4, v28, v29, s[8:9]
	v_cndmask_b32_e32 v4, v4, v26, vcc
	v_cndmask_b32_e64 v4, v4, v27, s[6:7]
	ds_bpermute_b32 v7, v105, v4
	v_cndmask_b32_e64 v4, v1, v0, s[12:13]
	v_cndmask_b32_e64 v4, v4, v11, s[14:15]
	;; [unrolled: 1-line block ×3, first 2 shown]
	ds_bpermute_b32 v6, v105, v4
	s_waitcnt lgkmcnt(1)
	v_cndmask_b32_e32 v5, v26, v7, vcc
	v_cmp_ne_u32_e32 vcc, 0, v93
	v_cndmask_b32_e64 v25, v28, v7, s[10:11]
	v_cndmask_b32_e64 v4, v27, v7, s[6:7]
	v_cndmask_b32_e32 v24, v29, v7, vcc
	v_cndmask_b32_e64 v7, v25, v24, s[12:13]
	v_cvt_f16_f32_e32 v35, v54
	v_cvt_f16_f32_sdwa v38, v53 dst_sel:WORD_1 dst_unused:UNUSED_PAD src0_sel:DWORD
	v_cndmask_b32_e64 v8, v8, v14, s[14:15]
	v_cndmask_b32_e64 v7, v7, v5, s[14:15]
	;; [unrolled: 1-line block ×5, first 2 shown]
	ds_bpermute_b32 v12, v105, v12
	ds_bpermute_b32 v8, v105, v8
	ds_bpermute_b32 v7, v105, v7
	v_or_b32_e32 v23, v38, v35
	;;#ASMSTART
	global_atomic_pk_add_f16 v[30:31], v23, off
	
	;;#ASMEND
	v_add_u32_e32 v23, s69, v100
	v_cmp_gt_u32_e32 vcc, 32, v23
	s_and_b64 exec, exec, vcc
	s_cbranch_execz .LBB217_40
; %bb.38:                               ;   in Loop: Header=BB217_7 Depth=1
	v_cmp_eq_u32_e64 s[8:9], 1, v94
	v_cmp_eq_u32_e64 s[10:11], 0, v94
	v_cmp_eq_u32_e32 vcc, 3, v94
	s_waitcnt lgkmcnt(2)
	v_cndmask_b32_e64 v18, v18, v12, s[8:9]
	v_cndmask_b32_e64 v19, v19, v12, s[10:11]
	s_waitcnt lgkmcnt(1)
	v_cndmask_b32_e64 v15, v15, v8, s[8:9]
	v_cndmask_b32_e64 v20, v20, v8, s[10:11]
	;; [unrolled: 1-line block ×4, first 2 shown]
	v_cvt_f16_f32_e32 v19, v19
	v_cvt_f16_f32_sdwa v18, v18 dst_sel:WORD_1 dst_unused:UNUSED_PAD src0_sel:DWORD
	v_cvt_f16_f32_e32 v20, v20
	v_cvt_f16_f32_sdwa v15, v15 dst_sel:WORD_1 dst_unused:UNUSED_PAD src0_sel:DWORD
	;; [unrolled: 2-line block ×3, first 2 shown]
	v_cndmask_b32_e64 v26, v0, v6, s[8:9]
	v_cndmask_b32_e64 v27, v1, v6, s[10:11]
	v_lshl_add_u64 v[0:1], v[44:45], 1, s[52:53]
	v_or_b32_e32 v18, v18, v19
	v_or_b32_e32 v15, v15, v20
	;;#ASMSTART
	global_atomic_pk_add_f16 v[0:1], v18, off
	
	;;#ASMEND
	v_lshl_add_u64 v[18:19], v[0:1], 0, 32
	;;#ASMSTART
	global_atomic_pk_add_f16 v[18:19], v15, off
	
	;;#ASMEND
	v_or_b32_e32 v15, v21, v22
	s_waitcnt lgkmcnt(0)
	v_cndmask_b32_e64 v24, v24, v7, s[8:9]
	v_cndmask_b32_e64 v25, v25, v7, s[10:11]
	v_lshl_add_u64 v[18:19], v[0:1], 0, 64
	;;#ASMSTART
	global_atomic_pk_add_f16 v[18:19], v15, off
	
	;;#ASMEND
	v_cvt_f16_f32_e32 v15, v27
	v_cvt_f16_f32_sdwa v20, v26 dst_sel:WORD_1 dst_unused:UNUSED_PAD src0_sel:DWORD
	v_cvt_f16_f32_e32 v21, v25
	v_cvt_f16_f32_sdwa v22, v24 dst_sel:WORD_1 dst_unused:UNUSED_PAD src0_sel:DWORD
	v_cmp_eq_u32_e64 s[6:7], 2, v94
	v_lshl_add_u64 v[18:19], v[0:1], 0, s[30:31]
	v_or_b32_e32 v15, v20, v15
	v_cmp_gt_u32_e64 s[8:9], 30, v23
	;;#ASMSTART
	global_atomic_pk_add_f16 v[18:19], v15, off
	
	;;#ASMEND
	v_lshl_add_u64 v[18:19], v[0:1], 0, s[34:35]
	v_or_b32_e32 v15, v22, v21
	;;#ASMSTART
	global_atomic_pk_add_f16 v[18:19], v15, off
	
	;;#ASMEND
	s_and_b64 exec, exec, s[8:9]
	s_cbranch_execz .LBB217_40
; %bb.39:                               ;   in Loop: Header=BB217_7 Depth=1
	v_cndmask_b32_e32 v15, v16, v12, vcc
	v_cndmask_b32_e64 v12, v17, v12, s[6:7]
	v_cndmask_b32_e32 v13, v13, v8, vcc
	v_cndmask_b32_e64 v8, v14, v8, s[6:7]
	;; [unrolled: 2-line block ×3, first 2 shown]
	v_cndmask_b32_e32 v14, v3, v6, vcc
	v_cvt_f16_f32_e32 v2, v12
	v_cvt_f16_f32_sdwa v3, v15 dst_sel:WORD_1 dst_unused:UNUSED_PAD src0_sel:DWORD
	v_cndmask_b32_e32 v4, v4, v7, vcc
	v_cndmask_b32_e64 v5, v5, v7, s[6:7]
	v_cvt_f16_f32_e32 v7, v8
	v_cvt_f16_f32_sdwa v8, v13 dst_sel:WORD_1 dst_unused:UNUSED_PAD src0_sel:DWORD
	v_cvt_f16_f32_e32 v10, v10
	v_cvt_f16_f32_sdwa v9, v9 dst_sel:WORD_1 dst_unused:UNUSED_PAD src0_sel:DWORD
	v_lshl_add_u64 v[0:1], s[28:29], 2, v[0:1]
	v_or_b32_e32 v2, v3, v2
	v_or_b32_e32 v7, v8, v7
	v_cndmask_b32_e64 v6, v11, v6, s[6:7]
	;;#ASMSTART
	global_atomic_pk_add_f16 v[0:1], v2, off
	
	;;#ASMEND
	v_lshl_add_u64 v[2:3], v[0:1], 0, 32
	;;#ASMSTART
	global_atomic_pk_add_f16 v[2:3], v7, off
	
	;;#ASMEND
	v_or_b32_e32 v7, v9, v10
	v_lshl_add_u64 v[2:3], v[0:1], 0, 64
	;;#ASMSTART
	global_atomic_pk_add_f16 v[2:3], v7, off
	
	;;#ASMEND
	v_cvt_f16_f32_e32 v6, v6
	v_cvt_f16_f32_sdwa v7, v14 dst_sel:WORD_1 dst_unused:UNUSED_PAD src0_sel:DWORD
	v_cvt_f16_f32_e32 v5, v5
	v_cvt_f16_f32_sdwa v4, v4 dst_sel:WORD_1 dst_unused:UNUSED_PAD src0_sel:DWORD
	v_lshl_add_u64 v[2:3], v[0:1], 0, s[30:31]
	v_or_b32_e32 v6, v7, v6
	;;#ASMSTART
	global_atomic_pk_add_f16 v[2:3], v6, off
	
	;;#ASMEND
	v_lshl_add_u64 v[0:1], v[0:1], 0, s[34:35]
	v_or_b32_e32 v2, v4, v5
	;;#ASMSTART
	global_atomic_pk_add_f16 v[0:1], v2, off
	
	;;#ASMEND
.LBB217_40:                             ;   in Loop: Header=BB217_7 Depth=1
	s_or_b64 exec, exec, s[18:19]
	v_subrev_u32_e32 v106, s70, v106
.LBB217_41:                             ;   in Loop: Header=BB217_7 Depth=1
	s_or_b64 exec, exec, s[50:51]
.LBB217_42:                             ;   in Loop: Header=BB217_7 Depth=1
	s_andn2_saveexec_b64 s[6:7], s[48:49]
	s_cbranch_execz .LBB217_51
; %bb.43:                               ;   in Loop: Header=BB217_7 Depth=1
	s_mul_i32 s16, s70, 5
	v_cmp_gt_i32_e32 vcc, s16, v106
	s_and_saveexec_b64 s[8:9], vcc
	s_cbranch_execz .LBB217_50
; %bb.44:                               ;   in Loop: Header=BB217_7 Depth=1
	s_mul_i32 s10, s46, s23
	s_ashr_i32 s11, s10, 31
	s_waitcnt lgkmcnt(0)
	s_add_u32 s10, s38, s10
	s_addc_u32 s11, s39, s11
	s_ashr_i32 s12, s68, 31
	s_add_u32 s10, s10, s68
	s_addc_u32 s11, s11, s12
	v_lshl_add_u64 v[0:1], s[10:11], 0, v[48:49]
	v_lshl_add_u64 v[16:17], v[0:1], 0, v[46:47]
	s_mov_b64 s[10:11], 0
	s_branch .LBB217_46
.LBB217_45:                             ;   in Loop: Header=BB217_46 Depth=2
	s_or_b64 exec, exec, s[12:13]
	v_lshl_or_b32 v20, v18, 12, v102
	;;#ASMSTART
	s_waitcnt vmcnt(3)
	;;#ASMEND
	ds_write2_b32 v20, v12, v13 offset1:32
	ds_write2_b32 v20, v14, v15 offset0:64 offset1:96
	v_add_u32_e32 v12, 0x400, v20
	;;#ASMSTART
	s_waitcnt vmcnt(2)
	;;#ASMEND
	ds_write2_b32 v12, v8, v9 offset1:32
	ds_write2_b32 v12, v10, v11 offset0:64 offset1:96
	v_add_u32_e32 v8, 0x800, v20
	;; [unrolled: 6-line block ×3, first 2 shown]
	v_add_u32_e32 v106, s26, v106
	;;#ASMSTART
	s_waitcnt vmcnt(0)
	;;#ASMEND
	ds_write2_b32 v4, v0, v1 offset1:32
	ds_write2_b32 v4, v2, v3 offset0:64 offset1:96
	v_add_u32_e32 v0, 1, v90
	v_add_u32_e32 v52, s26, v18
	v_cmp_le_i32_e32 vcc, s16, v106
	ds_write_b32 v19, v0 offset:8
	v_add_u32_e32 v0, 2, v90
	s_or_b64 s[10:11], vcc, s[10:11]
	v_cmp_lt_i32_e32 vcc, 4, v52
	s_nop 1
	v_cndmask_b32_e32 v90, v90, v0, vcc
	s_andn2_b64 exec, exec, s[10:11]
	s_cbranch_execz .LBB217_49
.LBB217_46:                             ;   Parent Loop BB217_7 Depth=1
                                        ; =>  This Loop Header: Depth=2
                                        ;       Child Loop BB217_48 Depth 3
	v_cmp_gt_i32_e32 vcc, 5, v52
	s_nop 1
	v_cndmask_b32_e64 v0, -5, 0, vcc
	v_add_u32_e32 v18, v0, v52
	v_mul_hi_i32 v0, v106, s56
	v_lshrrev_b32_e32 v1, 31, v0
	v_ashrrev_i32_e32 v0, 1, v0
	v_add_u32_e32 v0, v0, v1
	v_lshl_add_u32 v1, v0, 2, v0
	v_sub_u32_e32 v2, v106, v1
	v_lshlrev_b32_e32 v0, 8, v0
	v_ashrrev_i32_e32 v1, 31, v0
	v_mul_lo_u32 v2, s61, v2
	v_lshl_add_u64 v[0:1], v[16:17], 0, v[0:1]
	v_ashrrev_i32_e32 v3, 31, v2
	v_lshl_add_u64 v[0:1], v[0:1], 0, v[2:3]
	v_lshlrev_b32_e32 v19, 2, v18
	;;#ASMSTART
	global_load_dwordx4 v[12:15], v[0:1], off offset:0    sc0 sc1 nt  
	global_load_dwordx4 v[8:11], v[0:1], off offset:64   sc0 sc1 nt  
	global_load_dwordx4 v[4:7], v[0:1], off offset:128  sc0 sc1 nt  
	global_load_dwordx4 v[0:3], v[0:1], off offset:192  sc0 sc1 nt  
	
	;;#ASMEND
	ds_read_b32 v20, v19 offset:28680
	v_add_u32_e32 v19, 0x7000, v19
	s_waitcnt lgkmcnt(0)
	v_cmp_ne_u32_e32 vcc, v20, v90
	s_and_saveexec_b64 s[12:13], vcc
	s_cbranch_execz .LBB217_45
; %bb.47:                               ;   in Loop: Header=BB217_46 Depth=2
	s_mov_b64 s[14:15], 0
.LBB217_48:                             ;   Parent Loop BB217_7 Depth=1
                                        ;     Parent Loop BB217_46 Depth=2
                                        ; =>    This Inner Loop Header: Depth=3
	;;#ASMSTART
	s_sleep 0
	;;#ASMEND
	ds_read_b32 v20, v19 offset:8
	s_waitcnt lgkmcnt(0)
	v_cmp_eq_u32_e32 vcc, v20, v90
	s_or_b64 s[14:15], vcc, s[14:15]
	s_andn2_b64 exec, exec, s[14:15]
	s_cbranch_execnz .LBB217_48
	s_branch .LBB217_45
.LBB217_49:                             ;   in Loop: Header=BB217_7 Depth=1
	s_or_b64 exec, exec, s[10:11]
.LBB217_50:                             ;   in Loop: Header=BB217_7 Depth=1
	s_or_b64 exec, exec, s[8:9]
	v_subrev_u32_e32 v106, s16, v106
.LBB217_51:                             ;   in Loop: Header=BB217_7 Depth=1
	s_or_b64 exec, exec, s[6:7]
.LBB217_52:                             ;   in Loop: Header=BB217_7 Depth=1
	s_andn2_saveexec_b64 s[6:7], s[44:45]
	s_cbranch_execz .LBB217_6
; %bb.53:                               ;   in Loop: Header=BB217_7 Depth=1
	s_lshl_b32 s16, s70, 1
	v_cmp_gt_i32_e32 vcc, s16, v106
	s_and_saveexec_b64 s[8:9], vcc
	s_cbranch_execz .LBB217_5
; %bb.54:                               ;   in Loop: Header=BB217_7 Depth=1
	s_mul_i32 s67, s67, s22
	s_ashr_i32 s10, s67, 31
	s_waitcnt lgkmcnt(0)
	s_add_u32 s11, s36, s67
	v_add_u32_e32 v2, s69, v101
	s_addc_u32 s12, s37, s10
	s_ashr_i32 s13, s68, 31
	v_cmp_gt_u32_e32 vcc, 32, v2
	s_add_u32 s10, s11, s68
	s_addc_u32 s11, s12, s13
	v_cndmask_b32_e32 v0, 0, v103, vcc
	v_ashrrev_i32_e32 v1, 31, v0
	v_lshl_add_u64 v[0:1], s[10:11], 0, v[0:1]
	v_lshl_add_u64 v[16:17], v[0:1], 0, v[46:47]
	v_sub_u32_e32 v18, 31, v2
	s_mov_b64 s[10:11], 0
	s_branch .LBB217_56
.LBB217_55:                             ;   in Loop: Header=BB217_56 Depth=2
	s_or_b64 exec, exec, s[12:13]
	v_lshl_add_u32 v21, v19, 12, v104
	;;#ASMSTART
	s_waitcnt vmcnt(3)
	;;#ASMEND
	ds_write2_b32 v21, v12, v13 offset1:32
	ds_write2_b32 v21, v14, v15 offset0:64 offset1:96
	v_add_u32_e32 v12, 0x400, v21
	;;#ASMSTART
	s_waitcnt vmcnt(2)
	;;#ASMEND
	ds_write2_b32 v12, v8, v9 offset1:32
	ds_write2_b32 v12, v10, v11 offset0:64 offset1:96
	v_add_u32_e32 v8, 0x800, v21
	;; [unrolled: 6-line block ×3, first 2 shown]
	v_add_u32_e32 v106, s25, v106
	;;#ASMSTART
	s_waitcnt vmcnt(0)
	;;#ASMEND
	ds_write2_b32 v4, v0, v1 offset1:32
	ds_write2_b32 v4, v2, v3 offset0:64 offset1:96
	v_add_u32_e32 v0, 1, v90
	v_add_u32_e32 v52, s25, v19
	v_cmp_le_i32_e32 vcc, s16, v106
	ds_write_b32 v20, v0
	v_add_u32_e32 v0, 2, v90
	s_or_b64 s[10:11], vcc, s[10:11]
	v_cmp_lt_i32_e32 vcc, 1, v52
	s_nop 1
	v_cndmask_b32_e32 v90, v90, v0, vcc
	s_andn2_b64 exec, exec, s[10:11]
	s_cbranch_execz .LBB217_4
.LBB217_56:                             ;   Parent Loop BB217_7 Depth=1
                                        ; =>  This Loop Header: Depth=2
                                        ;       Child Loop BB217_58 Depth 3
	v_cmp_gt_i32_e32 vcc, 2, v52
	s_nop 1
	v_cndmask_b32_e64 v0, -2, 0, vcc
	v_add_u32_e32 v19, v0, v52
	v_lshrrev_b32_e32 v0, 31, v106
	v_add_u32_e32 v0, v106, v0
	v_and_b32_e32 v1, 0xffffffe, v0
	v_sub_u32_e32 v1, v106, v1
	v_lshlrev_b32_e32 v1, 4, v1
	v_cmp_le_i32_e32 vcc, v1, v18
	v_lshlrev_b32_e32 v0, 7, v0
	v_and_b32_e32 v0, 0xffffff00, v0
	v_cndmask_b32_e32 v2, 0, v1, vcc
	v_ashrrev_i32_e32 v1, 31, v0
	v_mul_lo_u32 v2, v2, s22
	v_lshl_add_u64 v[0:1], v[16:17], 0, v[0:1]
	v_ashrrev_i32_e32 v3, 31, v2
	v_lshl_add_u64 v[0:1], v[0:1], 0, v[2:3]
	v_lshlrev_b32_e32 v20, 2, v19
	;;#ASMSTART
	global_load_dwordx4 v[12:15], v[0:1], off offset:0    
	global_load_dwordx4 v[8:11], v[0:1], off offset:64   
	global_load_dwordx4 v[4:7], v[0:1], off offset:128  
	global_load_dwordx4 v[0:3], v[0:1], off offset:192  
	
	;;#ASMEND
	ds_read_b32 v21, v20 offset:28672
	v_add_u32_e32 v20, 0x7000, v20
	s_waitcnt lgkmcnt(0)
	v_cmp_ne_u32_e32 vcc, v21, v90
	s_and_saveexec_b64 s[12:13], vcc
	s_cbranch_execz .LBB217_55
; %bb.57:                               ;   in Loop: Header=BB217_56 Depth=2
	s_mov_b64 s[14:15], 0
.LBB217_58:                             ;   Parent Loop BB217_7 Depth=1
                                        ;     Parent Loop BB217_56 Depth=2
                                        ; =>    This Inner Loop Header: Depth=3
	;;#ASMSTART
	s_sleep 0
	;;#ASMEND
	ds_read_b32 v21, v20
	s_waitcnt lgkmcnt(0)
	v_cmp_eq_u32_e32 vcc, v21, v90
	s_or_b64 s[14:15], vcc, s[14:15]
	s_andn2_b64 exec, exec, s[14:15]
	s_cbranch_execnz .LBB217_58
	s_branch .LBB217_55
.LBB217_59:
	s_endpgm
	.section	.rodata,"a",@progbits
	.p2align	6, 0x0
	.amdhsa_kernel _Z19_skinny_gemm_kernelILi2ELi5ELi1ELi16ELi8EEvPKhS1_P6__halfPKfiiiiiiii
		.amdhsa_group_segment_fixed_size 28700
		.amdhsa_private_segment_fixed_size 0
		.amdhsa_kernarg_size 64
		.amdhsa_user_sgpr_count 2
		.amdhsa_user_sgpr_dispatch_ptr 0
		.amdhsa_user_sgpr_queue_ptr 0
		.amdhsa_user_sgpr_kernarg_segment_ptr 1
		.amdhsa_user_sgpr_dispatch_id 0
		.amdhsa_user_sgpr_kernarg_preload_length 0
		.amdhsa_user_sgpr_kernarg_preload_offset 0
		.amdhsa_user_sgpr_private_segment_size 0
		.amdhsa_uses_dynamic_stack 0
		.amdhsa_enable_private_segment 0
		.amdhsa_system_sgpr_workgroup_id_x 1
		.amdhsa_system_sgpr_workgroup_id_y 0
		.amdhsa_system_sgpr_workgroup_id_z 0
		.amdhsa_system_sgpr_workgroup_info 0
		.amdhsa_system_vgpr_workitem_id 0
		.amdhsa_next_free_vgpr 120
		.amdhsa_next_free_sgpr 71
		.amdhsa_accum_offset 120
		.amdhsa_reserve_vcc 1
		.amdhsa_float_round_mode_32 0
		.amdhsa_float_round_mode_16_64 0
		.amdhsa_float_denorm_mode_32 3
		.amdhsa_float_denorm_mode_16_64 3
		.amdhsa_dx10_clamp 1
		.amdhsa_ieee_mode 1
		.amdhsa_fp16_overflow 0
		.amdhsa_tg_split 0
		.amdhsa_exception_fp_ieee_invalid_op 0
		.amdhsa_exception_fp_denorm_src 0
		.amdhsa_exception_fp_ieee_div_zero 0
		.amdhsa_exception_fp_ieee_overflow 0
		.amdhsa_exception_fp_ieee_underflow 0
		.amdhsa_exception_fp_ieee_inexact 0
		.amdhsa_exception_int_div_zero 0
	.end_amdhsa_kernel
	.section	.text._Z19_skinny_gemm_kernelILi2ELi5ELi1ELi16ELi8EEvPKhS1_P6__halfPKfiiiiiiii,"axG",@progbits,_Z19_skinny_gemm_kernelILi2ELi5ELi1ELi16ELi8EEvPKhS1_P6__halfPKfiiiiiiii,comdat
.Lfunc_end217:
	.size	_Z19_skinny_gemm_kernelILi2ELi5ELi1ELi16ELi8EEvPKhS1_P6__halfPKfiiiiiiii, .Lfunc_end217-_Z19_skinny_gemm_kernelILi2ELi5ELi1ELi16ELi8EEvPKhS1_P6__halfPKfiiiiiiii
                                        ; -- End function
	.set _Z19_skinny_gemm_kernelILi2ELi5ELi1ELi16ELi8EEvPKhS1_P6__halfPKfiiiiiiii.num_vgpr, 120
	.set _Z19_skinny_gemm_kernelILi2ELi5ELi1ELi16ELi8EEvPKhS1_P6__halfPKfiiiiiiii.num_agpr, 0
	.set _Z19_skinny_gemm_kernelILi2ELi5ELi1ELi16ELi8EEvPKhS1_P6__halfPKfiiiiiiii.numbered_sgpr, 71
	.set _Z19_skinny_gemm_kernelILi2ELi5ELi1ELi16ELi8EEvPKhS1_P6__halfPKfiiiiiiii.num_named_barrier, 0
	.set _Z19_skinny_gemm_kernelILi2ELi5ELi1ELi16ELi8EEvPKhS1_P6__halfPKfiiiiiiii.private_seg_size, 0
	.set _Z19_skinny_gemm_kernelILi2ELi5ELi1ELi16ELi8EEvPKhS1_P6__halfPKfiiiiiiii.uses_vcc, 1
	.set _Z19_skinny_gemm_kernelILi2ELi5ELi1ELi16ELi8EEvPKhS1_P6__halfPKfiiiiiiii.uses_flat_scratch, 0
	.set _Z19_skinny_gemm_kernelILi2ELi5ELi1ELi16ELi8EEvPKhS1_P6__halfPKfiiiiiiii.has_dyn_sized_stack, 0
	.set _Z19_skinny_gemm_kernelILi2ELi5ELi1ELi16ELi8EEvPKhS1_P6__halfPKfiiiiiiii.has_recursion, 0
	.set _Z19_skinny_gemm_kernelILi2ELi5ELi1ELi16ELi8EEvPKhS1_P6__halfPKfiiiiiiii.has_indirect_call, 0
	.section	.AMDGPU.csdata,"",@progbits
; Kernel info:
; codeLenInByte = 7244
; TotalNumSgprs: 77
; NumVgprs: 120
; NumAgprs: 0
; TotalNumVgprs: 120
; ScratchSize: 0
; MemoryBound: 0
; FloatMode: 240
; IeeeMode: 1
; LDSByteSize: 28700 bytes/workgroup (compile time only)
; SGPRBlocks: 9
; VGPRBlocks: 14
; NumSGPRsForWavesPerEU: 77
; NumVGPRsForWavesPerEU: 120
; AccumOffset: 120
; Occupancy: 4
; WaveLimiterHint : 0
; COMPUTE_PGM_RSRC2:SCRATCH_EN: 0
; COMPUTE_PGM_RSRC2:USER_SGPR: 2
; COMPUTE_PGM_RSRC2:TRAP_HANDLER: 0
; COMPUTE_PGM_RSRC2:TGID_X_EN: 1
; COMPUTE_PGM_RSRC2:TGID_Y_EN: 0
; COMPUTE_PGM_RSRC2:TGID_Z_EN: 0
; COMPUTE_PGM_RSRC2:TIDIG_COMP_CNT: 0
; COMPUTE_PGM_RSRC3_GFX90A:ACCUM_OFFSET: 29
; COMPUTE_PGM_RSRC3_GFX90A:TG_SPLIT: 0
	.section	.text._Z19_skinny_gemm_kernelILi2ELi5ELi1ELi32ELi4EEvPKhS1_P6__halfPKfiiiiiiii,"axG",@progbits,_Z19_skinny_gemm_kernelILi2ELi5ELi1ELi32ELi4EEvPKhS1_P6__halfPKfiiiiiiii,comdat
	.protected	_Z19_skinny_gemm_kernelILi2ELi5ELi1ELi32ELi4EEvPKhS1_P6__halfPKfiiiiiiii ; -- Begin function _Z19_skinny_gemm_kernelILi2ELi5ELi1ELi32ELi4EEvPKhS1_P6__halfPKfiiiiiiii
	.globl	_Z19_skinny_gemm_kernelILi2ELi5ELi1ELi32ELi4EEvPKhS1_P6__halfPKfiiiiiiii
	.p2align	8
	.type	_Z19_skinny_gemm_kernelILi2ELi5ELi1ELi32ELi4EEvPKhS1_P6__halfPKfiiiiiiii,@function
_Z19_skinny_gemm_kernelILi2ELi5ELi1ELi32ELi4EEvPKhS1_P6__halfPKfiiiiiiii: ; @_Z19_skinny_gemm_kernelILi2ELi5ELi1ELi32ELi4EEvPKhS1_P6__halfPKfiiiiiiii
; %bb.0:
	v_cmp_gt_u32_e32 vcc, 7, v0
	s_and_saveexec_b64 s[4:5], vcc
; %bb.1:
	v_lshlrev_b32_e32 v1, 2, v0
	v_mov_b32_e32 v2, 0
	ds_write_b32 v1, v2 offset:14336
; %bb.2:
	s_or_b64 exec, exec, s[4:5]
	s_load_dwordx8 s[24:31], s[0:1], 0x20
	s_waitcnt lgkmcnt(0)
	s_barrier
	s_add_i32 s3, s24, 63
	s_ashr_i32 s5, s3, 31
	s_add_i32 s4, s25, 0x9f
	s_lshr_b32 s5, s5, 26
	s_mul_hi_i32 s4, s4, 0x66666667
	s_add_i32 s3, s3, s5
	s_ashr_i32 s14, s3, 6
	s_lshr_b32 s3, s4, 31
	s_ashr_i32 s4, s4, 6
	s_add_i32 s15, s4, s3
	s_mul_i32 s3, s15, s14
	s_mul_i32 s3, s3, s28
	s_add_i32 s4, s3, 0x12f
	s_mul_hi_i32 s4, s4, 0x6bca1af3
	s_lshr_b32 s5, s4, 31
	s_ashr_i32 s4, s4, 7
	s_add_i32 s4, s4, s5
	s_add_i32 s5, s2, 1
	s_mul_i32 s5, s4, s5
	v_cvt_f64_i32_e32 v[2:3], s3
	v_cvt_f64_u32_e32 v[4:5], s5
	v_min_f64 v[2:3], v[2:3], v[4:5]
	v_cvt_i32_f64_e32 v1, v[2:3]
	s_mul_i32 s2, s4, s2
	v_cmp_ge_i32_e32 vcc, s2, v1
	scratch_store_dword off, v1, off offset:4 ; 4-byte Folded Spill
	s_cbranch_vccnz .LBB218_55
; %bb.3:
	s_load_dwordx8 s[16:23], s[0:1], 0x0
	v_lshrrev_b32_e32 v1, 6, v0
	s_add_i32 s0, s30, s29
	v_cmp_le_i32_e64 s[34:35], s0, v1
	v_mov_b32_e32 v2, s29
	v_cmp_le_i32_e64 s[36:37], s29, v1
	v_mov_b32_e32 v3, s30
	v_cndmask_b32_e64 v3, 0, v3, s[34:35]
	v_cndmask_b32_e64 v2, 0, v2, s[36:37]
	s_abs_i32 s1, s28
	v_add_u32_e32 v2, v2, v3
	v_cvt_f32_u32_e32 v3, s1
	v_sub_u32_e32 v88, v1, v2
	s_ashr_i32 s3, s26, 31
	s_lshr_b32 s3, s3, 26
	v_rcp_iflag_f32_e32 v2, v3
	s_sub_i32 s6, 0, s1
	s_add_i32 s3, s26, s3
	s_ashr_i32 s3, s3, 6
	v_mul_f32_e32 v2, 0x4f7ffffe, v2
	v_cvt_u32_f32_e32 v2, v2
	s_abs_i32 s5, s3
	s_xor_b32 s4, s3, s28
	s_ashr_i32 s4, s4, 31
	v_readfirstlane_b32 s7, v2
	s_mul_i32 s6, s6, s7
	s_mul_hi_u32 s6, s7, s6
	s_add_i32 s7, s7, s6
	s_mul_hi_u32 s6, s5, s7
	s_mul_i32 s7, s6, s1
	s_sub_i32 s5, s5, s7
	s_add_i32 s7, s6, 1
	s_sub_i32 s8, s5, s1
	s_cmp_ge_u32 s5, s1
	s_cselect_b32 s6, s7, s6
	s_cselect_b32 s5, s8, s5
	s_add_i32 s7, s6, 1
	s_cmp_ge_u32 s5, s1
	s_cselect_b32 s1, s7, s6
	s_add_i32 s0, s0, s31
	v_and_b32_e32 v85, 31, v0
	v_lshrrev_b32_e32 v2, 3, v0
	v_cmp_gt_i32_e64 s[42:43], s0, v1
	v_lshlrev_b32_e32 v1, 2, v85
	v_and_b32_e32 v3, 4, v2
	v_lshlrev_b32_e32 v2, 6, v3
	v_or_b32_e32 v4, 0x2800, v1
	v_or_b32_e32 v5, v4, v2
	scratch_store_dword off, v5, off        ; 4-byte Folded Spill
	v_and_b32_e32 v5, 1, v0
	v_or_b32_e32 v98, v1, v2
	v_lshlrev_b32_e32 v2, 1, v5
	v_sub_u32_e32 v2, v0, v2
	v_add_u32_e32 v2, 1, v2
	v_and_b32_e32 v6, 63, v2
	v_bitop3_b32 v2, v0, 1, v0 bitop3:0xc
	scratch_store_dword off, v2, off offset:32 ; 4-byte Folded Spill
	v_bitop3_b32 v2, v0, 3, 1 bitop3:0x6c
	scratch_store_dword off, v2, off offset:36 ; 4-byte Folded Spill
	;; [unrolled: 2-line block ×8, first 2 shown]
	v_or_b32_e32 v2, 32, v85
	s_add_i32 s39, s28, -1
	scratch_store_dword off, v2, off offset:64 ; 4-byte Folded Spill
	v_or_b32_e32 v2, 64, v85
	v_lshrrev_b32_e32 v7, 1, v0
	s_abs_i32 s28, s14
	scratch_store_dword off, v2, off offset:68 ; 4-byte Folded Spill
	v_or_b32_e32 v2, 0x60, v85
	v_and_b32_e32 v8, 16, v7
	v_cvt_f32_u32_e32 v7, s28
	scratch_store_dword off, v2, off offset:72 ; 4-byte Folded Spill
	v_or_b32_e32 v2, 0x80, v85
	scratch_store_dword off, v2, off offset:76 ; 4-byte Folded Spill
	v_and_b32_e32 v2, 30, v0
	v_lshlrev_b32_e32 v0, 4, v0
                                        ; implicit-def: $vgpr127 : SGPR spill to VGPR lane
	v_and_b32_e32 v0, 0x200, v0
	v_writelane_b32 v127, s14, 0
	s_xor_b32 s1, s1, s4
	v_or_b32_e32 v111, v1, v0
	v_rcp_iflag_f32_e32 v1, v7
	v_writelane_b32 v127, s15, 1
	s_sub_i32 s38, s1, s4
	s_waitcnt lgkmcnt(0)
	v_writelane_b32 v127, s16, 2
	s_mul_i32 s1, s38, s39
	s_sub_i32 s40, s3, s1
	v_writelane_b32 v127, s17, 3
	s_abs_i32 s3, s15
	v_writelane_b32 v127, s18, 4
	v_or_b32_e32 v113, v4, v0
	v_mul_f32_e32 v0, 0x4f7ffffe, v1
	v_cvt_f32_u32_e32 v1, s3
	v_writelane_b32 v127, s19, 5
	v_writelane_b32 v127, s20, 6
	;; [unrolled: 1-line block ×4, first 2 shown]
	v_cvt_u32_f32_e32 v0, v0
	v_rcp_iflag_f32_e32 v1, v1
	v_writelane_b32 v127, s23, 9
	v_cndmask_b32_e64 v95, 0, 1, s[34:35]
	v_writelane_b32 v127, s34, 10
	v_readfirstlane_b32 s1, v0
	v_mul_f32_e32 v0, 0x4f7ffffe, v1
	v_writelane_b32 v127, s35, 11
	v_writelane_b32 v127, s36, 12
	v_cvt_u32_f32_e32 v0, v0
	s_sub_i32 s0, 0, s28
	v_writelane_b32 v127, s37, 13
	v_writelane_b32 v127, s38, 14
	;; [unrolled: 1-line block ×3, first 2 shown]
	s_mul_i32 s0, s0, s1
	v_writelane_b32 v127, s40, 16
	s_mul_hi_u32 s0, s1, s0
	v_writelane_b32 v127, s42, 17
	s_ashr_i32 s41, s14, 31
	s_add_i32 s44, s1, s0
	s_sub_i32 s0, 0, s3
	v_readfirstlane_b32 s1, v0
	v_writelane_b32 v127, s43, 18
	s_mul_i32 s0, s0, s1
	v_mbcnt_lo_u32_b32 v0, -1, 0
	v_writelane_b32 v127, s41, 19
	s_ashr_i32 s45, s15, 31
	s_mul_hi_u32 s0, s1, s0
	v_mbcnt_hi_u32_b32 v0, -1, v0
	v_writelane_b32 v127, s44, 20
	v_mov_b32_e32 v97, 0
	v_mul_lo_u32 v10, s27, v85
	s_add_i32 s46, s1, s0
	v_and_or_b32 v0, v0, 64, v6
	v_writelane_b32 v127, s45, 21
	v_ashrrev_i32_e32 v11, 31, v10
	v_mov_b32_e32 v9, v97
	s_lshl_b32 s33, s27, 5
	v_mul_lo_u32 v7, s26, v85
	v_or_b32_e32 v114, v5, v3
	v_lshlrev_b32_e32 v96, 1, v2
	v_lshlrev_b32_e32 v115, 2, v0
	v_mov_b32_e32 v116, v88
	v_writelane_b32 v127, s46, 22
	scratch_store_dwordx2 off, v[10:11], off offset:80 ; 8-byte Folded Spill
	scratch_store_dwordx2 off, v[8:9], off offset:8 ; 8-byte Folded Spill
	scratch_store_dword off, v7, off offset:16 ; 4-byte Folded Spill
	scratch_store_dword off, v85, off offset:28 ; 4-byte Folded Spill
	s_branch .LBB218_7
.LBB218_4:                              ;   in Loop: Header=BB218_7 Depth=1
	s_or_b64 exec, exec, s[6:7]
.LBB218_5:                              ;   in Loop: Header=BB218_7 Depth=1
	s_or_b64 exec, exec, s[4:5]
	v_subrev_u32_e32 v116, s12, v116
.LBB218_6:                              ;   in Loop: Header=BB218_7 Depth=1
	s_or_b64 exec, exec, s[0:1]
	scratch_load_dword v0, off, off offset:4 ; 4-byte Folded Reload
	s_add_i32 s2, s2, 1
	s_waitcnt vmcnt(0)
	v_cmp_ge_i32_e32 vcc, s2, v0
	s_cbranch_vccnz .LBB218_55
.LBB218_7:                              ; =>This Loop Header: Depth=1
                                        ;     Child Loop BB218_13 Depth 2
                                        ;       Child Loop BB218_15 Depth 3
                                        ;       Child Loop BB218_18 Depth 3
	;; [unrolled: 1-line block ×6, first 2 shown]
                                        ;     Child Loop BB218_34 Depth 2
                                        ;     Child Loop BB218_42 Depth 2
                                        ;       Child Loop BB218_44 Depth 3
                                        ;     Child Loop BB218_52 Depth 2
                                        ;       Child Loop BB218_54 Depth 3
	s_abs_i32 s1, s2
	s_mul_hi_u32 s4, s1, s44
	s_mul_i32 s5, s4, s28
	s_ashr_i32 s0, s2, 31
	s_sub_i32 s1, s1, s5
	s_xor_b32 s0, s0, s41
	s_add_i32 s5, s4, 1
	s_sub_i32 s6, s1, s28
	s_cmp_ge_u32 s1, s28
	s_cselect_b32 s4, s5, s4
	s_cselect_b32 s1, s6, s1
	s_add_i32 s5, s4, 1
	s_cmp_ge_u32 s1, s28
	s_cselect_b32 s1, s5, s4
	s_xor_b32 s1, s1, s0
	s_sub_i32 s0, s1, s0
	s_abs_i32 s4, s0
	s_mul_i32 s1, s0, s14
	s_mul_hi_u32 s5, s4, s46
	s_sub_i32 s1, s2, s1
	s_mul_i32 s6, s5, s3
	s_lshl_b32 s47, s1, 6
	s_ashr_i32 s1, s0, 31
	s_sub_i32 s4, s4, s6
	s_xor_b32 s1, s1, s45
	s_add_i32 s6, s5, 1
	s_sub_i32 s7, s4, s3
	s_cmp_ge_u32 s4, s3
	s_cselect_b32 s5, s6, s5
	s_cselect_b32 s4, s7, s4
	s_add_i32 s6, s5, 1
	s_cmp_ge_u32 s4, s3
	s_cselect_b32 s4, s6, s5
	s_xor_b32 s4, s4, s1
	s_sub_i32 s1, s4, s1
	s_mul_i32 s4, s1, s38
	s_lshl_b32 s13, s4, 6
	s_cmp_eq_u32 s1, s39
	s_cselect_b32 s98, s40, s38
	s_sub_i32 s4, s47, s24
	s_add_i32 s4, s4, 64
	s_max_i32 s99, s4, 0
	s_and_saveexec_b64 s[4:5], s[36:37]
	s_xor_b64 s[48:49], exec, s[4:5]
	s_cbranch_execz .LBB218_48
; %bb.8:                                ;   in Loop: Header=BB218_7 Depth=1
	s_mul_i32 s1, s1, s15
	s_sub_i32 s0, s0, s1
	s_mulk_i32 s0, 0xa0
	s_sub_i32 s70, s0, s25
	s_addk_i32 s70, 0xa0
	v_writelane_b32 v127, s48, 23
	s_max_i32 s1, s70, 0
	s_mov_b32 s4, s13
	v_writelane_b32 v127, s49, 24
	s_sub_i32 s68, s0, s1
	s_and_saveexec_b64 s[0:1], s[34:35]
	s_xor_b64 s[0:1], exec, s[0:1]
	s_cbranch_execz .LBB218_38
; %bb.9:                                ;   in Loop: Header=BB218_7 Depth=1
	s_mov_b64 s[6:7], exec
	v_writelane_b32 v127, s6, 25
	s_nop 1
	v_writelane_b32 v127, s7, 26
	s_and_b64 s[6:7], s[6:7], s[42:43]
	s_mov_b64 exec, s[6:7]
	s_cbranch_execz .LBB218_37
; %bb.10:                               ;   in Loop: Header=BB218_7 Depth=1
	global_load_dword v117, v97, s[22:23]
	v_mov_b32_e32 v79, 0
	v_cmp_gt_i32_e32 vcc, s98, v116
	v_mov_b32_e32 v78, v79
	v_mov_b32_e32 v77, v79
	;; [unrolled: 1-line block ×79, first 2 shown]
	s_and_saveexec_b64 s[6:7], vcc
	s_cbranch_execz .LBB218_32
; %bb.11:                               ;   in Loop: Header=BB218_7 Depth=1
	v_mov_b32_e32 v0, 0
	s_mov_b64 s[8:9], 0
	v_mov_b32_e32 v1, v0
	v_mov_b32_e32 v2, v0
	;; [unrolled: 1-line block ×79, first 2 shown]
	s_branch .LBB218_13
.LBB218_12:                             ;   in Loop: Header=BB218_13 Depth=2
	s_or_b64 exec, exec, s[10:11]
	v_add_u32_e32 v81, 0x2000, v80
	ds_read2_b32 v[82:83], v81 offset1:32
	v_add_u32_e32 v116, s31, v116
	s_waitcnt lgkmcnt(0)
	v_mfma_f32_32x32x16_fp8_fp8 v[0:15], v[92:93], v[82:83], v[0:15]
	ds_read2_b32 v[82:83], v81 offset0:128 offset1:160
	s_waitcnt lgkmcnt(0)
	v_mfma_f32_32x32x16_fp8_fp8 v[0:15], v[90:91], v[82:83], v[0:15]
	v_add_u32_e32 v82, 0x2400, v80
	ds_read2_b32 v[80:81], v82 offset1:32
	ds_read2_b32 v[82:83], v82 offset0:128 offset1:160
	ds_write_b32 v119, v120 offset:14372
	s_waitcnt lgkmcnt(2)
	v_mfma_f32_32x32x16_fp8_fp8 v[0:15], v[88:89], v[80:81], v[0:15]
	v_add_u32_e32 v88, s31, v118
	v_add_u32_e32 v80, 2, v95
	v_cmp_lt_i32_e32 vcc, 0, v88
	s_nop 1
	v_cndmask_b32_e32 v95, v95, v80, vcc
	v_cmp_le_i32_e32 vcc, s98, v116
	s_waitcnt lgkmcnt(1)
	v_mfma_f32_32x32x16_fp8_fp8 v[0:15], v[86:87], v[82:83], v[0:15]
	s_or_b64 s[8:9], vcc, s[8:9]
	s_andn2_b64 exec, exec, s[8:9]
	s_cbranch_execz .LBB218_31
.LBB218_13:                             ;   Parent Loop BB218_7 Depth=1
                                        ; =>  This Loop Header: Depth=2
                                        ;       Child Loop BB218_15 Depth 3
                                        ;       Child Loop BB218_18 Depth 3
	;; [unrolled: 1-line block ×6, first 2 shown]
	v_cmp_lt_i32_e32 vcc, 0, v88
	s_nop 1
	v_subbrev_co_u32_e32 v118, vcc, 0, v88, vcc
	v_mul_lo_u32 v119, v118, 40
	ds_read_b32 v80, v119 offset:14336
	s_waitcnt lgkmcnt(0)
	v_cmp_ne_u32_e32 vcc, v80, v95
	s_and_saveexec_b64 s[10:11], vcc
	s_cbranch_execz .LBB218_16
; %bb.14:                               ;   in Loop: Header=BB218_13 Depth=2
	s_mov_b64 s[12:13], 0
.LBB218_15:                             ;   Parent Loop BB218_7 Depth=1
                                        ;     Parent Loop BB218_13 Depth=2
                                        ; =>    This Inner Loop Header: Depth=3
	;;#ASMSTART
	s_sleep 0
	;;#ASMEND
	ds_read_b32 v80, v119 offset:14336
	s_waitcnt lgkmcnt(0)
	v_cmp_eq_u32_e32 vcc, v80, v95
	s_or_b64 s[12:13], vcc, s[12:13]
	s_andn2_b64 exec, exec, s[12:13]
	s_cbranch_execnz .LBB218_15
.LBB218_16:                             ;   in Loop: Header=BB218_13 Depth=2
	s_or_b64 exec, exec, s[10:11]
	scratch_load_dword v80, off, off        ; 4-byte Folded Reload
	v_add_u32_e32 v120, 1, v95
	s_waitcnt vmcnt(0)
	v_lshl_add_u32 v80, v118, 11, v80
	ds_read2_b32 v[92:93], v80 offset1:32
	ds_read2_b32 v[90:91], v80 offset0:128 offset1:160
	v_add_u32_e32 v80, 0x400, v80
	ds_read2_b32 v[88:89], v80 offset1:32
	ds_read_b32 v81, v119 offset:14340
	ds_read2_b32 v[86:87], v80 offset0:128 offset1:160
	ds_write_b32 v119, v120 offset:14336
	s_waitcnt lgkmcnt(2)
	v_cmp_ne_u32_e32 vcc, v81, v95
	s_and_saveexec_b64 s[10:11], vcc
	s_cbranch_execz .LBB218_19
; %bb.17:                               ;   in Loop: Header=BB218_13 Depth=2
	s_mov_b64 s[12:13], 0
.LBB218_18:                             ;   Parent Loop BB218_7 Depth=1
                                        ;     Parent Loop BB218_13 Depth=2
                                        ; =>    This Inner Loop Header: Depth=3
	;;#ASMSTART
	s_sleep 0
	;;#ASMEND
	ds_read_b32 v80, v119 offset:14340
	s_waitcnt lgkmcnt(0)
	v_cmp_eq_u32_e32 vcc, v80, v95
	s_or_b64 s[12:13], vcc, s[12:13]
	s_andn2_b64 exec, exec, s[12:13]
	s_cbranch_execnz .LBB218_18
.LBB218_19:                             ;   in Loop: Header=BB218_13 Depth=2
	s_or_b64 exec, exec, s[10:11]
	s_movk_i32 s5, 0x2800
	v_mul_lo_u32 v80, v118, s5
	v_or_b32_e32 v81, v98, v80
	ds_read2_b32 v[82:83], v81 offset1:32
	ds_write_b32 v119, v120 offset:14340
	s_waitcnt lgkmcnt(1)
	v_mfma_f32_32x32x16_fp8_fp8 v[64:79], v[92:93], v[82:83], v[64:79]
	ds_read2_b32 v[82:83], v81 offset0:128 offset1:160
	v_add_u32_e32 v81, 0x400, v81
	s_waitcnt lgkmcnt(0)
	v_mfma_f32_32x32x16_fp8_fp8 v[64:79], v[90:91], v[82:83], v[64:79]
	ds_read2_b32 v[82:83], v81 offset1:32
	s_waitcnt lgkmcnt(0)
	v_mfma_f32_32x32x16_fp8_fp8 v[64:79], v[88:89], v[82:83], v[64:79]
	ds_read2_b32 v[82:83], v81 offset0:128 offset1:160
	ds_read_b32 v81, v119 offset:14348
	s_waitcnt lgkmcnt(0)
	v_cmp_ne_u32_e32 vcc, v81, v95
	v_mfma_f32_32x32x16_fp8_fp8 v[64:79], v[86:87], v[82:83], v[64:79]
	s_and_saveexec_b64 s[10:11], vcc
	s_cbranch_execz .LBB218_22
; %bb.20:                               ;   in Loop: Header=BB218_13 Depth=2
	s_mov_b64 s[12:13], 0
.LBB218_21:                             ;   Parent Loop BB218_7 Depth=1
                                        ;     Parent Loop BB218_13 Depth=2
                                        ; =>    This Inner Loop Header: Depth=3
	;;#ASMSTART
	s_sleep 0
	;;#ASMEND
	ds_read_b32 v81, v119 offset:14348
	s_waitcnt lgkmcnt(0)
	v_cmp_eq_u32_e32 vcc, v81, v95
	s_or_b64 s[12:13], vcc, s[12:13]
	s_andn2_b64 exec, exec, s[12:13]
	s_cbranch_execnz .LBB218_21
.LBB218_22:                             ;   in Loop: Header=BB218_13 Depth=2
	s_or_b64 exec, exec, s[10:11]
	v_add_u32_e32 v80, v98, v80
	v_add_u32_e32 v81, 0x800, v80
	ds_read2_b32 v[82:83], v81 offset1:32
	ds_write_b32 v119, v120 offset:14348
	s_waitcnt lgkmcnt(1)
	v_mfma_f32_32x32x16_fp8_fp8 v[48:63], v[92:93], v[82:83], v[48:63]
	ds_read2_b32 v[82:83], v81 offset0:128 offset1:160
	v_add_u32_e32 v81, 0xc00, v80
	s_waitcnt lgkmcnt(0)
	v_mfma_f32_32x32x16_fp8_fp8 v[48:63], v[90:91], v[82:83], v[48:63]
	ds_read2_b32 v[82:83], v81 offset1:32
	s_waitcnt lgkmcnt(0)
	v_mfma_f32_32x32x16_fp8_fp8 v[48:63], v[88:89], v[82:83], v[48:63]
	ds_read2_b32 v[82:83], v81 offset0:128 offset1:160
	ds_read_b32 v81, v119 offset:14356
	s_waitcnt lgkmcnt(0)
	v_cmp_ne_u32_e32 vcc, v81, v95
	v_mfma_f32_32x32x16_fp8_fp8 v[48:63], v[86:87], v[82:83], v[48:63]
	s_and_saveexec_b64 s[10:11], vcc
	s_cbranch_execz .LBB218_25
; %bb.23:                               ;   in Loop: Header=BB218_13 Depth=2
	s_mov_b64 s[12:13], 0
.LBB218_24:                             ;   Parent Loop BB218_7 Depth=1
                                        ;     Parent Loop BB218_13 Depth=2
                                        ; =>    This Inner Loop Header: Depth=3
	;;#ASMSTART
	s_sleep 0
	;;#ASMEND
	ds_read_b32 v81, v119 offset:14356
	s_waitcnt lgkmcnt(0)
	v_cmp_eq_u32_e32 vcc, v81, v95
	s_or_b64 s[12:13], vcc, s[12:13]
	s_andn2_b64 exec, exec, s[12:13]
	s_cbranch_execnz .LBB218_24
.LBB218_25:                             ;   in Loop: Header=BB218_13 Depth=2
	s_or_b64 exec, exec, s[10:11]
	v_add_u32_e32 v81, 0x1000, v80
	ds_read2_b32 v[82:83], v81 offset1:32
	s_waitcnt lgkmcnt(0)
	v_mfma_f32_32x32x16_fp8_fp8 v[32:47], v[92:93], v[82:83], v[32:47]
	ds_read2_b32 v[82:83], v81 offset0:128 offset1:160
	v_add_u32_e32 v81, 0x1400, v80
	s_waitcnt lgkmcnt(0)
	v_mfma_f32_32x32x16_fp8_fp8 v[32:47], v[90:91], v[82:83], v[32:47]
	ds_read2_b32 v[82:83], v81 offset1:32
	s_waitcnt lgkmcnt(0)
	v_mfma_f32_32x32x16_fp8_fp8 v[32:47], v[88:89], v[82:83], v[32:47]
	ds_read_b32 v84, v119 offset:14364
	ds_read2_b32 v[82:83], v81 offset0:128 offset1:160
	ds_write_b32 v119, v120 offset:14356
	s_waitcnt lgkmcnt(2)
	v_cmp_ne_u32_e32 vcc, v84, v95
	s_waitcnt lgkmcnt(1)
	v_mfma_f32_32x32x16_fp8_fp8 v[32:47], v[86:87], v[82:83], v[32:47]
	s_and_saveexec_b64 s[10:11], vcc
	s_cbranch_execz .LBB218_28
; %bb.26:                               ;   in Loop: Header=BB218_13 Depth=2
	s_mov_b64 s[12:13], 0
.LBB218_27:                             ;   Parent Loop BB218_7 Depth=1
                                        ;     Parent Loop BB218_13 Depth=2
                                        ; =>    This Inner Loop Header: Depth=3
	;;#ASMSTART
	s_sleep 0
	;;#ASMEND
	ds_read_b32 v81, v119 offset:14364
	s_waitcnt lgkmcnt(0)
	v_cmp_eq_u32_e32 vcc, v81, v95
	s_or_b64 s[12:13], vcc, s[12:13]
	s_andn2_b64 exec, exec, s[12:13]
	s_cbranch_execnz .LBB218_27
.LBB218_28:                             ;   in Loop: Header=BB218_13 Depth=2
	s_or_b64 exec, exec, s[10:11]
	v_add_u32_e32 v81, 0x1800, v80
	ds_read2_b32 v[82:83], v81 offset1:32
	s_waitcnt lgkmcnt(0)
	v_mfma_f32_32x32x16_fp8_fp8 v[16:31], v[92:93], v[82:83], v[16:31]
	ds_read2_b32 v[82:83], v81 offset0:128 offset1:160
	v_add_u32_e32 v81, 0x1c00, v80
	s_waitcnt lgkmcnt(0)
	v_mfma_f32_32x32x16_fp8_fp8 v[16:31], v[90:91], v[82:83], v[16:31]
	ds_read2_b32 v[82:83], v81 offset1:32
	s_waitcnt lgkmcnt(0)
	v_mfma_f32_32x32x16_fp8_fp8 v[16:31], v[88:89], v[82:83], v[16:31]
	ds_read_b32 v84, v119 offset:14372
	ds_read2_b32 v[82:83], v81 offset0:128 offset1:160
	ds_write_b32 v119, v120 offset:14364
	s_waitcnt lgkmcnt(2)
	v_cmp_ne_u32_e32 vcc, v84, v95
	s_waitcnt lgkmcnt(1)
	v_mfma_f32_32x32x16_fp8_fp8 v[16:31], v[86:87], v[82:83], v[16:31]
	s_and_saveexec_b64 s[10:11], vcc
	s_cbranch_execz .LBB218_12
; %bb.29:                               ;   in Loop: Header=BB218_13 Depth=2
	s_mov_b64 s[12:13], 0
.LBB218_30:                             ;   Parent Loop BB218_7 Depth=1
                                        ;     Parent Loop BB218_13 Depth=2
                                        ; =>    This Inner Loop Header: Depth=3
	;;#ASMSTART
	s_sleep 0
	;;#ASMEND
	ds_read_b32 v81, v119 offset:14372
	s_waitcnt lgkmcnt(0)
	v_cmp_eq_u32_e32 vcc, v81, v95
	s_or_b64 s[12:13], vcc, s[12:13]
	s_andn2_b64 exec, exec, s[12:13]
	s_cbranch_execnz .LBB218_30
	s_branch .LBB218_12
.LBB218_31:                             ;   in Loop: Header=BB218_7 Depth=1
	s_or_b64 exec, exec, s[8:9]
.LBB218_32:                             ;   in Loop: Header=BB218_7 Depth=1
	s_or_b64 exec, exec, s[6:7]
	scratch_load_dword v99, off, off offset:32 ; 4-byte Folded Reload
	scratch_load_dword v106, off, off offset:40 ; 4-byte Folded Reload
	v_cmp_le_i32_e32 vcc, s70, v85
	v_writelane_b32 v127, s47, 27
	s_mul_i32 s6, s47, s25
	s_waitcnt vmcnt(2)
	v_cndmask_b32_e32 v80, 0, v117, vcc
	v_pk_mul_f32 v[64:65], v[80:81], v[64:65] op_sel_hi:[0,1]
	v_pk_mul_f32 v[78:79], v[80:81], v[78:79] op_sel_hi:[0,1]
	;; [unrolled: 1-line block ×8, first 2 shown]
	s_ashr_i32 s7, s6, 31
	s_lshl_b64 s[6:7], s[6:7], 1
	s_add_u32 s71, s20, s6
	s_addc_u32 s72, s21, s7
	s_ashr_i32 s69, s68, 31
	s_mov_b32 s82, s68
	s_lshl_b64 s[68:69], s[68:69], 1
	v_writelane_b32 v127, s82, 28
	s_add_u32 s68, s71, s68
	s_addc_u32 s69, s72, s69
	v_writelane_b32 v127, s83, 29
	v_writelane_b32 v127, s68, 30
	scratch_store_dwordx2 off, v[96:97], off offset:20 ; 8-byte Folded Spill
	v_subrev_u32_e32 v116, s98, v116
	v_writelane_b32 v127, s69, 31
	s_mov_b32 s5, 0
	s_waitcnt vmcnt(2)
	v_cmp_eq_u32_e64 s[64:65], 1, v99
	s_nop 1
	v_cndmask_b32_e64 v80, v64, v65, s[64:65]
	v_cmp_eq_u32_e64 s[38:39], 2, v99
	v_cmp_eq_u32_e64 s[40:41], 3, v99
	v_cmp_eq_u32_e64 s[42:43], 4, v99
	v_cndmask_b32_e64 v80, v80, v66, s[38:39]
	v_cndmask_b32_e64 v80, v80, v67, s[40:41]
	v_cndmask_b32_e64 v80, v80, v68, s[42:43]
	v_cmp_eq_u32_e64 s[44:45], 5, v99
	v_cmp_eq_u32_e64 s[46:47], 6, v99
	v_cmp_eq_u32_e64 s[48:49], 7, v99
	v_cndmask_b32_e64 v80, v80, v69, s[44:45]
	v_cndmask_b32_e64 v80, v80, v70, s[46:47]
	;; [unrolled: 6-line block ×5, first 2 shown]
	ds_bpermute_b32 v80, v115, v80
	s_waitcnt vmcnt(1)
	v_cmp_eq_u32_e64 s[72:73], 8, v106
	s_waitcnt lgkmcnt(0)
	v_cndmask_b32_e64 v79, v79, v80, s[66:67]
	v_cndmask_b32_e64 v78, v78, v80, s[62:63]
	;; [unrolled: 1-line block ×16, first 2 shown]
	scratch_load_dword v80, off, off offset:36 ; 4-byte Folded Reload
	s_waitcnt vmcnt(0)
	v_cmp_eq_u32_e32 vcc, 1, v80
	s_nop 1
	v_cndmask_b32_e32 v64, v87, v90, vcc
	v_cmp_eq_u32_e64 s[6:7], 2, v80
	v_cmp_eq_u32_e64 s[8:9], 3, v80
	v_cmp_eq_u32_e64 s[10:11], 4, v80
	v_cndmask_b32_e64 v64, v64, v66, s[6:7]
	v_cndmask_b32_e64 v64, v64, v86, s[8:9]
	v_cndmask_b32_e64 v64, v64, v85, s[10:11]
	v_cmp_eq_u32_e64 s[12:13], 5, v80
	v_cmp_eq_u32_e64 s[14:15], 6, v80
	v_cmp_eq_u32_e64 s[16:17], 7, v80
	v_cndmask_b32_e64 v64, v64, v84, s[12:13]
	v_cndmask_b32_e64 v64, v64, v83, s[14:15]
	v_cndmask_b32_e64 v64, v64, v82, s[16:17]
	;; [unrolled: 6-line block ×4, first 2 shown]
	v_cmp_eq_u32_e64 s[80:81], 14, v80
	v_cmp_eq_u32_e64 s[34:35], 15, v80
	s_nop 0
	v_cndmask_b32_e64 v64, v64, v78, s[80:81]
	v_cndmask_b32_e64 v64, v64, v79, s[34:35]
	ds_bpermute_b32 v89, v115, v64
	scratch_load_dword v64, off, off offset:64 ; 4-byte Folded Reload
	s_waitcnt lgkmcnt(0)
	v_cndmask_b32_e64 v65, v79, v89, s[34:35]
	v_cndmask_b32_e64 v79, v66, v89, s[6:7]
	scratch_load_dword v66, off, off offset:72 ; 4-byte Folded Reload
	v_cndmask_b32_e64 v67, v78, v89, s[80:81]
	v_cndmask_b32_e64 v70, v75, v89, s[74:75]
	;; [unrolled: 1-line block ×8, first 2 shown]
	v_cndmask_b32_e32 v86, v90, v89, vcc
	v_cndmask_b32_e64 v68, v77, v89, s[78:79]
	v_cndmask_b32_e64 v77, v85, v89, s[10:11]
	v_cndmask_b32_e64 v69, v76, v89, s[76:77]
	v_cndmask_b32_e64 v76, v84, v89, s[12:13]
	s_waitcnt vmcnt(1)
	v_cmp_le_i32_e64 s[68:69], s70, v64
	s_nop 1
	v_cndmask_b32_e64 v64, 0, v117, s[68:69]
	v_pk_mul_f32 v[62:63], v[64:65], v[62:63] op_sel_hi:[0,1]
	v_pk_mul_f32 v[60:61], v[64:65], v[60:61] op_sel_hi:[0,1]
	;; [unrolled: 1-line block ×8, first 2 shown]
	scratch_load_dword v64, off, off offset:68 ; 4-byte Folded Reload
	v_cndmask_b32_e64 v81, v48, v49, s[64:65]
	v_cndmask_b32_e64 v81, v81, v50, s[38:39]
	;; [unrolled: 1-line block ×15, first 2 shown]
	ds_bpermute_b32 v122, v115, v81
	s_waitcnt vmcnt(0)
	v_cmp_le_i32_e64 s[68:69], s70, v64
	s_nop 1
	v_cndmask_b32_e64 v64, 0, v117, s[68:69]
	v_cmp_le_i32_e64 s[68:69], s70, v66
	v_pk_mul_f32 v[32:33], v[64:65], v[32:33] op_sel_hi:[0,1]
	v_pk_mul_f32 v[34:35], v[64:65], v[34:35] op_sel_hi:[0,1]
	v_cndmask_b32_e64 v66, 0, v117, s[68:69]
	v_cmp_eq_u32_e64 s[68:69], 0, v80
	scratch_load_dword v80, off, off offset:76 ; 4-byte Folded Reload
	v_pk_mul_f32 v[82:83], v[66:67], v[28:29] op_sel_hi:[0,1]
	v_cndmask_b32_e64 v28, v32, v33, s[64:65]
	v_cndmask_b32_e64 v28, v28, v34, s[38:39]
	v_pk_mul_f32 v[36:37], v[64:65], v[36:37] op_sel_hi:[0,1]
	v_cndmask_b32_e64 v28, v28, v35, s[40:41]
	v_cndmask_b32_e64 v28, v28, v36, s[42:43]
	;; [unrolled: 3-line block ×7, first 2 shown]
	v_pk_mul_f32 v[16:17], v[66:67], v[16:17] op_sel_hi:[0,1]
	v_cndmask_b32_e64 v28, v28, v47, s[66:67]
	v_pk_mul_f32 v[18:19], v[66:67], v[18:19] op_sel_hi:[0,1]
	ds_bpermute_b32 v123, v115, v28
	v_cndmask_b32_e64 v28, v16, v17, s[64:65]
	v_cndmask_b32_e64 v28, v28, v18, s[38:39]
	v_pk_mul_f32 v[20:21], v[66:67], v[20:21] op_sel_hi:[0,1]
	v_cndmask_b32_e64 v28, v28, v19, s[40:41]
	v_cndmask_b32_e64 v28, v28, v20, s[42:43]
	v_pk_mul_f32 v[22:23], v[66:67], v[22:23] op_sel_hi:[0,1]
	;; [unrolled: 3-line block ×4, first 2 shown]
	v_cndmask_b32_e64 v28, v28, v25, s[52:53]
	v_cndmask_b32_e64 v28, v28, v26, s[54:55]
	;; [unrolled: 1-line block ×4, first 2 shown]
	v_pk_mul_f32 v[30:31], v[66:67], v[30:31] op_sel_hi:[0,1]
	v_cndmask_b32_e64 v28, v28, v83, s[60:61]
	v_cndmask_b32_e64 v28, v28, v30, s[62:63]
	;; [unrolled: 1-line block ×3, first 2 shown]
	ds_bpermute_b32 v124, v115, v28
	v_cndmask_b32_e64 v87, v87, v89, s[68:69]
	s_waitcnt lgkmcnt(2)
	v_cndmask_b32_e64 v28, v63, v122, s[66:67]
	s_waitcnt lgkmcnt(1)
	v_cndmask_b32_e64 v63, v47, v123, s[66:67]
	v_cndmask_b32_e64 v29, v62, v122, s[62:63]
	s_waitcnt lgkmcnt(0)
	v_cndmask_b32_e64 v85, v31, v124, s[66:67]
	v_cndmask_b32_e64 v62, v46, v123, s[62:63]
	;; [unrolled: 1-line block ×27, first 2 shown]
	s_waitcnt vmcnt(0)
	v_cmp_le_i32_e64 s[70:71], s70, v80
	s_nop 1
	v_cndmask_b32_e64 v80, 0, v117, s[70:71]
	v_pk_mul_f32 v[0:1], v[80:81], v[0:1] op_sel_hi:[0,1]
	v_pk_mul_f32 v[96:97], v[80:81], v[8:9] op_sel_hi:[0,1]
	;; [unrolled: 1-line block ×3, first 2 shown]
	v_cndmask_b32_e64 v9, v0, v1, s[64:65]
	v_cndmask_b32_e64 v9, v9, v2, s[38:39]
	v_pk_mul_f32 v[4:5], v[80:81], v[4:5] op_sel_hi:[0,1]
	v_cndmask_b32_e64 v9, v9, v3, s[40:41]
	v_cndmask_b32_e64 v9, v9, v4, s[42:43]
	v_pk_mul_f32 v[118:119], v[80:81], v[6:7] op_sel_hi:[0,1]
	v_cndmask_b32_e64 v9, v9, v5, s[44:45]
	v_cndmask_b32_e64 v9, v9, v118, s[46:47]
	;; [unrolled: 1-line block ×4, first 2 shown]
	v_pk_mul_f32 v[10:11], v[80:81], v[10:11] op_sel_hi:[0,1]
	v_cndmask_b32_e64 v9, v9, v97, s[52:53]
	v_cndmask_b32_e64 v9, v9, v10, s[54:55]
	v_pk_mul_f32 v[12:13], v[80:81], v[12:13] op_sel_hi:[0,1]
	v_cndmask_b32_e64 v9, v9, v11, s[56:57]
	v_cndmask_b32_e64 v9, v9, v12, s[58:59]
	v_pk_mul_f32 v[14:15], v[80:81], v[14:15] op_sel_hi:[0,1]
	v_cndmask_b32_e64 v9, v9, v13, s[60:61]
	v_cndmask_b32_e64 v9, v9, v14, s[62:63]
	v_cndmask_b32_e64 v9, v9, v15, s[66:67]
	ds_bpermute_b32 v125, v115, v9
	v_cmp_eq_u32_e64 s[70:71], 1, v106
	v_cndmask_b32_e64 v6, v49, v122, s[64:65]
	v_cndmask_b32_e64 v7, v33, v123, s[64:65]
	;; [unrolled: 1-line block ×4, first 2 shown]
	v_cmp_eq_u32_e64 s[64:65], 2, v106
	s_waitcnt lgkmcnt(0)
	v_cndmask_b32_e64 v101, v15, v125, s[66:67]
	v_cmp_eq_u32_e64 s[66:67], 3, v106
	v_cndmask_b32_e64 v9, v64, v79, s[64:65]
	v_cndmask_b32_e64 v102, v14, v125, s[62:63]
	;; [unrolled: 1-line block ×3, first 2 shown]
	v_cmp_eq_u32_e64 s[62:63], 4, v106
	v_cndmask_b32_e64 v103, v13, v125, s[60:61]
	v_cmp_eq_u32_e64 s[60:61], 5, v106
	v_cndmask_b32_e64 v9, v9, v77, s[62:63]
	v_cndmask_b32_e64 v104, v12, v125, s[58:59]
	v_cndmask_b32_e64 v9, v9, v76, s[60:61]
	v_cmp_eq_u32_e64 s[58:59], 6, v106
	v_cndmask_b32_e64 v33, v59, v122, s[56:57]
	v_cndmask_b32_e64 v59, v27, v124, s[56:57]
	v_cndmask_b32_e64 v9, v9, v75, s[58:59]
	v_cndmask_b32_e64 v105, v11, v125, s[56:57]
	v_cmp_eq_u32_e64 s[56:57], 7, v106
	v_cndmask_b32_e64 v80, v41, v123, s[52:53]
	;; [unrolled: 5-line block ×3, first 2 shown]
	v_cndmask_b32_e64 v109, v96, v125, s[50:51]
	v_cndmask_b32_e64 v9, v9, v72, s[52:53]
	v_cmp_eq_u32_e64 s[50:51], 10, v106
	v_cndmask_b32_e64 v64, v42, v123, s[54:55]
	v_cndmask_b32_e64 v107, v10, v125, s[54:55]
	v_cndmask_b32_e64 v9, v9, v71, s[50:51]
	v_cmp_eq_u32_e64 s[54:55], 11, v106
	v_cndmask_b32_e64 v96, v23, v124, s[48:49]
	;; [unrolled: 4-line block ×3, first 2 shown]
	v_cndmask_b32_e64 v118, v53, v122, s[44:45]
	v_cndmask_b32_e64 v9, v9, v69, s[48:49]
	;; [unrolled: 1-line block ×4, first 2 shown]
	v_cmp_eq_u32_e64 s[44:45], 13, v106
	v_cndmask_b32_e64 v117, v4, v125, s[42:43]
	v_cmp_eq_u32_e64 s[42:43], 14, v106
	v_cndmask_b32_e64 v5, v9, v68, s[44:45]
	v_cndmask_b32_e64 v37, v35, v123, s[40:41]
	;; [unrolled: 1-line block ×4, first 2 shown]
	v_cmp_eq_u32_e64 s[40:41], 15, v106
	v_cndmask_b32_e64 v2, v2, v125, s[38:39]
	v_cndmask_b32_e64 v97, v22, v124, s[46:47]
	;; [unrolled: 1-line block ×3, first 2 shown]
	ds_bpermute_b32 v23, v115, v3
	v_cndmask_b32_e64 v49, v54, v122, s[46:47]
	v_cndmask_b32_e64 v54, v16, v124, s[36:37]
	s_waitcnt lgkmcnt(0)
	v_cndmask_b32_e64 v5, v68, v23, s[44:45]
	v_cndmask_b32_e64 v9, v69, v23, s[48:49]
	v_cndmask_b32_e64 v68, v50, v122, s[38:39]
	v_cndmask_b32_e64 v69, v34, v123, s[38:39]
	v_cmp_ne_u32_e64 s[38:39], 0, v99
	scratch_load_dword v99, off, off offset:44 ; 4-byte Folded Reload
	v_cndmask_b32_e64 v10, v70, v23, s[54:55]
	v_cndmask_b32_e64 v70, v1, v125, s[38:39]
	v_cmp_eq_u32_e64 s[38:39], 0, v106
	v_cndmask_b32_e64 v3, v65, v23, s[40:41]
	v_cndmask_b32_e64 v4, v67, v23, s[42:43]
	;; [unrolled: 1-line block ×15, first 2 shown]
	v_cndmask_b32_e32 v0, v23, v6, vcc
	v_cndmask_b32_e64 v0, v0, v68, s[6:7]
	v_cndmask_b32_e64 v0, v0, v36, s[8:9]
	v_cndmask_b32_e64 v0, v0, v66, s[10:11]
	v_cndmask_b32_e64 v0, v0, v118, s[12:13]
	v_cndmask_b32_e64 v0, v0, v49, s[14:15]
	v_cndmask_b32_e64 v0, v0, v47, s[16:17]
	v_cndmask_b32_e64 v0, v0, v46, s[18:19]
	v_cndmask_b32_e64 v0, v0, v45, s[20:21]
	v_cndmask_b32_e64 v0, v0, v44, s[22:23]
	v_cndmask_b32_e64 v0, v0, v33, s[74:75]
	v_cndmask_b32_e64 v0, v0, v31, s[76:77]
	v_cndmask_b32_e64 v0, v0, v30, s[78:79]
	v_cndmask_b32_e64 v0, v0, v29, s[80:81]
	v_cndmask_b32_e64 v0, v0, v28, s[34:35]
	ds_bpermute_b32 v122, v115, v0
	v_cndmask_b32_e32 v0, v38, v7, vcc
	v_cndmask_b32_e64 v0, v0, v69, s[6:7]
	v_cndmask_b32_e64 v0, v0, v37, s[8:9]
	v_cndmask_b32_e64 v0, v0, v84, s[10:11]
	v_cndmask_b32_e64 v0, v0, v119, s[12:13]
	v_cndmask_b32_e64 v0, v0, v83, s[14:15]
	v_cndmask_b32_e64 v0, v0, v82, s[16:17]
	v_cndmask_b32_e64 v0, v0, v81, s[18:19]
	v_cndmask_b32_e64 v0, v0, v80, s[20:21]
	v_cndmask_b32_e64 v0, v0, v64, s[22:23]
	v_cndmask_b32_e64 v0, v0, v43, s[74:75]
	v_cndmask_b32_e64 v0, v0, v60, s[76:77]
	v_cndmask_b32_e64 v0, v0, v61, s[78:79]
	v_cndmask_b32_e64 v0, v0, v62, s[80:81]
	v_cndmask_b32_e64 v0, v0, v63, s[34:35]
	ds_bpermute_b32 v123, v115, v0
	;; [unrolled: 16-line block ×4, first 2 shown]
	s_waitcnt lgkmcnt(2)
	v_cndmask_b32_e64 v48, v83, v123, s[14:15]
	scratch_load_dword v83, off, off offset:48 ; 4-byte Folded Reload
	s_waitcnt vmcnt(1)
	v_cmp_eq_u32_e64 s[36:37], 1, v99
	v_cndmask_b32_e64 v24, v28, v122, s[34:35]
	v_cndmask_b32_e64 v39, v63, v123, s[34:35]
	;; [unrolled: 1-line block ×3, first 2 shown]
	s_waitcnt lgkmcnt(1)
	v_cndmask_b32_e64 v55, v85, v124, s[34:35]
	s_waitcnt lgkmcnt(0)
	v_cndmask_b32_e64 v72, v101, v125, s[34:35]
	v_cmp_eq_u32_e64 s[34:35], 2, v99
	v_cmp_eq_u32_e64 s[88:89], 3, v99
	;; [unrolled: 1-line block ×3, first 2 shown]
	v_cndmask_b32_e64 v0, v0, v21, s[34:35]
	v_cndmask_b32_e64 v0, v0, v20, s[88:89]
	;; [unrolled: 1-line block ×3, first 2 shown]
	v_cmp_eq_u32_e64 s[94:95], 5, v99
	v_cmp_eq_u32_e64 s[96:97], 6, v99
	v_cndmask_b32_e64 v25, v29, v122, s[80:81]
	v_cndmask_b32_e64 v0, v0, v17, s[94:95]
	;; [unrolled: 1-line block ×8, first 2 shown]
	v_cmp_eq_u32_e64 s[22:23], 7, v99
	v_cndmask_b32_e64 v28, v33, v122, s[74:75]
	v_cndmask_b32_e64 v43, v43, v123, s[74:75]
	;; [unrolled: 1-line block ×5, first 2 shown]
	v_cmp_eq_u32_e64 s[74:75], 8, v99
	v_cndmask_b32_e64 v40, v62, v123, s[80:81]
	v_cndmask_b32_e64 v27, v31, v122, s[76:77]
	v_cndmask_b32_e64 v0, v0, v13, s[74:75]
	v_cndmask_b32_e64 v31, v46, v122, s[18:19]
	v_cndmask_b32_e64 v46, v81, v123, s[18:19]
	v_cndmask_b32_e64 v62, v94, v124, s[18:19]
	v_cndmask_b32_e64 v79, v109, v125, s[18:19]
	v_cmp_eq_u32_e64 s[18:19], 9, v99
	v_cndmask_b32_e64 v32, v47, v122, s[16:17]
	v_cndmask_b32_e64 v47, v82, v123, s[16:17]
	;; [unrolled: 1-line block ×5, first 2 shown]
	v_cmp_eq_u32_e64 s[16:17], 10, v99
	v_cndmask_b32_e64 v33, v49, v122, s[14:15]
	v_cndmask_b32_e64 v64, v97, v124, s[14:15]
	;; [unrolled: 1-line block ×4, first 2 shown]
	v_cmp_eq_u32_e64 s[14:15], 11, v99
	v_cndmask_b32_e64 v56, v89, v124, s[80:81]
	v_cndmask_b32_e64 v34, v118, v122, s[12:13]
	;; [unrolled: 1-line block ×6, first 2 shown]
	v_cmp_eq_u32_e64 s[12:13], 12, v99
	v_cmp_eq_u32_e64 s[84:85], 13, v99
	v_cndmask_b32_e64 v57, v90, v124, s[78:79]
	v_cndmask_b32_e64 v0, v0, v9, s[12:13]
	v_cndmask_b32_e64 v35, v66, v122, s[10:11]
	v_cndmask_b32_e64 v50, v84, v123, s[10:11]
	v_cndmask_b32_e64 v66, v100, v124, s[10:11]
	v_cndmask_b32_e64 v90, v117, v125, s[10:11]
	v_cndmask_b32_e64 v0, v0, v5, s[84:85]
	v_cmp_eq_u32_e64 s[10:11], 14, v99
	v_cndmask_b32_e64 v58, v91, v124, s[76:77]
	v_cndmask_b32_e64 v36, v36, v122, s[8:9]
	;; [unrolled: 1-line block ×6, first 2 shown]
	v_cmp_eq_u32_e64 s[8:9], 15, v99
	v_cndmask_b32_e64 v26, v30, v122, s[78:79]
	v_cndmask_b32_e64 v30, v45, v122, s[20:21]
	;; [unrolled: 1-line block ×4, first 2 shown]
	ds_bpermute_b32 v80, v115, v0
	v_cndmask_b32_e64 v92, v2, v125, s[6:7]
	v_cndmask_b32_e64 v37, v68, v122, s[6:7]
	v_cndmask_b32_e32 v53, v7, v123, vcc
	v_cndmask_b32_e64 v38, v38, v123, s[68:69]
	s_waitcnt lgkmcnt(0)
	v_cndmask_b32_e64 v2, v4, v80, s[10:11]
	v_cndmask_b32_e64 v4, v9, v80, s[12:13]
	v_cndmask_b32_e64 v9, v11, v80, s[16:17]
	v_cndmask_b32_e64 v11, v13, v80, s[74:75]
	v_cndmask_b32_e64 v13, v15, v80, s[96:97]
	v_cndmask_b32_e64 v15, v19, v80, s[92:93]
	v_cndmask_b32_e64 v16, v20, v80, s[88:89]
	v_cndmask_b32_e32 v19, v6, v122, vcc
	v_cndmask_b32_e64 v20, v23, v122, s[68:69]
	v_cndmask_b32_e64 v6, v20, v19, s[70:71]
	;; [unrolled: 1-line block ×19, first 2 shown]
	v_cndmask_b32_e32 v93, v70, v125, vcc
	v_cndmask_b32_e64 v70, v54, v124, s[68:69]
	ds_bpermute_b32 v54, v115, v6
	v_cndmask_b32_e64 v6, v38, v53, s[70:71]
	v_cndmask_b32_e64 v6, v6, v52, s[64:65]
	;; [unrolled: 1-line block ×15, first 2 shown]
	v_cndmask_b32_e32 v69, v8, v124, vcc
	v_cmp_eq_u32_e64 s[6:7], 0, v99
	v_cndmask_b32_e64 v6, v6, v39, s[40:41]
	v_cndmask_b32_e64 v0, v3, v80, s[8:9]
	;; [unrolled: 1-line block ×10, first 2 shown]
	ds_bpermute_b32 v80, v115, v6
	v_cndmask_b32_e64 v6, v70, v69, s[70:71]
	v_cndmask_b32_e64 v6, v6, v68, s[64:65]
	;; [unrolled: 1-line block ×16, first 2 shown]
	ds_bpermute_b32 v81, v115, v6
	v_cndmask_b32_e64 v6, v107, v93, s[70:71]
	v_cndmask_b32_e64 v6, v6, v92, s[64:65]
	;; [unrolled: 1-line block ×19, first 2 shown]
	ds_bpermute_b32 v82, v115, v6
	s_waitcnt vmcnt(0)
	v_cmp_eq_u32_e64 s[20:21], 1, v83
	v_cmp_eq_u32_e64 s[46:47], 2, v83
	s_waitcnt lgkmcnt(3)
	v_cndmask_b32_e64 v22, v25, v54, s[42:43]
	v_cndmask_b32_e64 v6, v1, v18, s[20:21]
	s_waitcnt lgkmcnt(0)
	v_cndmask_b32_e64 v108, v72, v82, s[40:41]
	v_cndmask_b32_e64 v6, v6, v17, s[46:47]
	;; [unrolled: 1-line block ×5, first 2 shown]
	v_cmp_eq_u32_e64 s[42:43], 3, v83
	v_cndmask_b32_e64 v21, v24, v54, s[40:41]
	v_cndmask_b32_e64 v39, v39, v80, s[40:41]
	;; [unrolled: 1-line block ×4, first 2 shown]
	v_cmp_eq_u32_e64 s[40:41], 4, v83
	v_cndmask_b32_e64 v117, v74, v82, s[44:45]
	v_cndmask_b32_e64 v24, v27, v54, s[48:49]
	;; [unrolled: 1-line block ×6, first 2 shown]
	v_cmp_eq_u32_e64 s[48:49], 5, v83
	v_cndmask_b32_e64 v25, v28, v54, s[54:55]
	v_cndmask_b32_e64 v43, v43, v80, s[54:55]
	;; [unrolled: 1-line block ×5, first 2 shown]
	v_cmp_eq_u32_e64 s[54:55], 6, v83
	scratch_load_dword v99, off, off offset:52 ; 4-byte Folded Reload
	v_cmp_eq_u32_e64 s[68:69], 7, v83
	v_cndmask_b32_e64 v6, v6, v13, s[54:55]
	v_cmp_eq_u32_e64 s[76:77], 8, v83
	v_cndmask_b32_e64 v6, v6, v12, s[68:69]
	v_cndmask_b32_e64 v121, v78, v82, s[52:53]
	;; [unrolled: 1-line block ×7, first 2 shown]
	v_cmp_eq_u32_e64 s[72:73], 9, v83
	v_cmp_eq_u32_e64 s[78:79], 10, v83
	;; [unrolled: 1-line block ×3, first 2 shown]
	v_cndmask_b32_e64 v6, v6, v10, s[72:73]
	v_cndmask_b32_e64 v6, v6, v9, s[78:79]
	;; [unrolled: 1-line block ×3, first 2 shown]
	v_cmp_eq_u32_e64 s[82:83], 12, v83
	v_cndmask_b32_e64 v23, v26, v54, s[44:45]
	v_cndmask_b32_e64 v26, v29, v54, s[50:51]
	;; [unrolled: 1-line block ×8, first 2 shown]
	v_cmp_eq_u32_e64 s[62:63], 13, v83
	v_cmp_eq_u32_e64 s[86:87], 14, v83
	;; [unrolled: 1-line block ×3, first 2 shown]
	v_cndmask_b32_e64 v6, v6, v3, s[62:63]
	v_cndmask_b32_e64 v6, v6, v2, s[86:87]
	;; [unrolled: 1-line block ×6, first 2 shown]
	ds_bpermute_b32 v36, v115, v6
	v_cndmask_b32_e64 v35, v19, v54, s[70:71]
	v_cndmask_b32_e64 v20, v20, v54, s[38:39]
	;; [unrolled: 1-line block ×4, first 2 shown]
	s_waitcnt lgkmcnt(0)
	v_cndmask_b32_e64 v7, v10, v36, s[72:73]
	v_cndmask_b32_e64 v10, v13, v36, s[54:55]
	;; [unrolled: 1-line block ×21, first 2 shown]
	ds_bpermute_b32 v102, v115, v16
	v_cndmask_b32_e64 v16, v54, v53, s[36:37]
	v_cndmask_b32_e64 v51, v51, v80, s[66:67]
	;; [unrolled: 1-line block ×25, first 2 shown]
	ds_bpermute_b32 v103, v115, v16
	v_cndmask_b32_e64 v16, v70, v69, s[36:37]
	v_cndmask_b32_e64 v67, v67, v81, s[66:67]
	;; [unrolled: 1-line block ×26, first 2 shown]
	ds_bpermute_b32 v104, v115, v16
	v_cndmask_b32_e64 v16, v107, v110, s[36:37]
	v_cndmask_b32_e64 v125, v91, v82, s[66:67]
	;; [unrolled: 1-line block ×19, first 2 shown]
	ds_bpermute_b32 v105, v115, v16
	v_cmp_eq_u32_e64 s[50:51], 0, v83
	v_cndmask_b32_e64 v6, v9, v36, s[78:79]
	v_cndmask_b32_e64 v9, v12, v36, s[68:69]
	;; [unrolled: 1-line block ×5, first 2 shown]
	s_waitcnt vmcnt(0)
	v_cmp_eq_u32_e32 vcc, 1, v99
	v_cndmask_b32_e64 v8, v11, v36, s[76:77]
	v_cndmask_b32_e64 v11, v14, v36, s[48:49]
	;; [unrolled: 1-line block ×3, first 2 shown]
	v_cndmask_b32_e32 v16, v1, v15, vcc
	s_waitcnt lgkmcnt(3)
	v_cndmask_b32_e64 v21, v21, v102, s[8:9]
	s_waitcnt lgkmcnt(2)
	v_cndmask_b32_e64 v55, v39, v103, s[8:9]
	s_waitcnt lgkmcnt(1)
	v_cndmask_b32_e64 v71, v71, v104, s[8:9]
	s_waitcnt lgkmcnt(0)
	v_cndmask_b32_e64 v108, v108, v105, s[8:9]
	v_cmp_eq_u32_e64 s[8:9], 2, v99
	v_cndmask_b32_e64 v0, v0, v36, s[90:91]
	v_cndmask_b32_e64 v2, v2, v36, s[86:87]
	;; [unrolled: 1-line block ×10, first 2 shown]
	v_cmp_eq_u32_e64 s[10:11], 3, v99
	v_cmp_eq_u32_e64 s[44:45], 4, v99
	;; [unrolled: 1-line block ×3, first 2 shown]
	v_cndmask_b32_e64 v16, v16, v13, s[10:11]
	v_cndmask_b32_e64 v16, v16, v12, s[44:45]
	;; [unrolled: 1-line block ×3, first 2 shown]
	v_cmp_eq_u32_e64 s[56:57], 6, v99
	v_cmp_eq_u32_e64 s[58:59], 7, v99
	;; [unrolled: 1-line block ×3, first 2 shown]
	v_cndmask_b32_e64 v16, v16, v10, s[56:57]
	v_cndmask_b32_e64 v16, v16, v9, s[58:59]
	;; [unrolled: 1-line block ×3, first 2 shown]
	v_cmp_eq_u32_e64 s[64:65], 9, v99
	v_cmp_eq_u32_e64 s[70:71], 10, v99
	v_cndmask_b32_e64 v28, v28, v102, s[74:75]
	v_cndmask_b32_e64 v16, v16, v7, s[64:65]
	;; [unrolled: 1-line block ×6, first 2 shown]
	v_cmp_eq_u32_e64 s[74:75], 11, v99
	v_cmp_eq_u32_e64 s[66:67], 12, v99
	v_cndmask_b32_e64 v37, v23, v102, s[84:85]
	v_cndmask_b32_e64 v16, v16, v5, s[74:75]
	;; [unrolled: 1-line block ×6, first 2 shown]
	v_cmp_eq_u32_e64 s[84:85], 13, v99
	v_cndmask_b32_e64 v33, v33, v102, s[88:89]
	v_cndmask_b32_e64 v51, v51, v103, s[88:89]
	v_cndmask_b32_e64 v16, v16, v3, s[84:85]
	v_cndmask_b32_e64 v93, v67, v104, s[88:89]
	v_cndmask_b32_e64 v100, v125, v105, s[88:89]
	v_cmp_eq_u32_e64 s[88:89], 14, v99
	v_cndmask_b32_e64 v32, v32, v102, s[92:93]
	v_cndmask_b32_e64 v50, v50, v103, s[92:93]
	;; [unrolled: 1-line block ×5, first 2 shown]
	v_cmp_eq_u32_e64 s[92:93], 15, v99
	v_cndmask_b32_e64 v41, v27, v102, s[18:19]
	v_cndmask_b32_e64 v58, v42, v103, s[12:13]
	;; [unrolled: 1-line block ×3, first 2 shown]
	ds_bpermute_b32 v27, v115, v16
	v_cndmask_b32_e64 v31, v31, v102, s[94:95]
	v_cndmask_b32_e64 v49, v49, v103, s[94:95]
	;; [unrolled: 1-line block ×4, first 2 shown]
	s_waitcnt lgkmcnt(0)
	v_cndmask_b32_e64 v18, v5, v27, s[74:75]
	scratch_load_dword v5, off, off offset:56 ; 4-byte Folded Reload
	v_cndmask_b32_e64 v35, v35, v102, s[36:37]
	v_cmp_eq_u32_e64 s[94:95], 0, v99
	v_cndmask_b32_e64 v42, v20, v102, s[6:7]
	v_cndmask_b32_e64 v38, v24, v102, s[12:13]
	;; [unrolled: 1-line block ×18, first 2 shown]
	v_cndmask_b32_e32 v15, v15, v27, vcc
	v_cndmask_b32_e64 v27, v1, v27, s[94:95]
	v_cndmask_b32_e64 v1, v42, v35, s[20:21]
	;; [unrolled: 1-line block ×22, first 2 shown]
	ds_bpermute_b32 v106, v115, v1
	v_cndmask_b32_e64 v1, v65, v64, s[20:21]
	v_cndmask_b32_e64 v1, v1, v52, s[46:47]
	;; [unrolled: 1-line block ×28, first 2 shown]
	ds_bpermute_b32 v99, v115, v1
	v_cndmask_b32_e64 v1, v119, v118, s[20:21]
	v_cndmask_b32_e64 v3, v102, v110, s[20:21]
	;; [unrolled: 1-line block ×37, first 2 shown]
	s_waitcnt vmcnt(0)
	v_cmp_eq_u32_e64 s[6:7], 1, v5
	v_cndmask_b32_e64 v1, v1, v71, s[90:91]
	v_cndmask_b32_e64 v3, v3, v108, s[90:91]
	ds_bpermute_b32 v1, v115, v1
	ds_bpermute_b32 v3, v115, v3
	v_cndmask_b32_e64 v4, v27, v15, s[6:7]
	v_cmp_eq_u32_e64 s[12:13], 2, v5
	v_cmp_eq_u32_e64 s[14:15], 3, v5
	;; [unrolled: 1-line block ×3, first 2 shown]
	v_cndmask_b32_e64 v4, v4, v14, s[12:13]
	v_cndmask_b32_e64 v4, v4, v13, s[14:15]
	;; [unrolled: 1-line block ×3, first 2 shown]
	v_cmp_eq_u32_e64 s[18:19], 5, v5
	v_cmp_eq_u32_e64 s[22:23], 6, v5
	s_waitcnt lgkmcnt(3)
	v_cndmask_b32_e64 v53, v40, v106, s[78:79]
	v_cndmask_b32_e64 v4, v4, v26, s[18:19]
	;; [unrolled: 1-line block ×3, first 2 shown]
	s_waitcnt lgkmcnt(2)
	v_cndmask_b32_e64 v78, v60, v99, s[78:79]
	s_waitcnt lgkmcnt(1)
	v_cndmask_b32_e64 v125, v76, v1, s[78:79]
	;; [unrolled: 2-line block ×3, first 2 shown]
	v_cmp_eq_u32_e64 s[78:79], 7, v5
	v_cndmask_b32_e64 v54, v41, v106, s[72:73]
	v_cndmask_b32_e64 v61, v61, v99, s[72:73]
	;; [unrolled: 1-line block ×5, first 2 shown]
	v_cmp_eq_u32_e64 s[72:73], 8, v5
	v_cndmask_b32_e64 v66, v55, v99, s[90:91]
	v_cndmask_b32_e64 v55, v28, v106, s[76:77]
	;; [unrolled: 1-line block ×6, first 2 shown]
	v_cmp_eq_u32_e64 s[76:77], 9, v5
	v_cmp_eq_u32_e64 s[34:35], 10, v5
	;; [unrolled: 1-line block ×3, first 2 shown]
	v_cndmask_b32_e64 v4, v4, v22, s[76:77]
	v_cndmask_b32_e64 v4, v4, v19, s[34:35]
	v_cndmask_b32_e64 v4, v4, v18, s[36:37]
	v_cmp_eq_u32_e64 s[38:39], 12, v5
	v_cndmask_b32_e64 v120, v71, v1, s[90:91]
	v_cndmask_b32_e64 v121, v72, v1, s[86:87]
	v_cndmask_b32_e64 v87, v63, v99, s[68:69]
	v_cndmask_b32_e64 v4, v4, v17, s[38:39]
	v_cndmask_b32_e64 v105, v32, v106, s[40:41]
	v_cndmask_b32_e64 v63, v50, v99, s[40:41]
	v_cndmask_b32_e64 v71, v92, v1, s[40:41]
	v_cndmask_b32_e64 v72, v97, v3, s[40:41]
	v_cmp_eq_u32_e64 s[40:41], 13, v5
	v_cndmask_b32_e64 v68, v57, v99, s[62:63]
	v_cndmask_b32_e64 v123, v74, v1, s[82:83]
	v_cndmask_b32_e64 v57, v30, v106, s[54:55]
	v_cndmask_b32_e64 v4, v4, v16, s[40:41]
	v_cndmask_b32_e64 v74, v33, v106, s[42:43]
	;; [unrolled: 9-line block ×3, first 2 shown]
	v_cmp_eq_u32_e64 s[46:47], 15, v5
	v_cndmask_b32_e64 v67, v56, v99, s[86:87]
	v_cndmask_b32_e64 v104, v109, v3, s[86:87]
	;; [unrolled: 1-line block ×3, first 2 shown]
	ds_bpermute_b32 v28, v115, v8
	v_cndmask_b32_e64 v69, v58, v99, s[82:83]
	v_cndmask_b32_e64 v70, v59, v99, s[80:81]
	;; [unrolled: 1-line block ×5, first 2 shown]
	s_waitcnt lgkmcnt(0)
	v_cndmask_b32_e64 v9, v2, v28, s[42:43]
	v_cndmask_b32_e64 v10, v16, v28, s[40:41]
	;; [unrolled: 1-line block ×5, first 2 shown]
	scratch_load_dword v99, off, off offset:60 ; 4-byte Folded Reload
	v_cndmask_b32_e64 v11, v17, v28, s[38:39]
	v_cndmask_b32_e64 v20, v18, v28, s[36:37]
	;; [unrolled: 1-line block ×8, first 2 shown]
	v_cmp_eq_u32_e64 s[20:21], 0, v5
	v_cndmask_b32_e64 v43, v21, v106, s[90:91]
	v_cndmask_b32_e64 v8, v0, v28, s[46:47]
	;; [unrolled: 1-line block ×16, first 2 shown]
	v_cndmask_b32_e32 v1, v28, v12, vcc
	v_cndmask_b32_e64 v1, v1, v93, s[8:9]
	v_cndmask_b32_e64 v1, v1, v74, s[10:11]
	;; [unrolled: 1-line block ×20, first 2 shown]
	ds_bpermute_b32 v42, v115, v1
	v_cndmask_b32_e32 v1, v16, v13, vcc
	v_cndmask_b32_e64 v1, v1, v4, s[8:9]
	v_cndmask_b32_e64 v1, v1, v60, s[10:11]
	;; [unrolled: 1-line block ×14, first 2 shown]
	ds_bpermute_b32 v29, v115, v1
	v_cndmask_b32_e32 v1, v19, v14, vcc
	v_cndmask_b32_e64 v1, v1, v97, s[8:9]
	v_cndmask_b32_e64 v1, v1, v30, s[10:11]
	;; [unrolled: 1-line block ×15, first 2 shown]
	ds_bpermute_b32 v31, v115, v1
	v_cndmask_b32_e32 v1, v27, v15, vcc
	v_cndmask_b32_e64 v1, v1, v7, s[8:9]
	v_cndmask_b32_e64 v1, v1, v6, s[10:11]
	;; [unrolled: 1-line block ×20, first 2 shown]
	ds_bpermute_b32 v40, v115, v1
	s_waitcnt vmcnt(0)
	v_cmp_eq_u32_e64 s[48:49], 1, v99
	v_cmp_eq_u32_e64 s[50:51], 2, v99
	;; [unrolled: 1-line block ×3, first 2 shown]
	v_cndmask_b32_e64 v1, v0, v18, s[48:49]
	v_cndmask_b32_e64 v1, v1, v17, s[50:51]
	v_cndmask_b32_e64 v1, v1, v2, s[54:55]
	v_cmp_eq_u32_e64 s[62:63], 4, v99
	s_waitcnt lgkmcnt(3)
	v_cndmask_b32_e64 v75, v46, v42, s[66:67]
	s_waitcnt lgkmcnt(2)
	v_cndmask_b32_e64 v39, v69, v29, s[66:67]
	v_cndmask_b32_e64 v1, v1, v92, s[62:63]
	s_waitcnt lgkmcnt(1)
	v_cndmask_b32_e64 v35, v123, v31, s[66:67]
	s_waitcnt lgkmcnt(0)
	v_cndmask_b32_e64 v51, v85, v40, s[66:67]
	v_cmp_eq_u32_e64 s[66:67], 5, v99
	v_cmp_eq_u32_e64 s[68:69], 6, v99
	v_cndmask_b32_e64 v59, v43, v42, s[92:93]
	v_cndmask_b32_e64 v1, v1, v26, s[66:67]
	v_cndmask_b32_e64 v1, v1, v25, s[68:69]
	v_cndmask_b32_e64 v77, v53, v42, s[70:71]
	v_cndmask_b32_e64 v43, v78, v29, s[70:71]
	v_cndmask_b32_e64 v53, v125, v31, s[70:71]
	v_cndmask_b32_e64 v65, v80, v40, s[70:71]
	v_cmp_eq_u32_e64 s[70:71], 7, v99
	v_cndmask_b32_e64 v36, v66, v29, s[92:93]
	v_cndmask_b32_e64 v62, v44, v42, s[88:89]
	v_cndmask_b32_e64 v1, v1, v24, s[70:71]
	v_cndmask_b32_e64 v78, v54, v42, s[64:65]
	v_cndmask_b32_e64 v44, v61, v29, s[64:65]
	v_cndmask_b32_e64 v54, v126, v31, s[64:65]
	v_cndmask_b32_e64 v66, v81, v40, s[64:65]
	;; [unrolled: 8-line block ×3, first 2 shown]
	v_cmp_eq_u32_e64 s[60:61], 9, v99
	v_cndmask_b32_e64 v38, v68, v29, s[84:85]
	v_cndmask_b32_e64 v86, v56, v42, s[58:59]
	v_cndmask_b32_e64 v1, v1, v22, s[60:61]
	v_cndmask_b32_e64 v46, v87, v29, s[58:59]
	v_cndmask_b32_e64 v56, v108, v31, s[58:59]
	v_cndmask_b32_e64 v68, v83, v40, s[58:59]
	v_cmp_eq_u32_e64 s[58:59], 10, v99
	v_cndmask_b32_e64 v76, v47, v42, s[74:75]
	v_cndmask_b32_e64 v87, v57, v42, s[56:57]
	v_cndmask_b32_e64 v1, v1, v21, s[58:59]
	v_cndmask_b32_e64 v47, v89, v29, s[56:57]
	v_cndmask_b32_e64 v57, v109, v31, s[56:57]
	v_cndmask_b32_e64 v69, v96, v40, s[56:57]
	;; [unrolled: 7-line block ×3, first 2 shown]
	v_cmp_eq_u32_e64 s[52:53], 12, v99
	v_cndmask_b32_e64 v82, v105, v42, s[44:45]
	v_cndmask_b32_e64 v81, v63, v29, s[44:45]
	v_cndmask_b32_e64 v1, v1, v11, s[52:53]
	v_cndmask_b32_e64 v63, v71, v31, s[44:45]
	v_cndmask_b32_e64 v71, v72, v40, s[44:45]
	v_cmp_eq_u32_e64 s[44:45], 13, v99
	v_cndmask_b32_e64 v74, v74, v42, s[10:11]
	v_cndmask_b32_e64 v60, v60, v29, s[10:11]
	v_cndmask_b32_e64 v1, v1, v10, s[44:45]
	v_cndmask_b32_e64 v72, v30, v31, s[10:11]
	v_cndmask_b32_e64 v83, v6, v40, s[10:11]
	;; [unrolled: 6-line block ×3, first 2 shown]
	v_cndmask_b32_e64 v89, v7, v40, s[8:9]
	v_cmp_eq_u32_e64 s[8:9], 15, v99
	v_cndmask_b32_e32 v91, v12, v42, vcc
	v_cndmask_b32_e32 v93, v13, v29, vcc
	v_cndmask_b32_e64 v1, v1, v8, s[8:9]
	ds_bpermute_b32 v90, v115, v1
	v_cndmask_b32_e32 v96, v15, v40, vcc
	v_cndmask_b32_e32 v94, v14, v31, vcc
	v_cndmask_b32_e64 v16, v16, v29, s[94:95]
	v_cndmask_b32_e64 v32, v120, v31, s[92:93]
	s_waitcnt lgkmcnt(0)
	v_cndmask_b32_e64 v12, v11, v90, s[52:53]
	v_cndmask_b32_e64 v11, v20, v90, s[56:57]
	;; [unrolled: 1-line block ×20, first 2 shown]
	ds_bpermute_b32 v21, v115, v1
	v_cndmask_b32_e64 v3, v2, v90, s[54:55]
	v_cndmask_b32_e64 v2, v17, v90, s[50:51]
	;; [unrolled: 1-line block ×4, first 2 shown]
	s_waitcnt lgkmcnt(0)
	v_cndmask_b32_e64 v17, v59, v21, s[46:47]
	v_cndmask_b32_e64 v42, v78, v21, s[76:77]
	;; [unrolled: 1-line block ×36, first 2 shown]
	ds_bpermute_b32 v80, v115, v20
	v_cndmask_b32_e64 v33, v121, v31, s[88:89]
	v_cndmask_b32_e64 v34, v122, v31, s[84:85]
	;; [unrolled: 1-line block ×4, first 2 shown]
	s_waitcnt lgkmcnt(0)
	v_cndmask_b32_e64 v31, v17, v80, s[8:9]
	v_cndmask_b32_e64 v17, v16, v93, s[6:7]
	;; [unrolled: 1-line block ×16, first 2 shown]
	ds_bpermute_b32 v17, v115, v17
	v_cndmask_b32_e64 v20, v76, v80, s[62:63]
	v_cndmask_b32_e64 v21, v75, v80, s[66:67]
	;; [unrolled: 1-line block ×4, first 2 shown]
	s_waitcnt lgkmcnt(0)
	v_cndmask_b32_e64 v76, v81, v17, s[16:17]
	v_cndmask_b32_e64 v81, v84, v17, s[12:13]
	;; [unrolled: 1-line block ×38, first 2 shown]
	v_cmp_eq_u32_e32 vcc, 0, v99
	v_cndmask_b32_e64 v16, v16, v36, s[8:9]
	v_cndmask_b32_e64 v5, v26, v90, s[66:67]
	;; [unrolled: 1-line block ×3, first 2 shown]
	v_cndmask_b32_e32 v0, v0, v90, vcc
	ds_bpermute_b32 v90, v115, v16
	v_cndmask_b32_e64 v26, v25, v80, s[58:59]
	v_cndmask_b32_e64 v25, v42, v80, s[60:61]
	;; [unrolled: 1-line block ×4, first 2 shown]
	s_waitcnt lgkmcnt(0)
	v_cndmask_b32_e64 v47, v36, v90, s[8:9]
	v_cndmask_b32_e64 v36, v82, v94, s[6:7]
	;; [unrolled: 1-line block ×18, first 2 shown]
	ds_bpermute_b32 v59, v115, v36
	v_cndmask_b32_e64 v18, v77, v80, s[50:51]
	v_cndmask_b32_e64 v17, v78, v80, s[48:49]
	v_cndmask_b32_e32 v16, v79, v80, vcc
	v_cndmask_b32_e64 v46, v37, v90, s[10:11]
	s_waitcnt lgkmcnt(0)
	v_cndmask_b32_e64 v80, v94, v59, s[6:7]
	v_cndmask_b32_e64 v82, v82, v59, s[20:21]
	;; [unrolled: 1-line block ×39, first 2 shown]
	ds_bpermute_b32 v85, v115, v32
	v_cndmask_b32_e64 v35, v60, v90, s[54:55]
	v_cndmask_b32_e64 v34, v81, v90, s[50:51]
	;; [unrolled: 1-line block ×3, first 2 shown]
	v_cndmask_b32_e32 v32, v87, v90, vcc
	s_waitcnt lgkmcnt(0)
	v_cndmask_b32_e64 v59, v52, v85, s[56:57]
	v_cndmask_b32_e64 v52, v86, v96, s[6:7]
	;; [unrolled: 1-line block ×18, first 2 shown]
	ds_bpermute_b32 v73, v115, v52
	v_cndmask_b32_e64 v60, v74, v85, s[52:53]
	v_cndmask_b32_e64 v57, v54, v85, s[60:61]
	;; [unrolled: 1-line block ×4, first 2 shown]
	s_waitcnt lgkmcnt(0)
	v_cndmask_b32_e64 v90, v96, v73, s[6:7]
	scratch_load_dwordx2 v[96:97], off, off offset:20 ; 8-byte Folded Reload
	v_cndmask_b32_e64 v86, v86, v73, s[20:21]
	v_cndmask_b32_e64 v74, v48, v73, s[46:47]
	;; [unrolled: 1-line block ×31, first 2 shown]
	ds_bpermute_b32 v91, v115, v48
	v_readlane_b32 s6, v127, 30
	v_readlane_b32 s7, v127, 31
	;; [unrolled: 1-line block ×5, first 2 shown]
	v_cndmask_b32_e64 v62, v62, v85, s[10:11]
	v_cndmask_b32_e64 v58, v53, v85, s[58:59]
	;; [unrolled: 1-line block ×7, first 2 shown]
	v_cndmask_b32_e32 v48, v82, v85, vcc
	s_waitcnt lgkmcnt(0)
	v_cndmask_b32_e64 v79, v74, v91, s[8:9]
	v_cndmask_b32_e64 v78, v75, v91, s[10:11]
	;; [unrolled: 1-line block ×15, first 2 shown]
	v_cndmask_b32_e32 v64, v86, v91, vcc
	s_mov_b32 s12, 0
	v_readlane_b32 s35, v127, 11
	v_readlane_b32 s37, v127, 13
	;; [unrolled: 1-line block ×10, first 2 shown]
                                        ; implicit-def: $sgpr8_sgpr9
	s_waitcnt vmcnt(0)
	v_lshl_add_u64 v[86:87], s[6:7], 0, v[96:97]
	s_mov_b64 s[6:7], 0
	s_branch .LBB218_34
.LBB218_33:                             ;   in Loop: Header=BB218_34 Depth=2
	s_or_b64 exec, exec, s[10:11]
	s_and_b64 s[10:11], exec, s[8:9]
	s_or_b64 s[6:7], s[10:11], s[6:7]
	s_andn2_b64 exec, exec, s[6:7]
	s_cbranch_execz .LBB218_36
.LBB218_34:                             ;   Parent Loop BB218_7 Depth=1
                                        ; =>  This Inner Loop Header: Depth=2
	s_and_b32 s10, s12, 2
	s_and_b32 s11, s5, 24
	s_or_b32 s10, s11, s10
	v_or_b32_e32 v80, s10, v114
	v_add_u32_e32 v81, s99, v80
	v_cmp_gt_u32_e32 vcc, 32, v81
	s_or_b64 s[8:9], s[8:9], exec
	s_and_saveexec_b64 s[10:11], vcc
	s_cbranch_execz .LBB218_33
; %bb.35:                               ;   in Loop: Header=BB218_34 Depth=2
	s_add_i32 s13, s12, 1
	s_set_gpr_idx_on s12, gpr_idx(SRC0)
	v_mov_b32_e32 v81, v0
	s_set_gpr_idx_off
	v_cvt_f16_f32_e32 v82, v81
	s_set_gpr_idx_on s13, gpr_idx(SRC0)
	v_mov_b32_e32 v81, v0
	s_set_gpr_idx_off
	v_cvt_f16_f32_sdwa v83, v81 dst_sel:WORD_1 dst_unused:UNUSED_PAD src0_sel:DWORD
	v_mul_lo_u32 v80, v80, s25
	v_ashrrev_i32_e32 v81, 31, v80
	v_lshl_add_u64 v[80:81], v[80:81], 1, v[86:87]
	v_or_b32_e32 v82, v83, v82
	;;#ASMSTART
	global_atomic_pk_add_f16 v[80:81], v82, off
	
	;;#ASMEND
	s_set_gpr_idx_on s12, gpr_idx(SRC0)
	v_mov_b32_e32 v82, v16
	s_set_gpr_idx_off
	v_cvt_f16_f32_e32 v84, v82
	s_set_gpr_idx_on s13, gpr_idx(SRC0)
	v_mov_b32_e32 v82, v16
	s_set_gpr_idx_off
	v_cvt_f16_f32_sdwa v85, v82 dst_sel:WORD_1 dst_unused:UNUSED_PAD src0_sel:DWORD
	v_lshl_add_u64 v[82:83], v[80:81], 0, 64
	s_mov_b64 s[14:15], 0x80
	s_add_i32 s5, s5, 4
	v_or_b32_e32 v84, v85, v84
	;;#ASMSTART
	global_atomic_pk_add_f16 v[82:83], v84, off
	
	;;#ASMEND
	s_set_gpr_idx_on s12, gpr_idx(SRC0)
	v_mov_b32_e32 v82, v32
	s_set_gpr_idx_off
	v_cvt_f16_f32_e32 v84, v82
	s_set_gpr_idx_on s13, gpr_idx(SRC0)
	v_mov_b32_e32 v82, v32
	s_set_gpr_idx_off
	v_cvt_f16_f32_sdwa v85, v82 dst_sel:WORD_1 dst_unused:UNUSED_PAD src0_sel:DWORD
	v_lshl_add_u64 v[82:83], v[80:81], 0, s[14:15]
	s_mov_b64 s[14:15], 0xc0
	v_or_b32_e32 v84, v85, v84
	;;#ASMSTART
	global_atomic_pk_add_f16 v[82:83], v84, off
	
	;;#ASMEND
	s_set_gpr_idx_on s12, gpr_idx(SRC0)
	v_mov_b32_e32 v82, v48
	s_set_gpr_idx_off
	v_cvt_f16_f32_e32 v84, v82
	s_set_gpr_idx_on s13, gpr_idx(SRC0)
	v_mov_b32_e32 v82, v48
	s_set_gpr_idx_off
	v_cvt_f16_f32_sdwa v85, v82 dst_sel:WORD_1 dst_unused:UNUSED_PAD src0_sel:DWORD
	v_lshl_add_u64 v[82:83], v[80:81], 0, s[14:15]
	s_mov_b64 s[14:15], 0x100
	v_lshl_add_u64 v[80:81], v[80:81], 0, s[14:15]
	v_or_b32_e32 v84, v85, v84
	;;#ASMSTART
	global_atomic_pk_add_f16 v[82:83], v84, off
	
	;;#ASMEND
	s_set_gpr_idx_on s12, gpr_idx(SRC0)
	v_mov_b32_e32 v82, v64
	s_set_gpr_idx_off
	v_cvt_f16_f32_e32 v82, v82
	s_set_gpr_idx_on s13, gpr_idx(SRC0)
	v_mov_b32_e32 v83, v64
	s_set_gpr_idx_off
	s_add_i32 s12, s12, 2
	v_cvt_f16_f32_sdwa v83, v83 dst_sel:WORD_1 dst_unused:UNUSED_PAD src0_sel:DWORD
	s_cmp_eq_u32 s12, 16
	s_cselect_b64 s[14:15], -1, 0
	s_andn2_b64 s[8:9], s[8:9], exec
	s_and_b64 s[14:15], s[14:15], exec
	s_or_b64 s[8:9], s[8:9], s[14:15]
	v_or_b32_e32 v82, v83, v82
	;;#ASMSTART
	global_atomic_pk_add_f16 v[80:81], v82, off
	
	;;#ASMEND
	s_branch .LBB218_33
.LBB218_36:                             ;   in Loop: Header=BB218_7 Depth=1
	s_or_b64 exec, exec, s[6:7]
	scratch_load_dword v85, off, off offset:28 ; 4-byte Folded Reload
	v_readlane_b32 s16, v127, 2
	v_readlane_b32 s14, v127, 0
	;; [unrolled: 1-line block ×13, first 2 shown]
.LBB218_37:                             ;   in Loop: Header=BB218_7 Depth=1
	v_readlane_b32 s6, v127, 25
	v_readlane_b32 s7, v127, 26
	s_or_b64 exec, exec, s[6:7]
.LBB218_38:                             ;   in Loop: Header=BB218_7 Depth=1
	s_or_saveexec_b64 s[0:1], s[0:1]
	v_readlane_b32 s48, v127, 23
	s_mov_b32 s13, s4
	v_readlane_b32 s49, v127, 24
	s_xor_b64 exec, exec, s[0:1]
	s_cbranch_execz .LBB218_47
; %bb.39:                               ;   in Loop: Header=BB218_7 Depth=1
	s_mul_i32 s12, s98, 5
	v_cmp_gt_i32_e32 vcc, s12, v116
	s_and_saveexec_b64 s[6:7], vcc
	s_cbranch_execz .LBB218_46
; %bb.40:                               ;   in Loop: Header=BB218_7 Depth=1
	scratch_load_dwordx2 v[0:1], off, off offset:80 ; 8-byte Folded Reload
	scratch_load_dwordx2 v[2:3], off, off offset:8 ; 8-byte Folded Reload
	s_mul_i32 s4, s68, s27
	s_ashr_i32 s5, s4, 31
	s_add_u32 s4, s18, s4
	s_addc_u32 s5, s19, s5
	s_ashr_i32 s8, s13, 31
	s_add_u32 s4, s4, s13
	s_addc_u32 s5, s5, s8
	s_waitcnt vmcnt(1)
	v_lshl_add_u64 v[0:1], s[4:5], 0, v[0:1]
	s_waitcnt vmcnt(0)
	v_lshl_add_u64 v[8:9], v[0:1], 0, v[2:3]
	s_mov_b64 s[4:5], 0
	s_branch .LBB218_42
.LBB218_41:                             ;   in Loop: Header=BB218_42 Depth=2
	s_or_b64 exec, exec, s[8:9]
	v_lshl_or_b32 v12, v10, 11, v111
	;;#ASMSTART
	s_waitcnt vmcnt(1)
	;;#ASMEND
	ds_write2_b32 v12, v4, v5 offset1:32
	ds_write2_b32 v12, v6, v7 offset0:64 offset1:96
	v_add_u32_e32 v4, 0x400, v12
	v_add_u32_e32 v116, s30, v116
	;;#ASMSTART
	s_waitcnt vmcnt(0)
	;;#ASMEND
	ds_write2_b32 v4, v0, v1 offset1:32
	ds_write2_b32 v4, v2, v3 offset0:64 offset1:96
	v_add_u32_e32 v0, 1, v95
	v_add_u32_e32 v88, s30, v10
	v_cmp_le_i32_e32 vcc, s12, v116
	ds_write_b32 v11, v0 offset:8
	v_add_u32_e32 v0, 2, v95
	s_or_b64 s[4:5], vcc, s[4:5]
	v_cmp_lt_i32_e32 vcc, 4, v88
	s_nop 1
	v_cndmask_b32_e32 v95, v95, v0, vcc
	s_andn2_b64 exec, exec, s[4:5]
	s_cbranch_execz .LBB218_45
.LBB218_42:                             ;   Parent Loop BB218_7 Depth=1
                                        ; =>  This Loop Header: Depth=2
                                        ;       Child Loop BB218_44 Depth 3
	v_cmp_gt_i32_e32 vcc, 5, v88
	s_mov_b32 s8, 0x66666667
	s_nop 0
	v_cndmask_b32_e64 v0, -5, 0, vcc
	v_add_u32_e32 v10, v0, v88
	v_mul_hi_i32 v0, v116, s8
	v_lshrrev_b32_e32 v1, 31, v0
	v_ashrrev_i32_e32 v0, 1, v0
	v_add_u32_e32 v0, v0, v1
	v_lshl_add_u32 v1, v0, 2, v0
	v_sub_u32_e32 v2, v116, v1
	v_lshlrev_b32_e32 v0, 6, v0
	v_ashrrev_i32_e32 v1, 31, v0
	v_mul_lo_u32 v2, s33, v2
	v_lshl_add_u64 v[0:1], v[8:9], 0, v[0:1]
	v_ashrrev_i32_e32 v3, 31, v2
	v_lshl_add_u64 v[0:1], v[0:1], 0, v[2:3]
	v_lshlrev_b32_e32 v11, 2, v10
	;;#ASMSTART
	global_load_dwordx4 v[4:7], v[0:1], off offset:0   sc0 sc1 nt  
	global_load_dwordx4 v[0:3], v[0:1], off offset:32  sc0 sc1 nt  
	
	;;#ASMEND
	ds_read_b32 v12, v11 offset:14344
	v_add_u32_e32 v11, 0x3800, v11
	s_waitcnt lgkmcnt(0)
	v_cmp_ne_u32_e32 vcc, v12, v95
	s_and_saveexec_b64 s[8:9], vcc
	s_cbranch_execz .LBB218_41
; %bb.43:                               ;   in Loop: Header=BB218_42 Depth=2
	s_mov_b64 s[10:11], 0
.LBB218_44:                             ;   Parent Loop BB218_7 Depth=1
                                        ;     Parent Loop BB218_42 Depth=2
                                        ; =>    This Inner Loop Header: Depth=3
	;;#ASMSTART
	s_sleep 0
	;;#ASMEND
	ds_read_b32 v12, v11 offset:8
	s_waitcnt lgkmcnt(0)
	v_cmp_eq_u32_e32 vcc, v12, v95
	s_or_b64 s[10:11], vcc, s[10:11]
	s_andn2_b64 exec, exec, s[10:11]
	s_cbranch_execnz .LBB218_44
	s_branch .LBB218_41
.LBB218_45:                             ;   in Loop: Header=BB218_7 Depth=1
	s_or_b64 exec, exec, s[4:5]
.LBB218_46:                             ;   in Loop: Header=BB218_7 Depth=1
	s_or_b64 exec, exec, s[6:7]
	v_subrev_u32_e32 v116, s12, v116
.LBB218_47:                             ;   in Loop: Header=BB218_7 Depth=1
	s_or_b64 exec, exec, s[0:1]
.LBB218_48:                             ;   in Loop: Header=BB218_7 Depth=1
	s_andn2_saveexec_b64 s[0:1], s[48:49]
	s_cbranch_execz .LBB218_6
; %bb.49:                               ;   in Loop: Header=BB218_7 Depth=1
	s_lshl_b32 s12, s98, 1
	v_cmp_gt_i32_e32 vcc, s12, v116
	s_and_saveexec_b64 s[4:5], vcc
	s_cbranch_execz .LBB218_5
; %bb.50:                               ;   in Loop: Header=BB218_7 Depth=1
	scratch_load_dword v0, off, off offset:16 ; 4-byte Folded Reload
	scratch_load_dwordx2 v[4:5], off, off offset:8 ; 8-byte Folded Reload
	s_mul_i32 s6, s47, s26
	s_ashr_i32 s7, s6, 31
	s_add_u32 s6, s16, s6
	s_waitcnt vmcnt(2)
	v_add_u32_e32 v2, s99, v85
	s_addc_u32 s7, s17, s7
	s_ashr_i32 s8, s13, 31
	v_cmp_gt_u32_e32 vcc, 64, v2
	s_add_u32 s6, s6, s13
	s_addc_u32 s7, s7, s8
	v_sub_u32_e32 v10, 63, v2
	s_waitcnt vmcnt(1)
	v_cndmask_b32_e32 v0, 0, v0, vcc
	v_ashrrev_i32_e32 v1, 31, v0
	v_lshl_add_u64 v[0:1], s[6:7], 0, v[0:1]
	s_waitcnt vmcnt(0)
	v_lshl_add_u64 v[8:9], v[0:1], 0, v[4:5]
	s_mov_b64 s[6:7], 0
	s_branch .LBB218_52
.LBB218_51:                             ;   in Loop: Header=BB218_52 Depth=2
	s_or_b64 exec, exec, s[8:9]
	v_lshl_add_u32 v13, v11, 11, v113
	;;#ASMSTART
	s_waitcnt vmcnt(1)
	;;#ASMEND
	ds_write2_b32 v13, v4, v5 offset1:32
	ds_write2_b32 v13, v6, v7 offset0:64 offset1:96
	v_add_u32_e32 v4, 0x400, v13
	v_add_u32_e32 v116, s29, v116
	;;#ASMSTART
	s_waitcnt vmcnt(0)
	;;#ASMEND
	ds_write2_b32 v4, v0, v1 offset1:32
	ds_write2_b32 v4, v2, v3 offset0:64 offset1:96
	v_add_u32_e32 v0, 1, v95
	v_add_u32_e32 v88, s29, v11
	v_cmp_le_i32_e32 vcc, s12, v116
	ds_write_b32 v12, v0
	v_add_u32_e32 v0, 2, v95
	s_or_b64 s[6:7], vcc, s[6:7]
	v_cmp_lt_i32_e32 vcc, 1, v88
	s_nop 1
	v_cndmask_b32_e32 v95, v95, v0, vcc
	s_andn2_b64 exec, exec, s[6:7]
	s_cbranch_execz .LBB218_4
.LBB218_52:                             ;   Parent Loop BB218_7 Depth=1
                                        ; =>  This Loop Header: Depth=2
                                        ;       Child Loop BB218_54 Depth 3
	v_cmp_gt_i32_e32 vcc, 2, v88
	s_nop 1
	v_cndmask_b32_e64 v0, -2, 0, vcc
	v_add_u32_e32 v11, v0, v88
	v_lshrrev_b32_e32 v0, 31, v116
	v_add_u32_e32 v0, v116, v0
	v_and_b32_e32 v1, 0x7fffffe, v0
	v_sub_u32_e32 v1, v116, v1
	v_lshlrev_b32_e32 v1, 5, v1
	v_cmp_le_i32_e32 vcc, v1, v10
	v_lshlrev_b32_e32 v0, 5, v0
	v_and_b32_e32 v0, 0xffffffc0, v0
	v_cndmask_b32_e32 v2, 0, v1, vcc
	v_ashrrev_i32_e32 v1, 31, v0
	v_mul_lo_u32 v2, v2, s26
	v_lshl_add_u64 v[0:1], v[8:9], 0, v[0:1]
	v_ashrrev_i32_e32 v3, 31, v2
	v_lshl_add_u64 v[0:1], v[0:1], 0, v[2:3]
	v_lshlrev_b32_e32 v12, 2, v11
	;;#ASMSTART
	global_load_dwordx4 v[4:7], v[0:1], off offset:0   
	global_load_dwordx4 v[0:3], v[0:1], off offset:32  
	
	;;#ASMEND
	ds_read_b32 v13, v12 offset:14336
	v_add_u32_e32 v12, 0x3800, v12
	s_waitcnt lgkmcnt(0)
	v_cmp_ne_u32_e32 vcc, v13, v95
	s_and_saveexec_b64 s[8:9], vcc
	s_cbranch_execz .LBB218_51
; %bb.53:                               ;   in Loop: Header=BB218_52 Depth=2
	s_mov_b64 s[10:11], 0
.LBB218_54:                             ;   Parent Loop BB218_7 Depth=1
                                        ;     Parent Loop BB218_52 Depth=2
                                        ; =>    This Inner Loop Header: Depth=3
	;;#ASMSTART
	s_sleep 0
	;;#ASMEND
	ds_read_b32 v13, v12
	s_waitcnt lgkmcnt(0)
	v_cmp_eq_u32_e32 vcc, v13, v95
	s_or_b64 s[10:11], vcc, s[10:11]
	s_andn2_b64 exec, exec, s[10:11]
	s_cbranch_execnz .LBB218_54
	s_branch .LBB218_51
.LBB218_55:
	s_endpgm
	.section	.rodata,"a",@progbits
	.p2align	6, 0x0
	.amdhsa_kernel _Z19_skinny_gemm_kernelILi2ELi5ELi1ELi32ELi4EEvPKhS1_P6__halfPKfiiiiiiii
		.amdhsa_group_segment_fixed_size 14364
		.amdhsa_private_segment_fixed_size 92
		.amdhsa_kernarg_size 64
		.amdhsa_user_sgpr_count 2
		.amdhsa_user_sgpr_dispatch_ptr 0
		.amdhsa_user_sgpr_queue_ptr 0
		.amdhsa_user_sgpr_kernarg_segment_ptr 1
		.amdhsa_user_sgpr_dispatch_id 0
		.amdhsa_user_sgpr_kernarg_preload_length 0
		.amdhsa_user_sgpr_kernarg_preload_offset 0
		.amdhsa_user_sgpr_private_segment_size 0
		.amdhsa_uses_dynamic_stack 0
		.amdhsa_enable_private_segment 1
		.amdhsa_system_sgpr_workgroup_id_x 1
		.amdhsa_system_sgpr_workgroup_id_y 0
		.amdhsa_system_sgpr_workgroup_id_z 0
		.amdhsa_system_sgpr_workgroup_info 0
		.amdhsa_system_vgpr_workitem_id 0
		.amdhsa_next_free_vgpr 128
		.amdhsa_next_free_sgpr 100
		.amdhsa_accum_offset 128
		.amdhsa_reserve_vcc 1
		.amdhsa_float_round_mode_32 0
		.amdhsa_float_round_mode_16_64 0
		.amdhsa_float_denorm_mode_32 3
		.amdhsa_float_denorm_mode_16_64 3
		.amdhsa_dx10_clamp 1
		.amdhsa_ieee_mode 1
		.amdhsa_fp16_overflow 0
		.amdhsa_tg_split 0
		.amdhsa_exception_fp_ieee_invalid_op 0
		.amdhsa_exception_fp_denorm_src 0
		.amdhsa_exception_fp_ieee_div_zero 0
		.amdhsa_exception_fp_ieee_overflow 0
		.amdhsa_exception_fp_ieee_underflow 0
		.amdhsa_exception_fp_ieee_inexact 0
		.amdhsa_exception_int_div_zero 0
	.end_amdhsa_kernel
	.section	.text._Z19_skinny_gemm_kernelILi2ELi5ELi1ELi32ELi4EEvPKhS1_P6__halfPKfiiiiiiii,"axG",@progbits,_Z19_skinny_gemm_kernelILi2ELi5ELi1ELi32ELi4EEvPKhS1_P6__halfPKfiiiiiiii,comdat
.Lfunc_end218:
	.size	_Z19_skinny_gemm_kernelILi2ELi5ELi1ELi32ELi4EEvPKhS1_P6__halfPKfiiiiiiii, .Lfunc_end218-_Z19_skinny_gemm_kernelILi2ELi5ELi1ELi32ELi4EEvPKhS1_P6__halfPKfiiiiiiii
                                        ; -- End function
	.set _Z19_skinny_gemm_kernelILi2ELi5ELi1ELi32ELi4EEvPKhS1_P6__halfPKfiiiiiiii.num_vgpr, 128
	.set _Z19_skinny_gemm_kernelILi2ELi5ELi1ELi32ELi4EEvPKhS1_P6__halfPKfiiiiiiii.num_agpr, 0
	.set _Z19_skinny_gemm_kernelILi2ELi5ELi1ELi32ELi4EEvPKhS1_P6__halfPKfiiiiiiii.numbered_sgpr, 100
	.set _Z19_skinny_gemm_kernelILi2ELi5ELi1ELi32ELi4EEvPKhS1_P6__halfPKfiiiiiiii.num_named_barrier, 0
	.set _Z19_skinny_gemm_kernelILi2ELi5ELi1ELi32ELi4EEvPKhS1_P6__halfPKfiiiiiiii.private_seg_size, 92
	.set _Z19_skinny_gemm_kernelILi2ELi5ELi1ELi32ELi4EEvPKhS1_P6__halfPKfiiiiiiii.uses_vcc, 1
	.set _Z19_skinny_gemm_kernelILi2ELi5ELi1ELi32ELi4EEvPKhS1_P6__halfPKfiiiiiiii.uses_flat_scratch, 0
	.set _Z19_skinny_gemm_kernelILi2ELi5ELi1ELi32ELi4EEvPKhS1_P6__halfPKfiiiiiiii.has_dyn_sized_stack, 0
	.set _Z19_skinny_gemm_kernelILi2ELi5ELi1ELi32ELi4EEvPKhS1_P6__halfPKfiiiiiiii.has_recursion, 0
	.set _Z19_skinny_gemm_kernelILi2ELi5ELi1ELi32ELi4EEvPKhS1_P6__halfPKfiiiiiiii.has_indirect_call, 0
	.section	.AMDGPU.csdata,"",@progbits
; Kernel info:
; codeLenInByte = 16848
; TotalNumSgprs: 106
; NumVgprs: 128
; NumAgprs: 0
; TotalNumVgprs: 128
; ScratchSize: 92
; MemoryBound: 0
; FloatMode: 240
; IeeeMode: 1
; LDSByteSize: 14364 bytes/workgroup (compile time only)
; SGPRBlocks: 13
; VGPRBlocks: 15
; NumSGPRsForWavesPerEU: 106
; NumVGPRsForWavesPerEU: 128
; AccumOffset: 128
; Occupancy: 4
; WaveLimiterHint : 0
; COMPUTE_PGM_RSRC2:SCRATCH_EN: 1
; COMPUTE_PGM_RSRC2:USER_SGPR: 2
; COMPUTE_PGM_RSRC2:TRAP_HANDLER: 0
; COMPUTE_PGM_RSRC2:TGID_X_EN: 1
; COMPUTE_PGM_RSRC2:TGID_Y_EN: 0
; COMPUTE_PGM_RSRC2:TGID_Z_EN: 0
; COMPUTE_PGM_RSRC2:TIDIG_COMP_CNT: 0
; COMPUTE_PGM_RSRC3_GFX90A:ACCUM_OFFSET: 31
; COMPUTE_PGM_RSRC3_GFX90A:TG_SPLIT: 0
	.section	.text._Z19_skinny_gemm_kernelILi2ELi5ELi1ELi32ELi8EEvPKhS1_P6__halfPKfiiiiiiii,"axG",@progbits,_Z19_skinny_gemm_kernelILi2ELi5ELi1ELi32ELi8EEvPKhS1_P6__halfPKfiiiiiiii,comdat
	.protected	_Z19_skinny_gemm_kernelILi2ELi5ELi1ELi32ELi8EEvPKhS1_P6__halfPKfiiiiiiii ; -- Begin function _Z19_skinny_gemm_kernelILi2ELi5ELi1ELi32ELi8EEvPKhS1_P6__halfPKfiiiiiiii
	.globl	_Z19_skinny_gemm_kernelILi2ELi5ELi1ELi32ELi8EEvPKhS1_P6__halfPKfiiiiiiii
	.p2align	8
	.type	_Z19_skinny_gemm_kernelILi2ELi5ELi1ELi32ELi8EEvPKhS1_P6__halfPKfiiiiiiii,@function
_Z19_skinny_gemm_kernelILi2ELi5ELi1ELi32ELi8EEvPKhS1_P6__halfPKfiiiiiiii: ; @_Z19_skinny_gemm_kernelILi2ELi5ELi1ELi32ELi8EEvPKhS1_P6__halfPKfiiiiiiii
; %bb.0:
	v_cmp_gt_u32_e32 vcc, 7, v0
	s_and_saveexec_b64 s[4:5], vcc
; %bb.1:
	v_lshlrev_b32_e32 v1, 2, v0
	v_mov_b32_e32 v2, 0
	ds_write_b32 v1, v2 offset:28672
; %bb.2:
	s_or_b64 exec, exec, s[4:5]
	s_load_dwordx8 s[24:31], s[0:1], 0x20
	s_waitcnt lgkmcnt(0)
	s_barrier
	s_add_i32 s3, s24, 63
	s_ashr_i32 s5, s3, 31
	s_add_i32 s4, s25, 0x9f
	s_lshr_b32 s5, s5, 26
	s_mul_hi_i32 s4, s4, 0x66666667
	s_add_i32 s3, s3, s5
	s_ashr_i32 s14, s3, 6
	s_lshr_b32 s3, s4, 31
	s_ashr_i32 s4, s4, 6
	s_add_i32 s15, s4, s3
	s_mul_i32 s3, s15, s14
	s_mul_i32 s3, s3, s28
	s_add_i32 s4, s3, 0x12f
	s_mul_hi_i32 s4, s4, 0x6bca1af3
	s_lshr_b32 s5, s4, 31
	s_ashr_i32 s4, s4, 7
	s_add_i32 s4, s4, s5
	s_add_i32 s5, s2, 1
	s_mul_i32 s5, s4, s5
	v_cvt_f64_i32_e32 v[2:3], s3
	v_cvt_f64_u32_e32 v[4:5], s5
	v_min_f64 v[2:3], v[2:3], v[4:5]
	v_cvt_i32_f64_e32 v1, v[2:3]
	s_mul_i32 s2, s4, s2
	v_cmp_ge_i32_e32 vcc, s2, v1
	scratch_store_dword off, v1, off offset:16 ; 4-byte Folded Spill
	s_cbranch_vccnz .LBB219_55
; %bb.3:
	s_load_dwordx8 s[16:23], s[0:1], 0x0
	v_lshrrev_b32_e32 v1, 6, v0
	s_add_i32 s0, s30, s29
	v_cmp_le_i32_e64 s[34:35], s0, v1
	v_mov_b32_e32 v2, s29
	v_cmp_le_i32_e64 s[36:37], s29, v1
	v_mov_b32_e32 v3, s30
	v_cndmask_b32_e64 v3, 0, v3, s[34:35]
	v_cndmask_b32_e64 v2, 0, v2, s[36:37]
	s_abs_i32 s1, s28
	v_add_u32_e32 v2, v2, v3
	v_cvt_f32_u32_e32 v3, s1
	v_sub_u32_e32 v88, v1, v2
	s_ashr_i32 s3, s26, 31
	s_lshr_b32 s3, s3, 25
	v_rcp_iflag_f32_e32 v2, v3
	s_sub_i32 s6, 0, s1
	s_add_i32 s3, s26, s3
	s_ashr_i32 s3, s3, 7
	v_mul_f32_e32 v2, 0x4f7ffffe, v2
	v_cvt_u32_f32_e32 v2, v2
	s_abs_i32 s5, s3
	s_xor_b32 s4, s3, s28
	s_ashr_i32 s4, s4, 31
	v_readfirstlane_b32 s7, v2
	s_mul_i32 s6, s6, s7
	s_mul_hi_u32 s6, s7, s6
	s_add_i32 s7, s7, s6
	s_mul_hi_u32 s6, s5, s7
	s_mul_i32 s7, s6, s1
	s_sub_i32 s5, s5, s7
	s_add_i32 s7, s6, 1
	s_sub_i32 s8, s5, s1
	s_cmp_ge_u32 s5, s1
	s_cselect_b32 s6, s7, s6
	s_cselect_b32 s5, s8, s5
	s_add_i32 s7, s6, 1
	s_cmp_ge_u32 s5, s1
	s_cselect_b32 s1, s7, s6
	s_add_i32 s0, s0, s31
	v_and_b32_e32 v102, 31, v0
	v_lshrrev_b32_e32 v2, 3, v0
	v_cmp_gt_i32_e64 s[42:43], s0, v1
	v_lshlrev_b32_e32 v1, 2, v102
	v_and_b32_e32 v3, 4, v2
	v_lshlrev_b32_e32 v2, 6, v3
	v_or_b32_e32 v4, 0x5000, v1
	v_or_b32_e32 v5, v4, v2
	scratch_store_dword off, v5, off offset:8 ; 4-byte Folded Spill
	v_or_b32_e32 v2, v1, v2
	v_and_b32_e32 v5, 1, v0
	scratch_store_dword off, v2, off offset:12 ; 4-byte Folded Spill
	v_lshlrev_b32_e32 v2, 1, v5
	v_sub_u32_e32 v2, v0, v2
	v_add_u32_e32 v2, 1, v2
	v_and_b32_e32 v6, 63, v2
	v_bitop3_b32 v2, v0, 1, v0 bitop3:0xc
	scratch_store_dword off, v2, off offset:40 ; 4-byte Folded Spill
	v_bitop3_b32 v2, v0, 3, 1 bitop3:0x6c
	scratch_store_dword off, v2, off offset:44 ; 4-byte Folded Spill
	;; [unrolled: 2-line block ×5, first 2 shown]
	v_bitop3_b32 v2, v0, 11, 1 bitop3:0x6c
	s_add_i32 s39, s28, -1
	scratch_store_dword off, v2, off offset:60 ; 4-byte Folded Spill
	v_bitop3_b32 v2, v0, 13, 1 bitop3:0x6c
	v_lshrrev_b32_e32 v7, 1, v0
	s_abs_i32 s28, s14
	scratch_store_dword off, v2, off offset:64 ; 4-byte Folded Spill
	v_bitop3_b32 v2, v0, 15, 1 bitop3:0x6c
	v_and_b32_e32 v8, 16, v7
	v_cvt_f32_u32_e32 v7, s28
	scratch_store_dword off, v2, off offset:68 ; 4-byte Folded Spill
	v_and_b32_e32 v2, 30, v0
	v_lshlrev_b32_e32 v0, 4, v0
	v_and_b32_e32 v0, 0x200, v0
                                        ; implicit-def: $vgpr127 : SGPR spill to VGPR lane
	v_or_b32_e32 v1, v1, v0
	v_writelane_b32 v127, s14, 0
	s_xor_b32 s1, s1, s4
	scratch_store_dword off, v1, off        ; 4-byte Folded Spill
	v_rcp_iflag_f32_e32 v1, v7
	v_writelane_b32 v127, s15, 1
	s_sub_i32 s38, s1, s4
	s_waitcnt lgkmcnt(0)
	v_writelane_b32 v127, s16, 2
	s_mul_i32 s1, s38, s39
	s_sub_i32 s40, s3, s1
	v_writelane_b32 v127, s17, 3
	v_or_b32_e32 v116, v4, v0
	v_or_b32_e32 v0, v5, v3
	s_abs_i32 s3, s15
	v_writelane_b32 v127, s18, 4
	scratch_store_dword off, v0, off offset:4 ; 4-byte Folded Spill
	v_mul_f32_e32 v0, 0x4f7ffffe, v1
	v_cvt_f32_u32_e32 v1, s3
	v_writelane_b32 v127, s19, 5
	v_writelane_b32 v127, s20, 6
	;; [unrolled: 1-line block ×4, first 2 shown]
	v_cvt_u32_f32_e32 v0, v0
	v_rcp_iflag_f32_e32 v1, v1
	v_writelane_b32 v127, s23, 9
	v_cndmask_b32_e64 v103, 0, 1, s[34:35]
	v_writelane_b32 v127, s34, 10
	v_readfirstlane_b32 s1, v0
	v_mul_f32_e32 v0, 0x4f7ffffe, v1
	v_writelane_b32 v127, s35, 11
	v_writelane_b32 v127, s36, 12
	v_cvt_u32_f32_e32 v0, v0
	s_sub_i32 s0, 0, s28
	v_writelane_b32 v127, s37, 13
	v_writelane_b32 v127, s38, 14
	;; [unrolled: 1-line block ×3, first 2 shown]
	s_mul_i32 s0, s0, s1
	v_writelane_b32 v127, s40, 16
	s_mul_hi_u32 s0, s1, s0
	v_writelane_b32 v127, s42, 17
	s_ashr_i32 s41, s14, 31
	s_add_i32 s44, s1, s0
	s_sub_i32 s0, 0, s3
	v_readfirstlane_b32 s1, v0
	v_writelane_b32 v127, s43, 18
	s_mul_i32 s0, s0, s1
	v_mbcnt_lo_u32_b32 v0, -1, 0
	v_writelane_b32 v127, s41, 19
	s_ashr_i32 s45, s15, 31
	s_mul_hi_u32 s0, s1, s0
	v_mbcnt_hi_u32_b32 v0, -1, v0
	v_writelane_b32 v127, s44, 20
	v_mov_b32_e32 v105, 0
	v_mul_lo_u32 v10, s27, v102
	s_add_i32 s46, s1, s0
	v_and_or_b32 v0, v0, 64, v6
	v_writelane_b32 v127, s45, 21
	v_ashrrev_i32_e32 v11, 31, v10
	v_mov_b32_e32 v9, v105
	s_lshl_b32 s33, s27, 5
	v_lshlrev_b32_e32 v104, 1, v2
	v_lshlrev_b32_e32 v118, 2, v0
	v_mov_b32_e32 v119, v88
	v_writelane_b32 v127, s46, 22
	scratch_store_dwordx2 off, v[10:11], off offset:72 ; 8-byte Folded Spill
	scratch_store_dwordx2 off, v[8:9], off offset:20 ; 8-byte Folded Spill
	scratch_store_dword off, v102, off offset:36 ; 4-byte Folded Spill
	s_branch .LBB219_7
.LBB219_4:                              ;   in Loop: Header=BB219_7 Depth=1
	s_or_b64 exec, exec, s[6:7]
.LBB219_5:                              ;   in Loop: Header=BB219_7 Depth=1
	s_or_b64 exec, exec, s[4:5]
	v_subrev_u32_e32 v119, s12, v119
.LBB219_6:                              ;   in Loop: Header=BB219_7 Depth=1
	s_or_b64 exec, exec, s[0:1]
	scratch_load_dword v0, off, off offset:16 ; 4-byte Folded Reload
	s_add_i32 s2, s2, 1
	s_waitcnt vmcnt(0)
	v_cmp_ge_i32_e32 vcc, s2, v0
	s_cbranch_vccnz .LBB219_55
.LBB219_7:                              ; =>This Loop Header: Depth=1
                                        ;     Child Loop BB219_13 Depth 2
                                        ;       Child Loop BB219_15 Depth 3
                                        ;       Child Loop BB219_18 Depth 3
	;; [unrolled: 1-line block ×6, first 2 shown]
                                        ;     Child Loop BB219_34 Depth 2
                                        ;     Child Loop BB219_42 Depth 2
                                        ;       Child Loop BB219_44 Depth 3
                                        ;     Child Loop BB219_52 Depth 2
                                        ;       Child Loop BB219_54 Depth 3
	s_abs_i32 s1, s2
	s_mul_hi_u32 s4, s1, s44
	s_mul_i32 s5, s4, s28
	s_ashr_i32 s0, s2, 31
	s_sub_i32 s1, s1, s5
	s_xor_b32 s0, s0, s41
	s_add_i32 s5, s4, 1
	s_sub_i32 s6, s1, s28
	s_cmp_ge_u32 s1, s28
	s_cselect_b32 s4, s5, s4
	s_cselect_b32 s1, s6, s1
	s_add_i32 s5, s4, 1
	s_cmp_ge_u32 s1, s28
	s_cselect_b32 s1, s5, s4
	s_xor_b32 s1, s1, s0
	s_sub_i32 s0, s1, s0
	s_abs_i32 s4, s0
	s_mul_i32 s1, s0, s14
	s_mul_hi_u32 s5, s4, s46
	s_sub_i32 s1, s2, s1
	s_mul_i32 s6, s5, s3
	s_lshl_b32 s47, s1, 6
	s_ashr_i32 s1, s0, 31
	s_sub_i32 s4, s4, s6
	s_xor_b32 s1, s1, s45
	s_add_i32 s6, s5, 1
	s_sub_i32 s7, s4, s3
	s_cmp_ge_u32 s4, s3
	s_cselect_b32 s5, s6, s5
	s_cselect_b32 s4, s7, s4
	s_add_i32 s6, s5, 1
	s_cmp_ge_u32 s4, s3
	s_cselect_b32 s4, s6, s5
	s_xor_b32 s4, s4, s1
	s_sub_i32 s1, s4, s1
	s_mul_i32 s4, s1, s38
	s_lshl_b32 s13, s4, 7
	s_cmp_eq_u32 s1, s39
	s_cselect_b32 s98, s40, s38
	s_sub_i32 s4, s47, s24
	s_add_i32 s4, s4, 64
	s_max_i32 s99, s4, 0
	s_and_saveexec_b64 s[4:5], s[36:37]
	s_xor_b64 s[48:49], exec, s[4:5]
	s_cbranch_execz .LBB219_48
; %bb.8:                                ;   in Loop: Header=BB219_7 Depth=1
	s_mul_i32 s1, s1, s15
	s_sub_i32 s0, s0, s1
	s_mulk_i32 s0, 0xa0
	s_sub_i32 s70, s0, s25
	s_addk_i32 s70, 0xa0
	v_writelane_b32 v127, s48, 23
	s_max_i32 s1, s70, 0
	s_mov_b32 s4, s13
	v_writelane_b32 v127, s49, 24
	s_sub_i32 s68, s0, s1
	s_and_saveexec_b64 s[0:1], s[34:35]
	s_xor_b64 s[0:1], exec, s[0:1]
	s_cbranch_execz .LBB219_38
; %bb.9:                                ;   in Loop: Header=BB219_7 Depth=1
	s_mov_b64 s[6:7], exec
	v_writelane_b32 v127, s6, 25
	s_nop 1
	v_writelane_b32 v127, s7, 26
	s_and_b64 s[6:7], s[6:7], s[42:43]
	s_mov_b64 exec, s[6:7]
	s_cbranch_execz .LBB219_37
; %bb.10:                               ;   in Loop: Header=BB219_7 Depth=1
	global_load_dword v120, v105, s[22:23]
	v_mov_b32_e32 v79, 0
	v_cmp_gt_i32_e32 vcc, s98, v119
	v_mov_b32_e32 v78, v79
	v_mov_b32_e32 v77, v79
	;; [unrolled: 1-line block ×79, first 2 shown]
	s_and_saveexec_b64 s[6:7], vcc
	s_cbranch_execz .LBB219_32
; %bb.11:                               ;   in Loop: Header=BB219_7 Depth=1
	v_mov_b32_e32 v0, 0
	s_mov_b64 s[8:9], 0
	v_mov_b32_e32 v1, v0
	v_mov_b32_e32 v2, v0
	;; [unrolled: 1-line block ×79, first 2 shown]
	s_branch .LBB219_13
.LBB219_12:                             ;   in Loop: Header=BB219_13 Depth=2
	s_or_b64 exec, exec, s[10:11]
	v_add_u32_e32 v82, 0x4000, v124
	ds_read2_b32 v[80:81], v82 offset1:32
	v_add_u32_e32 v119, s31, v119
	s_waitcnt lgkmcnt(0)
	v_mfma_f32_32x32x16_fp8_fp8 v[0:15], v[100:101], v[80:81], v[0:15]
	ds_read2_b32 v[80:81], v82 offset0:128 offset1:160
	v_add_u32_e32 v82, 0x4400, v124
	s_waitcnt lgkmcnt(0)
	v_mfma_f32_32x32x16_fp8_fp8 v[0:15], v[98:99], v[80:81], v[0:15]
	ds_read2_b32 v[80:81], v82 offset1:32
	s_waitcnt lgkmcnt(0)
	v_mfma_f32_32x32x16_fp8_fp8 v[0:15], v[96:97], v[80:81], v[0:15]
	ds_read2_b32 v[80:81], v82 offset0:128 offset1:160
	v_add_u32_e32 v82, 0x4800, v124
	s_waitcnt lgkmcnt(0)
	v_mfma_f32_32x32x16_fp8_fp8 v[0:15], v[94:95], v[80:81], v[0:15]
	ds_read2_b32 v[80:81], v82 offset1:32
	;; [unrolled: 7-line block ×3, first 2 shown]
	ds_read2_b32 v[82:83], v82 offset0:128 offset1:160
	ds_write_b32 v122, v123 offset:28708
	s_waitcnt lgkmcnt(2)
	v_mfma_f32_32x32x16_fp8_fp8 v[0:15], v[88:89], v[80:81], v[0:15]
	v_add_u32_e32 v88, s31, v121
	v_add_u32_e32 v80, 2, v103
	v_cmp_lt_i32_e32 vcc, 0, v88
	s_nop 1
	v_cndmask_b32_e32 v103, v103, v80, vcc
	v_cmp_le_i32_e32 vcc, s98, v119
	s_waitcnt lgkmcnt(1)
	v_mfma_f32_32x32x16_fp8_fp8 v[0:15], v[86:87], v[82:83], v[0:15]
	s_or_b64 s[8:9], vcc, s[8:9]
	s_andn2_b64 exec, exec, s[8:9]
	s_cbranch_execz .LBB219_31
.LBB219_13:                             ;   Parent Loop BB219_7 Depth=1
                                        ; =>  This Loop Header: Depth=2
                                        ;       Child Loop BB219_15 Depth 3
                                        ;       Child Loop BB219_18 Depth 3
	;; [unrolled: 1-line block ×6, first 2 shown]
	v_cmp_lt_i32_e32 vcc, 0, v88
	s_nop 1
	v_subbrev_co_u32_e32 v121, vcc, 0, v88, vcc
	v_mul_lo_u32 v122, v121, 40
	ds_read_b32 v80, v122 offset:28672
	s_waitcnt lgkmcnt(0)
	v_cmp_ne_u32_e32 vcc, v80, v103
	s_and_saveexec_b64 s[10:11], vcc
	s_cbranch_execz .LBB219_16
; %bb.14:                               ;   in Loop: Header=BB219_13 Depth=2
	s_mov_b64 s[12:13], 0
.LBB219_15:                             ;   Parent Loop BB219_7 Depth=1
                                        ;     Parent Loop BB219_13 Depth=2
                                        ; =>    This Inner Loop Header: Depth=3
	;;#ASMSTART
	s_sleep 0
	;;#ASMEND
	ds_read_b32 v80, v122 offset:28672
	s_waitcnt lgkmcnt(0)
	v_cmp_eq_u32_e32 vcc, v80, v103
	s_or_b64 s[12:13], vcc, s[12:13]
	s_andn2_b64 exec, exec, s[12:13]
	s_cbranch_execnz .LBB219_15
.LBB219_16:                             ;   in Loop: Header=BB219_13 Depth=2
	s_or_b64 exec, exec, s[10:11]
	scratch_load_dword v80, off, off offset:8 ; 4-byte Folded Reload
	v_add_u32_e32 v123, 1, v103
	s_waitcnt vmcnt(0)
	v_lshl_add_u32 v80, v121, 12, v80
	v_add_u32_e32 v81, 0x400, v80
	ds_read2_b32 v[100:101], v80 offset1:32
	ds_read2_b32 v[98:99], v80 offset0:128 offset1:160
	ds_read2_b32 v[96:97], v81 offset1:32
	ds_read2_b32 v[94:95], v81 offset0:128 offset1:160
	v_add_u32_e32 v81, 0x800, v80
	v_add_u32_e32 v80, 0xc00, v80
	ds_read2_b32 v[92:93], v81 offset1:32
	ds_read2_b32 v[90:91], v81 offset0:128 offset1:160
	ds_read2_b32 v[88:89], v80 offset1:32
	ds_read_b32 v81, v122 offset:28676
	ds_read2_b32 v[86:87], v80 offset0:128 offset1:160
	ds_write_b32 v122, v123 offset:28672
	s_waitcnt lgkmcnt(2)
	v_cmp_ne_u32_e32 vcc, v81, v103
	s_and_saveexec_b64 s[10:11], vcc
	s_cbranch_execz .LBB219_19
; %bb.17:                               ;   in Loop: Header=BB219_13 Depth=2
	s_mov_b64 s[12:13], 0
.LBB219_18:                             ;   Parent Loop BB219_7 Depth=1
                                        ;     Parent Loop BB219_13 Depth=2
                                        ; =>    This Inner Loop Header: Depth=3
	;;#ASMSTART
	s_sleep 0
	;;#ASMEND
	ds_read_b32 v80, v122 offset:28676
	s_waitcnt lgkmcnt(0)
	v_cmp_eq_u32_e32 vcc, v80, v103
	s_or_b64 s[12:13], vcc, s[12:13]
	s_andn2_b64 exec, exec, s[12:13]
	s_cbranch_execnz .LBB219_18
.LBB219_19:                             ;   in Loop: Header=BB219_13 Depth=2
	s_or_b64 exec, exec, s[10:11]
	scratch_load_dword v81, off, off offset:12 ; 4-byte Folded Reload
	s_movk_i32 s5, 0x5000
	v_mul_lo_u32 v80, v121, s5
	ds_write_b32 v122, v123 offset:28676
	s_waitcnt vmcnt(0)
	v_or_b32_e32 v124, v81, v80
	ds_read2_b32 v[80:81], v124 offset1:32
	v_add_u32_e32 v82, 0x400, v124
	s_waitcnt lgkmcnt(0)
	v_mfma_f32_32x32x16_fp8_fp8 v[64:79], v[100:101], v[80:81], v[64:79]
	ds_read2_b32 v[80:81], v124 offset0:128 offset1:160
	s_waitcnt lgkmcnt(0)
	v_mfma_f32_32x32x16_fp8_fp8 v[64:79], v[98:99], v[80:81], v[64:79]
	ds_read2_b32 v[80:81], v82 offset1:32
	s_waitcnt lgkmcnt(0)
	v_mfma_f32_32x32x16_fp8_fp8 v[64:79], v[96:97], v[80:81], v[64:79]
	ds_read2_b32 v[80:81], v82 offset0:128 offset1:160
	v_add_u32_e32 v82, 0x800, v124
	s_waitcnt lgkmcnt(0)
	v_mfma_f32_32x32x16_fp8_fp8 v[64:79], v[94:95], v[80:81], v[64:79]
	ds_read2_b32 v[80:81], v82 offset1:32
	s_waitcnt lgkmcnt(0)
	v_mfma_f32_32x32x16_fp8_fp8 v[64:79], v[92:93], v[80:81], v[64:79]
	ds_read2_b32 v[80:81], v82 offset0:128 offset1:160
	v_add_u32_e32 v82, 0xc00, v124
	s_waitcnt lgkmcnt(0)
	v_mfma_f32_32x32x16_fp8_fp8 v[64:79], v[90:91], v[80:81], v[64:79]
	ds_read2_b32 v[80:81], v82 offset1:32
	s_waitcnt lgkmcnt(0)
	v_mfma_f32_32x32x16_fp8_fp8 v[64:79], v[88:89], v[80:81], v[64:79]
	ds_read2_b32 v[80:81], v82 offset0:128 offset1:160
	ds_read_b32 v82, v122 offset:28684
	s_waitcnt lgkmcnt(0)
	v_cmp_ne_u32_e32 vcc, v82, v103
	v_mfma_f32_32x32x16_fp8_fp8 v[64:79], v[86:87], v[80:81], v[64:79]
	s_and_saveexec_b64 s[10:11], vcc
	s_cbranch_execz .LBB219_22
; %bb.20:                               ;   in Loop: Header=BB219_13 Depth=2
	s_mov_b64 s[12:13], 0
.LBB219_21:                             ;   Parent Loop BB219_7 Depth=1
                                        ;     Parent Loop BB219_13 Depth=2
                                        ; =>    This Inner Loop Header: Depth=3
	;;#ASMSTART
	s_sleep 0
	;;#ASMEND
	ds_read_b32 v80, v122 offset:28684
	s_waitcnt lgkmcnt(0)
	v_cmp_eq_u32_e32 vcc, v80, v103
	s_or_b64 s[12:13], vcc, s[12:13]
	s_andn2_b64 exec, exec, s[12:13]
	s_cbranch_execnz .LBB219_21
.LBB219_22:                             ;   in Loop: Header=BB219_13 Depth=2
	s_or_b64 exec, exec, s[10:11]
	v_add_u32_e32 v82, 0x1000, v124
	ds_read2_b32 v[80:81], v82 offset1:32
	s_waitcnt lgkmcnt(0)
	v_mfma_f32_32x32x16_fp8_fp8 v[48:63], v[100:101], v[80:81], v[48:63]
	ds_read2_b32 v[80:81], v82 offset0:128 offset1:160
	v_add_u32_e32 v82, 0x1400, v124
	s_waitcnt lgkmcnt(0)
	v_mfma_f32_32x32x16_fp8_fp8 v[48:63], v[98:99], v[80:81], v[48:63]
	ds_read2_b32 v[80:81], v82 offset1:32
	s_waitcnt lgkmcnt(0)
	v_mfma_f32_32x32x16_fp8_fp8 v[48:63], v[96:97], v[80:81], v[48:63]
	ds_read2_b32 v[80:81], v82 offset0:128 offset1:160
	v_add_u32_e32 v82, 0x1800, v124
	s_waitcnt lgkmcnt(0)
	v_mfma_f32_32x32x16_fp8_fp8 v[48:63], v[94:95], v[80:81], v[48:63]
	ds_read2_b32 v[80:81], v82 offset1:32
	s_waitcnt lgkmcnt(0)
	v_mfma_f32_32x32x16_fp8_fp8 v[48:63], v[92:93], v[80:81], v[48:63]
	ds_read2_b32 v[80:81], v82 offset0:128 offset1:160
	v_add_u32_e32 v82, 0x1c00, v124
	s_waitcnt lgkmcnt(0)
	v_mfma_f32_32x32x16_fp8_fp8 v[48:63], v[90:91], v[80:81], v[48:63]
	ds_read2_b32 v[80:81], v82 offset1:32
	s_waitcnt lgkmcnt(0)
	v_mfma_f32_32x32x16_fp8_fp8 v[48:63], v[88:89], v[80:81], v[48:63]
	ds_read_b32 v83, v122 offset:28692
	ds_read2_b32 v[80:81], v82 offset0:128 offset1:160
	ds_write_b32 v122, v123 offset:28684
	s_waitcnt lgkmcnt(2)
	v_cmp_ne_u32_e32 vcc, v83, v103
	s_waitcnt lgkmcnt(1)
	v_mfma_f32_32x32x16_fp8_fp8 v[48:63], v[86:87], v[80:81], v[48:63]
	s_and_saveexec_b64 s[10:11], vcc
	s_cbranch_execz .LBB219_25
; %bb.23:                               ;   in Loop: Header=BB219_13 Depth=2
	s_mov_b64 s[12:13], 0
.LBB219_24:                             ;   Parent Loop BB219_7 Depth=1
                                        ;     Parent Loop BB219_13 Depth=2
                                        ; =>    This Inner Loop Header: Depth=3
	;;#ASMSTART
	s_sleep 0
	;;#ASMEND
	ds_read_b32 v80, v122 offset:28692
	s_waitcnt lgkmcnt(0)
	v_cmp_eq_u32_e32 vcc, v80, v103
	s_or_b64 s[12:13], vcc, s[12:13]
	s_andn2_b64 exec, exec, s[12:13]
	s_cbranch_execnz .LBB219_24
.LBB219_25:                             ;   in Loop: Header=BB219_13 Depth=2
	s_or_b64 exec, exec, s[10:11]
	v_add_u32_e32 v82, 0x2000, v124
	ds_read2_b32 v[80:81], v82 offset1:32
	s_waitcnt lgkmcnt(0)
	v_mfma_f32_32x32x16_fp8_fp8 v[32:47], v[100:101], v[80:81], v[32:47]
	ds_read2_b32 v[80:81], v82 offset0:128 offset1:160
	v_add_u32_e32 v82, 0x2400, v124
	s_waitcnt lgkmcnt(0)
	v_mfma_f32_32x32x16_fp8_fp8 v[32:47], v[98:99], v[80:81], v[32:47]
	ds_read2_b32 v[80:81], v82 offset1:32
	s_waitcnt lgkmcnt(0)
	v_mfma_f32_32x32x16_fp8_fp8 v[32:47], v[96:97], v[80:81], v[32:47]
	ds_read2_b32 v[80:81], v82 offset0:128 offset1:160
	v_add_u32_e32 v82, 0x2800, v124
	s_waitcnt lgkmcnt(0)
	v_mfma_f32_32x32x16_fp8_fp8 v[32:47], v[94:95], v[80:81], v[32:47]
	ds_read2_b32 v[80:81], v82 offset1:32
	s_waitcnt lgkmcnt(0)
	v_mfma_f32_32x32x16_fp8_fp8 v[32:47], v[92:93], v[80:81], v[32:47]
	ds_read2_b32 v[80:81], v82 offset0:128 offset1:160
	v_add_u32_e32 v82, 0x2c00, v124
	s_waitcnt lgkmcnt(0)
	v_mfma_f32_32x32x16_fp8_fp8 v[32:47], v[90:91], v[80:81], v[32:47]
	ds_read2_b32 v[80:81], v82 offset1:32
	s_waitcnt lgkmcnt(0)
	v_mfma_f32_32x32x16_fp8_fp8 v[32:47], v[88:89], v[80:81], v[32:47]
	ds_read_b32 v83, v122 offset:28700
	ds_read2_b32 v[80:81], v82 offset0:128 offset1:160
	ds_write_b32 v122, v123 offset:28692
	s_waitcnt lgkmcnt(2)
	v_cmp_ne_u32_e32 vcc, v83, v103
	s_waitcnt lgkmcnt(1)
	;; [unrolled: 50-line block ×3, first 2 shown]
	v_mfma_f32_32x32x16_fp8_fp8 v[16:31], v[86:87], v[80:81], v[16:31]
	s_and_saveexec_b64 s[10:11], vcc
	s_cbranch_execz .LBB219_12
; %bb.29:                               ;   in Loop: Header=BB219_13 Depth=2
	s_mov_b64 s[12:13], 0
.LBB219_30:                             ;   Parent Loop BB219_7 Depth=1
                                        ;     Parent Loop BB219_13 Depth=2
                                        ; =>    This Inner Loop Header: Depth=3
	;;#ASMSTART
	s_sleep 0
	;;#ASMEND
	ds_read_b32 v80, v122 offset:28708
	s_waitcnt lgkmcnt(0)
	v_cmp_eq_u32_e32 vcc, v80, v103
	s_or_b64 s[12:13], vcc, s[12:13]
	s_andn2_b64 exec, exec, s[12:13]
	s_cbranch_execnz .LBB219_30
	s_branch .LBB219_12
.LBB219_31:                             ;   in Loop: Header=BB219_7 Depth=1
	s_or_b64 exec, exec, s[8:9]
.LBB219_32:                             ;   in Loop: Header=BB219_7 Depth=1
	s_or_b64 exec, exec, s[6:7]
	scratch_load_dword v107, off, off offset:40 ; 4-byte Folded Reload
	scratch_load_dword v113, off, off offset:48 ; 4-byte Folded Reload
	scratch_load_dword v117, off, off offset:64 ; 4-byte Folded Reload
	v_cmp_le_i32_e32 vcc, s70, v102
	v_writelane_b32 v127, s47, 27
	s_mul_i32 s6, s47, s25
	s_waitcnt vmcnt(3)
	v_cndmask_b32_e32 v80, 0, v120, vcc
	v_pk_mul_f32 v[64:65], v[80:81], v[64:65] op_sel_hi:[0,1]
	v_pk_mul_f32 v[78:79], v[80:81], v[78:79] op_sel_hi:[0,1]
	;; [unrolled: 1-line block ×8, first 2 shown]
	s_ashr_i32 s7, s6, 31
	s_lshl_b64 s[6:7], s[6:7], 1
	s_add_u32 s71, s20, s6
	s_addc_u32 s72, s21, s7
	s_ashr_i32 s69, s68, 31
	s_mov_b32 s82, s68
	s_lshl_b64 s[68:69], s[68:69], 1
	v_writelane_b32 v127, s82, 28
	s_add_u32 s68, s71, s68
	s_addc_u32 s69, s72, s69
	v_writelane_b32 v127, s83, 29
	v_writelane_b32 v127, s68, 30
	scratch_store_dwordx2 off, v[104:105], off offset:28 ; 8-byte Folded Spill
	v_subrev_u32_e32 v119, s98, v119
	v_writelane_b32 v127, s69, 31
	s_mov_b32 s5, 0
	scratch_load_dword v115, off, off offset:60 ; 4-byte Folded Reload
	s_waitcnt vmcnt(4)
	v_cmp_eq_u32_e64 s[64:65], 1, v107
	s_nop 1
	v_cndmask_b32_e64 v80, v64, v65, s[64:65]
	v_cmp_eq_u32_e64 s[38:39], 2, v107
	v_cmp_eq_u32_e64 s[40:41], 3, v107
	v_cmp_eq_u32_e64 s[42:43], 4, v107
	v_cndmask_b32_e64 v80, v80, v66, s[38:39]
	v_cndmask_b32_e64 v80, v80, v67, s[40:41]
	v_cndmask_b32_e64 v80, v80, v68, s[42:43]
	v_cmp_eq_u32_e64 s[44:45], 5, v107
	v_cmp_eq_u32_e64 s[46:47], 6, v107
	v_cmp_eq_u32_e64 s[48:49], 7, v107
	v_cndmask_b32_e64 v80, v80, v69, s[44:45]
	v_cndmask_b32_e64 v80, v80, v70, s[46:47]
	;; [unrolled: 6-line block ×5, first 2 shown]
	ds_bpermute_b32 v80, v118, v80
	s_waitcnt vmcnt(3)
	v_cmp_eq_u32_e64 s[72:73], 8, v113
	s_waitcnt lgkmcnt(0)
	v_cndmask_b32_e64 v79, v79, v80, s[66:67]
	v_cndmask_b32_e64 v78, v78, v80, s[62:63]
	;; [unrolled: 1-line block ×16, first 2 shown]
	scratch_load_dword v80, off, off offset:44 ; 4-byte Folded Reload
	s_waitcnt vmcnt(0)
	v_cmp_eq_u32_e32 vcc, 1, v80
	s_nop 1
	v_cndmask_b32_e32 v64, v87, v90, vcc
	v_cmp_eq_u32_e64 s[6:7], 2, v80
	v_cmp_eq_u32_e64 s[8:9], 3, v80
	v_cmp_eq_u32_e64 s[10:11], 4, v80
	v_cndmask_b32_e64 v64, v64, v66, s[6:7]
	v_cndmask_b32_e64 v64, v64, v86, s[8:9]
	v_cndmask_b32_e64 v64, v64, v85, s[10:11]
	v_cmp_eq_u32_e64 s[12:13], 5, v80
	v_cmp_eq_u32_e64 s[14:15], 6, v80
	v_cmp_eq_u32_e64 s[16:17], 7, v80
	v_cndmask_b32_e64 v64, v64, v84, s[12:13]
	v_cndmask_b32_e64 v64, v64, v83, s[14:15]
	v_cndmask_b32_e64 v64, v64, v82, s[16:17]
	;; [unrolled: 6-line block ×4, first 2 shown]
	v_cmp_eq_u32_e64 s[80:81], 14, v80
	v_cmp_eq_u32_e64 s[34:35], 15, v80
	s_nop 0
	v_cndmask_b32_e64 v64, v64, v78, s[80:81]
	v_cndmask_b32_e64 v64, v64, v79, s[34:35]
	ds_bpermute_b32 v89, v118, v64
	v_or_b32_e32 v64, 32, v102
	v_cmp_le_i32_e64 s[68:69], s70, v64
	s_waitcnt lgkmcnt(0)
	v_cndmask_b32_e64 v65, v79, v89, s[34:35]
	v_cndmask_b32_e64 v64, 0, v120, s[68:69]
	v_pk_mul_f32 v[62:63], v[64:65], v[62:63] op_sel_hi:[0,1]
	v_pk_mul_f32 v[60:61], v[64:65], v[60:61] op_sel_hi:[0,1]
	;; [unrolled: 1-line block ×8, first 2 shown]
	v_or_b32_e32 v64, 64, v102
	v_cndmask_b32_e64 v79, v66, v89, s[6:7]
	v_cmp_le_i32_e64 s[68:69], s70, v64
	v_or_b32_e32 v66, 0x60, v102
	v_cndmask_b32_e64 v67, v78, v89, s[80:81]
	v_cndmask_b32_e64 v64, 0, v120, s[68:69]
	v_cmp_le_i32_e64 s[68:69], s70, v66
	v_pk_mul_f32 v[32:33], v[64:65], v[32:33] op_sel_hi:[0,1]
	v_cndmask_b32_e64 v70, v75, v89, s[74:75]
	v_cndmask_b32_e64 v66, 0, v120, s[68:69]
	;; [unrolled: 1-line block ×7, first 2 shown]
	v_pk_mul_f32 v[34:35], v[64:65], v[34:35] op_sel_hi:[0,1]
	v_cndmask_b32_e64 v81, v48, v49, s[64:65]
	v_pk_mul_f32 v[82:83], v[66:67], v[28:29] op_sel_hi:[0,1]
	v_cndmask_b32_e64 v28, v32, v33, s[64:65]
	v_cndmask_b32_e64 v81, v81, v50, s[38:39]
	v_cndmask_b32_e64 v28, v28, v34, s[38:39]
	v_pk_mul_f32 v[36:37], v[64:65], v[36:37] op_sel_hi:[0,1]
	v_cndmask_b32_e64 v81, v81, v51, s[40:41]
	v_cndmask_b32_e64 v28, v28, v35, s[40:41]
	v_cndmask_b32_e64 v81, v81, v52, s[42:43]
	v_cndmask_b32_e64 v28, v28, v36, s[42:43]
	v_pk_mul_f32 v[38:39], v[64:65], v[38:39] op_sel_hi:[0,1]
	v_cndmask_b32_e64 v81, v81, v53, s[44:45]
	;; [unrolled: 5-line block ×5, first 2 shown]
	v_cndmask_b32_e64 v28, v28, v43, s[56:57]
	v_cmp_eq_u32_e64 s[68:69], 0, v80
	v_cndmask_b32_e64 v81, v81, v60, s[58:59]
	v_cndmask_b32_e64 v28, v28, v44, s[58:59]
	;; [unrolled: 1-line block ×7, first 2 shown]
	v_cndmask_b32_e32 v86, v90, v89, vcc
	v_cndmask_b32_e64 v87, v87, v89, s[68:69]
	v_or_b32_e32 v89, 0x80, v102
	v_pk_mul_f32 v[46:47], v[64:65], v[46:47] op_sel_hi:[0,1]
	v_cndmask_b32_e64 v81, v81, v61, s[60:61]
	v_cndmask_b32_e64 v28, v28, v45, s[60:61]
	v_cmp_le_i32_e64 s[70:71], s70, v89
	v_cndmask_b32_e64 v81, v81, v62, s[62:63]
	v_cndmask_b32_e64 v28, v28, v46, s[62:63]
	;; [unrolled: 1-line block ×4, first 2 shown]
	v_pk_mul_f32 v[16:17], v[66:67], v[16:17] op_sel_hi:[0,1]
	v_cndmask_b32_e64 v28, v28, v47, s[66:67]
	v_pk_mul_f32 v[18:19], v[66:67], v[18:19] op_sel_hi:[0,1]
	ds_bpermute_b32 v123, v118, v28
	v_cndmask_b32_e64 v28, v16, v17, s[64:65]
	v_pk_mul_f32 v[0:1], v[80:81], v[0:1] op_sel_hi:[0,1]
	v_cndmask_b32_e64 v28, v28, v18, s[38:39]
	v_pk_mul_f32 v[96:97], v[80:81], v[8:9] op_sel_hi:[0,1]
	v_pk_mul_f32 v[2:3], v[80:81], v[2:3] op_sel_hi:[0,1]
	v_cndmask_b32_e64 v9, v0, v1, s[64:65]
	v_pk_mul_f32 v[20:21], v[66:67], v[20:21] op_sel_hi:[0,1]
	v_cndmask_b32_e64 v28, v28, v19, s[40:41]
	v_cndmask_b32_e64 v9, v9, v2, s[38:39]
	v_cndmask_b32_e64 v28, v28, v20, s[42:43]
	v_pk_mul_f32 v[4:5], v[80:81], v[4:5] op_sel_hi:[0,1]
	v_cndmask_b32_e64 v9, v9, v3, s[40:41]
	v_pk_mul_f32 v[22:23], v[66:67], v[22:23] op_sel_hi:[0,1]
	v_cndmask_b32_e64 v28, v28, v21, s[44:45]
	v_cndmask_b32_e64 v9, v9, v4, s[42:43]
	v_cndmask_b32_e64 v28, v28, v22, s[46:47]
	;; [unrolled: 6-line block ×3, first 2 shown]
	v_cndmask_b32_e64 v9, v9, v111, s[48:49]
	v_pk_mul_f32 v[26:27], v[66:67], v[26:27] op_sel_hi:[0,1]
	v_cndmask_b32_e64 v28, v28, v25, s[52:53]
	v_cndmask_b32_e64 v9, v9, v96, s[50:51]
	;; [unrolled: 1-line block ×3, first 2 shown]
	v_pk_mul_f32 v[10:11], v[80:81], v[10:11] op_sel_hi:[0,1]
	v_cndmask_b32_e64 v9, v9, v97, s[52:53]
	v_cndmask_b32_e64 v28, v28, v27, s[56:57]
	;; [unrolled: 1-line block ×4, first 2 shown]
	v_pk_mul_f32 v[12:13], v[80:81], v[12:13] op_sel_hi:[0,1]
	v_cndmask_b32_e64 v9, v9, v11, s[56:57]
	v_pk_mul_f32 v[30:31], v[66:67], v[30:31] op_sel_hi:[0,1]
	v_cndmask_b32_e64 v28, v28, v83, s[60:61]
	v_cndmask_b32_e64 v9, v9, v12, s[58:59]
	;; [unrolled: 1-line block ×3, first 2 shown]
	v_pk_mul_f32 v[14:15], v[80:81], v[14:15] op_sel_hi:[0,1]
	v_cndmask_b32_e64 v9, v9, v13, s[60:61]
	v_cndmask_b32_e64 v28, v28, v31, s[66:67]
	v_cndmask_b32_e64 v9, v9, v14, s[62:63]
	ds_bpermute_b32 v122, v118, v81
	ds_bpermute_b32 v124, v118, v28
	v_cndmask_b32_e64 v9, v9, v15, s[66:67]
	ds_bpermute_b32 v125, v118, v9
	v_cmp_eq_u32_e64 s[70:71], 1, v113
	s_waitcnt lgkmcnt(2)
	v_cndmask_b32_e64 v6, v49, v122, s[64:65]
	v_cndmask_b32_e64 v7, v33, v123, s[64:65]
	v_cndmask_b32_e64 v64, v87, v86, s[70:71]
	s_waitcnt lgkmcnt(1)
	v_cndmask_b32_e64 v8, v17, v124, s[64:65]
	v_cmp_eq_u32_e64 s[64:65], 2, v113
	v_cndmask_b32_e64 v28, v63, v122, s[66:67]
	v_cndmask_b32_e64 v63, v47, v123, s[66:67]
	;; [unrolled: 1-line block ×4, first 2 shown]
	s_waitcnt lgkmcnt(0)
	v_cndmask_b32_e64 v98, v15, v125, s[66:67]
	v_cmp_eq_u32_e64 s[66:67], 3, v113
	v_cndmask_b32_e64 v29, v62, v122, s[62:63]
	v_cndmask_b32_e64 v62, v46, v123, s[62:63]
	v_cndmask_b32_e64 v9, v9, v78, s[66:67]
	v_cndmask_b32_e64 v89, v30, v124, s[62:63]
	v_cndmask_b32_e64 v99, v14, v125, s[62:63]
	v_cmp_eq_u32_e64 s[62:63], 4, v113
	v_cndmask_b32_e64 v30, v61, v122, s[60:61]
	v_cndmask_b32_e64 v61, v45, v123, s[60:61]
	v_cndmask_b32_e64 v9, v9, v77, s[62:63]
	v_cndmask_b32_e64 v90, v83, v124, s[60:61]
	;; [unrolled: 6-line block ×5, first 2 shown]
	v_cndmask_b32_e64 v93, v25, v124, s[52:53]
	v_cndmask_b32_e64 v105, v97, v125, s[52:53]
	v_cmp_eq_u32_e64 s[52:53], 9, v113
	v_cndmask_b32_e64 v46, v56, v122, s[50:51]
	v_cndmask_b32_e64 v81, v40, v123, s[50:51]
	v_cndmask_b32_e64 v9, v9, v72, s[52:53]
	v_cndmask_b32_e64 v94, v24, v124, s[50:51]
	v_cndmask_b32_e64 v106, v96, v125, s[50:51]
	v_cmp_eq_u32_e64 s[50:51], 10, v113
	v_cndmask_b32_e64 v44, v58, v122, s[54:55]
	v_cndmask_b32_e64 v64, v42, v123, s[54:55]
	v_cndmask_b32_e64 v92, v26, v124, s[54:55]
	;; [unrolled: 6-line block ×5, first 2 shown]
	v_cndmask_b32_e64 v84, v36, v123, s[42:43]
	v_cndmask_b32_e64 v97, v20, v124, s[42:43]
	;; [unrolled: 1-line block ×3, first 2 shown]
	v_cmp_eq_u32_e64 s[42:43], 14, v113
	v_cndmask_b32_e64 v36, v51, v122, s[40:41]
	v_cndmask_b32_e64 v37, v35, v123, s[40:41]
	v_cndmask_b32_e64 v4, v5, v67, s[42:43]
	v_cndmask_b32_e64 v52, v19, v124, s[40:41]
	v_cndmask_b32_e64 v53, v3, v125, s[40:41]
	v_cmp_eq_u32_e64 s[40:41], 15, v113
	v_cndmask_b32_e64 v18, v18, v124, s[38:39]
	v_cndmask_b32_e64 v2, v2, v125, s[38:39]
	v_cndmask_b32_e64 v3, v4, v65, s[40:41]
	ds_bpermute_b32 v23, v118, v3
	v_cndmask_b32_e64 v96, v22, v124, s[46:47]
	v_cndmask_b32_e64 v49, v54, v122, s[46:47]
	;; [unrolled: 1-line block ×4, first 2 shown]
	s_waitcnt lgkmcnt(0)
	v_cndmask_b32_e64 v5, v68, v23, s[44:45]
	v_cndmask_b32_e64 v9, v69, v23, s[48:49]
	;; [unrolled: 1-line block ×4, first 2 shown]
	v_cmp_ne_u32_e64 s[38:39], 0, v107
	scratch_load_dword v107, off, off offset:52 ; 4-byte Folded Reload
	v_cndmask_b32_e64 v10, v70, v23, s[54:55]
	v_cndmask_b32_e64 v70, v1, v125, s[38:39]
	v_cmp_eq_u32_e64 s[38:39], 0, v113
	v_cndmask_b32_e64 v3, v65, v23, s[40:41]
	v_cndmask_b32_e64 v4, v67, v23, s[42:43]
	;; [unrolled: 1-line block ×15, first 2 shown]
	v_cndmask_b32_e32 v0, v23, v6, vcc
	v_cndmask_b32_e64 v0, v0, v68, s[6:7]
	v_cndmask_b32_e64 v0, v0, v36, s[8:9]
	;; [unrolled: 1-line block ×14, first 2 shown]
	ds_bpermute_b32 v122, v118, v0
	v_cndmask_b32_e32 v0, v38, v7, vcc
	v_cndmask_b32_e64 v0, v0, v69, s[6:7]
	v_cndmask_b32_e64 v0, v0, v37, s[8:9]
	;; [unrolled: 1-line block ×15, first 2 shown]
	ds_bpermute_b32 v123, v118, v0
	v_cndmask_b32_e32 v0, v54, v8, vcc
	v_cndmask_b32_e64 v0, v0, v18, s[6:7]
	v_cndmask_b32_e64 v0, v0, v52, s[8:9]
	;; [unrolled: 1-line block ×14, first 2 shown]
	ds_bpermute_b32 v124, v118, v0
	v_cndmask_b32_e32 v0, v71, v70, vcc
	v_cndmask_b32_e64 v0, v0, v2, s[6:7]
	v_cndmask_b32_e64 v0, v0, v53, s[8:9]
	;; [unrolled: 1-line block ×14, first 2 shown]
	ds_bpermute_b32 v125, v118, v0
	s_waitcnt lgkmcnt(2)
	v_cndmask_b32_e64 v48, v83, v123, s[14:15]
	scratch_load_dword v83, off, off offset:56 ; 4-byte Folded Reload
	s_waitcnt vmcnt(1)
	v_cmp_eq_u32_e64 s[36:37], 1, v107
	v_cndmask_b32_e64 v24, v28, v122, s[34:35]
	v_cndmask_b32_e64 v39, v63, v123, s[34:35]
	;; [unrolled: 1-line block ×3, first 2 shown]
	s_waitcnt lgkmcnt(1)
	v_cndmask_b32_e64 v55, v85, v124, s[34:35]
	s_waitcnt lgkmcnt(0)
	v_cndmask_b32_e64 v72, v98, v125, s[34:35]
	v_cmp_eq_u32_e64 s[34:35], 2, v107
	v_cmp_eq_u32_e64 s[88:89], 3, v107
	v_cmp_eq_u32_e64 s[92:93], 4, v107
	v_cndmask_b32_e64 v0, v0, v21, s[34:35]
	v_cndmask_b32_e64 v0, v0, v20, s[88:89]
	;; [unrolled: 1-line block ×3, first 2 shown]
	v_cmp_eq_u32_e64 s[94:95], 5, v107
	v_cmp_eq_u32_e64 s[96:97], 6, v107
	v_cndmask_b32_e64 v25, v29, v122, s[80:81]
	v_cndmask_b32_e64 v0, v0, v17, s[94:95]
	v_cndmask_b32_e64 v42, v60, v123, s[76:77]
	v_cndmask_b32_e64 v0, v0, v15, s[96:97]
	v_cndmask_b32_e64 v29, v44, v122, s[22:23]
	v_cndmask_b32_e64 v44, v64, v123, s[22:23]
	v_cndmask_b32_e64 v60, v92, v124, s[22:23]
	v_cndmask_b32_e64 v77, v104, v125, s[22:23]
	v_cmp_eq_u32_e64 s[22:23], 7, v107
	v_cndmask_b32_e64 v28, v33, v122, s[74:75]
	v_cndmask_b32_e64 v43, v43, v123, s[74:75]
	;; [unrolled: 1-line block ×5, first 2 shown]
	v_cmp_eq_u32_e64 s[74:75], 8, v107
	v_cndmask_b32_e64 v40, v62, v123, s[80:81]
	v_cndmask_b32_e64 v27, v31, v122, s[76:77]
	;; [unrolled: 1-line block ×7, first 2 shown]
	v_cmp_eq_u32_e64 s[18:19], 9, v107
	v_cndmask_b32_e64 v32, v47, v122, s[16:17]
	v_cndmask_b32_e64 v47, v82, v123, s[16:17]
	;; [unrolled: 1-line block ×5, first 2 shown]
	v_cmp_eq_u32_e64 s[16:17], 10, v107
	v_cndmask_b32_e64 v33, v49, v122, s[14:15]
	v_cndmask_b32_e64 v64, v96, v124, s[14:15]
	;; [unrolled: 1-line block ×4, first 2 shown]
	v_cmp_eq_u32_e64 s[14:15], 11, v107
	v_cndmask_b32_e64 v56, v89, v124, s[80:81]
	v_cndmask_b32_e64 v34, v111, v122, s[12:13]
	;; [unrolled: 1-line block ×6, first 2 shown]
	v_cmp_eq_u32_e64 s[12:13], 12, v107
	v_cmp_eq_u32_e64 s[84:85], 13, v107
	v_cndmask_b32_e64 v57, v90, v124, s[78:79]
	v_cndmask_b32_e64 v0, v0, v9, s[12:13]
	;; [unrolled: 1-line block ×7, first 2 shown]
	v_cmp_eq_u32_e64 s[10:11], 14, v107
	v_cndmask_b32_e64 v58, v91, v124, s[76:77]
	v_cndmask_b32_e64 v36, v36, v122, s[8:9]
	;; [unrolled: 1-line block ×6, first 2 shown]
	v_cmp_eq_u32_e64 s[8:9], 15, v107
	v_cndmask_b32_e64 v26, v30, v122, s[78:79]
	v_cndmask_b32_e64 v30, v45, v122, s[20:21]
	;; [unrolled: 1-line block ×4, first 2 shown]
	ds_bpermute_b32 v80, v118, v0
	v_cndmask_b32_e64 v92, v2, v125, s[6:7]
	v_cndmask_b32_e64 v37, v68, v122, s[6:7]
	v_cndmask_b32_e32 v53, v7, v123, vcc
	v_cndmask_b32_e64 v38, v38, v123, s[68:69]
	s_waitcnt lgkmcnt(0)
	v_cndmask_b32_e64 v2, v4, v80, s[10:11]
	v_cndmask_b32_e64 v4, v9, v80, s[12:13]
	;; [unrolled: 1-line block ×7, first 2 shown]
	v_cndmask_b32_e32 v19, v6, v122, vcc
	v_cndmask_b32_e64 v20, v23, v122, s[68:69]
	v_cndmask_b32_e64 v6, v20, v19, s[70:71]
	v_cndmask_b32_e64 v6, v6, v37, s[64:65]
	v_cndmask_b32_e64 v6, v6, v36, s[66:67]
	v_cndmask_b32_e64 v6, v6, v35, s[62:63]
	v_cndmask_b32_e64 v6, v6, v34, s[60:61]
	v_cndmask_b32_e64 v6, v6, v33, s[58:59]
	v_cndmask_b32_e64 v6, v6, v32, s[56:57]
	v_cndmask_b32_e64 v6, v6, v31, s[72:73]
	v_cndmask_b32_e64 v6, v6, v30, s[52:53]
	v_cndmask_b32_e64 v6, v6, v29, s[50:51]
	v_cndmask_b32_e64 v6, v6, v28, s[54:55]
	v_cndmask_b32_e64 v6, v6, v27, s[48:49]
	v_cndmask_b32_e64 v6, v6, v26, s[44:45]
	v_cndmask_b32_e64 v6, v6, v25, s[42:43]
	v_cndmask_b32_e64 v6, v6, v24, s[40:41]
	v_cndmask_b32_e64 v41, v61, v123, s[78:79]
	v_cndmask_b32_e64 v61, v93, v124, s[20:21]
	v_cndmask_b32_e64 v52, v69, v123, s[6:7]
	v_cndmask_b32_e32 v93, v70, v125, vcc
	v_cndmask_b32_e64 v70, v54, v124, s[68:69]
	ds_bpermute_b32 v54, v118, v6
	v_cndmask_b32_e64 v6, v38, v53, s[70:71]
	v_cndmask_b32_e64 v6, v6, v52, s[64:65]
	;; [unrolled: 1-line block ×15, first 2 shown]
	v_cndmask_b32_e32 v69, v8, v124, vcc
	v_cmp_eq_u32_e64 s[6:7], 0, v107
	v_cndmask_b32_e64 v6, v6, v39, s[40:41]
	v_cndmask_b32_e64 v0, v3, v80, s[8:9]
	;; [unrolled: 1-line block ×10, first 2 shown]
	ds_bpermute_b32 v80, v118, v6
	v_cndmask_b32_e64 v6, v70, v69, s[70:71]
	v_cndmask_b32_e64 v6, v6, v68, s[64:65]
	;; [unrolled: 1-line block ×16, first 2 shown]
	ds_bpermute_b32 v81, v118, v6
	v_cndmask_b32_e64 v6, v94, v93, s[70:71]
	v_cndmask_b32_e64 v6, v6, v92, s[64:65]
	;; [unrolled: 1-line block ×19, first 2 shown]
	ds_bpermute_b32 v82, v118, v6
	s_waitcnt vmcnt(0)
	v_cmp_eq_u32_e64 s[20:21], 1, v83
	v_cmp_eq_u32_e64 s[46:47], 2, v83
	s_waitcnt lgkmcnt(3)
	v_cndmask_b32_e64 v22, v25, v54, s[42:43]
	v_cndmask_b32_e64 v6, v1, v18, s[20:21]
	s_waitcnt lgkmcnt(0)
	v_cndmask_b32_e64 v95, v72, v82, s[40:41]
	v_cndmask_b32_e64 v6, v6, v17, s[46:47]
	;; [unrolled: 1-line block ×5, first 2 shown]
	v_cmp_eq_u32_e64 s[42:43], 3, v83
	v_cndmask_b32_e64 v21, v24, v54, s[40:41]
	v_cndmask_b32_e64 v39, v39, v80, s[40:41]
	;; [unrolled: 1-line block ×4, first 2 shown]
	v_cmp_eq_u32_e64 s[40:41], 4, v83
	v_cndmask_b32_e64 v97, v74, v82, s[44:45]
	v_cndmask_b32_e64 v24, v27, v54, s[48:49]
	v_cndmask_b32_e64 v6, v6, v15, s[40:41]
	v_cndmask_b32_e64 v42, v42, v80, s[48:49]
	v_cndmask_b32_e64 v74, v58, v81, s[48:49]
	v_cndmask_b32_e64 v98, v75, v82, s[48:49]
	v_cmp_eq_u32_e64 s[48:49], 5, v83
	v_cndmask_b32_e64 v25, v28, v54, s[54:55]
	v_cndmask_b32_e64 v43, v43, v80, s[54:55]
	;; [unrolled: 1-line block ×5, first 2 shown]
	v_cmp_eq_u32_e64 s[54:55], 6, v83
	v_cmp_eq_u32_e64 s[68:69], 7, v83
	;; [unrolled: 1-line block ×3, first 2 shown]
	v_cndmask_b32_e64 v6, v6, v13, s[54:55]
	v_cndmask_b32_e64 v6, v6, v12, s[68:69]
	;; [unrolled: 1-line block ×8, first 2 shown]
	v_cmp_eq_u32_e64 s[72:73], 9, v83
	v_cmp_eq_u32_e64 s[78:79], 10, v83
	;; [unrolled: 1-line block ×3, first 2 shown]
	v_cndmask_b32_e64 v6, v6, v10, s[72:73]
	v_cndmask_b32_e64 v6, v6, v9, s[78:79]
	;; [unrolled: 1-line block ×3, first 2 shown]
	v_cmp_eq_u32_e64 s[82:83], 12, v83
	v_cndmask_b32_e64 v23, v26, v54, s[44:45]
	v_cndmask_b32_e64 v26, v29, v54, s[50:51]
	;; [unrolled: 1-line block ×8, first 2 shown]
	v_cmp_eq_u32_e64 s[62:63], 13, v83
	v_cmp_eq_u32_e64 s[86:87], 14, v83
	;; [unrolled: 1-line block ×3, first 2 shown]
	v_cndmask_b32_e64 v6, v6, v3, s[62:63]
	v_cndmask_b32_e64 v6, v6, v2, s[86:87]
	;; [unrolled: 1-line block ×6, first 2 shown]
	ds_bpermute_b32 v36, v118, v6
	v_cndmask_b32_e64 v35, v19, v54, s[70:71]
	v_cndmask_b32_e64 v20, v20, v54, s[38:39]
	;; [unrolled: 1-line block ×4, first 2 shown]
	s_waitcnt lgkmcnt(0)
	v_cndmask_b32_e64 v7, v10, v36, s[72:73]
	v_cndmask_b32_e64 v10, v13, v36, s[54:55]
	;; [unrolled: 1-line block ×21, first 2 shown]
	ds_bpermute_b32 v112, v118, v16
	v_cndmask_b32_e64 v16, v54, v53, s[36:37]
	v_cndmask_b32_e64 v51, v51, v80, s[66:67]
	;; [unrolled: 1-line block ×25, first 2 shown]
	ds_bpermute_b32 v113, v118, v16
	v_cndmask_b32_e64 v16, v70, v69, s[36:37]
	v_cndmask_b32_e64 v67, v67, v81, s[66:67]
	;; [unrolled: 1-line block ×26, first 2 shown]
	ds_bpermute_b32 v114, v118, v16
	v_cndmask_b32_e64 v16, v126, v125, s[36:37]
	v_cndmask_b32_e64 v123, v91, v82, s[66:67]
	;; [unrolled: 1-line block ×19, first 2 shown]
	ds_bpermute_b32 v107, v118, v16
	v_cmp_eq_u32_e64 s[50:51], 0, v83
	v_cndmask_b32_e64 v6, v9, v36, s[78:79]
	v_cndmask_b32_e64 v9, v12, v36, s[68:69]
	;; [unrolled: 1-line block ×5, first 2 shown]
	v_cmp_eq_u32_e32 vcc, 1, v115
	v_cndmask_b32_e64 v8, v11, v36, s[76:77]
	v_cndmask_b32_e64 v11, v14, v36, s[48:49]
	v_cndmask_b32_e64 v14, v17, v36, s[46:47]
	v_cndmask_b32_e32 v16, v1, v15, vcc
	s_waitcnt lgkmcnt(3)
	v_cndmask_b32_e64 v21, v21, v112, s[8:9]
	s_waitcnt lgkmcnt(2)
	v_cndmask_b32_e64 v55, v39, v113, s[8:9]
	;; [unrolled: 2-line block ×4, first 2 shown]
	v_cmp_eq_u32_e64 s[8:9], 2, v115
	v_cndmask_b32_e64 v0, v0, v36, s[90:91]
	v_cndmask_b32_e64 v2, v2, v36, s[86:87]
	v_cndmask_b32_e64 v3, v3, v36, s[62:63]
	v_cndmask_b32_e64 v4, v4, v36, s[82:83]
	v_cndmask_b32_e64 v5, v5, v36, s[80:81]
	v_cndmask_b32_e64 v16, v16, v14, s[8:9]
	v_cndmask_b32_e64 v36, v22, v112, s[10:11]
	v_cndmask_b32_e64 v56, v40, v113, s[10:11]
	v_cndmask_b32_e64 v72, v72, v114, s[10:11]
	v_cndmask_b32_e64 v85, v96, v107, s[10:11]
	v_cmp_eq_u32_e64 s[10:11], 3, v115
	v_cmp_eq_u32_e64 s[44:45], 4, v115
	;; [unrolled: 1-line block ×3, first 2 shown]
	v_cndmask_b32_e64 v16, v16, v13, s[10:11]
	v_cndmask_b32_e64 v16, v16, v12, s[44:45]
	;; [unrolled: 1-line block ×3, first 2 shown]
	v_cmp_eq_u32_e64 s[56:57], 6, v115
	v_cmp_eq_u32_e64 s[58:59], 7, v115
	;; [unrolled: 1-line block ×3, first 2 shown]
	v_cndmask_b32_e64 v16, v16, v10, s[56:57]
	v_cndmask_b32_e64 v16, v16, v9, s[58:59]
	;; [unrolled: 1-line block ×3, first 2 shown]
	v_cmp_eq_u32_e64 s[64:65], 9, v115
	v_cmp_eq_u32_e64 s[70:71], 10, v115
	v_cndmask_b32_e64 v28, v28, v112, s[74:75]
	v_cndmask_b32_e64 v16, v16, v7, s[64:65]
	;; [unrolled: 1-line block ×6, first 2 shown]
	v_cmp_eq_u32_e64 s[74:75], 11, v115
	v_cmp_eq_u32_e64 s[66:67], 12, v115
	v_cndmask_b32_e64 v37, v23, v112, s[84:85]
	v_cndmask_b32_e64 v16, v16, v5, s[74:75]
	;; [unrolled: 1-line block ×6, first 2 shown]
	v_cmp_eq_u32_e64 s[84:85], 13, v115
	v_cndmask_b32_e64 v33, v33, v112, s[88:89]
	v_cndmask_b32_e64 v51, v51, v113, s[88:89]
	;; [unrolled: 1-line block ×5, first 2 shown]
	v_cmp_eq_u32_e64 s[88:89], 14, v115
	v_cndmask_b32_e64 v32, v32, v112, s[92:93]
	v_cndmask_b32_e64 v50, v50, v113, s[92:93]
	;; [unrolled: 1-line block ×5, first 2 shown]
	v_cmp_eq_u32_e64 s[92:93], 15, v115
	v_cndmask_b32_e64 v41, v27, v112, s[18:19]
	v_cndmask_b32_e64 v58, v42, v113, s[12:13]
	;; [unrolled: 1-line block ×3, first 2 shown]
	ds_bpermute_b32 v27, v118, v16
	v_cndmask_b32_e64 v31, v31, v112, s[94:95]
	v_cndmask_b32_e64 v49, v49, v113, s[94:95]
	;; [unrolled: 1-line block ×5, first 2 shown]
	v_cmp_eq_u32_e64 s[94:95], 0, v115
	v_cndmask_b32_e64 v42, v20, v112, s[6:7]
	v_cndmask_b32_e64 v38, v24, v112, s[12:13]
	;; [unrolled: 1-line block ×5, first 2 shown]
	s_waitcnt lgkmcnt(0)
	v_cndmask_b32_e64 v0, v0, v27, s[92:93]
	v_cndmask_b32_e64 v2, v2, v27, s[88:89]
	;; [unrolled: 1-line block ×14, first 2 shown]
	v_cndmask_b32_e32 v15, v15, v27, vcc
	v_cndmask_b32_e64 v27, v1, v27, s[94:95]
	v_cndmask_b32_e64 v1, v42, v35, s[20:21]
	;; [unrolled: 1-line block ×31, first 2 shown]
	ds_bpermute_b32 v107, v118, v1
	v_cndmask_b32_e64 v1, v65, v64, s[20:21]
	v_cndmask_b32_e64 v1, v1, v52, s[46:47]
	;; [unrolled: 1-line block ×23, first 2 shown]
	ds_bpermute_b32 v113, v118, v1
	v_cndmask_b32_e64 v1, v96, v95, s[20:21]
	v_cndmask_b32_e64 v1, v1, v94, s[46:47]
	;; [unrolled: 1-line block ×20, first 2 shown]
	ds_bpermute_b32 v114, v118, v1
	v_cndmask_b32_e64 v1, v126, v125, s[20:21]
	v_cndmask_b32_e64 v1, v1, v111, s[46:47]
	v_cndmask_b32_e64 v1, v1, v110, s[42:43]
	v_cndmask_b32_e64 v1, v1, v109, s[40:41]
	v_cndmask_b32_e64 v1, v1, v108, s[48:49]
	v_cndmask_b32_e64 v1, v1, v106, s[54:55]
	v_cndmask_b32_e64 v1, v1, v105, s[68:69]
	v_cndmask_b32_e64 v1, v1, v104, s[76:77]
	v_cndmask_b32_e64 v1, v1, v102, s[72:73]
	v_cndmask_b32_e64 v1, v1, v83, s[78:79]
	v_cndmask_b32_e64 v1, v1, v82, s[80:81]
	v_cndmask_b32_e64 v1, v1, v81, s[82:83]
	v_cndmask_b32_e64 v1, v1, v80, s[62:63]
	v_cndmask_b32_e64 v1, v1, v85, s[86:87]
	v_cmp_eq_u32_e64 s[6:7], 1, v117
	v_cndmask_b32_e64 v1, v1, v84, s[90:91]
	ds_bpermute_b32 v115, v118, v1
	v_cndmask_b32_e64 v1, v27, v15, s[6:7]
	v_cmp_eq_u32_e64 s[12:13], 2, v117
	v_cmp_eq_u32_e64 s[14:15], 3, v117
	;; [unrolled: 1-line block ×3, first 2 shown]
	v_cndmask_b32_e64 v1, v1, v14, s[12:13]
	v_cndmask_b32_e64 v1, v1, v13, s[14:15]
	;; [unrolled: 1-line block ×3, first 2 shown]
	v_cmp_eq_u32_e64 s[18:19], 5, v117
	v_cmp_eq_u32_e64 s[22:23], 6, v117
	s_waitcnt lgkmcnt(3)
	v_cndmask_b32_e64 v53, v40, v107, s[78:79]
	v_cndmask_b32_e64 v1, v1, v26, s[18:19]
	;; [unrolled: 1-line block ×3, first 2 shown]
	s_waitcnt lgkmcnt(2)
	v_cndmask_b32_e64 v78, v60, v113, s[78:79]
	s_waitcnt lgkmcnt(1)
	v_cndmask_b32_e64 v120, v76, v114, s[78:79]
	;; [unrolled: 2-line block ×3, first 2 shown]
	v_cmp_eq_u32_e64 s[78:79], 7, v117
	v_cndmask_b32_e64 v54, v41, v107, s[72:73]
	v_cndmask_b32_e64 v61, v61, v113, s[72:73]
	;; [unrolled: 1-line block ×5, first 2 shown]
	v_cmp_eq_u32_e64 s[72:73], 8, v117
	v_cndmask_b32_e64 v66, v55, v113, s[90:91]
	v_cndmask_b32_e64 v55, v28, v107, s[76:77]
	;; [unrolled: 1-line block ×6, first 2 shown]
	v_cmp_eq_u32_e64 s[76:77], 9, v117
	v_cmp_eq_u32_e64 s[34:35], 10, v117
	;; [unrolled: 1-line block ×3, first 2 shown]
	v_cndmask_b32_e64 v1, v1, v22, s[76:77]
	v_cndmask_b32_e64 v1, v1, v19, s[34:35]
	v_cndmask_b32_e64 v1, v1, v18, s[36:37]
	v_cmp_eq_u32_e64 s[38:39], 12, v117
	v_cndmask_b32_e64 v97, v71, v114, s[90:91]
	v_cndmask_b32_e64 v98, v72, v114, s[86:87]
	v_cndmask_b32_e64 v87, v63, v113, s[68:69]
	v_cndmask_b32_e64 v1, v1, v17, s[38:39]
	v_cndmask_b32_e64 v112, v32, v107, s[40:41]
	v_cndmask_b32_e64 v63, v50, v113, s[40:41]
	v_cndmask_b32_e64 v71, v92, v114, s[40:41]
	v_cndmask_b32_e64 v72, v109, v115, s[40:41]
	v_cmp_eq_u32_e64 s[40:41], 13, v117
	v_cndmask_b32_e64 v68, v57, v113, s[62:63]
	v_cndmask_b32_e64 v100, v74, v114, s[82:83]
	v_cndmask_b32_e64 v57, v30, v107, s[54:55]
	v_cndmask_b32_e64 v1, v1, v16, s[40:41]
	v_cndmask_b32_e64 v74, v33, v107, s[42:43]
	;; [unrolled: 9-line block ×3, first 2 shown]
	v_cmp_eq_u32_e64 s[46:47], 15, v117
	v_cndmask_b32_e64 v43, v21, v107, s[90:91]
	v_cndmask_b32_e64 v67, v56, v113, s[86:87]
	;; [unrolled: 1-line block ×3, first 2 shown]
	ds_bpermute_b32 v28, v118, v1
	v_cndmask_b32_e64 v56, v29, v107, s[68:69]
	v_cndmask_b32_e64 v69, v58, v113, s[82:83]
	v_cndmask_b32_e64 v58, v31, v107, s[48:49]
	v_cndmask_b32_e64 v47, v39, v107, s[80:81]
	s_waitcnt lgkmcnt(0)
	v_cndmask_b32_e64 v11, v17, v28, s[38:39]
	v_cndmask_b32_e64 v17, v14, v28, s[12:13]
	;; [unrolled: 1-line block ×3, first 2 shown]
	scratch_load_dword v95, off, off offset:68 ; 4-byte Folded Reload
	v_cndmask_b32_e64 v9, v2, v28, s[42:43]
	v_cndmask_b32_e64 v20, v18, v28, s[36:37]
	;; [unrolled: 1-line block ×8, first 2 shown]
	v_cmp_eq_u32_e64 s[20:21], 0, v117
	v_cndmask_b32_e64 v8, v0, v28, s[46:47]
	v_cndmask_b32_e64 v10, v16, v28, s[40:41]
	;; [unrolled: 1-line block ×10, first 2 shown]
	v_cndmask_b32_e32 v29, v28, v12, vcc
	v_cndmask_b32_e64 v29, v29, v3, s[8:9]
	v_cndmask_b32_e64 v29, v29, v74, s[10:11]
	;; [unrolled: 1-line block ×19, first 2 shown]
	ds_bpermute_b32 v42, v118, v29
	v_cndmask_b32_e32 v29, v16, v13, vcc
	v_cndmask_b32_e32 v32, v27, v15, vcc
	v_cndmask_b32_e64 v29, v29, v4, s[8:9]
	v_cndmask_b32_e64 v32, v32, v7, s[8:9]
	;; [unrolled: 1-line block ×13, first 2 shown]
	v_cndmask_b32_e32 v31, v19, v14, vcc
	v_cndmask_b32_e64 v32, v32, v108, s[52:53]
	v_cndmask_b32_e64 v105, v105, v115, s[68:69]
	;; [unrolled: 1-line block ×42, first 2 shown]
	ds_bpermute_b32 v29, v118, v29
	v_cndmask_b32_e64 v31, v31, v100, s[66:67]
	ds_bpermute_b32 v40, v118, v32
	v_cndmask_b32_e64 v31, v31, v99, s[84:85]
	v_cndmask_b32_e64 v31, v31, v98, s[88:89]
	;; [unrolled: 1-line block ×3, first 2 shown]
	ds_bpermute_b32 v31, v118, v31
	s_waitcnt lgkmcnt(2)
	v_cndmask_b32_e64 v37, v67, v29, s[88:89]
	v_cndmask_b32_e64 v38, v68, v29, s[84:85]
	s_waitcnt lgkmcnt(1)
	v_cndmask_b32_e64 v67, v104, v40, s[60:61]
	v_cndmask_b32_e64 v68, v105, v40, s[58:59]
	scratch_load_dwordx2 v[104:105], off, off offset:28 ; 8-byte Folded Reload
	s_waitcnt vmcnt(1)
	v_cmp_eq_u32_e64 s[48:49], 1, v95
	v_cmp_eq_u32_e64 s[50:51], 2, v95
	;; [unrolled: 1-line block ×3, first 2 shown]
	v_cndmask_b32_e64 v33, v0, v18, s[48:49]
	v_cndmask_b32_e64 v34, v33, v17, s[50:51]
	;; [unrolled: 1-line block ×3, first 2 shown]
	v_cmp_eq_u32_e64 s[62:63], 4, v95
	v_cndmask_b32_e64 v75, v46, v42, s[66:67]
	v_cndmask_b32_e64 v39, v69, v29, s[66:67]
	;; [unrolled: 1-line block ×3, first 2 shown]
	s_waitcnt lgkmcnt(0)
	v_cndmask_b32_e64 v35, v100, v31, s[66:67]
	v_cndmask_b32_e64 v51, v81, v40, s[66:67]
	v_cmp_eq_u32_e64 s[66:67], 5, v95
	v_cndmask_b32_e64 v59, v43, v42, s[92:93]
	v_cmp_eq_u32_e64 s[68:69], 6, v95
	v_cndmask_b32_e64 v43, v41, v26, s[66:67]
	v_cndmask_b32_e64 v62, v44, v42, s[88:89]
	;; [unrolled: 1-line block ×7, first 2 shown]
	v_cmp_eq_u32_e64 s[70:71], 7, v95
	v_cndmask_b32_e64 v36, v66, v29, s[92:93]
	v_cndmask_b32_e64 v73, v45, v42, s[84:85]
	;; [unrolled: 1-line block ×7, first 2 shown]
	v_cmp_eq_u32_e64 s[64:65], 8, v95
	v_cndmask_b32_e64 v79, v55, v42, s[60:61]
	v_cndmask_b32_e64 v55, v122, v31, s[60:61]
	v_cndmask_b32_e64 v46, v45, v23, s[64:65]
	v_cndmask_b32_e64 v45, v86, v29, s[60:61]
	v_cmp_eq_u32_e64 s[60:61], 9, v95
	v_cndmask_b32_e64 v76, v47, v42, s[74:75]
	v_cndmask_b32_e64 v86, v56, v42, s[58:59]
	v_cndmask_b32_e64 v47, v46, v22, s[60:61]
	v_cndmask_b32_e64 v46, v87, v29, s[58:59]
	v_cndmask_b32_e64 v56, v123, v31, s[58:59]
	v_cmp_eq_u32_e64 s[58:59], 10, v95
	v_cndmask_b32_e64 v87, v57, v42, s[56:57]
	;; [unrolled: 6-line block ×3, first 2 shown]
	v_cndmask_b32_e64 v41, v70, v29, s[74:75]
	v_cndmask_b32_e64 v81, v61, v20, s[56:57]
	v_cndmask_b32_e64 v80, v58, v42, s[52:53]
	v_cndmask_b32_e64 v61, v90, v29, s[52:53]
	v_cndmask_b32_e64 v58, v91, v31, s[52:53]
	v_cndmask_b32_e64 v70, v108, v40, s[52:53]
	v_cmp_eq_u32_e64 s[52:53], 12, v95
	v_cndmask_b32_e64 v64, v82, v40, s[74:75]
	v_cndmask_b32_e64 v82, v112, v42, s[44:45]
	v_cndmask_b32_e64 v83, v81, v11, s[52:53]
	v_cndmask_b32_e64 v81, v63, v29, s[44:45]
	v_cndmask_b32_e64 v63, v71, v31, s[44:45]
	v_cndmask_b32_e64 v71, v72, v40, s[44:45]
	v_cmp_eq_u32_e64 s[44:45], 13, v95
	;; [unrolled: 7-line block ×4, first 2 shown]
	v_cndmask_b32_e32 v91, v12, v42, vcc
	v_cndmask_b32_e32 v92, v13, v29, vcc
	v_cndmask_b32_e64 v3, v6, v8, s[8:9]
	ds_bpermute_b32 v90, v118, v3
	v_cndmask_b32_e32 v94, v15, v40, vcc
	v_cndmask_b32_e32 v93, v14, v31, vcc
	v_cndmask_b32_e64 v16, v16, v29, s[94:95]
	v_cndmask_b32_e64 v32, v97, v31, s[92:93]
	s_waitcnt lgkmcnt(0)
	v_cndmask_b32_e64 v12, v11, v90, s[52:53]
	v_cndmask_b32_e64 v11, v20, v90, s[56:57]
	;; [unrolled: 1-line block ×20, first 2 shown]
	ds_bpermute_b32 v21, v118, v3
	v_cndmask_b32_e64 v3, v2, v90, s[54:55]
	v_cndmask_b32_e64 v2, v17, v90, s[50:51]
	;; [unrolled: 1-line block ×4, first 2 shown]
	s_waitcnt lgkmcnt(0)
	v_cndmask_b32_e64 v17, v59, v21, s[46:47]
	v_cndmask_b32_e64 v42, v78, v21, s[76:77]
	;; [unrolled: 1-line block ×37, first 2 shown]
	ds_bpermute_b32 v80, v118, v20
	v_cndmask_b32_e64 v33, v98, v31, s[88:89]
	v_cndmask_b32_e64 v34, v99, v31, s[84:85]
	;; [unrolled: 1-line block ×4, first 2 shown]
	s_waitcnt lgkmcnt(0)
	v_cndmask_b32_e64 v31, v17, v80, s[8:9]
	v_cndmask_b32_e64 v17, v16, v92, s[6:7]
	;; [unrolled: 1-line block ×16, first 2 shown]
	ds_bpermute_b32 v17, v118, v17
	v_cndmask_b32_e64 v20, v76, v80, s[62:63]
	v_cndmask_b32_e64 v21, v75, v80, s[66:67]
	;; [unrolled: 1-line block ×4, first 2 shown]
	s_waitcnt lgkmcnt(0)
	v_cndmask_b32_e64 v76, v81, v17, s[16:17]
	v_cndmask_b32_e64 v81, v83, v17, s[12:13]
	;; [unrolled: 1-line block ×35, first 2 shown]
	v_cmp_eq_u32_e32 vcc, 0, v95
	v_cndmask_b32_e64 v16, v16, v36, s[8:9]
	v_cndmask_b32_e64 v5, v26, v90, s[66:67]
	v_cndmask_b32_e32 v0, v0, v90, vcc
	ds_bpermute_b32 v90, v118, v16
	v_cndmask_b32_e64 v26, v25, v80, s[58:59]
	v_cndmask_b32_e64 v25, v42, v80, s[60:61]
	;; [unrolled: 1-line block ×4, first 2 shown]
	s_waitcnt lgkmcnt(0)
	v_cndmask_b32_e64 v47, v36, v90, s[8:9]
	v_cndmask_b32_e64 v36, v82, v93, s[6:7]
	;; [unrolled: 1-line block ×18, first 2 shown]
	ds_bpermute_b32 v59, v118, v36
	v_cndmask_b32_e64 v18, v77, v80, s[50:51]
	v_cndmask_b32_e64 v17, v78, v80, s[48:49]
	v_cndmask_b32_e32 v16, v79, v80, vcc
	v_cndmask_b32_e64 v46, v37, v90, s[10:11]
	s_waitcnt lgkmcnt(0)
	v_cndmask_b32_e64 v80, v93, v59, s[6:7]
	v_cndmask_b32_e64 v82, v82, v59, s[20:21]
	;; [unrolled: 1-line block ×39, first 2 shown]
	ds_bpermute_b32 v85, v118, v32
	v_cndmask_b32_e64 v35, v60, v90, s[54:55]
	v_cndmask_b32_e64 v34, v81, v90, s[50:51]
	v_cndmask_b32_e64 v33, v83, v90, s[48:49]
	v_cndmask_b32_e32 v32, v87, v90, vcc
	s_waitcnt lgkmcnt(0)
	v_cndmask_b32_e64 v59, v52, v85, s[56:57]
	v_cndmask_b32_e64 v52, v86, v94, s[6:7]
	;; [unrolled: 1-line block ×18, first 2 shown]
	ds_bpermute_b32 v73, v118, v52
	v_cndmask_b32_e64 v60, v74, v85, s[52:53]
	v_cndmask_b32_e64 v57, v54, v85, s[60:61]
	;; [unrolled: 1-line block ×4, first 2 shown]
	s_waitcnt lgkmcnt(0)
	v_cndmask_b32_e64 v90, v94, v73, s[6:7]
	v_cndmask_b32_e64 v86, v86, v73, s[20:21]
	v_cndmask_b32_e64 v74, v48, v73, s[46:47]
	v_cndmask_b32_e64 v89, v89, v73, s[12:13]
	v_cndmask_b32_e64 v48, v86, v90, s[48:49]
	v_cndmask_b32_e64 v84, v84, v73, s[14:15]
	v_cndmask_b32_e64 v48, v48, v89, s[50:51]
	v_cndmask_b32_e64 v87, v71, v73, s[16:17]
	v_cndmask_b32_e64 v48, v48, v84, s[54:55]
	v_cndmask_b32_e64 v83, v70, v73, s[18:19]
	v_cndmask_b32_e64 v48, v48, v87, s[62:63]
	v_cndmask_b32_e64 v69, v69, v73, s[22:23]
	v_cndmask_b32_e64 v48, v48, v83, s[66:67]
	v_cndmask_b32_e64 v68, v68, v73, s[78:79]
	v_cndmask_b32_e64 v48, v48, v69, s[68:69]
	v_cndmask_b32_e64 v67, v67, v73, s[72:73]
	v_cndmask_b32_e64 v48, v48, v68, s[70:71]
	v_cndmask_b32_e64 v66, v66, v73, s[76:77]
	v_cndmask_b32_e64 v48, v48, v67, s[64:65]
	v_cndmask_b32_e64 v65, v65, v73, s[34:35]
	v_cndmask_b32_e64 v48, v48, v66, s[60:61]
	v_cndmask_b32_e64 v64, v64, v73, s[36:37]
	v_cndmask_b32_e64 v48, v48, v65, s[58:59]
	v_cndmask_b32_e64 v81, v51, v73, s[38:39]
	v_cndmask_b32_e64 v48, v48, v64, s[56:57]
	v_cndmask_b32_e64 v76, v50, v73, s[40:41]
	v_cndmask_b32_e64 v48, v48, v81, s[52:53]
	v_cndmask_b32_e64 v55, v75, v85, s[70:71]
	v_cndmask_b32_e64 v75, v49, v73, s[42:43]
	v_cndmask_b32_e64 v48, v48, v76, s[44:45]
	v_cndmask_b32_e64 v48, v48, v75, s[10:11]
	v_cndmask_b32_e64 v48, v48, v74, s[8:9]
	ds_bpermute_b32 v91, v118, v48
	v_readlane_b32 s6, v127, 30
	v_readlane_b32 s7, v127, 31
	;; [unrolled: 1-line block ×5, first 2 shown]
	v_cndmask_b32_e64 v62, v62, v85, s[10:11]
	v_cndmask_b32_e64 v58, v53, v85, s[58:59]
	v_cndmask_b32_e64 v53, v77, v85, s[66:67]
	v_cndmask_b32_e64 v52, v78, v85, s[62:63]
	v_cndmask_b32_e64 v51, v72, v85, s[54:55]
	v_cndmask_b32_e64 v50, v79, v85, s[50:51]
	v_cndmask_b32_e64 v49, v80, v85, s[48:49]
	v_cndmask_b32_e32 v48, v82, v85, vcc
	s_waitcnt lgkmcnt(0)
	v_cndmask_b32_e64 v79, v74, v91, s[8:9]
	v_cndmask_b32_e64 v78, v75, v91, s[10:11]
	;; [unrolled: 1-line block ×15, first 2 shown]
	v_cndmask_b32_e32 v64, v86, v91, vcc
	s_waitcnt vmcnt(0)
	v_lshl_add_u64 v[86:87], s[6:7], 0, v[104:105]
	s_mov_b64 s[6:7], 0
	s_mov_b32 s12, 0
	v_readlane_b32 s35, v127, 11
	v_readlane_b32 s37, v127, 13
	;; [unrolled: 1-line block ×10, first 2 shown]
                                        ; implicit-def: $sgpr8_sgpr9
	s_branch .LBB219_34
.LBB219_33:                             ;   in Loop: Header=BB219_34 Depth=2
	s_or_b64 exec, exec, s[10:11]
	s_and_b64 s[10:11], exec, s[8:9]
	s_or_b64 s[6:7], s[10:11], s[6:7]
	s_andn2_b64 exec, exec, s[6:7]
	s_cbranch_execz .LBB219_36
.LBB219_34:                             ;   Parent Loop BB219_7 Depth=1
                                        ; =>  This Inner Loop Header: Depth=2
	scratch_load_dword v80, off, off offset:4 ; 4-byte Folded Reload
	s_and_b32 s10, s12, 2
	s_and_b32 s11, s5, 24
	s_or_b32 s10, s11, s10
	s_or_b64 s[8:9], s[8:9], exec
	s_waitcnt vmcnt(0)
	v_or_b32_e32 v80, s10, v80
	v_add_u32_e32 v81, s99, v80
	v_cmp_gt_u32_e32 vcc, 32, v81
	s_and_saveexec_b64 s[10:11], vcc
	s_cbranch_execz .LBB219_33
; %bb.35:                               ;   in Loop: Header=BB219_34 Depth=2
	s_add_i32 s13, s12, 1
	s_set_gpr_idx_on s12, gpr_idx(SRC0)
	v_mov_b32_e32 v81, v0
	s_set_gpr_idx_off
	v_cvt_f16_f32_e32 v82, v81
	s_set_gpr_idx_on s13, gpr_idx(SRC0)
	v_mov_b32_e32 v81, v0
	s_set_gpr_idx_off
	v_cvt_f16_f32_sdwa v83, v81 dst_sel:WORD_1 dst_unused:UNUSED_PAD src0_sel:DWORD
	v_mul_lo_u32 v80, v80, s25
	v_ashrrev_i32_e32 v81, 31, v80
	v_lshl_add_u64 v[80:81], v[80:81], 1, v[86:87]
	v_or_b32_e32 v82, v83, v82
	;;#ASMSTART
	global_atomic_pk_add_f16 v[80:81], v82, off
	
	;;#ASMEND
	s_set_gpr_idx_on s12, gpr_idx(SRC0)
	v_mov_b32_e32 v82, v16
	s_set_gpr_idx_off
	v_cvt_f16_f32_e32 v84, v82
	s_set_gpr_idx_on s13, gpr_idx(SRC0)
	v_mov_b32_e32 v82, v16
	s_set_gpr_idx_off
	v_cvt_f16_f32_sdwa v85, v82 dst_sel:WORD_1 dst_unused:UNUSED_PAD src0_sel:DWORD
	v_lshl_add_u64 v[82:83], v[80:81], 0, 64
	s_mov_b64 s[14:15], 0x80
	s_add_i32 s5, s5, 4
	v_or_b32_e32 v84, v85, v84
	;;#ASMSTART
	global_atomic_pk_add_f16 v[82:83], v84, off
	
	;;#ASMEND
	s_set_gpr_idx_on s12, gpr_idx(SRC0)
	v_mov_b32_e32 v82, v32
	s_set_gpr_idx_off
	v_cvt_f16_f32_e32 v84, v82
	s_set_gpr_idx_on s13, gpr_idx(SRC0)
	v_mov_b32_e32 v82, v32
	s_set_gpr_idx_off
	v_cvt_f16_f32_sdwa v85, v82 dst_sel:WORD_1 dst_unused:UNUSED_PAD src0_sel:DWORD
	v_lshl_add_u64 v[82:83], v[80:81], 0, s[14:15]
	s_mov_b64 s[14:15], 0xc0
	v_or_b32_e32 v84, v85, v84
	;;#ASMSTART
	global_atomic_pk_add_f16 v[82:83], v84, off
	
	;;#ASMEND
	s_set_gpr_idx_on s12, gpr_idx(SRC0)
	v_mov_b32_e32 v82, v48
	s_set_gpr_idx_off
	v_cvt_f16_f32_e32 v84, v82
	s_set_gpr_idx_on s13, gpr_idx(SRC0)
	v_mov_b32_e32 v82, v48
	s_set_gpr_idx_off
	v_cvt_f16_f32_sdwa v85, v82 dst_sel:WORD_1 dst_unused:UNUSED_PAD src0_sel:DWORD
	v_lshl_add_u64 v[82:83], v[80:81], 0, s[14:15]
	s_mov_b64 s[14:15], 0x100
	v_lshl_add_u64 v[80:81], v[80:81], 0, s[14:15]
	v_or_b32_e32 v84, v85, v84
	;;#ASMSTART
	global_atomic_pk_add_f16 v[82:83], v84, off
	
	;;#ASMEND
	s_set_gpr_idx_on s12, gpr_idx(SRC0)
	v_mov_b32_e32 v82, v64
	s_set_gpr_idx_off
	v_cvt_f16_f32_e32 v82, v82
	s_set_gpr_idx_on s13, gpr_idx(SRC0)
	v_mov_b32_e32 v83, v64
	s_set_gpr_idx_off
	s_add_i32 s12, s12, 2
	v_cvt_f16_f32_sdwa v83, v83 dst_sel:WORD_1 dst_unused:UNUSED_PAD src0_sel:DWORD
	s_cmp_eq_u32 s12, 16
	s_cselect_b64 s[14:15], -1, 0
	s_andn2_b64 s[8:9], s[8:9], exec
	s_and_b64 s[14:15], s[14:15], exec
	s_or_b64 s[8:9], s[8:9], s[14:15]
	v_or_b32_e32 v82, v83, v82
	;;#ASMSTART
	global_atomic_pk_add_f16 v[80:81], v82, off
	
	;;#ASMEND
	s_branch .LBB219_33
.LBB219_36:                             ;   in Loop: Header=BB219_7 Depth=1
	s_or_b64 exec, exec, s[6:7]
	scratch_load_dword v102, off, off offset:36 ; 4-byte Folded Reload
	v_readlane_b32 s16, v127, 2
	v_readlane_b32 s14, v127, 0
	;; [unrolled: 1-line block ×13, first 2 shown]
.LBB219_37:                             ;   in Loop: Header=BB219_7 Depth=1
	v_readlane_b32 s6, v127, 25
	v_readlane_b32 s7, v127, 26
	s_or_b64 exec, exec, s[6:7]
.LBB219_38:                             ;   in Loop: Header=BB219_7 Depth=1
	s_or_saveexec_b64 s[0:1], s[0:1]
	v_readlane_b32 s48, v127, 23
	s_mov_b32 s13, s4
	v_readlane_b32 s49, v127, 24
	s_xor_b64 exec, exec, s[0:1]
	s_cbranch_execz .LBB219_47
; %bb.39:                               ;   in Loop: Header=BB219_7 Depth=1
	s_mul_i32 s12, s98, 5
	v_cmp_gt_i32_e32 vcc, s12, v119
	s_and_saveexec_b64 s[6:7], vcc
	s_cbranch_execz .LBB219_46
; %bb.40:                               ;   in Loop: Header=BB219_7 Depth=1
	scratch_load_dwordx2 v[0:1], off, off offset:72 ; 8-byte Folded Reload
	scratch_load_dwordx2 v[2:3], off, off offset:20 ; 8-byte Folded Reload
	s_mul_i32 s4, s68, s27
	s_ashr_i32 s5, s4, 31
	s_add_u32 s4, s18, s4
	s_addc_u32 s5, s19, s5
	s_ashr_i32 s8, s13, 31
	s_add_u32 s4, s4, s13
	s_addc_u32 s5, s5, s8
	s_waitcnt vmcnt(1)
	v_lshl_add_u64 v[0:1], s[4:5], 0, v[0:1]
	s_waitcnt vmcnt(0)
	v_lshl_add_u64 v[16:17], v[0:1], 0, v[2:3]
	s_mov_b64 s[4:5], 0
	s_branch .LBB219_42
.LBB219_41:                             ;   in Loop: Header=BB219_42 Depth=2
	s_or_b64 exec, exec, s[8:9]
	;;#ASMSTART
	s_waitcnt vmcnt(3)
	;;#ASMEND
	scratch_load_dword v20, off, off        ; 4-byte Folded Reload
	v_add_u32_e32 v119, s30, v119
	v_add_u32_e32 v88, s30, v18
	v_cmp_le_i32_e32 vcc, s12, v119
	s_or_b64 s[4:5], vcc, s[4:5]
	v_cmp_lt_i32_e32 vcc, 4, v88
	s_waitcnt vmcnt(0)
	v_lshl_or_b32 v20, v18, 12, v20
	ds_write2_b32 v20, v12, v13 offset1:32
	ds_write2_b32 v20, v14, v15 offset0:64 offset1:96
	v_add_u32_e32 v12, 0x400, v20
	;;#ASMSTART
	s_waitcnt vmcnt(2)
	;;#ASMEND
	ds_write2_b32 v12, v8, v9 offset1:32
	ds_write2_b32 v12, v10, v11 offset0:64 offset1:96
	v_add_u32_e32 v8, 0x800, v20
	;;#ASMSTART
	s_waitcnt vmcnt(1)
	;;#ASMEND
	;; [unrolled: 6-line block ×3, first 2 shown]
	ds_write2_b32 v4, v0, v1 offset1:32
	ds_write2_b32 v4, v2, v3 offset0:64 offset1:96
	v_add_u32_e32 v0, 1, v103
	ds_write_b32 v19, v0 offset:8
	v_add_u32_e32 v0, 2, v103
	v_cndmask_b32_e32 v103, v103, v0, vcc
	s_andn2_b64 exec, exec, s[4:5]
	s_cbranch_execz .LBB219_45
.LBB219_42:                             ;   Parent Loop BB219_7 Depth=1
                                        ; =>  This Loop Header: Depth=2
                                        ;       Child Loop BB219_44 Depth 3
	v_cmp_gt_i32_e32 vcc, 5, v88
	s_mov_b32 s8, 0x66666667
	s_nop 0
	v_cndmask_b32_e64 v0, -5, 0, vcc
	v_add_u32_e32 v18, v0, v88
	v_mul_hi_i32 v0, v119, s8
	v_lshrrev_b32_e32 v1, 31, v0
	v_ashrrev_i32_e32 v0, 1, v0
	v_add_u32_e32 v0, v0, v1
	v_lshl_add_u32 v1, v0, 2, v0
	v_sub_u32_e32 v2, v119, v1
	v_lshlrev_b32_e32 v0, 7, v0
	v_ashrrev_i32_e32 v1, 31, v0
	v_mul_lo_u32 v2, s33, v2
	v_lshl_add_u64 v[0:1], v[16:17], 0, v[0:1]
	v_ashrrev_i32_e32 v3, 31, v2
	v_lshl_add_u64 v[0:1], v[0:1], 0, v[2:3]
	v_lshlrev_b32_e32 v19, 2, v18
	;;#ASMSTART
	global_load_dwordx4 v[12:15], v[0:1], off offset:0   sc0 sc1 nt  
	global_load_dwordx4 v[8:11], v[0:1], off offset:32  sc0 sc1 nt  
	global_load_dwordx4 v[4:7], v[0:1], off offset:64  sc0 sc1 nt  
	;; [unrolled: 1-line block ×3, first 2 shown]
	
	;;#ASMEND
	ds_read_b32 v20, v19 offset:28680
	v_add_u32_e32 v19, 0x7000, v19
	s_waitcnt lgkmcnt(0)
	v_cmp_ne_u32_e32 vcc, v20, v103
	s_and_saveexec_b64 s[8:9], vcc
	s_cbranch_execz .LBB219_41
; %bb.43:                               ;   in Loop: Header=BB219_42 Depth=2
	s_mov_b64 s[10:11], 0
.LBB219_44:                             ;   Parent Loop BB219_7 Depth=1
                                        ;     Parent Loop BB219_42 Depth=2
                                        ; =>    This Inner Loop Header: Depth=3
	;;#ASMSTART
	s_sleep 0
	;;#ASMEND
	ds_read_b32 v20, v19 offset:8
	s_waitcnt lgkmcnt(0)
	v_cmp_eq_u32_e32 vcc, v20, v103
	s_or_b64 s[10:11], vcc, s[10:11]
	s_andn2_b64 exec, exec, s[10:11]
	s_cbranch_execnz .LBB219_44
	s_branch .LBB219_41
.LBB219_45:                             ;   in Loop: Header=BB219_7 Depth=1
	s_or_b64 exec, exec, s[4:5]
.LBB219_46:                             ;   in Loop: Header=BB219_7 Depth=1
	s_or_b64 exec, exec, s[6:7]
	v_subrev_u32_e32 v119, s12, v119
.LBB219_47:                             ;   in Loop: Header=BB219_7 Depth=1
	s_or_b64 exec, exec, s[0:1]
.LBB219_48:                             ;   in Loop: Header=BB219_7 Depth=1
	s_andn2_saveexec_b64 s[0:1], s[48:49]
	s_cbranch_execz .LBB219_6
; %bb.49:                               ;   in Loop: Header=BB219_7 Depth=1
	s_lshl_b32 s12, s98, 1
	v_cmp_gt_i32_e32 vcc, s12, v119
	s_and_saveexec_b64 s[4:5], vcc
	s_cbranch_execz .LBB219_5
; %bb.50:                               ;   in Loop: Header=BB219_7 Depth=1
	scratch_load_dwordx2 v[4:5], off, off offset:20 ; 8-byte Folded Reload
	s_mul_i32 s6, s47, s26
	s_ashr_i32 s7, s6, 31
	s_add_u32 s6, s16, s6
	s_waitcnt vmcnt(1)
	v_add_u32_e32 v2, s99, v102
	s_addc_u32 s7, s17, s7
	s_ashr_i32 s8, s13, 31
	v_mul_lo_u32 v0, s26, v102
	v_cmp_gt_u32_e32 vcc, 64, v2
	s_add_u32 s6, s6, s13
	s_addc_u32 s7, s7, s8
	v_cndmask_b32_e32 v0, 0, v0, vcc
	v_ashrrev_i32_e32 v1, 31, v0
	v_lshl_add_u64 v[0:1], s[6:7], 0, v[0:1]
	v_sub_u32_e32 v18, 63, v2
	s_mov_b64 s[6:7], 0
	s_waitcnt vmcnt(0)
	v_lshl_add_u64 v[16:17], v[0:1], 0, v[4:5]
	s_branch .LBB219_52
.LBB219_51:                             ;   in Loop: Header=BB219_52 Depth=2
	s_or_b64 exec, exec, s[8:9]
	v_lshl_add_u32 v21, v19, 12, v116
	;;#ASMSTART
	s_waitcnt vmcnt(3)
	;;#ASMEND
	ds_write2_b32 v21, v12, v13 offset1:32
	ds_write2_b32 v21, v14, v15 offset0:64 offset1:96
	v_add_u32_e32 v12, 0x400, v21
	;;#ASMSTART
	s_waitcnt vmcnt(2)
	;;#ASMEND
	ds_write2_b32 v12, v8, v9 offset1:32
	ds_write2_b32 v12, v10, v11 offset0:64 offset1:96
	v_add_u32_e32 v8, 0x800, v21
	;; [unrolled: 6-line block ×3, first 2 shown]
	v_add_u32_e32 v119, s29, v119
	;;#ASMSTART
	s_waitcnt vmcnt(0)
	;;#ASMEND
	ds_write2_b32 v4, v0, v1 offset1:32
	ds_write2_b32 v4, v2, v3 offset0:64 offset1:96
	v_add_u32_e32 v0, 1, v103
	v_add_u32_e32 v88, s29, v19
	v_cmp_le_i32_e32 vcc, s12, v119
	ds_write_b32 v20, v0
	v_add_u32_e32 v0, 2, v103
	s_or_b64 s[6:7], vcc, s[6:7]
	v_cmp_lt_i32_e32 vcc, 1, v88
	s_nop 1
	v_cndmask_b32_e32 v103, v103, v0, vcc
	s_andn2_b64 exec, exec, s[6:7]
	s_cbranch_execz .LBB219_4
.LBB219_52:                             ;   Parent Loop BB219_7 Depth=1
                                        ; =>  This Loop Header: Depth=2
                                        ;       Child Loop BB219_54 Depth 3
	v_cmp_gt_i32_e32 vcc, 2, v88
	s_nop 1
	v_cndmask_b32_e64 v0, -2, 0, vcc
	v_add_u32_e32 v19, v0, v88
	v_lshrrev_b32_e32 v0, 31, v119
	v_add_u32_e32 v0, v119, v0
	v_and_b32_e32 v1, 0x7fffffe, v0
	v_sub_u32_e32 v1, v119, v1
	v_lshlrev_b32_e32 v1, 5, v1
	v_cmp_le_i32_e32 vcc, v1, v18
	v_lshlrev_b32_e32 v0, 6, v0
	v_and_b32_e32 v0, 0xffffff80, v0
	v_cndmask_b32_e32 v2, 0, v1, vcc
	v_ashrrev_i32_e32 v1, 31, v0
	v_mul_lo_u32 v2, v2, s26
	v_lshl_add_u64 v[0:1], v[16:17], 0, v[0:1]
	v_ashrrev_i32_e32 v3, 31, v2
	v_lshl_add_u64 v[0:1], v[0:1], 0, v[2:3]
	v_lshlrev_b32_e32 v20, 2, v19
	;;#ASMSTART
	global_load_dwordx4 v[12:15], v[0:1], off offset:0   
	global_load_dwordx4 v[8:11], v[0:1], off offset:32  
	;; [unrolled: 1-line block ×4, first 2 shown]
	
	;;#ASMEND
	ds_read_b32 v21, v20 offset:28672
	v_add_u32_e32 v20, 0x7000, v20
	s_waitcnt lgkmcnt(0)
	v_cmp_ne_u32_e32 vcc, v21, v103
	s_and_saveexec_b64 s[8:9], vcc
	s_cbranch_execz .LBB219_51
; %bb.53:                               ;   in Loop: Header=BB219_52 Depth=2
	s_mov_b64 s[10:11], 0
.LBB219_54:                             ;   Parent Loop BB219_7 Depth=1
                                        ;     Parent Loop BB219_52 Depth=2
                                        ; =>    This Inner Loop Header: Depth=3
	;;#ASMSTART
	s_sleep 0
	;;#ASMEND
	ds_read_b32 v21, v20
	s_waitcnt lgkmcnt(0)
	v_cmp_eq_u32_e32 vcc, v21, v103
	s_or_b64 s[10:11], vcc, s[10:11]
	s_andn2_b64 exec, exec, s[10:11]
	s_cbranch_execnz .LBB219_54
	s_branch .LBB219_51
.LBB219_55:
	s_endpgm
	.section	.rodata,"a",@progbits
	.p2align	6, 0x0
	.amdhsa_kernel _Z19_skinny_gemm_kernelILi2ELi5ELi1ELi32ELi8EEvPKhS1_P6__halfPKfiiiiiiii
		.amdhsa_group_segment_fixed_size 28700
		.amdhsa_private_segment_fixed_size 84
		.amdhsa_kernarg_size 64
		.amdhsa_user_sgpr_count 2
		.amdhsa_user_sgpr_dispatch_ptr 0
		.amdhsa_user_sgpr_queue_ptr 0
		.amdhsa_user_sgpr_kernarg_segment_ptr 1
		.amdhsa_user_sgpr_dispatch_id 0
		.amdhsa_user_sgpr_kernarg_preload_length 0
		.amdhsa_user_sgpr_kernarg_preload_offset 0
		.amdhsa_user_sgpr_private_segment_size 0
		.amdhsa_uses_dynamic_stack 0
		.amdhsa_enable_private_segment 1
		.amdhsa_system_sgpr_workgroup_id_x 1
		.amdhsa_system_sgpr_workgroup_id_y 0
		.amdhsa_system_sgpr_workgroup_id_z 0
		.amdhsa_system_sgpr_workgroup_info 0
		.amdhsa_system_vgpr_workitem_id 0
		.amdhsa_next_free_vgpr 128
		.amdhsa_next_free_sgpr 100
		.amdhsa_accum_offset 128
		.amdhsa_reserve_vcc 1
		.amdhsa_float_round_mode_32 0
		.amdhsa_float_round_mode_16_64 0
		.amdhsa_float_denorm_mode_32 3
		.amdhsa_float_denorm_mode_16_64 3
		.amdhsa_dx10_clamp 1
		.amdhsa_ieee_mode 1
		.amdhsa_fp16_overflow 0
		.amdhsa_tg_split 0
		.amdhsa_exception_fp_ieee_invalid_op 0
		.amdhsa_exception_fp_denorm_src 0
		.amdhsa_exception_fp_ieee_div_zero 0
		.amdhsa_exception_fp_ieee_overflow 0
		.amdhsa_exception_fp_ieee_underflow 0
		.amdhsa_exception_fp_ieee_inexact 0
		.amdhsa_exception_int_div_zero 0
	.end_amdhsa_kernel
	.section	.text._Z19_skinny_gemm_kernelILi2ELi5ELi1ELi32ELi8EEvPKhS1_P6__halfPKfiiiiiiii,"axG",@progbits,_Z19_skinny_gemm_kernelILi2ELi5ELi1ELi32ELi8EEvPKhS1_P6__halfPKfiiiiiiii,comdat
.Lfunc_end219:
	.size	_Z19_skinny_gemm_kernelILi2ELi5ELi1ELi32ELi8EEvPKhS1_P6__halfPKfiiiiiiii, .Lfunc_end219-_Z19_skinny_gemm_kernelILi2ELi5ELi1ELi32ELi8EEvPKhS1_P6__halfPKfiiiiiiii
                                        ; -- End function
	.set _Z19_skinny_gemm_kernelILi2ELi5ELi1ELi32ELi8EEvPKhS1_P6__halfPKfiiiiiiii.num_vgpr, 128
	.set _Z19_skinny_gemm_kernelILi2ELi5ELi1ELi32ELi8EEvPKhS1_P6__halfPKfiiiiiiii.num_agpr, 0
	.set _Z19_skinny_gemm_kernelILi2ELi5ELi1ELi32ELi8EEvPKhS1_P6__halfPKfiiiiiiii.numbered_sgpr, 100
	.set _Z19_skinny_gemm_kernelILi2ELi5ELi1ELi32ELi8EEvPKhS1_P6__halfPKfiiiiiiii.num_named_barrier, 0
	.set _Z19_skinny_gemm_kernelILi2ELi5ELi1ELi32ELi8EEvPKhS1_P6__halfPKfiiiiiiii.private_seg_size, 84
	.set _Z19_skinny_gemm_kernelILi2ELi5ELi1ELi32ELi8EEvPKhS1_P6__halfPKfiiiiiiii.uses_vcc, 1
	.set _Z19_skinny_gemm_kernelILi2ELi5ELi1ELi32ELi8EEvPKhS1_P6__halfPKfiiiiiiii.uses_flat_scratch, 0
	.set _Z19_skinny_gemm_kernelILi2ELi5ELi1ELi32ELi8EEvPKhS1_P6__halfPKfiiiiiiii.has_dyn_sized_stack, 0
	.set _Z19_skinny_gemm_kernelILi2ELi5ELi1ELi32ELi8EEvPKhS1_P6__halfPKfiiiiiiii.has_recursion, 0
	.set _Z19_skinny_gemm_kernelILi2ELi5ELi1ELi32ELi8EEvPKhS1_P6__halfPKfiiiiiiii.has_indirect_call, 0
	.section	.AMDGPU.csdata,"",@progbits
; Kernel info:
; codeLenInByte = 17532
; TotalNumSgprs: 106
; NumVgprs: 128
; NumAgprs: 0
; TotalNumVgprs: 128
; ScratchSize: 84
; MemoryBound: 0
; FloatMode: 240
; IeeeMode: 1
; LDSByteSize: 28700 bytes/workgroup (compile time only)
; SGPRBlocks: 13
; VGPRBlocks: 15
; NumSGPRsForWavesPerEU: 106
; NumVGPRsForWavesPerEU: 128
; AccumOffset: 128
; Occupancy: 4
; WaveLimiterHint : 0
; COMPUTE_PGM_RSRC2:SCRATCH_EN: 1
; COMPUTE_PGM_RSRC2:USER_SGPR: 2
; COMPUTE_PGM_RSRC2:TRAP_HANDLER: 0
; COMPUTE_PGM_RSRC2:TGID_X_EN: 1
; COMPUTE_PGM_RSRC2:TGID_Y_EN: 0
; COMPUTE_PGM_RSRC2:TGID_Z_EN: 0
; COMPUTE_PGM_RSRC2:TIDIG_COMP_CNT: 0
; COMPUTE_PGM_RSRC3_GFX90A:ACCUM_OFFSET: 31
; COMPUTE_PGM_RSRC3_GFX90A:TG_SPLIT: 0
	.section	.text._Z19_skinny_gemm_kernelILi2ELi5ELi2ELi16ELi4EEvPKhS1_P6__halfPKfiiiiiiii,"axG",@progbits,_Z19_skinny_gemm_kernelILi2ELi5ELi2ELi16ELi4EEvPKhS1_P6__halfPKfiiiiiiii,comdat
	.protected	_Z19_skinny_gemm_kernelILi2ELi5ELi2ELi16ELi4EEvPKhS1_P6__halfPKfiiiiiiii ; -- Begin function _Z19_skinny_gemm_kernelILi2ELi5ELi2ELi16ELi4EEvPKhS1_P6__halfPKfiiiiiiii
	.globl	_Z19_skinny_gemm_kernelILi2ELi5ELi2ELi16ELi4EEvPKhS1_P6__halfPKfiiiiiiii
	.p2align	8
	.type	_Z19_skinny_gemm_kernelILi2ELi5ELi2ELi16ELi4EEvPKhS1_P6__halfPKfiiiiiiii,@function
_Z19_skinny_gemm_kernelILi2ELi5ELi2ELi16ELi4EEvPKhS1_P6__halfPKfiiiiiiii: ; @_Z19_skinny_gemm_kernelILi2ELi5ELi2ELi16ELi4EEvPKhS1_P6__halfPKfiiiiiiii
; %bb.0:
	v_cmp_gt_u32_e32 vcc, 14, v0
	v_lshlrev_b32_e32 v1, 2, v0
	s_and_saveexec_b64 s[4:5], vcc
; %bb.1:
	v_mov_b32_e32 v2, 0
	ds_write_b32 v1, v2 offset:28672
; %bb.2:
	s_or_b64 exec, exec, s[4:5]
	s_load_dwordx8 s[20:27], s[0:1], 0x20
	s_mov_b32 s56, 0x66666667
	s_waitcnt lgkmcnt(0)
	s_barrier
	s_add_i32 s3, s20, 31
	s_ashr_i32 s5, s3, 31
	s_lshr_b32 s5, s5, 27
	s_add_i32 s4, s21, 0x4f
	s_add_i32 s3, s3, s5
	s_ashr_i32 s33, s3, 5
	s_mul_hi_i32 s3, s4, 0x66666667
	s_lshr_b32 s4, s3, 31
	s_ashr_i32 s54, s3, 5
	s_add_i32 s54, s54, s4
	s_mul_i32 s3, s54, s33
	s_mul_i32 s3, s3, s24
	s_add_i32 s4, s3, 0x12f
	s_mul_hi_i32 s4, s4, 0x6bca1af3
	s_lshr_b32 s5, s4, 31
	s_ashr_i32 s4, s4, 7
	s_add_i32 s4, s4, s5
	s_add_i32 s5, s2, 1
	s_mul_i32 s5, s4, s5
	v_cvt_f64_i32_e32 v[2:3], s3
	v_cvt_f64_u32_e32 v[4:5], s5
	v_min_f64 v[2:3], v[2:3], v[4:5]
	v_cvt_i32_f64_e32 v41, v[2:3]
	s_mul_i32 s55, s4, s2
	v_cmp_ge_i32_e32 vcc, s55, v41
	s_cbranch_vccnz .LBB220_59
; %bb.3:
	v_lshrrev_b32_e32 v2, 6, v0
	s_add_i32 s4, s26, s25
	s_load_dwordx8 s[36:43], s[0:1], 0x0
	v_cmp_le_i32_e64 s[0:1], s4, v2
	v_mov_b32_e32 v3, s25
	v_cmp_le_i32_e64 s[2:3], s25, v2
	v_mov_b32_e32 v4, s26
	v_cndmask_b32_e64 v4, 0, v4, s[0:1]
	v_cndmask_b32_e64 v3, 0, v3, s[2:3]
	s_abs_i32 s5, s24
	v_add_u32_e32 v3, v3, v4
	v_cvt_f32_u32_e32 v4, s5
	v_sub_u32_e32 v52, v2, v3
	s_ashr_i32 s6, s22, 31
	s_lshr_b32 s6, s6, 25
	v_rcp_iflag_f32_e32 v3, v4
	s_sub_i32 s9, 0, s5
	s_add_i32 s6, s22, s6
	s_ashr_i32 s6, s6, 7
	v_mul_f32_e32 v3, 0x4f7ffffe, v3
	v_cvt_u32_f32_e32 v3, v3
	s_abs_i32 s8, s6
	s_xor_b32 s7, s6, s24
	s_ashr_i32 s7, s7, 31
	v_readfirstlane_b32 s10, v3
	s_mul_i32 s9, s9, s10
	s_mul_hi_u32 s9, s10, s9
	s_add_i32 s10, s10, s9
	s_mul_hi_u32 s9, s8, s10
	s_mul_i32 s10, s9, s5
	s_sub_i32 s8, s8, s10
	s_add_i32 s10, s9, 1
	s_sub_i32 s11, s8, s5
	s_cmp_ge_u32 s8, s5
	s_cselect_b32 s9, s10, s9
	s_cselect_b32 s8, s11, s8
	s_add_i32 s10, s9, 1
	s_cmp_ge_u32 s8, s5
	s_cselect_b32 s5, s10, s9
	s_xor_b32 s5, s5, s7
	s_sub_i32 s57, s5, s7
	s_add_i32 s24, s24, -1
	s_mul_i32 s5, s57, s24
	s_add_i32 s4, s4, s27
	s_sub_i32 s58, s6, s5
	v_cmp_gt_i32_e64 s[4:5], s4, v2
	v_lshlrev_b32_e32 v2, 1, v0
	v_lshlrev_b32_e32 v3, 4, v0
	v_and_b32_e32 v1, 60, v1
	v_and_b32_e32 v2, 64, v2
	v_and_b32_e32 v4, 0x100, v3
	v_or3_b32 v73, v1, v2, v4
	v_and_b32_e32 v1, 1, v0
	v_lshrrev_b32_e32 v4, 2, v0
	s_abs_i32 s59, s33
	v_and_or_b32 v77, v4, 12, v1
	v_cvt_f32_u32_e32 v4, s59
	v_lshlrev_b32_e32 v2, 1, v1
	v_and_b32_e32 v40, 14, v0
	v_sub_u32_e32 v2, v0, v2
	v_bitop3_b32 v74, v0, 1, v0 bitop3:0xc
	v_bitop3_b32 v75, v0, 3, 1 bitop3:0x6c
	v_and_b32_e32 v46, 48, v3
	v_bfe_u32 v79, v0, 2, 4
	v_and_b32_e32 v1, 60, v0
	v_lshlrev_b32_e32 v3, 8, v0
	v_lshlrev_b32_e32 v0, 6, v0
	v_and_b32_e32 v3, 0x200, v3
	v_and_b32_e32 v0, 64, v0
	v_or3_b32 v80, v1, v3, v0
	v_rcp_iflag_f32_e32 v0, v4
	s_abs_i32 s61, s54
	v_cvt_f32_u32_e32 v1, s61
	v_mad_u64_u32 v[42:43], s[6:7], s21, v77, v[40:41]
	v_mul_f32_e32 v0, 0x4f7ffffe, v0
	v_cvt_u32_f32_e32 v0, v0
	v_rcp_iflag_f32_e32 v1, v1
	s_sub_i32 s6, 0, s59
	v_add_u32_e32 v2, 1, v2
	v_readfirstlane_b32 s7, v0
	v_mul_f32_e32 v0, 0x4f7ffffe, v1
	v_cvt_u32_f32_e32 v0, v0
	s_mul_i32 s6, s6, s7
	s_mul_hi_u32 s6, s7, s6
	s_add_i32 s63, s7, s6
	s_sub_i32 s6, 0, s61
	v_readfirstlane_b32 s7, v0
	v_mbcnt_lo_u32_b32 v0, -1, 0
	v_and_b32_e32 v2, 63, v2
	s_mul_i32 s6, s6, s7
	v_mbcnt_hi_u32_b32 v0, -1, v0
	v_lshl_add_u32 v44, s21, 4, v42
	v_mul_lo_u32 v48, s23, v79
	s_mul_hi_u32 s6, s7, s6
	v_and_or_b32 v0, v0, 64, v2
	v_cndmask_b32_e64 v72, 0, 1, s[0:1]
	s_ashr_i32 s29, s21, 31
	s_mov_b32 s28, s21
	v_or_b32_e32 v76, 64, v40
	v_ashrrev_i32_e32 v43, 31, v42
	v_or_b32_e32 v78, 16, v77
	v_ashrrev_i32_e32 v45, 31, v44
	v_ashrrev_i32_e32 v49, 31, v48
	v_mov_b32_e32 v47, 0
	s_lshl_b32 s60, s23, 4
	v_mul_lo_u32 v81, s22, v79
	v_or_b32_e32 v82, 0x5000, v80
	s_ashr_i32 s62, s33, 31
	s_ashr_i32 s64, s54, 31
	s_add_i32 s65, s7, s6
	s_movk_i32 s66, 0x2800
	s_mov_b64 s[30:31], 0x60
	s_mov_b64 s[34:35], 0x80
	v_lshlrev_b32_e32 v83, 2, v0
	v_mov_b32_e32 v84, v52
	s_branch .LBB220_7
.LBB220_4:                              ;   in Loop: Header=BB220_7 Depth=1
	s_or_b64 exec, exec, s[10:11]
.LBB220_5:                              ;   in Loop: Header=BB220_7 Depth=1
	s_or_b64 exec, exec, s[8:9]
	v_subrev_u32_e32 v84, s16, v84
.LBB220_6:                              ;   in Loop: Header=BB220_7 Depth=1
	s_or_b64 exec, exec, s[6:7]
	s_add_i32 s55, s55, 1
	v_cmp_ge_i32_e32 vcc, s55, v41
	s_cbranch_vccnz .LBB220_59
.LBB220_7:                              ; =>This Loop Header: Depth=1
                                        ;     Child Loop BB220_13 Depth 2
                                        ;       Child Loop BB220_15 Depth 3
                                        ;       Child Loop BB220_18 Depth 3
	;; [unrolled: 1-line block ×7, first 2 shown]
                                        ;     Child Loop BB220_46 Depth 2
                                        ;       Child Loop BB220_48 Depth 3
                                        ;     Child Loop BB220_56 Depth 2
                                        ;       Child Loop BB220_58 Depth 3
	s_abs_i32 s7, s55
	s_mul_hi_u32 s8, s7, s63
	s_mul_i32 s9, s8, s59
	s_ashr_i32 s6, s55, 31
	s_sub_i32 s7, s7, s9
	s_xor_b32 s6, s6, s62
	s_add_i32 s9, s8, 1
	s_sub_i32 s10, s7, s59
	s_cmp_ge_u32 s7, s59
	s_cselect_b32 s8, s9, s8
	s_cselect_b32 s7, s10, s7
	s_add_i32 s9, s8, 1
	s_cmp_ge_u32 s7, s59
	s_cselect_b32 s7, s9, s8
	s_xor_b32 s7, s7, s6
	s_sub_i32 s6, s7, s6
	s_abs_i32 s8, s6
	s_mul_i32 s7, s6, s33
	s_mul_hi_u32 s9, s8, s65
	s_sub_i32 s7, s55, s7
	s_mul_i32 s10, s9, s61
	s_lshl_b32 s67, s7, 5
	s_ashr_i32 s7, s6, 31
	s_sub_i32 s8, s8, s10
	s_xor_b32 s7, s7, s64
	s_add_i32 s10, s9, 1
	s_sub_i32 s11, s8, s61
	s_cmp_ge_u32 s8, s61
	s_cselect_b32 s9, s10, s9
	s_cselect_b32 s8, s11, s8
	s_add_i32 s10, s9, 1
	s_cmp_ge_u32 s8, s61
	s_cselect_b32 s8, s10, s9
	s_xor_b32 s8, s8, s7
	s_sub_i32 s7, s8, s7
	s_mul_i32 s8, s7, s57
	s_lshl_b32 s68, s8, 7
	s_cmp_eq_u32 s7, s24
	s_cselect_b32 s70, s58, s57
	s_sub_i32 s8, s67, s20
	s_add_i32 s8, s8, 32
	s_max_i32 s69, s8, 0
	s_and_saveexec_b64 s[8:9], s[2:3]
	s_xor_b64 s[44:45], exec, s[8:9]
	s_cbranch_execz .LBB220_52
; %bb.8:                                ;   in Loop: Header=BB220_7 Depth=1
	s_mul_i32 s7, s7, s54
	s_sub_i32 s6, s6, s7
	s_mulk_i32 s6, 0x50
	s_sub_i32 s47, s6, s21
	s_addk_i32 s47, 0x50
	s_max_i32 s7, s47, 0
	s_sub_i32 s46, s6, s7
	s_and_saveexec_b64 s[6:7], s[0:1]
	s_xor_b64 s[48:49], exec, s[6:7]
	s_cbranch_execz .LBB220_42
; %bb.9:                                ;   in Loop: Header=BB220_7 Depth=1
	s_and_saveexec_b64 s[50:51], s[4:5]
	s_cbranch_execz .LBB220_41
; %bb.10:                               ;   in Loop: Header=BB220_7 Depth=1
	s_waitcnt lgkmcnt(0)
	global_load_dword v85, v47, s[42:43]
	v_mov_b32_e32 v39, 0
	v_cmp_gt_i32_e32 vcc, s70, v84
	v_mov_b32_e32 v38, v39
	v_mov_b32_e32 v37, v39
	;; [unrolled: 1-line block ×39, first 2 shown]
	s_and_saveexec_b64 s[6:7], vcc
	s_cbranch_execz .LBB220_35
; %bb.11:                               ;   in Loop: Header=BB220_7 Depth=1
	v_mov_b32_e32 v4, 0
	s_mov_b64 s[8:9], 0
	v_mov_b32_e32 v5, v4
	v_mov_b32_e32 v6, v4
	v_mov_b32_e32 v7, v4
	v_mov_b32_e32 v0, v4
	v_mov_b32_e32 v1, v4
	v_mov_b32_e32 v2, v4
	v_mov_b32_e32 v3, v4
	v_mov_b32_e32 v8, v4
	v_mov_b32_e32 v9, v4
	v_mov_b32_e32 v10, v4
	v_mov_b32_e32 v11, v4
	v_mov_b32_e32 v12, v4
	v_mov_b32_e32 v13, v4
	v_mov_b32_e32 v14, v4
	v_mov_b32_e32 v15, v4
	v_mov_b32_e32 v16, v4
	v_mov_b32_e32 v17, v4
	v_mov_b32_e32 v18, v4
	v_mov_b32_e32 v19, v4
	v_mov_b32_e32 v20, v4
	v_mov_b32_e32 v21, v4
	v_mov_b32_e32 v22, v4
	v_mov_b32_e32 v23, v4
	v_mov_b32_e32 v24, v4
	v_mov_b32_e32 v25, v4
	v_mov_b32_e32 v26, v4
	v_mov_b32_e32 v27, v4
	v_mov_b32_e32 v28, v4
	v_mov_b32_e32 v29, v4
	v_mov_b32_e32 v30, v4
	v_mov_b32_e32 v31, v4
	v_mov_b32_e32 v32, v4
	v_mov_b32_e32 v33, v4
	v_mov_b32_e32 v34, v4
	v_mov_b32_e32 v35, v4
	v_mov_b32_e32 v36, v4
	v_mov_b32_e32 v37, v4
	v_mov_b32_e32 v38, v4
	v_mov_b32_e32 v39, v4
	s_branch .LBB220_13
.LBB220_12:                             ;   in Loop: Header=BB220_13 Depth=2
	s_or_b64 exec, exec, s[10:11]
	v_add_u32_e32 v67, 0x2000, v66
	ds_read2_b32 v[68:69], v67 offset1:32
	v_add_u32_e32 v70, 0x2400, v66
	v_add_u32_e32 v84, s27, v84
	s_waitcnt lgkmcnt(0)
	v_mfma_f32_16x16x32_fp8_fp8 v[20:23], v[50:51], v[68:69], v[20:23]
	ds_read2_b32 v[50:51], v67 offset0:128 offset1:160
	ds_read2_b32 v[66:67], v70 offset1:32
	v_mfma_f32_16x16x32_fp8_fp8 v[4:7], v[60:61], v[68:69], v[4:7]
	s_waitcnt lgkmcnt(1)
	v_mfma_f32_16x16x32_fp8_fp8 v[20:23], v[52:53], v[50:51], v[20:23]
	v_add_u32_e32 v52, s27, v86
	v_cmp_lt_i32_e32 vcc, 1, v52
	v_mfma_f32_16x16x32_fp8_fp8 v[4:7], v[62:63], v[50:51], v[4:7]
	v_add_u32_e32 v50, 2, v72
	v_cndmask_b32_e32 v72, v72, v50, vcc
	v_cmp_le_i32_e32 vcc, s70, v84
	s_waitcnt lgkmcnt(0)
	v_mfma_f32_16x16x32_fp8_fp8 v[20:23], v[54:55], v[66:67], v[20:23]
	ds_read2_b32 v[54:55], v70 offset0:128 offset1:160
	s_or_b64 s[8:9], vcc, s[8:9]
	;;#ASMSTART
	s_waitcnt lgkmcnt(0)
	;;#ASMEND
	v_mfma_f32_16x16x32_fp8_fp8 v[4:7], v[64:65], v[66:67], v[4:7]
	ds_write_b32 v87, v88 offset:28704
	s_waitcnt lgkmcnt(1)
	v_mfma_f32_16x16x32_fp8_fp8 v[20:23], v[56:57], v[54:55], v[20:23]
	v_mfma_f32_16x16x32_fp8_fp8 v[4:7], v[58:59], v[54:55], v[4:7]
	s_andn2_b64 exec, exec, s[8:9]
	s_cbranch_execz .LBB220_34
.LBB220_13:                             ;   Parent Loop BB220_7 Depth=1
                                        ; =>  This Loop Header: Depth=2
                                        ;       Child Loop BB220_15 Depth 3
                                        ;       Child Loop BB220_18 Depth 3
	;; [unrolled: 1-line block ×7, first 2 shown]
	v_cmp_gt_i32_e32 vcc, 2, v52
	s_nop 1
	v_cndmask_b32_e64 v50, -2, 0, vcc
	v_add_u32_e32 v86, v50, v52
	v_mul_lo_u32 v87, v86, 20
	ds_read_b32 v50, v87 offset:28688
	s_waitcnt lgkmcnt(0)
	v_cmp_ne_u32_e32 vcc, v50, v72
	s_and_saveexec_b64 s[10:11], vcc
	s_cbranch_execz .LBB220_16
; %bb.14:                               ;   in Loop: Header=BB220_13 Depth=2
	s_mov_b64 s[12:13], 0
.LBB220_15:                             ;   Parent Loop BB220_7 Depth=1
                                        ;     Parent Loop BB220_13 Depth=2
                                        ; =>    This Inner Loop Header: Depth=3
	;;#ASMSTART
	s_sleep 0
	;;#ASMEND
	ds_read_b32 v50, v87 offset:28688
	s_waitcnt lgkmcnt(0)
	v_cmp_eq_u32_e32 vcc, v50, v72
	s_or_b64 s[12:13], vcc, s[12:13]
	s_andn2_b64 exec, exec, s[12:13]
	s_cbranch_execnz .LBB220_15
.LBB220_16:                             ;   in Loop: Header=BB220_13 Depth=2
	s_or_b64 exec, exec, s[10:11]
	v_mul_lo_u32 v89, v86, s66
	v_or_b32_e32 v50, v73, v89
	ds_read2_b32 v[58:59], v50 offset1:32
	ds_read2_b32 v[66:67], v50 offset0:128 offset1:160
	v_add_u32_e32 v50, 0x400, v50
	v_add_u32_e32 v88, 1, v72
	ds_read2_b32 v[70:71], v50 offset1:32
	ds_read2_b32 v[68:69], v50 offset0:128 offset1:160
	;;#ASMSTART
	s_waitcnt lgkmcnt(0)
	;;#ASMEND
	ds_write_b32 v87, v88 offset:28688
	v_lshlrev_b32_e32 v90, 3, v86
	ds_read_b32 v50, v90 offset:28672
	s_waitcnt lgkmcnt(0)
	v_cmp_ne_u32_e32 vcc, v50, v72
	s_and_saveexec_b64 s[10:11], vcc
	s_cbranch_execz .LBB220_19
; %bb.17:                               ;   in Loop: Header=BB220_13 Depth=2
	s_mov_b64 s[12:13], 0
.LBB220_18:                             ;   Parent Loop BB220_7 Depth=1
                                        ;     Parent Loop BB220_13 Depth=2
                                        ; =>    This Inner Loop Header: Depth=3
	;;#ASMSTART
	s_sleep 0
	;;#ASMEND
	ds_read_b32 v50, v90 offset:28672
	s_waitcnt lgkmcnt(0)
	v_cmp_eq_u32_e32 vcc, v50, v72
	s_or_b64 s[12:13], vcc, s[12:13]
	s_andn2_b64 exec, exec, s[12:13]
	s_cbranch_execnz .LBB220_18
.LBB220_19:                             ;   in Loop: Header=BB220_13 Depth=2
	s_or_b64 exec, exec, s[10:11]
	v_lshlrev_b32_e32 v50, 12, v86
	v_or_b32_e32 v51, 0x5000, v73
	v_add_u32_e32 v64, v51, v50
	ds_read2_b32 v[50:51], v64 offset1:32
	ds_read2_b32 v[52:53], v64 offset0:128 offset1:160
	v_add_u32_e32 v56, 0x400, v64
	ds_read2_b32 v[54:55], v56 offset1:32
	ds_read2_b32 v[56:57], v56 offset0:128 offset1:160
	ds_read_b32 v60, v90 offset:28676
	ds_write_b32 v90, v88 offset:28672
	s_waitcnt lgkmcnt(5)
	v_mfma_f32_16x16x32_fp8_fp8 v[36:39], v[50:51], v[58:59], v[36:39]
	s_waitcnt lgkmcnt(1)
	v_cmp_ne_u32_e32 vcc, v60, v72
	v_mfma_f32_16x16x32_fp8_fp8 v[36:39], v[52:53], v[66:67], v[36:39]
	v_mfma_f32_16x16x32_fp8_fp8 v[36:39], v[54:55], v[70:71], v[36:39]
	;; [unrolled: 1-line block ×3, first 2 shown]
	s_and_saveexec_b64 s[10:11], vcc
	s_cbranch_execz .LBB220_22
; %bb.20:                               ;   in Loop: Header=BB220_13 Depth=2
	s_mov_b64 s[12:13], 0
.LBB220_21:                             ;   Parent Loop BB220_7 Depth=1
                                        ;     Parent Loop BB220_13 Depth=2
                                        ; =>    This Inner Loop Header: Depth=3
	;;#ASMSTART
	s_sleep 0
	;;#ASMEND
	ds_read_b32 v60, v90 offset:28676
	s_waitcnt lgkmcnt(0)
	v_cmp_eq_u32_e32 vcc, v60, v72
	s_or_b64 s[12:13], vcc, s[12:13]
	s_andn2_b64 exec, exec, s[12:13]
	s_cbranch_execnz .LBB220_21
.LBB220_22:                             ;   in Loop: Header=BB220_13 Depth=2
	s_or_b64 exec, exec, s[10:11]
	v_add_u32_e32 v62, 0x800, v64
	ds_read2_b32 v[60:61], v62 offset1:32
	ds_read2_b32 v[62:63], v62 offset0:128 offset1:160
	v_add_u32_e32 v91, 0xc00, v64
	ds_read2_b32 v[64:65], v91 offset1:32
	ds_write_b32 v90, v88 offset:28676
	s_waitcnt lgkmcnt(3)
	v_mfma_f32_16x16x32_fp8_fp8 v[16:19], v[60:61], v[58:59], v[16:19]
	ds_read2_b32 v[58:59], v91 offset0:128 offset1:160
	s_waitcnt lgkmcnt(3)
	v_mfma_f32_16x16x32_fp8_fp8 v[16:19], v[62:63], v[66:67], v[16:19]
	ds_read_b32 v66, v87 offset:28692
	s_waitcnt lgkmcnt(0)
	v_cmp_ne_u32_e32 vcc, v66, v72
	v_mfma_f32_16x16x32_fp8_fp8 v[16:19], v[64:65], v[70:71], v[16:19]
	v_mfma_f32_16x16x32_fp8_fp8 v[16:19], v[58:59], v[68:69], v[16:19]
	s_and_saveexec_b64 s[10:11], vcc
	s_cbranch_execz .LBB220_25
; %bb.23:                               ;   in Loop: Header=BB220_13 Depth=2
	s_mov_b64 s[12:13], 0
.LBB220_24:                             ;   Parent Loop BB220_7 Depth=1
                                        ;     Parent Loop BB220_13 Depth=2
                                        ; =>    This Inner Loop Header: Depth=3
	;;#ASMSTART
	s_sleep 0
	;;#ASMEND
	ds_read_b32 v66, v87 offset:28692
	s_waitcnt lgkmcnt(0)
	v_cmp_eq_u32_e32 vcc, v66, v72
	s_or_b64 s[12:13], vcc, s[12:13]
	s_andn2_b64 exec, exec, s[12:13]
	s_cbranch_execnz .LBB220_24
.LBB220_25:                             ;   in Loop: Header=BB220_13 Depth=2
	s_or_b64 exec, exec, s[10:11]
	v_add_u32_e32 v66, v73, v89
	v_add_u32_e32 v67, 0x800, v66
	ds_read2_b32 v[68:69], v67 offset1:32
	s_waitcnt lgkmcnt(0)
	v_mfma_f32_16x16x32_fp8_fp8 v[32:35], v[50:51], v[68:69], v[32:35]
	v_mfma_f32_16x16x32_fp8_fp8 v[12:15], v[60:61], v[68:69], v[12:15]
	ds_read2_b32 v[68:69], v67 offset0:128 offset1:160
	v_add_u32_e32 v67, 0xc00, v66
	ds_read2_b32 v[70:71], v67 offset1:32
	s_waitcnt lgkmcnt(1)
	v_mfma_f32_16x16x32_fp8_fp8 v[32:35], v[52:53], v[68:69], v[32:35]
	ds_read2_b32 v[90:91], v67 offset0:128 offset1:160
	;;#ASMSTART
	s_waitcnt lgkmcnt(0)
	;;#ASMEND
	ds_read_b32 v67, v87 offset:28696
	v_mfma_f32_16x16x32_fp8_fp8 v[12:15], v[62:63], v[68:69], v[12:15]
	ds_write_b32 v87, v88 offset:28692
	s_waitcnt lgkmcnt(1)
	v_cmp_ne_u32_e32 vcc, v67, v72
	v_mfma_f32_16x16x32_fp8_fp8 v[32:35], v[54:55], v[70:71], v[32:35]
	v_mfma_f32_16x16x32_fp8_fp8 v[12:15], v[64:65], v[70:71], v[12:15]
	;; [unrolled: 1-line block ×4, first 2 shown]
	s_and_saveexec_b64 s[10:11], vcc
	s_cbranch_execz .LBB220_28
; %bb.26:                               ;   in Loop: Header=BB220_13 Depth=2
	s_mov_b64 s[12:13], 0
.LBB220_27:                             ;   Parent Loop BB220_7 Depth=1
                                        ;     Parent Loop BB220_13 Depth=2
                                        ; =>    This Inner Loop Header: Depth=3
	;;#ASMSTART
	s_sleep 0
	;;#ASMEND
	ds_read_b32 v67, v87 offset:28696
	s_waitcnt lgkmcnt(0)
	v_cmp_eq_u32_e32 vcc, v67, v72
	s_or_b64 s[12:13], vcc, s[12:13]
	s_andn2_b64 exec, exec, s[12:13]
	s_cbranch_execnz .LBB220_27
.LBB220_28:                             ;   in Loop: Header=BB220_13 Depth=2
	s_or_b64 exec, exec, s[10:11]
	v_add_u32_e32 v67, 0x1000, v66
	ds_read2_b32 v[68:69], v67 offset1:32
	ds_read2_b32 v[70:71], v67 offset0:128 offset1:160
	v_add_u32_e32 v67, 0x1400, v66
	ds_read2_b32 v[90:91], v67 offset1:32
	ds_read2_b32 v[92:93], v67 offset0:128 offset1:160
	s_waitcnt lgkmcnt(3)
	v_mfma_f32_16x16x32_fp8_fp8 v[28:31], v[50:51], v[68:69], v[28:31]
	;;#ASMSTART
	s_waitcnt lgkmcnt(0)
	;;#ASMEND
	ds_read_b32 v67, v87 offset:28700
	ds_write_b32 v87, v88 offset:28696
	v_mfma_f32_16x16x32_fp8_fp8 v[8:11], v[60:61], v[68:69], v[8:11]
	s_waitcnt lgkmcnt(1)
	v_cmp_ne_u32_e32 vcc, v67, v72
	v_mfma_f32_16x16x32_fp8_fp8 v[28:31], v[52:53], v[70:71], v[28:31]
	v_mfma_f32_16x16x32_fp8_fp8 v[8:11], v[62:63], v[70:71], v[8:11]
	;; [unrolled: 1-line block ×6, first 2 shown]
	s_and_saveexec_b64 s[10:11], vcc
	s_cbranch_execz .LBB220_31
; %bb.29:                               ;   in Loop: Header=BB220_13 Depth=2
	s_mov_b64 s[12:13], 0
.LBB220_30:                             ;   Parent Loop BB220_7 Depth=1
                                        ;     Parent Loop BB220_13 Depth=2
                                        ; =>    This Inner Loop Header: Depth=3
	;;#ASMSTART
	s_sleep 0
	;;#ASMEND
	ds_read_b32 v67, v87 offset:28700
	s_waitcnt lgkmcnt(0)
	v_cmp_eq_u32_e32 vcc, v67, v72
	s_or_b64 s[12:13], vcc, s[12:13]
	s_andn2_b64 exec, exec, s[12:13]
	s_cbranch_execnz .LBB220_30
.LBB220_31:                             ;   in Loop: Header=BB220_13 Depth=2
	s_or_b64 exec, exec, s[10:11]
	v_add_u32_e32 v67, 0x1800, v66
	ds_read2_b32 v[68:69], v67 offset1:32
	ds_read2_b32 v[70:71], v67 offset0:128 offset1:160
	v_add_u32_e32 v67, 0x1c00, v66
	ds_read2_b32 v[90:91], v67 offset1:32
	ds_read2_b32 v[92:93], v67 offset0:128 offset1:160
	s_waitcnt lgkmcnt(3)
	v_mfma_f32_16x16x32_fp8_fp8 v[24:27], v[50:51], v[68:69], v[24:27]
	;;#ASMSTART
	s_waitcnt lgkmcnt(0)
	;;#ASMEND
	ds_read_b32 v67, v87 offset:28704
	ds_write_b32 v87, v88 offset:28700
	v_mfma_f32_16x16x32_fp8_fp8 v[0:3], v[60:61], v[68:69], v[0:3]
	s_waitcnt lgkmcnt(1)
	v_cmp_ne_u32_e32 vcc, v67, v72
	v_mfma_f32_16x16x32_fp8_fp8 v[24:27], v[52:53], v[70:71], v[24:27]
	v_mfma_f32_16x16x32_fp8_fp8 v[0:3], v[62:63], v[70:71], v[0:3]
	;; [unrolled: 1-line block ×6, first 2 shown]
	s_and_saveexec_b64 s[10:11], vcc
	s_cbranch_execz .LBB220_12
; %bb.32:                               ;   in Loop: Header=BB220_13 Depth=2
	s_mov_b64 s[12:13], 0
.LBB220_33:                             ;   Parent Loop BB220_7 Depth=1
                                        ;     Parent Loop BB220_13 Depth=2
                                        ; =>    This Inner Loop Header: Depth=3
	;;#ASMSTART
	s_sleep 0
	;;#ASMEND
	ds_read_b32 v67, v87 offset:28704
	s_waitcnt lgkmcnt(0)
	v_cmp_eq_u32_e32 vcc, v67, v72
	s_or_b64 s[12:13], vcc, s[12:13]
	s_andn2_b64 exec, exec, s[12:13]
	s_cbranch_execnz .LBB220_33
	s_branch .LBB220_12
.LBB220_34:                             ;   in Loop: Header=BB220_7 Depth=1
	s_or_b64 exec, exec, s[8:9]
.LBB220_35:                             ;   in Loop: Header=BB220_7 Depth=1
	s_or_b64 exec, exec, s[6:7]
	v_cmp_le_i32_e32 vcc, s47, v40
	v_cmp_eq_u32_e64 s[12:13], 1, v74
	v_cmp_eq_u32_e64 s[6:7], 3, v74
	s_waitcnt vmcnt(0)
	v_cndmask_b32_e32 v50, 0, v85, vcc
	v_pk_mul_f32 v[36:37], v[50:51], v[36:37] op_sel_hi:[0,1]
	v_pk_mul_f32 v[54:55], v[50:51], v[38:39] op_sel_hi:[0,1]
	v_cndmask_b32_e64 v38, v36, v37, s[12:13]
	v_cmp_eq_u32_e32 vcc, 2, v74
	v_cmp_eq_u32_e64 s[8:9], 0, v74
	v_cmp_eq_u32_e64 s[10:11], 1, v75
	v_cndmask_b32_e32 v38, v38, v54, vcc
	v_cndmask_b32_e64 v38, v38, v55, s[6:7]
	ds_bpermute_b32 v51, v83, v38
	v_cmp_eq_u32_e64 s[16:17], 3, v75
	s_waitcnt lgkmcnt(0)
	v_cndmask_b32_e64 v38, v55, v51, s[6:7]
	v_cndmask_b32_e32 v39, v54, v51, vcc
	v_cndmask_b32_e64 v37, v37, v51, s[12:13]
	v_cndmask_b32_e64 v51, v36, v51, s[8:9]
	v_or_b32_e32 v36, 16, v40
	v_cmp_le_i32_e64 s[14:15], s47, v36
	v_cndmask_b32_e64 v53, v51, v37, s[10:11]
	s_nop 0
	v_cndmask_b32_e64 v36, 0, v85, s[14:15]
	v_pk_mul_f32 v[32:33], v[36:37], v[32:33] op_sel_hi:[0,1]
	v_pk_mul_f32 v[54:55], v[36:37], v[34:35] op_sel_hi:[0,1]
	v_cndmask_b32_e64 v34, v32, v33, s[12:13]
	v_cndmask_b32_e32 v34, v34, v54, vcc
	v_cndmask_b32_e64 v34, v34, v55, s[6:7]
	ds_bpermute_b32 v56, v83, v34
	v_cmp_eq_u32_e64 s[14:15], 2, v75
	s_waitcnt lgkmcnt(0)
	v_cndmask_b32_e64 v57, v32, v56, s[8:9]
	v_or_b32_e32 v32, 32, v40
	v_cmp_le_i32_e64 s[18:19], s47, v32
	v_cndmask_b32_e64 v33, v33, v56, s[12:13]
	v_cndmask_b32_e64 v34, v53, v39, s[14:15]
	;; [unrolled: 1-line block ×3, first 2 shown]
	v_pk_mul_f32 v[28:29], v[32:33], v[28:29] op_sel_hi:[0,1]
	v_cndmask_b32_e64 v35, v55, v56, s[6:7]
	v_cndmask_b32_e32 v53, v54, v56, vcc
	v_pk_mul_f32 v[54:55], v[32:33], v[30:31] op_sel_hi:[0,1]
	v_cndmask_b32_e64 v30, v28, v29, s[12:13]
	v_cndmask_b32_e32 v30, v30, v54, vcc
	v_cndmask_b32_e64 v30, v30, v55, s[6:7]
	ds_bpermute_b32 v56, v83, v30
	v_cndmask_b32_e64 v30, v57, v33, s[10:11]
	v_cndmask_b32_e64 v30, v30, v53, s[14:15]
	;; [unrolled: 1-line block ×4, first 2 shown]
	s_waitcnt lgkmcnt(0)
	v_cndmask_b32_e64 v59, v28, v56, s[8:9]
	v_or_b32_e32 v28, 48, v40
	v_cmp_le_i32_e64 s[18:19], s47, v28
	v_cndmask_b32_e64 v29, v29, v56, s[12:13]
	v_cndmask_b32_e64 v31, v55, v56, s[6:7]
	;; [unrolled: 1-line block ×3, first 2 shown]
	v_pk_mul_f32 v[24:25], v[28:29], v[24:25] op_sel_hi:[0,1]
	v_pk_mul_f32 v[60:61], v[28:29], v[26:27] op_sel_hi:[0,1]
	v_cndmask_b32_e64 v26, v24, v25, s[12:13]
	v_cndmask_b32_e32 v26, v26, v60, vcc
	v_cndmask_b32_e64 v26, v26, v61, s[6:7]
	v_cndmask_b32_e32 v54, v54, v56, vcc
	ds_bpermute_b32 v56, v83, v26
	v_cmp_le_i32_e64 s[18:19], s47, v76
	v_cndmask_b32_e64 v26, v59, v29, s[10:11]
	v_cndmask_b32_e64 v26, v26, v54, s[14:15]
	;; [unrolled: 1-line block ×3, first 2 shown]
	s_waitcnt lgkmcnt(0)
	v_cndmask_b32_e64 v27, v61, v56, s[6:7]
	v_cndmask_b32_e64 v61, v24, v56, s[8:9]
	;; [unrolled: 1-line block ×3, first 2 shown]
	v_pk_mul_f32 v[64:65], v[24:25], v[20:21] op_sel_hi:[0,1]
	v_pk_mul_f32 v[62:63], v[24:25], v[22:23] op_sel_hi:[0,1]
	v_cndmask_b32_e64 v20, v64, v65, s[12:13]
	v_cndmask_b32_e32 v20, v20, v62, vcc
	v_cndmask_b32_e64 v20, v20, v63, s[6:7]
	ds_bpermute_b32 v21, v83, v20
	v_cndmask_b32_e32 v55, v60, v56, vcc
	v_cndmask_b32_e64 v60, v25, v56, s[12:13]
	v_cndmask_b32_e64 v20, v61, v60, s[10:11]
	;; [unrolled: 1-line block ×4, first 2 shown]
	s_waitcnt lgkmcnt(0)
	v_cndmask_b32_e32 v56, v62, v21, vcc
	v_cmp_ne_u32_e32 vcc, 0, v74
	ds_bpermute_b32 v22, v83, v20
	v_cndmask_b32_e64 v23, v63, v21, s[6:7]
	v_cndmask_b32_e32 v20, v65, v21, vcc
	v_cndmask_b32_e64 v21, v64, v21, s[8:9]
	v_cndmask_b32_e64 v25, v21, v20, s[10:11]
	;; [unrolled: 1-line block ×4, first 2 shown]
	ds_bpermute_b32 v34, v83, v34
	ds_bpermute_b32 v30, v83, v30
	;; [unrolled: 1-line block ×4, first 2 shown]
	v_add_u32_e32 v25, s69, v77
	v_cmp_gt_u32_e32 vcc, 32, v25
	s_and_saveexec_b64 s[18:19], vcc
	s_cbranch_execz .LBB220_40
; %bb.36:                               ;   in Loop: Header=BB220_7 Depth=1
	v_cmp_eq_u32_e64 s[8:9], 1, v75
	v_cmp_eq_u32_e64 s[10:11], 0, v75
	v_cmp_eq_u32_e32 vcc, 3, v75
	s_waitcnt lgkmcnt(3)
	v_cndmask_b32_e64 v37, v37, v34, s[8:9]
	s_waitcnt lgkmcnt(2)
	v_cndmask_b32_e64 v33, v33, v30, s[8:9]
	;; [unrolled: 2-line block ×3, first 2 shown]
	v_cndmask_b32_e64 v62, v60, v22, s[8:9]
	s_waitcnt lgkmcnt(0)
	v_cndmask_b32_e64 v64, v20, v58, s[8:9]
	s_mul_i32 s8, s67, s21
	s_ashr_i32 s9, s8, 31
	v_cndmask_b32_e64 v51, v51, v34, s[10:11]
	s_lshl_b64 s[8:9], s[8:9], 1
	v_cndmask_b32_e64 v57, v57, v30, s[10:11]
	v_cndmask_b32_e64 v59, v59, v26, s[10:11]
	;; [unrolled: 1-line block ×4, first 2 shown]
	s_add_u32 s10, s40, s8
	v_cvt_f16_f32_e32 v51, v51
	v_cvt_f16_f32_sdwa v37, v37 dst_sel:WORD_1 dst_unused:UNUSED_PAD src0_sel:DWORD
	s_addc_u32 s11, s41, s9
	s_ashr_i32 s47, s46, 31
	s_lshl_b64 s[8:9], s[46:47], 1
	s_add_u32 s52, s10, s8
	s_addc_u32 s53, s11, s9
	v_or_b32_e32 v37, v37, v51
	v_lshl_add_u64 v[20:21], v[42:43], 1, s[52:53]
	;;#ASMSTART
	global_atomic_pk_add_f16 v[20:21], v37, off
	
	;;#ASMEND
	v_cvt_f16_f32_e32 v37, v57
	v_cvt_f16_f32_sdwa v33, v33 dst_sel:WORD_1 dst_unused:UNUSED_PAD src0_sel:DWORD
	v_cvt_f16_f32_e32 v51, v59
	v_cvt_f16_f32_sdwa v29, v29 dst_sel:WORD_1 dst_unused:UNUSED_PAD src0_sel:DWORD
	v_lshl_add_u64 v[60:61], v[20:21], 0, 32
	v_or_b32_e32 v33, v33, v37
	;;#ASMSTART
	global_atomic_pk_add_f16 v[60:61], v33, off
	
	;;#ASMEND
	v_or_b32_e32 v29, v29, v51
	v_lshl_add_u64 v[60:61], v[20:21], 0, 64
	;;#ASMSTART
	global_atomic_pk_add_f16 v[60:61], v29, off
	
	;;#ASMEND
	v_cvt_f16_f32_e32 v29, v63
	v_cvt_f16_f32_sdwa v33, v62 dst_sel:WORD_1 dst_unused:UNUSED_PAD src0_sel:DWORD
	v_cvt_f16_f32_e32 v37, v65
	v_cvt_f16_f32_sdwa v51, v64 dst_sel:WORD_1 dst_unused:UNUSED_PAD src0_sel:DWORD
	v_cmp_eq_u32_e64 s[6:7], 2, v75
	v_lshl_add_u64 v[60:61], v[20:21], 0, s[30:31]
	v_or_b32_e32 v29, v33, v29
	v_cmp_gt_u32_e64 s[8:9], 30, v25
	;;#ASMSTART
	global_atomic_pk_add_f16 v[60:61], v29, off
	
	;;#ASMEND
	v_lshl_add_u64 v[60:61], v[20:21], 0, s[34:35]
	v_or_b32_e32 v29, v51, v37
	;;#ASMSTART
	global_atomic_pk_add_f16 v[60:61], v29, off
	
	;;#ASMEND
	s_and_b64 exec, exec, s[8:9]
	s_cbranch_execz .LBB220_40
; %bb.37:                               ;   in Loop: Header=BB220_7 Depth=1
	v_cndmask_b32_e32 v38, v38, v34, vcc
	v_cndmask_b32_e64 v34, v39, v34, s[6:7]
	v_cndmask_b32_e32 v35, v35, v30, vcc
	v_cndmask_b32_e64 v30, v53, v30, s[6:7]
	;; [unrolled: 2-line block ×3, first 2 shown]
	v_cndmask_b32_e32 v53, v23, v58, vcc
	v_cvt_f16_f32_e32 v22, v34
	v_cvt_f16_f32_sdwa v23, v38 dst_sel:WORD_1 dst_unused:UNUSED_PAD src0_sel:DWORD
	v_cvt_f16_f32_e32 v30, v30
	v_cvt_f16_f32_sdwa v34, v35 dst_sel:WORD_1 dst_unused:UNUSED_PAD src0_sel:DWORD
	v_cndmask_b32_e32 v31, v31, v26, vcc
	v_cndmask_b32_e64 v26, v54, v26, s[6:7]
	v_lshl_add_u64 v[20:21], s[28:29], 2, v[20:21]
	v_or_b32_e32 v22, v23, v22
	v_or_b32_e32 v30, v34, v30
	;;#ASMSTART
	global_atomic_pk_add_f16 v[20:21], v22, off
	
	;;#ASMEND
	v_lshl_add_u64 v[22:23], v[20:21], 0, 32
	;;#ASMSTART
	global_atomic_pk_add_f16 v[22:23], v30, off
	
	;;#ASMEND
	v_cvt_f16_f32_e32 v26, v26
	v_cvt_f16_f32_sdwa v30, v31 dst_sel:WORD_1 dst_unused:UNUSED_PAD src0_sel:DWORD
	v_cvt_f16_f32_e32 v31, v39
	v_cvt_f16_f32_sdwa v27, v27 dst_sel:WORD_1 dst_unused:UNUSED_PAD src0_sel:DWORD
	v_mov_b32_e32 v51, v50
	v_or_b32_e32 v26, v30, v26
	v_lshl_add_u64 v[22:23], v[20:21], 0, 64
	;;#ASMSTART
	global_atomic_pk_add_f16 v[22:23], v26, off
	
	;;#ASMEND
	v_or_b32_e32 v30, v27, v31
	v_mov_b32_e32 v26, v50
	v_mov_b32_e32 v27, v50
	v_pk_mul_f32 v[18:19], v[26:27], v[18:19]
	v_pk_mul_f32 v[26:27], v[50:51], v[16:17]
	v_cmp_eq_u32_e64 s[8:9], 1, v74
	v_mov_b32_e32 v37, v36
	v_lshl_add_u64 v[22:23], v[20:21], 0, s[30:31]
	v_cndmask_b32_e64 v16, v26, v27, s[8:9]
	v_cmp_eq_u32_e32 vcc, 2, v74
	;;#ASMSTART
	global_atomic_pk_add_f16 v[22:23], v30, off
	
	;;#ASMEND
	v_lshl_add_u64 v[30:31], v[20:21], 0, s[34:35]
	v_mov_b32_e32 v20, v36
	v_mov_b32_e32 v21, v36
	v_cndmask_b32_e64 v54, v56, v58, s[6:7]
	v_cndmask_b32_e32 v16, v16, v18, vcc
	v_cmp_eq_u32_e64 s[6:7], 3, v74
	v_pk_mul_f32 v[14:15], v[20:21], v[14:15]
	v_pk_mul_f32 v[20:21], v[36:37], v[12:13]
	v_cndmask_b32_e64 v16, v16, v19, s[6:7]
	v_cndmask_b32_e64 v12, v20, v21, s[8:9]
	ds_bpermute_b32 v34, v83, v16
	v_cndmask_b32_e32 v12, v12, v14, vcc
	v_cndmask_b32_e64 v12, v12, v15, s[6:7]
	ds_bpermute_b32 v23, v83, v12
	v_cmp_eq_u32_e64 s[10:11], 0, v74
	s_waitcnt lgkmcnt(1)
	v_cndmask_b32_e64 v16, v19, v34, s[6:7]
	v_cndmask_b32_e32 v17, v18, v34, vcc
	v_cndmask_b32_e64 v18, v27, v34, s[8:9]
	v_cndmask_b32_e64 v19, v26, v34, s[10:11]
	v_cmp_eq_u32_e64 s[12:13], 1, v75
	v_cmp_eq_u32_e64 s[14:15], 2, v75
	v_mov_b32_e32 v33, v32
	v_cndmask_b32_e64 v22, v19, v18, s[12:13]
	v_cndmask_b32_e64 v12, v22, v17, s[14:15]
	s_waitcnt lgkmcnt(0)
	v_cndmask_b32_e64 v13, v15, v23, s[6:7]
	v_cndmask_b32_e32 v14, v14, v23, vcc
	v_cndmask_b32_e64 v15, v21, v23, s[8:9]
	v_cndmask_b32_e64 v20, v20, v23, s[10:11]
	v_mov_b32_e32 v22, v32
	v_mov_b32_e32 v23, v32
	v_pk_mul_f32 v[10:11], v[22:23], v[10:11]
	v_pk_mul_f32 v[22:23], v[32:33], v[8:9]
	v_mov_b32_e32 v29, v28
	v_cndmask_b32_e64 v8, v22, v23, s[8:9]
	v_cndmask_b32_e32 v8, v8, v10, vcc
	v_cndmask_b32_e64 v8, v8, v11, s[6:7]
	ds_bpermute_b32 v26, v83, v8
	v_mov_b32_e32 v27, v28
	v_cmp_eq_u32_e64 s[16:17], 3, v75
	v_mov_b32_e32 v25, v24
	v_cndmask_b32_e64 v8, v20, v15, s[12:13]
	s_waitcnt lgkmcnt(0)
	v_cndmask_b32_e64 v9, v11, v26, s[6:7]
	v_cndmask_b32_e32 v10, v10, v26, vcc
	v_cndmask_b32_e64 v21, v23, v26, s[8:9]
	v_cndmask_b32_e64 v22, v22, v26, s[10:11]
	v_mov_b32_e32 v26, v28
	v_pk_mul_f32 v[28:29], v[28:29], v[0:1]
	v_pk_mul_f32 v[26:27], v[26:27], v[2:3]
	v_cndmask_b32_e64 v0, v28, v29, s[8:9]
	v_cndmask_b32_e32 v0, v0, v26, vcc
	v_cndmask_b32_e64 v0, v0, v27, s[6:7]
	ds_bpermute_b32 v1, v83, v0
	v_cndmask_b32_e64 v0, v22, v21, s[12:13]
	v_cndmask_b32_e64 v0, v0, v10, s[14:15]
	;; [unrolled: 1-line block ×3, first 2 shown]
	ds_bpermute_b32 v2, v83, v0
	s_waitcnt lgkmcnt(1)
	v_cndmask_b32_e64 v3, v27, v1, s[6:7]
	v_cndmask_b32_e32 v11, v26, v1, vcc
	v_cndmask_b32_e64 v0, v29, v1, s[8:9]
	v_cndmask_b32_e64 v1, v28, v1, s[10:11]
	v_mov_b32_e32 v26, v24
	v_mov_b32_e32 v27, v24
	v_pk_mul_f32 v[28:29], v[24:25], v[4:5]
	v_pk_mul_f32 v[26:27], v[26:27], v[6:7]
	v_cndmask_b32_e64 v4, v28, v29, s[8:9]
	v_cndmask_b32_e32 v4, v4, v26, vcc
	v_cndmask_b32_e64 v4, v4, v27, s[6:7]
	ds_bpermute_b32 v7, v83, v4
	v_cndmask_b32_e64 v4, v1, v0, s[12:13]
	v_cndmask_b32_e64 v4, v4, v11, s[14:15]
	;; [unrolled: 1-line block ×3, first 2 shown]
	ds_bpermute_b32 v6, v83, v4
	s_waitcnt lgkmcnt(1)
	v_cndmask_b32_e32 v5, v26, v7, vcc
	v_cmp_ne_u32_e32 vcc, 0, v74
	v_cndmask_b32_e64 v25, v28, v7, s[10:11]
	v_cndmask_b32_e64 v4, v27, v7, s[6:7]
	v_cndmask_b32_e32 v24, v29, v7, vcc
	v_cndmask_b32_e64 v7, v25, v24, s[12:13]
	v_cvt_f16_f32_e32 v35, v54
	v_cvt_f16_f32_sdwa v38, v53 dst_sel:WORD_1 dst_unused:UNUSED_PAD src0_sel:DWORD
	v_cndmask_b32_e64 v8, v8, v14, s[14:15]
	v_cndmask_b32_e64 v7, v7, v5, s[14:15]
	;; [unrolled: 1-line block ×5, first 2 shown]
	ds_bpermute_b32 v12, v83, v12
	ds_bpermute_b32 v8, v83, v8
	;; [unrolled: 1-line block ×3, first 2 shown]
	v_or_b32_e32 v23, v38, v35
	;;#ASMSTART
	global_atomic_pk_add_f16 v[30:31], v23, off
	
	;;#ASMEND
	v_add_u32_e32 v23, s69, v78
	v_cmp_gt_u32_e32 vcc, 32, v23
	s_and_b64 exec, exec, vcc
	s_cbranch_execz .LBB220_40
; %bb.38:                               ;   in Loop: Header=BB220_7 Depth=1
	v_cmp_eq_u32_e64 s[8:9], 1, v75
	v_cmp_eq_u32_e64 s[10:11], 0, v75
	v_cmp_eq_u32_e32 vcc, 3, v75
	s_waitcnt lgkmcnt(2)
	v_cndmask_b32_e64 v18, v18, v12, s[8:9]
	v_cndmask_b32_e64 v19, v19, v12, s[10:11]
	s_waitcnt lgkmcnt(1)
	v_cndmask_b32_e64 v15, v15, v8, s[8:9]
	v_cndmask_b32_e64 v20, v20, v8, s[10:11]
	;; [unrolled: 1-line block ×4, first 2 shown]
	v_cvt_f16_f32_e32 v19, v19
	v_cvt_f16_f32_sdwa v18, v18 dst_sel:WORD_1 dst_unused:UNUSED_PAD src0_sel:DWORD
	v_cvt_f16_f32_e32 v20, v20
	v_cvt_f16_f32_sdwa v15, v15 dst_sel:WORD_1 dst_unused:UNUSED_PAD src0_sel:DWORD
	v_cvt_f16_f32_e32 v22, v22
	v_cvt_f16_f32_sdwa v21, v21 dst_sel:WORD_1 dst_unused:UNUSED_PAD src0_sel:DWORD
	v_cndmask_b32_e64 v26, v0, v6, s[8:9]
	v_cndmask_b32_e64 v27, v1, v6, s[10:11]
	v_lshl_add_u64 v[0:1], v[44:45], 1, s[52:53]
	v_or_b32_e32 v18, v18, v19
	v_or_b32_e32 v15, v15, v20
	;;#ASMSTART
	global_atomic_pk_add_f16 v[0:1], v18, off
	
	;;#ASMEND
	v_lshl_add_u64 v[18:19], v[0:1], 0, 32
	;;#ASMSTART
	global_atomic_pk_add_f16 v[18:19], v15, off
	
	;;#ASMEND
	v_or_b32_e32 v15, v21, v22
	s_waitcnt lgkmcnt(0)
	v_cndmask_b32_e64 v24, v24, v7, s[8:9]
	v_cndmask_b32_e64 v25, v25, v7, s[10:11]
	v_lshl_add_u64 v[18:19], v[0:1], 0, 64
	;;#ASMSTART
	global_atomic_pk_add_f16 v[18:19], v15, off
	
	;;#ASMEND
	v_cvt_f16_f32_e32 v15, v27
	v_cvt_f16_f32_sdwa v20, v26 dst_sel:WORD_1 dst_unused:UNUSED_PAD src0_sel:DWORD
	v_cvt_f16_f32_e32 v21, v25
	v_cvt_f16_f32_sdwa v22, v24 dst_sel:WORD_1 dst_unused:UNUSED_PAD src0_sel:DWORD
	v_cmp_eq_u32_e64 s[6:7], 2, v75
	v_lshl_add_u64 v[18:19], v[0:1], 0, s[30:31]
	v_or_b32_e32 v15, v20, v15
	v_cmp_gt_u32_e64 s[8:9], 30, v23
	;;#ASMSTART
	global_atomic_pk_add_f16 v[18:19], v15, off
	
	;;#ASMEND
	v_lshl_add_u64 v[18:19], v[0:1], 0, s[34:35]
	v_or_b32_e32 v15, v22, v21
	;;#ASMSTART
	global_atomic_pk_add_f16 v[18:19], v15, off
	
	;;#ASMEND
	s_and_b64 exec, exec, s[8:9]
	s_cbranch_execz .LBB220_40
; %bb.39:                               ;   in Loop: Header=BB220_7 Depth=1
	v_cndmask_b32_e32 v15, v16, v12, vcc
	v_cndmask_b32_e64 v12, v17, v12, s[6:7]
	v_cndmask_b32_e32 v13, v13, v8, vcc
	v_cndmask_b32_e64 v8, v14, v8, s[6:7]
	;; [unrolled: 2-line block ×3, first 2 shown]
	v_cndmask_b32_e32 v14, v3, v6, vcc
	v_cvt_f16_f32_e32 v2, v12
	v_cvt_f16_f32_sdwa v3, v15 dst_sel:WORD_1 dst_unused:UNUSED_PAD src0_sel:DWORD
	v_cndmask_b32_e32 v4, v4, v7, vcc
	v_cndmask_b32_e64 v5, v5, v7, s[6:7]
	v_cvt_f16_f32_e32 v7, v8
	v_cvt_f16_f32_sdwa v8, v13 dst_sel:WORD_1 dst_unused:UNUSED_PAD src0_sel:DWORD
	v_cvt_f16_f32_e32 v10, v10
	v_cvt_f16_f32_sdwa v9, v9 dst_sel:WORD_1 dst_unused:UNUSED_PAD src0_sel:DWORD
	v_lshl_add_u64 v[0:1], s[28:29], 2, v[0:1]
	v_or_b32_e32 v2, v3, v2
	v_or_b32_e32 v7, v8, v7
	v_cndmask_b32_e64 v6, v11, v6, s[6:7]
	;;#ASMSTART
	global_atomic_pk_add_f16 v[0:1], v2, off
	
	;;#ASMEND
	v_lshl_add_u64 v[2:3], v[0:1], 0, 32
	;;#ASMSTART
	global_atomic_pk_add_f16 v[2:3], v7, off
	
	;;#ASMEND
	v_or_b32_e32 v7, v9, v10
	v_lshl_add_u64 v[2:3], v[0:1], 0, 64
	;;#ASMSTART
	global_atomic_pk_add_f16 v[2:3], v7, off
	
	;;#ASMEND
	v_cvt_f16_f32_e32 v6, v6
	v_cvt_f16_f32_sdwa v7, v14 dst_sel:WORD_1 dst_unused:UNUSED_PAD src0_sel:DWORD
	v_cvt_f16_f32_e32 v5, v5
	v_cvt_f16_f32_sdwa v4, v4 dst_sel:WORD_1 dst_unused:UNUSED_PAD src0_sel:DWORD
	v_lshl_add_u64 v[2:3], v[0:1], 0, s[30:31]
	v_or_b32_e32 v6, v7, v6
	;;#ASMSTART
	global_atomic_pk_add_f16 v[2:3], v6, off
	
	;;#ASMEND
	v_lshl_add_u64 v[0:1], v[0:1], 0, s[34:35]
	v_or_b32_e32 v2, v4, v5
	;;#ASMSTART
	global_atomic_pk_add_f16 v[0:1], v2, off
	
	;;#ASMEND
.LBB220_40:                             ;   in Loop: Header=BB220_7 Depth=1
	s_or_b64 exec, exec, s[18:19]
	v_subrev_u32_e32 v84, s70, v84
.LBB220_41:                             ;   in Loop: Header=BB220_7 Depth=1
	s_or_b64 exec, exec, s[50:51]
.LBB220_42:                             ;   in Loop: Header=BB220_7 Depth=1
	s_andn2_saveexec_b64 s[6:7], s[48:49]
	s_cbranch_execz .LBB220_51
; %bb.43:                               ;   in Loop: Header=BB220_7 Depth=1
	s_mul_i32 s16, s70, 5
	v_cmp_gt_i32_e32 vcc, s16, v84
	s_and_saveexec_b64 s[8:9], vcc
	s_cbranch_execz .LBB220_50
; %bb.44:                               ;   in Loop: Header=BB220_7 Depth=1
	s_mul_i32 s10, s46, s23
	s_ashr_i32 s11, s10, 31
	s_waitcnt lgkmcnt(0)
	s_add_u32 s10, s38, s10
	s_addc_u32 s11, s39, s11
	s_ashr_i32 s12, s68, 31
	s_add_u32 s10, s10, s68
	s_addc_u32 s11, s11, s12
	v_lshl_add_u64 v[0:1], s[10:11], 0, v[48:49]
	v_lshl_add_u64 v[8:9], v[0:1], 0, v[46:47]
	s_mov_b64 s[10:11], 0
	s_branch .LBB220_46
.LBB220_45:                             ;   in Loop: Header=BB220_46 Depth=2
	s_or_b64 exec, exec, s[12:13]
	v_lshl_or_b32 v12, v10, 11, v80
	;;#ASMSTART
	s_waitcnt vmcnt(1)
	;;#ASMEND
	ds_write2_b32 v12, v4, v5 offset1:32
	ds_write2_b32 v12, v6, v7 offset0:64 offset1:96
	v_add_u32_e32 v4, 0x400, v12
	v_add_u32_e32 v84, s26, v84
	;;#ASMSTART
	s_waitcnt vmcnt(0)
	;;#ASMEND
	ds_write2_b32 v4, v0, v1 offset1:32
	ds_write2_b32 v4, v2, v3 offset0:64 offset1:96
	v_add_u32_e32 v0, 1, v72
	v_add_u32_e32 v52, s26, v10
	v_cmp_le_i32_e32 vcc, s16, v84
	ds_write_b32 v11, v0 offset:16
	v_add_u32_e32 v0, 2, v72
	s_or_b64 s[10:11], vcc, s[10:11]
	v_cmp_lt_i32_e32 vcc, 9, v52
	s_nop 1
	v_cndmask_b32_e32 v72, v72, v0, vcc
	s_andn2_b64 exec, exec, s[10:11]
	s_cbranch_execz .LBB220_49
.LBB220_46:                             ;   Parent Loop BB220_7 Depth=1
                                        ; =>  This Loop Header: Depth=2
                                        ;       Child Loop BB220_48 Depth 3
	v_cmp_gt_i32_e32 vcc, 10, v52
	s_nop 1
	v_cndmask_b32_e64 v0, -10, 0, vcc
	v_add_u32_e32 v10, v0, v52
	v_mul_hi_i32 v0, v84, s56
	v_lshrrev_b32_e32 v1, 31, v0
	v_ashrrev_i32_e32 v0, 1, v0
	v_add_u32_e32 v0, v0, v1
	v_lshl_add_u32 v1, v0, 2, v0
	v_sub_u32_e32 v2, v84, v1
	v_lshlrev_b32_e32 v0, 7, v0
	v_ashrrev_i32_e32 v1, 31, v0
	v_mul_lo_u32 v2, s60, v2
	v_lshl_add_u64 v[0:1], v[8:9], 0, v[0:1]
	v_ashrrev_i32_e32 v3, 31, v2
	v_lshl_add_u64 v[0:1], v[0:1], 0, v[2:3]
	v_lshlrev_b32_e32 v11, 2, v10
	;;#ASMSTART
	global_load_dwordx4 v[4:7], v[0:1], off offset:0   sc0 sc1 nt  
	global_load_dwordx4 v[0:3], v[0:1], off offset:64  sc0 sc1 nt  
	
	;;#ASMEND
	ds_read_b32 v12, v11 offset:28688
	v_add_u32_e32 v11, 0x7000, v11
	s_waitcnt lgkmcnt(0)
	v_cmp_ne_u32_e32 vcc, v12, v72
	s_and_saveexec_b64 s[12:13], vcc
	s_cbranch_execz .LBB220_45
; %bb.47:                               ;   in Loop: Header=BB220_46 Depth=2
	s_mov_b64 s[14:15], 0
.LBB220_48:                             ;   Parent Loop BB220_7 Depth=1
                                        ;     Parent Loop BB220_46 Depth=2
                                        ; =>    This Inner Loop Header: Depth=3
	;;#ASMSTART
	s_sleep 0
	;;#ASMEND
	ds_read_b32 v12, v11 offset:16
	s_waitcnt lgkmcnt(0)
	v_cmp_eq_u32_e32 vcc, v12, v72
	s_or_b64 s[14:15], vcc, s[14:15]
	s_andn2_b64 exec, exec, s[14:15]
	s_cbranch_execnz .LBB220_48
	s_branch .LBB220_45
.LBB220_49:                             ;   in Loop: Header=BB220_7 Depth=1
	s_or_b64 exec, exec, s[10:11]
.LBB220_50:                             ;   in Loop: Header=BB220_7 Depth=1
	s_or_b64 exec, exec, s[8:9]
	v_subrev_u32_e32 v84, s16, v84
.LBB220_51:                             ;   in Loop: Header=BB220_7 Depth=1
	s_or_b64 exec, exec, s[6:7]
.LBB220_52:                             ;   in Loop: Header=BB220_7 Depth=1
	s_andn2_saveexec_b64 s[6:7], s[44:45]
	s_cbranch_execz .LBB220_6
; %bb.53:                               ;   in Loop: Header=BB220_7 Depth=1
	s_lshl_b32 s16, s70, 1
	v_cmp_gt_i32_e32 vcc, s16, v84
	s_and_saveexec_b64 s[8:9], vcc
	s_cbranch_execz .LBB220_5
; %bb.54:                               ;   in Loop: Header=BB220_7 Depth=1
	s_mul_i32 s67, s67, s22
	s_ashr_i32 s10, s67, 31
	s_waitcnt lgkmcnt(0)
	s_add_u32 s11, s36, s67
	v_add_u32_e32 v2, s69, v79
	s_addc_u32 s12, s37, s10
	s_ashr_i32 s13, s68, 31
	v_cmp_gt_u32_e32 vcc, 32, v2
	s_add_u32 s10, s11, s68
	s_addc_u32 s11, s12, s13
	v_cndmask_b32_e32 v0, 0, v81, vcc
	v_ashrrev_i32_e32 v1, 31, v0
	v_lshl_add_u64 v[0:1], s[10:11], 0, v[0:1]
	v_lshl_add_u64 v[8:9], v[0:1], 0, v[46:47]
	v_sub_u32_e32 v10, 31, v2
	s_mov_b64 s[10:11], 0
	s_branch .LBB220_56
.LBB220_55:                             ;   in Loop: Header=BB220_56 Depth=2
	s_or_b64 exec, exec, s[12:13]
	v_lshl_add_u32 v13, v11, 11, v82
	;;#ASMSTART
	s_waitcnt vmcnt(1)
	;;#ASMEND
	ds_write2_b32 v13, v4, v5 offset1:32
	ds_write2_b32 v13, v6, v7 offset0:64 offset1:96
	v_add_u32_e32 v4, 0x400, v13
	v_add_u32_e32 v84, s25, v84
	;;#ASMSTART
	s_waitcnt vmcnt(0)
	;;#ASMEND
	ds_write2_b32 v4, v0, v1 offset1:32
	ds_write2_b32 v4, v2, v3 offset0:64 offset1:96
	v_add_u32_e32 v0, 1, v72
	v_add_u32_e32 v52, s25, v11
	v_cmp_le_i32_e32 vcc, s16, v84
	ds_write_b32 v12, v0
	v_add_u32_e32 v0, 2, v72
	s_or_b64 s[10:11], vcc, s[10:11]
	v_cmp_lt_i32_e32 vcc, 3, v52
	s_nop 1
	v_cndmask_b32_e32 v72, v72, v0, vcc
	s_andn2_b64 exec, exec, s[10:11]
	s_cbranch_execz .LBB220_4
.LBB220_56:                             ;   Parent Loop BB220_7 Depth=1
                                        ; =>  This Loop Header: Depth=2
                                        ;       Child Loop BB220_58 Depth 3
	v_cmp_gt_i32_e32 vcc, 4, v52
	s_nop 1
	v_cndmask_b32_e64 v0, -4, 0, vcc
	v_add_u32_e32 v11, v0, v52
	v_lshrrev_b32_e32 v0, 31, v84
	v_add_u32_e32 v0, v84, v0
	v_and_b32_e32 v1, 0xffffffe, v0
	v_sub_u32_e32 v1, v84, v1
	v_lshlrev_b32_e32 v1, 4, v1
	v_cmp_le_i32_e32 vcc, v1, v10
	v_lshlrev_b32_e32 v0, 6, v0
	v_and_b32_e32 v0, 0xffffff80, v0
	v_cndmask_b32_e32 v2, 0, v1, vcc
	v_ashrrev_i32_e32 v1, 31, v0
	v_mul_lo_u32 v2, v2, s22
	v_lshl_add_u64 v[0:1], v[8:9], 0, v[0:1]
	v_ashrrev_i32_e32 v3, 31, v2
	v_lshl_add_u64 v[0:1], v[0:1], 0, v[2:3]
	v_lshlrev_b32_e32 v12, 2, v11
	;;#ASMSTART
	global_load_dwordx4 v[4:7], v[0:1], off offset:0   
	global_load_dwordx4 v[0:3], v[0:1], off offset:64  
	
	;;#ASMEND
	ds_read_b32 v13, v12 offset:28672
	v_add_u32_e32 v12, 0x7000, v12
	s_waitcnt lgkmcnt(0)
	v_cmp_ne_u32_e32 vcc, v13, v72
	s_and_saveexec_b64 s[12:13], vcc
	s_cbranch_execz .LBB220_55
; %bb.57:                               ;   in Loop: Header=BB220_56 Depth=2
	s_mov_b64 s[14:15], 0
.LBB220_58:                             ;   Parent Loop BB220_7 Depth=1
                                        ;     Parent Loop BB220_56 Depth=2
                                        ; =>    This Inner Loop Header: Depth=3
	;;#ASMSTART
	s_sleep 0
	;;#ASMEND
	ds_read_b32 v13, v12
	s_waitcnt lgkmcnt(0)
	v_cmp_eq_u32_e32 vcc, v13, v72
	s_or_b64 s[14:15], vcc, s[14:15]
	s_andn2_b64 exec, exec, s[14:15]
	s_cbranch_execnz .LBB220_58
	s_branch .LBB220_55
.LBB220_59:
	s_endpgm
	.section	.rodata,"a",@progbits
	.p2align	6, 0x0
	.amdhsa_kernel _Z19_skinny_gemm_kernelILi2ELi5ELi2ELi16ELi4EEvPKhS1_P6__halfPKfiiiiiiii
		.amdhsa_group_segment_fixed_size 28728
		.amdhsa_private_segment_fixed_size 0
		.amdhsa_kernarg_size 64
		.amdhsa_user_sgpr_count 2
		.amdhsa_user_sgpr_dispatch_ptr 0
		.amdhsa_user_sgpr_queue_ptr 0
		.amdhsa_user_sgpr_kernarg_segment_ptr 1
		.amdhsa_user_sgpr_dispatch_id 0
		.amdhsa_user_sgpr_kernarg_preload_length 0
		.amdhsa_user_sgpr_kernarg_preload_offset 0
		.amdhsa_user_sgpr_private_segment_size 0
		.amdhsa_uses_dynamic_stack 0
		.amdhsa_enable_private_segment 0
		.amdhsa_system_sgpr_workgroup_id_x 1
		.amdhsa_system_sgpr_workgroup_id_y 0
		.amdhsa_system_sgpr_workgroup_id_z 0
		.amdhsa_system_sgpr_workgroup_info 0
		.amdhsa_system_vgpr_workitem_id 0
		.amdhsa_next_free_vgpr 94
		.amdhsa_next_free_sgpr 71
		.amdhsa_accum_offset 96
		.amdhsa_reserve_vcc 1
		.amdhsa_float_round_mode_32 0
		.amdhsa_float_round_mode_16_64 0
		.amdhsa_float_denorm_mode_32 3
		.amdhsa_float_denorm_mode_16_64 3
		.amdhsa_dx10_clamp 1
		.amdhsa_ieee_mode 1
		.amdhsa_fp16_overflow 0
		.amdhsa_tg_split 0
		.amdhsa_exception_fp_ieee_invalid_op 0
		.amdhsa_exception_fp_denorm_src 0
		.amdhsa_exception_fp_ieee_div_zero 0
		.amdhsa_exception_fp_ieee_overflow 0
		.amdhsa_exception_fp_ieee_underflow 0
		.amdhsa_exception_fp_ieee_inexact 0
		.amdhsa_exception_int_div_zero 0
	.end_amdhsa_kernel
	.section	.text._Z19_skinny_gemm_kernelILi2ELi5ELi2ELi16ELi4EEvPKhS1_P6__halfPKfiiiiiiii,"axG",@progbits,_Z19_skinny_gemm_kernelILi2ELi5ELi2ELi16ELi4EEvPKhS1_P6__halfPKfiiiiiiii,comdat
.Lfunc_end220:
	.size	_Z19_skinny_gemm_kernelILi2ELi5ELi2ELi16ELi4EEvPKhS1_P6__halfPKfiiiiiiii, .Lfunc_end220-_Z19_skinny_gemm_kernelILi2ELi5ELi2ELi16ELi4EEvPKhS1_P6__halfPKfiiiiiiii
                                        ; -- End function
	.set _Z19_skinny_gemm_kernelILi2ELi5ELi2ELi16ELi4EEvPKhS1_P6__halfPKfiiiiiiii.num_vgpr, 94
	.set _Z19_skinny_gemm_kernelILi2ELi5ELi2ELi16ELi4EEvPKhS1_P6__halfPKfiiiiiiii.num_agpr, 0
	.set _Z19_skinny_gemm_kernelILi2ELi5ELi2ELi16ELi4EEvPKhS1_P6__halfPKfiiiiiiii.numbered_sgpr, 71
	.set _Z19_skinny_gemm_kernelILi2ELi5ELi2ELi16ELi4EEvPKhS1_P6__halfPKfiiiiiiii.num_named_barrier, 0
	.set _Z19_skinny_gemm_kernelILi2ELi5ELi2ELi16ELi4EEvPKhS1_P6__halfPKfiiiiiiii.private_seg_size, 0
	.set _Z19_skinny_gemm_kernelILi2ELi5ELi2ELi16ELi4EEvPKhS1_P6__halfPKfiiiiiiii.uses_vcc, 1
	.set _Z19_skinny_gemm_kernelILi2ELi5ELi2ELi16ELi4EEvPKhS1_P6__halfPKfiiiiiiii.uses_flat_scratch, 0
	.set _Z19_skinny_gemm_kernelILi2ELi5ELi2ELi16ELi4EEvPKhS1_P6__halfPKfiiiiiiii.has_dyn_sized_stack, 0
	.set _Z19_skinny_gemm_kernelILi2ELi5ELi2ELi16ELi4EEvPKhS1_P6__halfPKfiiiiiiii.has_recursion, 0
	.set _Z19_skinny_gemm_kernelILi2ELi5ELi2ELi16ELi4EEvPKhS1_P6__halfPKfiiiiiiii.has_indirect_call, 0
	.section	.AMDGPU.csdata,"",@progbits
; Kernel info:
; codeLenInByte = 6336
; TotalNumSgprs: 77
; NumVgprs: 94
; NumAgprs: 0
; TotalNumVgprs: 94
; ScratchSize: 0
; MemoryBound: 0
; FloatMode: 240
; IeeeMode: 1
; LDSByteSize: 28728 bytes/workgroup (compile time only)
; SGPRBlocks: 9
; VGPRBlocks: 11
; NumSGPRsForWavesPerEU: 77
; NumVGPRsForWavesPerEU: 94
; AccumOffset: 96
; Occupancy: 5
; WaveLimiterHint : 0
; COMPUTE_PGM_RSRC2:SCRATCH_EN: 0
; COMPUTE_PGM_RSRC2:USER_SGPR: 2
; COMPUTE_PGM_RSRC2:TRAP_HANDLER: 0
; COMPUTE_PGM_RSRC2:TGID_X_EN: 1
; COMPUTE_PGM_RSRC2:TGID_Y_EN: 0
; COMPUTE_PGM_RSRC2:TGID_Z_EN: 0
; COMPUTE_PGM_RSRC2:TIDIG_COMP_CNT: 0
; COMPUTE_PGM_RSRC3_GFX90A:ACCUM_OFFSET: 23
; COMPUTE_PGM_RSRC3_GFX90A:TG_SPLIT: 0
	.section	.text._Z19_skinny_gemm_kernelILi2ELi5ELi2ELi16ELi8EEvPKhS1_P6__halfPKfiiiiiiii,"axG",@progbits,_Z19_skinny_gemm_kernelILi2ELi5ELi2ELi16ELi8EEvPKhS1_P6__halfPKfiiiiiiii,comdat
	.protected	_Z19_skinny_gemm_kernelILi2ELi5ELi2ELi16ELi8EEvPKhS1_P6__halfPKfiiiiiiii ; -- Begin function _Z19_skinny_gemm_kernelILi2ELi5ELi2ELi16ELi8EEvPKhS1_P6__halfPKfiiiiiiii
	.globl	_Z19_skinny_gemm_kernelILi2ELi5ELi2ELi16ELi8EEvPKhS1_P6__halfPKfiiiiiiii
	.p2align	8
	.type	_Z19_skinny_gemm_kernelILi2ELi5ELi2ELi16ELi8EEvPKhS1_P6__halfPKfiiiiiiii,@function
_Z19_skinny_gemm_kernelILi2ELi5ELi2ELi16ELi8EEvPKhS1_P6__halfPKfiiiiiiii: ; @_Z19_skinny_gemm_kernelILi2ELi5ELi2ELi16ELi8EEvPKhS1_P6__halfPKfiiiiiiii
; %bb.0:
	v_cmp_gt_u32_e32 vcc, 14, v0
	v_lshlrev_b32_e32 v1, 2, v0
	s_and_saveexec_b64 s[4:5], vcc
; %bb.1:
	v_mov_b32_e32 v2, 0
	ds_write_b32 v1, v2 offset:57344
; %bb.2:
	s_or_b64 exec, exec, s[4:5]
	s_load_dwordx8 s[20:27], s[0:1], 0x20
	s_mov_b32 s56, 0x66666667
	s_waitcnt lgkmcnt(0)
	s_barrier
	s_add_i32 s3, s20, 31
	s_ashr_i32 s5, s3, 31
	s_lshr_b32 s5, s5, 27
	s_add_i32 s4, s21, 0x4f
	s_add_i32 s3, s3, s5
	s_ashr_i32 s33, s3, 5
	s_mul_hi_i32 s3, s4, 0x66666667
	s_lshr_b32 s4, s3, 31
	s_ashr_i32 s54, s3, 5
	s_add_i32 s54, s54, s4
	s_mul_i32 s3, s54, s33
	s_mul_i32 s3, s3, s24
	s_add_i32 s4, s3, 0x12f
	s_mul_hi_i32 s4, s4, 0x6bca1af3
	s_lshr_b32 s5, s4, 31
	s_ashr_i32 s4, s4, 7
	s_add_i32 s4, s4, s5
	s_add_i32 s5, s2, 1
	s_mul_i32 s5, s4, s5
	v_cvt_f64_i32_e32 v[2:3], s3
	v_cvt_f64_u32_e32 v[4:5], s5
	v_min_f64 v[2:3], v[2:3], v[4:5]
	v_cvt_i32_f64_e32 v41, v[2:3]
	s_mul_i32 s55, s4, s2
	v_cmp_ge_i32_e32 vcc, s55, v41
	s_cbranch_vccnz .LBB221_59
; %bb.3:
	v_lshrrev_b32_e32 v2, 6, v0
	s_add_i32 s4, s26, s25
	s_load_dwordx8 s[36:43], s[0:1], 0x0
	v_cmp_le_i32_e64 s[0:1], s4, v2
	v_mov_b32_e32 v3, s25
	v_cmp_le_i32_e64 s[2:3], s25, v2
	v_mov_b32_e32 v4, s26
	v_cndmask_b32_e64 v4, 0, v4, s[0:1]
	v_cndmask_b32_e64 v3, 0, v3, s[2:3]
	s_abs_i32 s5, s24
	v_add_u32_e32 v3, v3, v4
	v_cvt_f32_u32_e32 v4, s5
	v_sub_u32_e32 v52, v2, v3
	s_ashr_i32 s6, s22, 31
	s_lshr_b32 s6, s6, 24
	v_rcp_iflag_f32_e32 v3, v4
	s_sub_i32 s9, 0, s5
	s_add_i32 s6, s22, s6
	s_ashr_i32 s6, s6, 8
	v_mul_f32_e32 v3, 0x4f7ffffe, v3
	v_cvt_u32_f32_e32 v3, v3
	s_abs_i32 s8, s6
	s_xor_b32 s7, s6, s24
	s_ashr_i32 s7, s7, 31
	v_readfirstlane_b32 s10, v3
	s_mul_i32 s9, s9, s10
	s_mul_hi_u32 s9, s10, s9
	s_add_i32 s10, s10, s9
	s_mul_hi_u32 s9, s8, s10
	s_mul_i32 s10, s9, s5
	s_sub_i32 s8, s8, s10
	s_add_i32 s10, s9, 1
	s_sub_i32 s11, s8, s5
	s_cmp_ge_u32 s8, s5
	s_cselect_b32 s9, s10, s9
	s_cselect_b32 s8, s11, s8
	s_add_i32 s10, s9, 1
	s_cmp_ge_u32 s8, s5
	s_cselect_b32 s5, s10, s9
	s_xor_b32 s5, s5, s7
	s_sub_i32 s57, s5, s7
	s_add_i32 s24, s24, -1
	s_mul_i32 s5, s57, s24
	s_add_i32 s4, s4, s27
	s_sub_i32 s58, s6, s5
	v_cmp_gt_i32_e64 s[4:5], s4, v2
	v_lshlrev_b32_e32 v2, 1, v0
	v_lshlrev_b32_e32 v3, 4, v0
	v_and_b32_e32 v1, 60, v1
	v_and_b32_e32 v2, 64, v2
	v_and_b32_e32 v4, 0x100, v3
	v_or3_b32 v91, v1, v2, v4
	v_and_b32_e32 v1, 1, v0
	v_lshrrev_b32_e32 v4, 2, v0
	s_abs_i32 s59, s33
	v_and_or_b32 v99, v4, 12, v1
	v_cvt_f32_u32_e32 v4, s59
	v_lshlrev_b32_e32 v2, 1, v1
	v_and_b32_e32 v40, 14, v0
	v_sub_u32_e32 v2, v0, v2
	v_bitop3_b32 v93, v0, 1, v0 bitop3:0xc
	v_bitop3_b32 v94, v0, 3, 1 bitop3:0x6c
	v_and_b32_e32 v46, 48, v3
	v_bfe_u32 v101, v0, 2, 4
	v_and_b32_e32 v1, 60, v0
	v_lshlrev_b32_e32 v3, 8, v0
	v_lshlrev_b32_e32 v0, 6, v0
	v_and_b32_e32 v3, 0x200, v3
	v_and_b32_e32 v0, 64, v0
	v_or3_b32 v102, v1, v3, v0
	v_rcp_iflag_f32_e32 v0, v4
	s_abs_i32 s61, s54
	v_cvt_f32_u32_e32 v1, s61
	v_mad_u64_u32 v[42:43], s[6:7], s21, v99, v[40:41]
	v_mul_f32_e32 v0, 0x4f7ffffe, v0
	v_cvt_u32_f32_e32 v0, v0
	v_rcp_iflag_f32_e32 v1, v1
	s_sub_i32 s6, 0, s59
	v_add_u32_e32 v2, 1, v2
	v_readfirstlane_b32 s7, v0
	v_mul_f32_e32 v0, 0x4f7ffffe, v1
	v_cvt_u32_f32_e32 v0, v0
	s_mul_i32 s6, s6, s7
	s_mul_hi_u32 s6, s7, s6
	s_add_i32 s63, s7, s6
	s_sub_i32 s6, 0, s61
	v_readfirstlane_b32 s7, v0
	v_mbcnt_lo_u32_b32 v0, -1, 0
	v_and_b32_e32 v2, 63, v2
	s_mul_i32 s6, s6, s7
	v_mbcnt_hi_u32_b32 v0, -1, v0
	v_lshl_add_u32 v44, s21, 4, v42
	v_mul_lo_u32 v48, s23, v101
	s_mul_hi_u32 s6, s7, s6
	v_and_or_b32 v0, v0, 64, v2
	v_cndmask_b32_e64 v90, 0, 1, s[0:1]
	v_or_b32_e32 v92, 0xa000, v91
	s_ashr_i32 s29, s21, 31
	s_mov_b32 s28, s21
	v_or_b32_e32 v95, 16, v40
	v_or_b32_e32 v96, 32, v40
	;; [unrolled: 1-line block ×4, first 2 shown]
	v_ashrrev_i32_e32 v43, 31, v42
	v_or_b32_e32 v100, 16, v99
	v_ashrrev_i32_e32 v45, 31, v44
	v_ashrrev_i32_e32 v49, 31, v48
	v_mov_b32_e32 v47, 0
	s_lshl_b32 s60, s23, 4
	v_mul_lo_u32 v103, s22, v101
	v_or_b32_e32 v104, 0xa000, v102
	s_ashr_i32 s62, s33, 31
	s_ashr_i32 s64, s54, 31
	s_add_i32 s65, s7, s6
	s_movk_i32 s66, 0x5000
	s_mov_b64 s[30:31], 0x60
	s_mov_b64 s[34:35], 0x80
	v_lshlrev_b32_e32 v105, 2, v0
	v_mov_b32_e32 v106, v52
	s_branch .LBB221_7
.LBB221_4:                              ;   in Loop: Header=BB221_7 Depth=1
	s_or_b64 exec, exec, s[10:11]
.LBB221_5:                              ;   in Loop: Header=BB221_7 Depth=1
	s_or_b64 exec, exec, s[8:9]
	v_subrev_u32_e32 v106, s16, v106
.LBB221_6:                              ;   in Loop: Header=BB221_7 Depth=1
	s_or_b64 exec, exec, s[6:7]
	s_add_i32 s55, s55, 1
	v_cmp_ge_i32_e32 vcc, s55, v41
	s_cbranch_vccnz .LBB221_59
.LBB221_7:                              ; =>This Loop Header: Depth=1
                                        ;     Child Loop BB221_13 Depth 2
                                        ;       Child Loop BB221_15 Depth 3
                                        ;       Child Loop BB221_18 Depth 3
	;; [unrolled: 1-line block ×7, first 2 shown]
                                        ;     Child Loop BB221_46 Depth 2
                                        ;       Child Loop BB221_48 Depth 3
                                        ;     Child Loop BB221_56 Depth 2
                                        ;       Child Loop BB221_58 Depth 3
	s_abs_i32 s7, s55
	s_mul_hi_u32 s8, s7, s63
	s_mul_i32 s9, s8, s59
	s_ashr_i32 s6, s55, 31
	s_sub_i32 s7, s7, s9
	s_xor_b32 s6, s6, s62
	s_add_i32 s9, s8, 1
	s_sub_i32 s10, s7, s59
	s_cmp_ge_u32 s7, s59
	s_cselect_b32 s8, s9, s8
	s_cselect_b32 s7, s10, s7
	s_add_i32 s9, s8, 1
	s_cmp_ge_u32 s7, s59
	s_cselect_b32 s7, s9, s8
	s_xor_b32 s7, s7, s6
	s_sub_i32 s6, s7, s6
	s_abs_i32 s8, s6
	s_mul_i32 s7, s6, s33
	s_mul_hi_u32 s9, s8, s65
	s_sub_i32 s7, s55, s7
	s_mul_i32 s10, s9, s61
	s_lshl_b32 s67, s7, 5
	s_ashr_i32 s7, s6, 31
	s_sub_i32 s8, s8, s10
	s_xor_b32 s7, s7, s64
	s_add_i32 s10, s9, 1
	s_sub_i32 s11, s8, s61
	s_cmp_ge_u32 s8, s61
	s_cselect_b32 s9, s10, s9
	s_cselect_b32 s8, s11, s8
	s_add_i32 s10, s9, 1
	s_cmp_ge_u32 s8, s61
	s_cselect_b32 s8, s10, s9
	s_xor_b32 s8, s8, s7
	s_sub_i32 s7, s8, s7
	s_mul_i32 s8, s7, s57
	s_lshl_b32 s68, s8, 8
	s_cmp_eq_u32 s7, s24
	s_cselect_b32 s70, s58, s57
	s_sub_i32 s8, s67, s20
	s_add_i32 s8, s8, 32
	s_max_i32 s69, s8, 0
	s_and_saveexec_b64 s[8:9], s[2:3]
	s_xor_b64 s[44:45], exec, s[8:9]
	s_cbranch_execz .LBB221_52
; %bb.8:                                ;   in Loop: Header=BB221_7 Depth=1
	s_mul_i32 s7, s7, s54
	s_sub_i32 s6, s6, s7
	s_mulk_i32 s6, 0x50
	s_sub_i32 s47, s6, s21
	s_addk_i32 s47, 0x50
	s_max_i32 s7, s47, 0
	s_sub_i32 s46, s6, s7
	s_and_saveexec_b64 s[6:7], s[0:1]
	s_xor_b64 s[48:49], exec, s[6:7]
	s_cbranch_execz .LBB221_42
; %bb.9:                                ;   in Loop: Header=BB221_7 Depth=1
	s_and_saveexec_b64 s[50:51], s[4:5]
	s_cbranch_execz .LBB221_41
; %bb.10:                               ;   in Loop: Header=BB221_7 Depth=1
	s_waitcnt lgkmcnt(0)
	global_load_dword v107, v47, s[42:43]
	v_mov_b32_e32 v39, 0
	v_cmp_gt_i32_e32 vcc, s70, v106
	v_mov_b32_e32 v38, v39
	v_mov_b32_e32 v37, v39
	;; [unrolled: 1-line block ×39, first 2 shown]
	s_and_saveexec_b64 s[6:7], vcc
	s_cbranch_execz .LBB221_35
; %bb.11:                               ;   in Loop: Header=BB221_7 Depth=1
	v_mov_b32_e32 v4, 0
	s_mov_b64 s[8:9], 0
	v_mov_b32_e32 v5, v4
	v_mov_b32_e32 v6, v4
	;; [unrolled: 1-line block ×39, first 2 shown]
	s_branch .LBB221_13
.LBB221_12:                             ;   in Loop: Header=BB221_13 Depth=2
	s_or_b64 exec, exec, s[10:11]
	v_add_u32_e32 v84, 0x4000, v110
	ds_read2_b32 v[82:83], v84 offset1:32
	v_add_u32_e32 v106, s27, v106
	s_waitcnt lgkmcnt(0)
	v_mfma_f32_16x16x32_fp8_fp8 v[20:23], v[50:51], v[82:83], v[20:23]
	ds_read2_b32 v[50:51], v84 offset0:128 offset1:160
	v_add_u32_e32 v84, 0x4400, v110
	v_mfma_f32_16x16x32_fp8_fp8 v[4:7], v[68:69], v[82:83], v[4:7]
	s_waitcnt lgkmcnt(0)
	v_mfma_f32_16x16x32_fp8_fp8 v[20:23], v[52:53], v[50:51], v[20:23]
	ds_read2_b32 v[52:53], v84 offset1:32
	s_waitcnt lgkmcnt(0)
	v_mfma_f32_16x16x32_fp8_fp8 v[20:23], v[58:59], v[52:53], v[20:23]
	ds_read2_b32 v[58:59], v84 offset0:128 offset1:160
	v_add_u32_e32 v84, 0x4800, v110
	v_mfma_f32_16x16x32_fp8_fp8 v[4:7], v[70:71], v[50:51], v[4:7]
	v_add_u32_e32 v50, 2, v90
	s_waitcnt lgkmcnt(0)
	v_mfma_f32_16x16x32_fp8_fp8 v[20:23], v[54:55], v[58:59], v[20:23]
	ds_read2_b32 v[54:55], v84 offset1:32
	v_mfma_f32_16x16x32_fp8_fp8 v[4:7], v[74:75], v[52:53], v[4:7]
	v_add_u32_e32 v52, s27, v108
	v_cmp_lt_i32_e32 vcc, 1, v52
	v_mfma_f32_16x16x32_fp8_fp8 v[4:7], v[76:77], v[58:59], v[4:7]
	s_nop 0
	v_cndmask_b32_e32 v90, v90, v50, vcc
	v_cmp_le_i32_e32 vcc, s70, v106
	s_or_b64 s[8:9], vcc, s[8:9]
	s_waitcnt lgkmcnt(0)
	v_mfma_f32_16x16x32_fp8_fp8 v[20:23], v[60:61], v[54:55], v[20:23]
	ds_read2_b32 v[60:61], v84 offset0:128 offset1:160
	v_add_u32_e32 v84, 0x4c00, v110
	v_mfma_f32_16x16x32_fp8_fp8 v[4:7], v[78:79], v[54:55], v[4:7]
	s_waitcnt lgkmcnt(0)
	v_mfma_f32_16x16x32_fp8_fp8 v[20:23], v[56:57], v[60:61], v[20:23]
	ds_read2_b32 v[56:57], v84 offset1:32
	v_mfma_f32_16x16x32_fp8_fp8 v[4:7], v[80:81], v[60:61], v[4:7]
	s_waitcnt lgkmcnt(0)
	v_mfma_f32_16x16x32_fp8_fp8 v[20:23], v[62:63], v[56:57], v[20:23]
	ds_read2_b32 v[62:63], v84 offset0:128 offset1:160
	;;#ASMSTART
	s_waitcnt lgkmcnt(0)
	;;#ASMEND
	ds_write_b32 v109, v111 offset:57376
	v_mfma_f32_16x16x32_fp8_fp8 v[4:7], v[72:73], v[56:57], v[4:7]
	s_waitcnt lgkmcnt(1)
	v_mfma_f32_16x16x32_fp8_fp8 v[20:23], v[64:65], v[62:63], v[20:23]
	v_mfma_f32_16x16x32_fp8_fp8 v[4:7], v[66:67], v[62:63], v[4:7]
	s_andn2_b64 exec, exec, s[8:9]
	s_cbranch_execz .LBB221_34
.LBB221_13:                             ;   Parent Loop BB221_7 Depth=1
                                        ; =>  This Loop Header: Depth=2
                                        ;       Child Loop BB221_15 Depth 3
                                        ;       Child Loop BB221_18 Depth 3
	;; [unrolled: 1-line block ×7, first 2 shown]
	v_cmp_gt_i32_e32 vcc, 2, v52
	s_nop 1
	v_cndmask_b32_e64 v50, -2, 0, vcc
	v_add_u32_e32 v108, v50, v52
	v_mul_lo_u32 v109, v108, 20
	ds_read_b32 v50, v109 offset:57360
	s_waitcnt lgkmcnt(0)
	v_cmp_ne_u32_e32 vcc, v50, v90
	s_and_saveexec_b64 s[10:11], vcc
	s_cbranch_execz .LBB221_16
; %bb.14:                               ;   in Loop: Header=BB221_13 Depth=2
	s_mov_b64 s[12:13], 0
.LBB221_15:                             ;   Parent Loop BB221_7 Depth=1
                                        ;     Parent Loop BB221_13 Depth=2
                                        ; =>    This Inner Loop Header: Depth=3
	;;#ASMSTART
	s_sleep 0
	;;#ASMEND
	ds_read_b32 v50, v109 offset:57360
	s_waitcnt lgkmcnt(0)
	v_cmp_eq_u32_e32 vcc, v50, v90
	s_or_b64 s[12:13], vcc, s[12:13]
	s_andn2_b64 exec, exec, s[12:13]
	s_cbranch_execnz .LBB221_15
.LBB221_16:                             ;   in Loop: Header=BB221_13 Depth=2
	s_or_b64 exec, exec, s[10:11]
	v_mul_lo_u32 v50, v108, s66
	v_or_b32_e32 v110, v91, v50
	v_add_u32_e32 v50, 0x400, v110
	ds_read2_b32 v[66:67], v110 offset1:32
	ds_read2_b32 v[72:73], v110 offset0:128 offset1:160
	ds_read2_b32 v[78:79], v50 offset1:32
	ds_read2_b32 v[80:81], v50 offset0:128 offset1:160
	v_add_u32_e32 v50, 0x800, v110
	ds_read2_b32 v[82:83], v50 offset1:32
	ds_read2_b32 v[84:85], v50 offset0:128 offset1:160
	v_add_u32_e32 v50, 0xc00, v110
	v_add_u32_e32 v111, 1, v90
	ds_read2_b32 v[88:89], v50 offset1:32
	ds_read2_b32 v[86:87], v50 offset0:128 offset1:160
	;;#ASMSTART
	s_waitcnt lgkmcnt(0)
	;;#ASMEND
	ds_write_b32 v109, v111 offset:57360
	v_lshlrev_b32_e32 v112, 3, v108
	ds_read_b32 v50, v112 offset:57344
	s_waitcnt lgkmcnt(0)
	v_cmp_ne_u32_e32 vcc, v50, v90
	s_and_saveexec_b64 s[10:11], vcc
	s_cbranch_execz .LBB221_19
; %bb.17:                               ;   in Loop: Header=BB221_13 Depth=2
	s_mov_b64 s[12:13], 0
.LBB221_18:                             ;   Parent Loop BB221_7 Depth=1
                                        ;     Parent Loop BB221_13 Depth=2
                                        ; =>    This Inner Loop Header: Depth=3
	;;#ASMSTART
	s_sleep 0
	;;#ASMEND
	ds_read_b32 v50, v112 offset:57344
	s_waitcnt lgkmcnt(0)
	v_cmp_eq_u32_e32 vcc, v50, v90
	s_or_b64 s[12:13], vcc, s[12:13]
	s_andn2_b64 exec, exec, s[12:13]
	s_cbranch_execnz .LBB221_18
.LBB221_19:                             ;   in Loop: Header=BB221_13 Depth=2
	s_or_b64 exec, exec, s[10:11]
	v_lshlrev_b32_e32 v50, 13, v108
	v_add_u32_e32 v113, v92, v50
	ds_read2_b32 v[50:51], v113 offset1:32
	ds_read2_b32 v[52:53], v113 offset0:128 offset1:160
	v_add_u32_e32 v54, 0x400, v113
	ds_read2_b32 v[58:59], v54 offset1:32
	ds_read2_b32 v[54:55], v54 offset0:128 offset1:160
	;; [unrolled: 3-line block ×3, first 2 shown]
	v_add_u32_e32 v64, 0xc00, v113
	s_waitcnt lgkmcnt(5)
	v_mfma_f32_16x16x32_fp8_fp8 v[36:39], v[50:51], v[66:67], v[36:39]
	ds_read2_b32 v[62:63], v64 offset1:32
	ds_read2_b32 v[64:65], v64 offset0:128 offset1:160
	ds_read_b32 v68, v112 offset:57348
	ds_write_b32 v112, v111 offset:57344
	s_waitcnt lgkmcnt(8)
	v_mfma_f32_16x16x32_fp8_fp8 v[36:39], v[52:53], v[72:73], v[36:39]
	s_waitcnt lgkmcnt(1)
	v_cmp_ne_u32_e32 vcc, v68, v90
	v_mfma_f32_16x16x32_fp8_fp8 v[36:39], v[58:59], v[78:79], v[36:39]
	v_mfma_f32_16x16x32_fp8_fp8 v[36:39], v[54:55], v[80:81], v[36:39]
	;; [unrolled: 1-line block ×6, first 2 shown]
	s_and_saveexec_b64 s[10:11], vcc
	s_cbranch_execz .LBB221_22
; %bb.20:                               ;   in Loop: Header=BB221_13 Depth=2
	s_mov_b64 s[12:13], 0
.LBB221_21:                             ;   Parent Loop BB221_7 Depth=1
                                        ;     Parent Loop BB221_13 Depth=2
                                        ; =>    This Inner Loop Header: Depth=3
	;;#ASMSTART
	s_sleep 0
	;;#ASMEND
	ds_read_b32 v68, v112 offset:57348
	s_waitcnt lgkmcnt(0)
	v_cmp_eq_u32_e32 vcc, v68, v90
	s_or_b64 s[12:13], vcc, s[12:13]
	s_andn2_b64 exec, exec, s[12:13]
	s_cbranch_execnz .LBB221_21
.LBB221_22:                             ;   in Loop: Header=BB221_13 Depth=2
	s_or_b64 exec, exec, s[10:11]
	v_add_u32_e32 v70, 0x1000, v113
	ds_read2_b32 v[68:69], v70 offset1:32
	ds_read2_b32 v[70:71], v70 offset0:128 offset1:160
	v_add_u32_e32 v76, 0x1400, v113
	ds_read2_b32 v[74:75], v76 offset1:32
	ds_read2_b32 v[76:77], v76 offset0:128 offset1:160
	s_waitcnt lgkmcnt(3)
	v_mfma_f32_16x16x32_fp8_fp8 v[16:19], v[68:69], v[66:67], v[16:19]
	v_add_u32_e32 v66, 0x1800, v113
	ds_write_b32 v112, v111 offset:57348
	s_waitcnt lgkmcnt(3)
	v_mfma_f32_16x16x32_fp8_fp8 v[16:19], v[70:71], v[72:73], v[16:19]
	s_waitcnt lgkmcnt(2)
	v_mfma_f32_16x16x32_fp8_fp8 v[16:19], v[74:75], v[78:79], v[16:19]
	ds_read2_b32 v[78:79], v66 offset1:32
	s_waitcnt lgkmcnt(2)
	v_mfma_f32_16x16x32_fp8_fp8 v[16:19], v[76:77], v[80:81], v[16:19]
	ds_read2_b32 v[80:81], v66 offset0:128 offset1:160
	v_add_u32_e32 v66, 0x1c00, v113
	ds_read2_b32 v[72:73], v66 offset1:32
	ds_read2_b32 v[66:67], v66 offset0:128 offset1:160
	s_waitcnt lgkmcnt(3)
	v_mfma_f32_16x16x32_fp8_fp8 v[16:19], v[78:79], v[82:83], v[16:19]
	ds_read_b32 v82, v109 offset:57364
	s_waitcnt lgkmcnt(0)
	v_cmp_ne_u32_e32 vcc, v82, v90
	v_mfma_f32_16x16x32_fp8_fp8 v[16:19], v[80:81], v[84:85], v[16:19]
	v_mfma_f32_16x16x32_fp8_fp8 v[16:19], v[72:73], v[88:89], v[16:19]
	v_mfma_f32_16x16x32_fp8_fp8 v[16:19], v[66:67], v[86:87], v[16:19]
	s_and_saveexec_b64 s[10:11], vcc
	s_cbranch_execz .LBB221_25
; %bb.23:                               ;   in Loop: Header=BB221_13 Depth=2
	s_mov_b64 s[12:13], 0
.LBB221_24:                             ;   Parent Loop BB221_7 Depth=1
                                        ;     Parent Loop BB221_13 Depth=2
                                        ; =>    This Inner Loop Header: Depth=3
	;;#ASMSTART
	s_sleep 0
	;;#ASMEND
	ds_read_b32 v82, v109 offset:57364
	s_waitcnt lgkmcnt(0)
	v_cmp_eq_u32_e32 vcc, v82, v90
	s_or_b64 s[12:13], vcc, s[12:13]
	s_andn2_b64 exec, exec, s[12:13]
	s_cbranch_execnz .LBB221_24
.LBB221_25:                             ;   in Loop: Header=BB221_13 Depth=2
	s_or_b64 exec, exec, s[10:11]
	v_add_u32_e32 v84, 0x1000, v110
	ds_read2_b32 v[82:83], v84 offset1:32
	ds_read2_b32 v[84:85], v84 offset0:128 offset1:160
	v_add_u32_e32 v88, 0x1400, v110
	ds_read2_b32 v[86:87], v88 offset1:32
	ds_read2_b32 v[88:89], v88 offset0:128 offset1:160
	s_waitcnt lgkmcnt(3)
	v_mfma_f32_16x16x32_fp8_fp8 v[32:35], v[50:51], v[82:83], v[32:35]
	v_add_u32_e32 v114, 0x1800, v110
	ds_read2_b32 v[112:113], v114 offset1:32
	ds_read2_b32 v[114:115], v114 offset0:128 offset1:160
	v_mfma_f32_16x16x32_fp8_fp8 v[12:15], v[68:69], v[82:83], v[12:15]
	v_add_u32_e32 v118, 0x1c00, v110
	ds_read2_b32 v[116:117], v118 offset1:32
	ds_read2_b32 v[118:119], v118 offset0:128 offset1:160
	s_waitcnt lgkmcnt(6)
	v_mfma_f32_16x16x32_fp8_fp8 v[32:35], v[52:53], v[84:85], v[32:35]
	;;#ASMSTART
	s_waitcnt lgkmcnt(0)
	;;#ASMEND
	ds_read_b32 v82, v109 offset:57368
	ds_write_b32 v109, v111 offset:57364
	v_mfma_f32_16x16x32_fp8_fp8 v[12:15], v[70:71], v[84:85], v[12:15]
	s_waitcnt lgkmcnt(1)
	v_cmp_ne_u32_e32 vcc, v82, v90
	v_mfma_f32_16x16x32_fp8_fp8 v[32:35], v[58:59], v[86:87], v[32:35]
	v_mfma_f32_16x16x32_fp8_fp8 v[12:15], v[74:75], v[86:87], v[12:15]
	v_mfma_f32_16x16x32_fp8_fp8 v[32:35], v[54:55], v[88:89], v[32:35]
	v_mfma_f32_16x16x32_fp8_fp8 v[12:15], v[76:77], v[88:89], v[12:15]
	v_mfma_f32_16x16x32_fp8_fp8 v[32:35], v[60:61], v[112:113], v[32:35]
	v_mfma_f32_16x16x32_fp8_fp8 v[12:15], v[78:79], v[112:113], v[12:15]
	v_mfma_f32_16x16x32_fp8_fp8 v[32:35], v[56:57], v[114:115], v[32:35]
	v_mfma_f32_16x16x32_fp8_fp8 v[12:15], v[80:81], v[114:115], v[12:15]
	v_mfma_f32_16x16x32_fp8_fp8 v[32:35], v[62:63], v[116:117], v[32:35]
	v_mfma_f32_16x16x32_fp8_fp8 v[12:15], v[72:73], v[116:117], v[12:15]
	v_mfma_f32_16x16x32_fp8_fp8 v[32:35], v[64:65], v[118:119], v[32:35]
	v_mfma_f32_16x16x32_fp8_fp8 v[12:15], v[66:67], v[118:119], v[12:15]
	s_and_saveexec_b64 s[10:11], vcc
	s_cbranch_execz .LBB221_28
; %bb.26:                               ;   in Loop: Header=BB221_13 Depth=2
	s_mov_b64 s[12:13], 0
.LBB221_27:                             ;   Parent Loop BB221_7 Depth=1
                                        ;     Parent Loop BB221_13 Depth=2
                                        ; =>    This Inner Loop Header: Depth=3
	;;#ASMSTART
	s_sleep 0
	;;#ASMEND
	ds_read_b32 v82, v109 offset:57368
	s_waitcnt lgkmcnt(0)
	v_cmp_eq_u32_e32 vcc, v82, v90
	s_or_b64 s[12:13], vcc, s[12:13]
	s_andn2_b64 exec, exec, s[12:13]
	s_cbranch_execnz .LBB221_27
.LBB221_28:                             ;   in Loop: Header=BB221_13 Depth=2
	s_or_b64 exec, exec, s[10:11]
	v_add_u32_e32 v84, 0x2000, v110
	ds_read2_b32 v[82:83], v84 offset1:32
	ds_read2_b32 v[84:85], v84 offset0:128 offset1:160
	v_add_u32_e32 v88, 0x2400, v110
	ds_read2_b32 v[86:87], v88 offset1:32
	ds_read2_b32 v[88:89], v88 offset0:128 offset1:160
	s_waitcnt lgkmcnt(3)
	v_mfma_f32_16x16x32_fp8_fp8 v[28:31], v[50:51], v[82:83], v[28:31]
	v_add_u32_e32 v114, 0x2800, v110
	ds_read2_b32 v[112:113], v114 offset1:32
	ds_read2_b32 v[114:115], v114 offset0:128 offset1:160
	v_mfma_f32_16x16x32_fp8_fp8 v[8:11], v[68:69], v[82:83], v[8:11]
	v_add_u32_e32 v118, 0x2c00, v110
	ds_read2_b32 v[116:117], v118 offset1:32
	ds_read2_b32 v[118:119], v118 offset0:128 offset1:160
	s_waitcnt lgkmcnt(6)
	v_mfma_f32_16x16x32_fp8_fp8 v[28:31], v[52:53], v[84:85], v[28:31]
	;;#ASMSTART
	s_waitcnt lgkmcnt(0)
	;;#ASMEND
	ds_read_b32 v82, v109 offset:57372
	ds_write_b32 v109, v111 offset:57368
	v_mfma_f32_16x16x32_fp8_fp8 v[8:11], v[70:71], v[84:85], v[8:11]
	s_waitcnt lgkmcnt(1)
	v_cmp_ne_u32_e32 vcc, v82, v90
	v_mfma_f32_16x16x32_fp8_fp8 v[28:31], v[58:59], v[86:87], v[28:31]
	v_mfma_f32_16x16x32_fp8_fp8 v[8:11], v[74:75], v[86:87], v[8:11]
	v_mfma_f32_16x16x32_fp8_fp8 v[28:31], v[54:55], v[88:89], v[28:31]
	v_mfma_f32_16x16x32_fp8_fp8 v[8:11], v[76:77], v[88:89], v[8:11]
	v_mfma_f32_16x16x32_fp8_fp8 v[28:31], v[60:61], v[112:113], v[28:31]
	v_mfma_f32_16x16x32_fp8_fp8 v[8:11], v[78:79], v[112:113], v[8:11]
	v_mfma_f32_16x16x32_fp8_fp8 v[28:31], v[56:57], v[114:115], v[28:31]
	v_mfma_f32_16x16x32_fp8_fp8 v[8:11], v[80:81], v[114:115], v[8:11]
	v_mfma_f32_16x16x32_fp8_fp8 v[28:31], v[62:63], v[116:117], v[28:31]
	v_mfma_f32_16x16x32_fp8_fp8 v[8:11], v[72:73], v[116:117], v[8:11]
	v_mfma_f32_16x16x32_fp8_fp8 v[28:31], v[64:65], v[118:119], v[28:31]
	v_mfma_f32_16x16x32_fp8_fp8 v[8:11], v[66:67], v[118:119], v[8:11]
	s_and_saveexec_b64 s[10:11], vcc
	s_cbranch_execz .LBB221_31
; %bb.29:                               ;   in Loop: Header=BB221_13 Depth=2
	s_mov_b64 s[12:13], 0
.LBB221_30:                             ;   Parent Loop BB221_7 Depth=1
                                        ;     Parent Loop BB221_13 Depth=2
                                        ; =>    This Inner Loop Header: Depth=3
	;;#ASMSTART
	s_sleep 0
	;;#ASMEND
	ds_read_b32 v82, v109 offset:57372
	s_waitcnt lgkmcnt(0)
	v_cmp_eq_u32_e32 vcc, v82, v90
	s_or_b64 s[12:13], vcc, s[12:13]
	s_andn2_b64 exec, exec, s[12:13]
	s_cbranch_execnz .LBB221_30
.LBB221_31:                             ;   in Loop: Header=BB221_13 Depth=2
	s_or_b64 exec, exec, s[10:11]
	v_add_u32_e32 v84, 0x3000, v110
	ds_read2_b32 v[82:83], v84 offset1:32
	ds_read2_b32 v[84:85], v84 offset0:128 offset1:160
	v_add_u32_e32 v88, 0x3400, v110
	ds_read2_b32 v[86:87], v88 offset1:32
	ds_read2_b32 v[88:89], v88 offset0:128 offset1:160
	s_waitcnt lgkmcnt(3)
	v_mfma_f32_16x16x32_fp8_fp8 v[24:27], v[50:51], v[82:83], v[24:27]
	v_add_u32_e32 v114, 0x3800, v110
	ds_read2_b32 v[112:113], v114 offset1:32
	ds_read2_b32 v[114:115], v114 offset0:128 offset1:160
	v_mfma_f32_16x16x32_fp8_fp8 v[0:3], v[68:69], v[82:83], v[0:3]
	v_add_u32_e32 v118, 0x3c00, v110
	ds_read2_b32 v[116:117], v118 offset1:32
	ds_read2_b32 v[118:119], v118 offset0:128 offset1:160
	s_waitcnt lgkmcnt(6)
	v_mfma_f32_16x16x32_fp8_fp8 v[24:27], v[52:53], v[84:85], v[24:27]
	;;#ASMSTART
	s_waitcnt lgkmcnt(0)
	;;#ASMEND
	ds_read_b32 v82, v109 offset:57376
	ds_write_b32 v109, v111 offset:57372
	v_mfma_f32_16x16x32_fp8_fp8 v[0:3], v[70:71], v[84:85], v[0:3]
	s_waitcnt lgkmcnt(1)
	v_cmp_ne_u32_e32 vcc, v82, v90
	v_mfma_f32_16x16x32_fp8_fp8 v[24:27], v[58:59], v[86:87], v[24:27]
	v_mfma_f32_16x16x32_fp8_fp8 v[0:3], v[74:75], v[86:87], v[0:3]
	v_mfma_f32_16x16x32_fp8_fp8 v[24:27], v[54:55], v[88:89], v[24:27]
	v_mfma_f32_16x16x32_fp8_fp8 v[0:3], v[76:77], v[88:89], v[0:3]
	v_mfma_f32_16x16x32_fp8_fp8 v[24:27], v[60:61], v[112:113], v[24:27]
	v_mfma_f32_16x16x32_fp8_fp8 v[0:3], v[78:79], v[112:113], v[0:3]
	v_mfma_f32_16x16x32_fp8_fp8 v[24:27], v[56:57], v[114:115], v[24:27]
	v_mfma_f32_16x16x32_fp8_fp8 v[0:3], v[80:81], v[114:115], v[0:3]
	v_mfma_f32_16x16x32_fp8_fp8 v[24:27], v[62:63], v[116:117], v[24:27]
	v_mfma_f32_16x16x32_fp8_fp8 v[0:3], v[72:73], v[116:117], v[0:3]
	v_mfma_f32_16x16x32_fp8_fp8 v[24:27], v[64:65], v[118:119], v[24:27]
	v_mfma_f32_16x16x32_fp8_fp8 v[0:3], v[66:67], v[118:119], v[0:3]
	s_and_saveexec_b64 s[10:11], vcc
	s_cbranch_execz .LBB221_12
; %bb.32:                               ;   in Loop: Header=BB221_13 Depth=2
	s_mov_b64 s[12:13], 0
.LBB221_33:                             ;   Parent Loop BB221_7 Depth=1
                                        ;     Parent Loop BB221_13 Depth=2
                                        ; =>    This Inner Loop Header: Depth=3
	;;#ASMSTART
	s_sleep 0
	;;#ASMEND
	ds_read_b32 v82, v109 offset:57376
	s_waitcnt lgkmcnt(0)
	v_cmp_eq_u32_e32 vcc, v82, v90
	s_or_b64 s[12:13], vcc, s[12:13]
	s_andn2_b64 exec, exec, s[12:13]
	s_cbranch_execnz .LBB221_33
	s_branch .LBB221_12
.LBB221_34:                             ;   in Loop: Header=BB221_7 Depth=1
	s_or_b64 exec, exec, s[8:9]
.LBB221_35:                             ;   in Loop: Header=BB221_7 Depth=1
	s_or_b64 exec, exec, s[6:7]
	v_cmp_le_i32_e32 vcc, s47, v40
	v_cmp_eq_u32_e64 s[12:13], 1, v93
	v_cmp_eq_u32_e64 s[6:7], 3, v93
	s_waitcnt vmcnt(0)
	v_cndmask_b32_e32 v50, 0, v107, vcc
	v_pk_mul_f32 v[36:37], v[50:51], v[36:37] op_sel_hi:[0,1]
	v_pk_mul_f32 v[54:55], v[50:51], v[38:39] op_sel_hi:[0,1]
	v_cndmask_b32_e64 v38, v36, v37, s[12:13]
	v_cmp_eq_u32_e32 vcc, 2, v93
	v_cmp_eq_u32_e64 s[8:9], 0, v93
	v_cmp_le_i32_e64 s[14:15], s47, v95
	v_cndmask_b32_e32 v38, v38, v54, vcc
	v_cndmask_b32_e64 v38, v38, v55, s[6:7]
	ds_bpermute_b32 v51, v105, v38
	v_cmp_le_i32_e64 s[18:19], s47, v96
	v_cmp_eq_u32_e64 s[10:11], 1, v94
	v_cmp_eq_u32_e64 s[16:17], 3, v94
	s_waitcnt lgkmcnt(0)
	v_cndmask_b32_e64 v38, v55, v51, s[6:7]
	v_cndmask_b32_e32 v39, v54, v51, vcc
	v_cndmask_b32_e64 v37, v37, v51, s[12:13]
	v_cndmask_b32_e64 v51, v36, v51, s[8:9]
	;; [unrolled: 1-line block ×3, first 2 shown]
	v_pk_mul_f32 v[32:33], v[36:37], v[32:33] op_sel_hi:[0,1]
	v_pk_mul_f32 v[54:55], v[36:37], v[34:35] op_sel_hi:[0,1]
	v_cndmask_b32_e64 v34, v32, v33, s[12:13]
	v_cndmask_b32_e32 v34, v34, v54, vcc
	v_cndmask_b32_e64 v34, v34, v55, s[6:7]
	ds_bpermute_b32 v56, v105, v34
	v_cndmask_b32_e64 v53, v51, v37, s[10:11]
	v_cmp_eq_u32_e64 s[14:15], 2, v94
	s_waitcnt lgkmcnt(0)
	v_cndmask_b32_e64 v33, v33, v56, s[12:13]
	v_cndmask_b32_e64 v58, v32, v56, s[8:9]
	;; [unrolled: 1-line block ×3, first 2 shown]
	v_pk_mul_f32 v[28:29], v[32:33], v[28:29] op_sel_hi:[0,1]
	v_cndmask_b32_e64 v34, v53, v39, s[14:15]
	v_cndmask_b32_e64 v35, v55, v56, s[6:7]
	v_cndmask_b32_e32 v53, v54, v56, vcc
	v_pk_mul_f32 v[54:55], v[32:33], v[30:31] op_sel_hi:[0,1]
	v_cndmask_b32_e64 v30, v28, v29, s[12:13]
	v_cndmask_b32_e32 v30, v30, v54, vcc
	v_cndmask_b32_e64 v30, v30, v55, s[6:7]
	ds_bpermute_b32 v56, v105, v30
	v_cmp_le_i32_e64 s[18:19], s47, v97
	v_cndmask_b32_e64 v30, v58, v33, s[10:11]
	v_cndmask_b32_e64 v30, v30, v53, s[14:15]
	;; [unrolled: 1-line block ×3, first 2 shown]
	s_waitcnt lgkmcnt(0)
	v_cndmask_b32_e64 v29, v29, v56, s[12:13]
	v_cndmask_b32_e64 v59, v28, v56, s[8:9]
	;; [unrolled: 1-line block ×3, first 2 shown]
	v_pk_mul_f32 v[24:25], v[28:29], v[24:25] op_sel_hi:[0,1]
	v_cndmask_b32_e64 v31, v55, v56, s[6:7]
	v_cndmask_b32_e32 v54, v54, v56, vcc
	v_pk_mul_f32 v[56:57], v[28:29], v[26:27] op_sel_hi:[0,1]
	v_cndmask_b32_e64 v26, v24, v25, s[12:13]
	v_cndmask_b32_e32 v26, v26, v56, vcc
	v_cndmask_b32_e64 v26, v26, v57, s[6:7]
	ds_bpermute_b32 v61, v105, v26
	v_cmp_le_i32_e64 s[18:19], s47, v98
	v_cndmask_b32_e64 v26, v59, v29, s[10:11]
	v_cndmask_b32_e64 v26, v26, v54, s[14:15]
	;; [unrolled: 1-line block ×3, first 2 shown]
	s_waitcnt lgkmcnt(0)
	v_cndmask_b32_e64 v27, v57, v61, s[6:7]
	v_cndmask_b32_e32 v55, v56, v61, vcc
	v_cndmask_b32_e64 v60, v25, v61, s[12:13]
	v_cndmask_b32_e64 v61, v24, v61, s[8:9]
	v_cndmask_b32_e64 v24, 0, v107, s[18:19]
	v_pk_mul_f32 v[62:63], v[24:25], v[20:21] op_sel_hi:[0,1]
	v_pk_mul_f32 v[56:57], v[24:25], v[22:23] op_sel_hi:[0,1]
	v_cndmask_b32_e64 v20, v62, v63, s[12:13]
	v_cndmask_b32_e32 v20, v20, v56, vcc
	v_cndmask_b32_e64 v20, v20, v57, s[6:7]
	ds_bpermute_b32 v21, v105, v20
	v_cndmask_b32_e64 v20, v61, v60, s[10:11]
	v_cndmask_b32_e64 v20, v20, v55, s[14:15]
	;; [unrolled: 1-line block ×3, first 2 shown]
	ds_bpermute_b32 v22, v105, v20
	s_waitcnt lgkmcnt(1)
	v_cndmask_b32_e32 v56, v56, v21, vcc
	v_cmp_ne_u32_e32 vcc, 0, v93
	v_cndmask_b32_e64 v23, v57, v21, s[6:7]
	v_cndmask_b32_e64 v26, v26, v31, s[16:17]
	v_cndmask_b32_e32 v20, v63, v21, vcc
	v_cndmask_b32_e64 v21, v62, v21, s[8:9]
	v_cndmask_b32_e64 v25, v21, v20, s[10:11]
	;; [unrolled: 1-line block ×4, first 2 shown]
	ds_bpermute_b32 v34, v105, v34
	ds_bpermute_b32 v30, v105, v30
	;; [unrolled: 1-line block ×4, first 2 shown]
	v_add_u32_e32 v25, s69, v99
	v_cmp_gt_u32_e32 vcc, 32, v25
	s_and_saveexec_b64 s[18:19], vcc
	s_cbranch_execz .LBB221_40
; %bb.36:                               ;   in Loop: Header=BB221_7 Depth=1
	v_cmp_eq_u32_e64 s[8:9], 1, v94
	v_cmp_eq_u32_e64 s[10:11], 0, v94
	v_cmp_eq_u32_e32 vcc, 3, v94
	s_waitcnt lgkmcnt(3)
	v_cndmask_b32_e64 v37, v37, v34, s[8:9]
	s_waitcnt lgkmcnt(2)
	v_cndmask_b32_e64 v33, v33, v30, s[8:9]
	s_waitcnt lgkmcnt(1)
	v_cndmask_b32_e64 v29, v29, v26, s[8:9]
	v_cndmask_b32_e64 v60, v60, v22, s[8:9]
	s_waitcnt lgkmcnt(0)
	v_cndmask_b32_e64 v63, v20, v57, s[8:9]
	s_mul_i32 s8, s67, s21
	s_ashr_i32 s9, s8, 31
	v_cndmask_b32_e64 v51, v51, v34, s[10:11]
	s_lshl_b64 s[8:9], s[8:9], 1
	v_cndmask_b32_e64 v58, v58, v30, s[10:11]
	v_cndmask_b32_e64 v62, v59, v26, s[10:11]
	;; [unrolled: 1-line block ×4, first 2 shown]
	s_add_u32 s10, s40, s8
	v_cvt_f16_f32_e32 v51, v51
	v_cvt_f16_f32_sdwa v37, v37 dst_sel:WORD_1 dst_unused:UNUSED_PAD src0_sel:DWORD
	s_addc_u32 s11, s41, s9
	s_ashr_i32 s47, s46, 31
	s_lshl_b64 s[8:9], s[46:47], 1
	s_add_u32 s52, s10, s8
	s_addc_u32 s53, s11, s9
	v_or_b32_e32 v37, v37, v51
	v_lshl_add_u64 v[20:21], v[42:43], 1, s[52:53]
	;;#ASMSTART
	global_atomic_pk_add_f16 v[20:21], v37, off
	
	;;#ASMEND
	v_cvt_f16_f32_e32 v37, v58
	v_cvt_f16_f32_sdwa v33, v33 dst_sel:WORD_1 dst_unused:UNUSED_PAD src0_sel:DWORD
	v_cvt_f16_f32_e32 v51, v62
	v_cvt_f16_f32_sdwa v29, v29 dst_sel:WORD_1 dst_unused:UNUSED_PAD src0_sel:DWORD
	v_lshl_add_u64 v[58:59], v[20:21], 0, 32
	v_or_b32_e32 v33, v33, v37
	;;#ASMSTART
	global_atomic_pk_add_f16 v[58:59], v33, off
	
	;;#ASMEND
	v_or_b32_e32 v29, v29, v51
	v_lshl_add_u64 v[58:59], v[20:21], 0, 64
	;;#ASMSTART
	global_atomic_pk_add_f16 v[58:59], v29, off
	
	;;#ASMEND
	v_cvt_f16_f32_e32 v29, v61
	v_cvt_f16_f32_sdwa v33, v60 dst_sel:WORD_1 dst_unused:UNUSED_PAD src0_sel:DWORD
	v_cvt_f16_f32_e32 v37, v64
	v_cvt_f16_f32_sdwa v51, v63 dst_sel:WORD_1 dst_unused:UNUSED_PAD src0_sel:DWORD
	v_cmp_eq_u32_e64 s[6:7], 2, v94
	v_lshl_add_u64 v[58:59], v[20:21], 0, s[30:31]
	v_or_b32_e32 v29, v33, v29
	v_cmp_gt_u32_e64 s[8:9], 30, v25
	;;#ASMSTART
	global_atomic_pk_add_f16 v[58:59], v29, off
	
	;;#ASMEND
	v_lshl_add_u64 v[58:59], v[20:21], 0, s[34:35]
	v_or_b32_e32 v29, v51, v37
	;;#ASMSTART
	global_atomic_pk_add_f16 v[58:59], v29, off
	
	;;#ASMEND
	s_and_b64 exec, exec, s[8:9]
	s_cbranch_execz .LBB221_40
; %bb.37:                               ;   in Loop: Header=BB221_7 Depth=1
	v_cndmask_b32_e32 v38, v38, v34, vcc
	v_cndmask_b32_e64 v34, v39, v34, s[6:7]
	v_cndmask_b32_e32 v35, v35, v30, vcc
	v_cndmask_b32_e64 v30, v53, v30, s[6:7]
	;; [unrolled: 2-line block ×3, first 2 shown]
	v_cndmask_b32_e32 v53, v23, v57, vcc
	v_cvt_f16_f32_e32 v22, v34
	v_cvt_f16_f32_sdwa v23, v38 dst_sel:WORD_1 dst_unused:UNUSED_PAD src0_sel:DWORD
	v_cvt_f16_f32_e32 v30, v30
	v_cvt_f16_f32_sdwa v34, v35 dst_sel:WORD_1 dst_unused:UNUSED_PAD src0_sel:DWORD
	v_cndmask_b32_e32 v31, v31, v26, vcc
	v_cndmask_b32_e64 v26, v54, v26, s[6:7]
	v_lshl_add_u64 v[20:21], s[28:29], 2, v[20:21]
	v_or_b32_e32 v22, v23, v22
	v_or_b32_e32 v30, v34, v30
	;;#ASMSTART
	global_atomic_pk_add_f16 v[20:21], v22, off
	
	;;#ASMEND
	v_lshl_add_u64 v[22:23], v[20:21], 0, 32
	;;#ASMSTART
	global_atomic_pk_add_f16 v[22:23], v30, off
	
	;;#ASMEND
	v_cvt_f16_f32_e32 v26, v26
	v_cvt_f16_f32_sdwa v30, v31 dst_sel:WORD_1 dst_unused:UNUSED_PAD src0_sel:DWORD
	v_cvt_f16_f32_e32 v31, v39
	v_cvt_f16_f32_sdwa v27, v27 dst_sel:WORD_1 dst_unused:UNUSED_PAD src0_sel:DWORD
	v_mov_b32_e32 v51, v50
	v_or_b32_e32 v26, v30, v26
	v_lshl_add_u64 v[22:23], v[20:21], 0, 64
	;;#ASMSTART
	global_atomic_pk_add_f16 v[22:23], v26, off
	
	;;#ASMEND
	v_or_b32_e32 v30, v27, v31
	v_mov_b32_e32 v26, v50
	v_mov_b32_e32 v27, v50
	v_pk_mul_f32 v[18:19], v[26:27], v[18:19]
	v_pk_mul_f32 v[26:27], v[50:51], v[16:17]
	v_cmp_eq_u32_e64 s[8:9], 1, v93
	v_mov_b32_e32 v37, v36
	v_lshl_add_u64 v[22:23], v[20:21], 0, s[30:31]
	v_cndmask_b32_e64 v16, v26, v27, s[8:9]
	v_cmp_eq_u32_e32 vcc, 2, v93
	;;#ASMSTART
	global_atomic_pk_add_f16 v[22:23], v30, off
	
	;;#ASMEND
	v_lshl_add_u64 v[30:31], v[20:21], 0, s[34:35]
	v_mov_b32_e32 v20, v36
	v_mov_b32_e32 v21, v36
	v_cndmask_b32_e64 v54, v56, v57, s[6:7]
	v_cndmask_b32_e32 v16, v16, v18, vcc
	v_cmp_eq_u32_e64 s[6:7], 3, v93
	v_pk_mul_f32 v[14:15], v[20:21], v[14:15]
	v_pk_mul_f32 v[20:21], v[36:37], v[12:13]
	v_cndmask_b32_e64 v16, v16, v19, s[6:7]
	v_cndmask_b32_e64 v12, v20, v21, s[8:9]
	ds_bpermute_b32 v34, v105, v16
	v_cndmask_b32_e32 v12, v12, v14, vcc
	v_cndmask_b32_e64 v12, v12, v15, s[6:7]
	ds_bpermute_b32 v23, v105, v12
	v_cmp_eq_u32_e64 s[10:11], 0, v93
	s_waitcnt lgkmcnt(1)
	v_cndmask_b32_e64 v16, v19, v34, s[6:7]
	v_cndmask_b32_e32 v17, v18, v34, vcc
	v_cndmask_b32_e64 v18, v27, v34, s[8:9]
	v_cndmask_b32_e64 v19, v26, v34, s[10:11]
	v_cmp_eq_u32_e64 s[12:13], 1, v94
	v_cmp_eq_u32_e64 s[14:15], 2, v94
	v_mov_b32_e32 v33, v32
	v_cndmask_b32_e64 v22, v19, v18, s[12:13]
	v_cndmask_b32_e64 v12, v22, v17, s[14:15]
	s_waitcnt lgkmcnt(0)
	v_cndmask_b32_e64 v13, v15, v23, s[6:7]
	v_cndmask_b32_e32 v14, v14, v23, vcc
	v_cndmask_b32_e64 v15, v21, v23, s[8:9]
	v_cndmask_b32_e64 v20, v20, v23, s[10:11]
	v_mov_b32_e32 v22, v32
	v_mov_b32_e32 v23, v32
	v_pk_mul_f32 v[10:11], v[22:23], v[10:11]
	v_pk_mul_f32 v[22:23], v[32:33], v[8:9]
	v_mov_b32_e32 v29, v28
	v_cndmask_b32_e64 v8, v22, v23, s[8:9]
	v_cndmask_b32_e32 v8, v8, v10, vcc
	v_cndmask_b32_e64 v8, v8, v11, s[6:7]
	ds_bpermute_b32 v26, v105, v8
	v_mov_b32_e32 v27, v28
	v_cmp_eq_u32_e64 s[16:17], 3, v94
	v_mov_b32_e32 v25, v24
	v_cndmask_b32_e64 v8, v20, v15, s[12:13]
	s_waitcnt lgkmcnt(0)
	v_cndmask_b32_e64 v9, v11, v26, s[6:7]
	v_cndmask_b32_e32 v10, v10, v26, vcc
	v_cndmask_b32_e64 v21, v23, v26, s[8:9]
	v_cndmask_b32_e64 v22, v22, v26, s[10:11]
	v_mov_b32_e32 v26, v28
	v_pk_mul_f32 v[28:29], v[28:29], v[0:1]
	v_pk_mul_f32 v[26:27], v[26:27], v[2:3]
	v_cndmask_b32_e64 v0, v28, v29, s[8:9]
	v_cndmask_b32_e32 v0, v0, v26, vcc
	v_cndmask_b32_e64 v0, v0, v27, s[6:7]
	ds_bpermute_b32 v1, v105, v0
	v_cndmask_b32_e64 v0, v22, v21, s[12:13]
	v_cndmask_b32_e64 v0, v0, v10, s[14:15]
	;; [unrolled: 1-line block ×3, first 2 shown]
	ds_bpermute_b32 v2, v105, v0
	s_waitcnt lgkmcnt(1)
	v_cndmask_b32_e64 v3, v27, v1, s[6:7]
	v_cndmask_b32_e32 v11, v26, v1, vcc
	v_cndmask_b32_e64 v0, v29, v1, s[8:9]
	v_cndmask_b32_e64 v1, v28, v1, s[10:11]
	v_mov_b32_e32 v26, v24
	v_mov_b32_e32 v27, v24
	v_pk_mul_f32 v[28:29], v[24:25], v[4:5]
	v_pk_mul_f32 v[26:27], v[26:27], v[6:7]
	v_cndmask_b32_e64 v4, v28, v29, s[8:9]
	v_cndmask_b32_e32 v4, v4, v26, vcc
	v_cndmask_b32_e64 v4, v4, v27, s[6:7]
	ds_bpermute_b32 v7, v105, v4
	v_cndmask_b32_e64 v4, v1, v0, s[12:13]
	v_cndmask_b32_e64 v4, v4, v11, s[14:15]
	;; [unrolled: 1-line block ×3, first 2 shown]
	ds_bpermute_b32 v6, v105, v4
	s_waitcnt lgkmcnt(1)
	v_cndmask_b32_e32 v5, v26, v7, vcc
	v_cmp_ne_u32_e32 vcc, 0, v93
	v_cndmask_b32_e64 v25, v28, v7, s[10:11]
	v_cndmask_b32_e64 v4, v27, v7, s[6:7]
	v_cndmask_b32_e32 v24, v29, v7, vcc
	v_cndmask_b32_e64 v7, v25, v24, s[12:13]
	v_cvt_f16_f32_e32 v35, v54
	v_cvt_f16_f32_sdwa v38, v53 dst_sel:WORD_1 dst_unused:UNUSED_PAD src0_sel:DWORD
	v_cndmask_b32_e64 v8, v8, v14, s[14:15]
	v_cndmask_b32_e64 v7, v7, v5, s[14:15]
	v_cndmask_b32_e64 v12, v12, v16, s[16:17]
	v_cndmask_b32_e64 v8, v8, v13, s[16:17]
	v_cndmask_b32_e64 v7, v7, v4, s[16:17]
	ds_bpermute_b32 v12, v105, v12
	ds_bpermute_b32 v8, v105, v8
	;; [unrolled: 1-line block ×3, first 2 shown]
	v_or_b32_e32 v23, v38, v35
	;;#ASMSTART
	global_atomic_pk_add_f16 v[30:31], v23, off
	
	;;#ASMEND
	v_add_u32_e32 v23, s69, v100
	v_cmp_gt_u32_e32 vcc, 32, v23
	s_and_b64 exec, exec, vcc
	s_cbranch_execz .LBB221_40
; %bb.38:                               ;   in Loop: Header=BB221_7 Depth=1
	v_cmp_eq_u32_e64 s[8:9], 1, v94
	v_cmp_eq_u32_e64 s[10:11], 0, v94
	v_cmp_eq_u32_e32 vcc, 3, v94
	s_waitcnt lgkmcnt(2)
	v_cndmask_b32_e64 v18, v18, v12, s[8:9]
	v_cndmask_b32_e64 v19, v19, v12, s[10:11]
	s_waitcnt lgkmcnt(1)
	v_cndmask_b32_e64 v15, v15, v8, s[8:9]
	v_cndmask_b32_e64 v20, v20, v8, s[10:11]
	;; [unrolled: 1-line block ×4, first 2 shown]
	v_cvt_f16_f32_e32 v19, v19
	v_cvt_f16_f32_sdwa v18, v18 dst_sel:WORD_1 dst_unused:UNUSED_PAD src0_sel:DWORD
	v_cvt_f16_f32_e32 v20, v20
	v_cvt_f16_f32_sdwa v15, v15 dst_sel:WORD_1 dst_unused:UNUSED_PAD src0_sel:DWORD
	;; [unrolled: 2-line block ×3, first 2 shown]
	v_cndmask_b32_e64 v26, v0, v6, s[8:9]
	v_cndmask_b32_e64 v27, v1, v6, s[10:11]
	v_lshl_add_u64 v[0:1], v[44:45], 1, s[52:53]
	v_or_b32_e32 v18, v18, v19
	v_or_b32_e32 v15, v15, v20
	;;#ASMSTART
	global_atomic_pk_add_f16 v[0:1], v18, off
	
	;;#ASMEND
	v_lshl_add_u64 v[18:19], v[0:1], 0, 32
	;;#ASMSTART
	global_atomic_pk_add_f16 v[18:19], v15, off
	
	;;#ASMEND
	v_or_b32_e32 v15, v21, v22
	s_waitcnt lgkmcnt(0)
	v_cndmask_b32_e64 v24, v24, v7, s[8:9]
	v_cndmask_b32_e64 v25, v25, v7, s[10:11]
	v_lshl_add_u64 v[18:19], v[0:1], 0, 64
	;;#ASMSTART
	global_atomic_pk_add_f16 v[18:19], v15, off
	
	;;#ASMEND
	v_cvt_f16_f32_e32 v15, v27
	v_cvt_f16_f32_sdwa v20, v26 dst_sel:WORD_1 dst_unused:UNUSED_PAD src0_sel:DWORD
	v_cvt_f16_f32_e32 v21, v25
	v_cvt_f16_f32_sdwa v22, v24 dst_sel:WORD_1 dst_unused:UNUSED_PAD src0_sel:DWORD
	v_cmp_eq_u32_e64 s[6:7], 2, v94
	v_lshl_add_u64 v[18:19], v[0:1], 0, s[30:31]
	v_or_b32_e32 v15, v20, v15
	v_cmp_gt_u32_e64 s[8:9], 30, v23
	;;#ASMSTART
	global_atomic_pk_add_f16 v[18:19], v15, off
	
	;;#ASMEND
	v_lshl_add_u64 v[18:19], v[0:1], 0, s[34:35]
	v_or_b32_e32 v15, v22, v21
	;;#ASMSTART
	global_atomic_pk_add_f16 v[18:19], v15, off
	
	;;#ASMEND
	s_and_b64 exec, exec, s[8:9]
	s_cbranch_execz .LBB221_40
; %bb.39:                               ;   in Loop: Header=BB221_7 Depth=1
	v_cndmask_b32_e32 v15, v16, v12, vcc
	v_cndmask_b32_e64 v12, v17, v12, s[6:7]
	v_cndmask_b32_e32 v13, v13, v8, vcc
	v_cndmask_b32_e64 v8, v14, v8, s[6:7]
	;; [unrolled: 2-line block ×3, first 2 shown]
	v_cndmask_b32_e32 v14, v3, v6, vcc
	v_cvt_f16_f32_e32 v2, v12
	v_cvt_f16_f32_sdwa v3, v15 dst_sel:WORD_1 dst_unused:UNUSED_PAD src0_sel:DWORD
	v_cndmask_b32_e32 v4, v4, v7, vcc
	v_cndmask_b32_e64 v5, v5, v7, s[6:7]
	v_cvt_f16_f32_e32 v7, v8
	v_cvt_f16_f32_sdwa v8, v13 dst_sel:WORD_1 dst_unused:UNUSED_PAD src0_sel:DWORD
	v_cvt_f16_f32_e32 v10, v10
	v_cvt_f16_f32_sdwa v9, v9 dst_sel:WORD_1 dst_unused:UNUSED_PAD src0_sel:DWORD
	v_lshl_add_u64 v[0:1], s[28:29], 2, v[0:1]
	v_or_b32_e32 v2, v3, v2
	v_or_b32_e32 v7, v8, v7
	v_cndmask_b32_e64 v6, v11, v6, s[6:7]
	;;#ASMSTART
	global_atomic_pk_add_f16 v[0:1], v2, off
	
	;;#ASMEND
	v_lshl_add_u64 v[2:3], v[0:1], 0, 32
	;;#ASMSTART
	global_atomic_pk_add_f16 v[2:3], v7, off
	
	;;#ASMEND
	v_or_b32_e32 v7, v9, v10
	v_lshl_add_u64 v[2:3], v[0:1], 0, 64
	;;#ASMSTART
	global_atomic_pk_add_f16 v[2:3], v7, off
	
	;;#ASMEND
	v_cvt_f16_f32_e32 v6, v6
	v_cvt_f16_f32_sdwa v7, v14 dst_sel:WORD_1 dst_unused:UNUSED_PAD src0_sel:DWORD
	v_cvt_f16_f32_e32 v5, v5
	v_cvt_f16_f32_sdwa v4, v4 dst_sel:WORD_1 dst_unused:UNUSED_PAD src0_sel:DWORD
	v_lshl_add_u64 v[2:3], v[0:1], 0, s[30:31]
	v_or_b32_e32 v6, v7, v6
	;;#ASMSTART
	global_atomic_pk_add_f16 v[2:3], v6, off
	
	;;#ASMEND
	v_lshl_add_u64 v[0:1], v[0:1], 0, s[34:35]
	v_or_b32_e32 v2, v4, v5
	;;#ASMSTART
	global_atomic_pk_add_f16 v[0:1], v2, off
	
	;;#ASMEND
.LBB221_40:                             ;   in Loop: Header=BB221_7 Depth=1
	s_or_b64 exec, exec, s[18:19]
	v_subrev_u32_e32 v106, s70, v106
.LBB221_41:                             ;   in Loop: Header=BB221_7 Depth=1
	s_or_b64 exec, exec, s[50:51]
.LBB221_42:                             ;   in Loop: Header=BB221_7 Depth=1
	s_andn2_saveexec_b64 s[6:7], s[48:49]
	s_cbranch_execz .LBB221_51
; %bb.43:                               ;   in Loop: Header=BB221_7 Depth=1
	s_mul_i32 s16, s70, 5
	v_cmp_gt_i32_e32 vcc, s16, v106
	s_and_saveexec_b64 s[8:9], vcc
	s_cbranch_execz .LBB221_50
; %bb.44:                               ;   in Loop: Header=BB221_7 Depth=1
	s_mul_i32 s10, s46, s23
	s_ashr_i32 s11, s10, 31
	s_waitcnt lgkmcnt(0)
	s_add_u32 s10, s38, s10
	s_addc_u32 s11, s39, s11
	s_ashr_i32 s12, s68, 31
	s_add_u32 s10, s10, s68
	s_addc_u32 s11, s11, s12
	v_lshl_add_u64 v[0:1], s[10:11], 0, v[48:49]
	v_lshl_add_u64 v[16:17], v[0:1], 0, v[46:47]
	s_mov_b64 s[10:11], 0
	s_branch .LBB221_46
.LBB221_45:                             ;   in Loop: Header=BB221_46 Depth=2
	s_or_b64 exec, exec, s[12:13]
	v_lshl_or_b32 v20, v18, 12, v102
	;;#ASMSTART
	s_waitcnt vmcnt(3)
	;;#ASMEND
	ds_write2_b32 v20, v12, v13 offset1:32
	ds_write2_b32 v20, v14, v15 offset0:64 offset1:96
	v_add_u32_e32 v12, 0x400, v20
	;;#ASMSTART
	s_waitcnt vmcnt(2)
	;;#ASMEND
	ds_write2_b32 v12, v8, v9 offset1:32
	ds_write2_b32 v12, v10, v11 offset0:64 offset1:96
	v_add_u32_e32 v8, 0x800, v20
	;; [unrolled: 6-line block ×3, first 2 shown]
	v_add_u32_e32 v106, s26, v106
	;;#ASMSTART
	s_waitcnt vmcnt(0)
	;;#ASMEND
	ds_write2_b32 v4, v0, v1 offset1:32
	ds_write2_b32 v4, v2, v3 offset0:64 offset1:96
	v_add_u32_e32 v0, 1, v90
	v_add_u32_e32 v52, s26, v18
	v_cmp_le_i32_e32 vcc, s16, v106
	ds_write_b32 v19, v0 offset:16
	v_add_u32_e32 v0, 2, v90
	s_or_b64 s[10:11], vcc, s[10:11]
	v_cmp_lt_i32_e32 vcc, 9, v52
	s_nop 1
	v_cndmask_b32_e32 v90, v90, v0, vcc
	s_andn2_b64 exec, exec, s[10:11]
	s_cbranch_execz .LBB221_49
.LBB221_46:                             ;   Parent Loop BB221_7 Depth=1
                                        ; =>  This Loop Header: Depth=2
                                        ;       Child Loop BB221_48 Depth 3
	v_cmp_gt_i32_e32 vcc, 10, v52
	s_nop 1
	v_cndmask_b32_e64 v0, -10, 0, vcc
	v_add_u32_e32 v18, v0, v52
	v_mul_hi_i32 v0, v106, s56
	v_lshrrev_b32_e32 v1, 31, v0
	v_ashrrev_i32_e32 v0, 1, v0
	v_add_u32_e32 v0, v0, v1
	v_lshl_add_u32 v1, v0, 2, v0
	v_sub_u32_e32 v2, v106, v1
	v_lshlrev_b32_e32 v0, 8, v0
	v_ashrrev_i32_e32 v1, 31, v0
	v_mul_lo_u32 v2, s60, v2
	v_lshl_add_u64 v[0:1], v[16:17], 0, v[0:1]
	v_ashrrev_i32_e32 v3, 31, v2
	v_lshl_add_u64 v[0:1], v[0:1], 0, v[2:3]
	v_lshlrev_b32_e32 v19, 2, v18
	;;#ASMSTART
	global_load_dwordx4 v[12:15], v[0:1], off offset:0    sc0 sc1 nt  
	global_load_dwordx4 v[8:11], v[0:1], off offset:64   sc0 sc1 nt  
	global_load_dwordx4 v[4:7], v[0:1], off offset:128  sc0 sc1 nt  
	global_load_dwordx4 v[0:3], v[0:1], off offset:192  sc0 sc1 nt  
	
	;;#ASMEND
	ds_read_b32 v20, v19 offset:57360
	v_add_u32_e32 v19, 0xe000, v19
	s_waitcnt lgkmcnt(0)
	v_cmp_ne_u32_e32 vcc, v20, v90
	s_and_saveexec_b64 s[12:13], vcc
	s_cbranch_execz .LBB221_45
; %bb.47:                               ;   in Loop: Header=BB221_46 Depth=2
	s_mov_b64 s[14:15], 0
.LBB221_48:                             ;   Parent Loop BB221_7 Depth=1
                                        ;     Parent Loop BB221_46 Depth=2
                                        ; =>    This Inner Loop Header: Depth=3
	;;#ASMSTART
	s_sleep 0
	;;#ASMEND
	ds_read_b32 v20, v19 offset:16
	s_waitcnt lgkmcnt(0)
	v_cmp_eq_u32_e32 vcc, v20, v90
	s_or_b64 s[14:15], vcc, s[14:15]
	s_andn2_b64 exec, exec, s[14:15]
	s_cbranch_execnz .LBB221_48
	s_branch .LBB221_45
.LBB221_49:                             ;   in Loop: Header=BB221_7 Depth=1
	s_or_b64 exec, exec, s[10:11]
.LBB221_50:                             ;   in Loop: Header=BB221_7 Depth=1
	s_or_b64 exec, exec, s[8:9]
	v_subrev_u32_e32 v106, s16, v106
.LBB221_51:                             ;   in Loop: Header=BB221_7 Depth=1
	s_or_b64 exec, exec, s[6:7]
.LBB221_52:                             ;   in Loop: Header=BB221_7 Depth=1
	s_andn2_saveexec_b64 s[6:7], s[44:45]
	s_cbranch_execz .LBB221_6
; %bb.53:                               ;   in Loop: Header=BB221_7 Depth=1
	s_lshl_b32 s16, s70, 1
	v_cmp_gt_i32_e32 vcc, s16, v106
	s_and_saveexec_b64 s[8:9], vcc
	s_cbranch_execz .LBB221_5
; %bb.54:                               ;   in Loop: Header=BB221_7 Depth=1
	s_mul_i32 s67, s67, s22
	s_ashr_i32 s10, s67, 31
	s_waitcnt lgkmcnt(0)
	s_add_u32 s11, s36, s67
	v_add_u32_e32 v2, s69, v101
	s_addc_u32 s12, s37, s10
	s_ashr_i32 s13, s68, 31
	v_cmp_gt_u32_e32 vcc, 32, v2
	s_add_u32 s10, s11, s68
	s_addc_u32 s11, s12, s13
	v_cndmask_b32_e32 v0, 0, v103, vcc
	v_ashrrev_i32_e32 v1, 31, v0
	v_lshl_add_u64 v[0:1], s[10:11], 0, v[0:1]
	v_lshl_add_u64 v[16:17], v[0:1], 0, v[46:47]
	v_sub_u32_e32 v18, 31, v2
	s_mov_b64 s[10:11], 0
	s_branch .LBB221_56
.LBB221_55:                             ;   in Loop: Header=BB221_56 Depth=2
	s_or_b64 exec, exec, s[12:13]
	v_lshl_add_u32 v21, v19, 12, v104
	;;#ASMSTART
	s_waitcnt vmcnt(3)
	;;#ASMEND
	ds_write2_b32 v21, v12, v13 offset1:32
	ds_write2_b32 v21, v14, v15 offset0:64 offset1:96
	v_add_u32_e32 v12, 0x400, v21
	;;#ASMSTART
	s_waitcnt vmcnt(2)
	;;#ASMEND
	ds_write2_b32 v12, v8, v9 offset1:32
	ds_write2_b32 v12, v10, v11 offset0:64 offset1:96
	v_add_u32_e32 v8, 0x800, v21
	;; [unrolled: 6-line block ×3, first 2 shown]
	v_add_u32_e32 v106, s25, v106
	;;#ASMSTART
	s_waitcnt vmcnt(0)
	;;#ASMEND
	ds_write2_b32 v4, v0, v1 offset1:32
	ds_write2_b32 v4, v2, v3 offset0:64 offset1:96
	v_add_u32_e32 v0, 1, v90
	v_add_u32_e32 v52, s25, v19
	v_cmp_le_i32_e32 vcc, s16, v106
	ds_write_b32 v20, v0
	v_add_u32_e32 v0, 2, v90
	s_or_b64 s[10:11], vcc, s[10:11]
	v_cmp_lt_i32_e32 vcc, 3, v52
	s_nop 1
	v_cndmask_b32_e32 v90, v90, v0, vcc
	s_andn2_b64 exec, exec, s[10:11]
	s_cbranch_execz .LBB221_4
.LBB221_56:                             ;   Parent Loop BB221_7 Depth=1
                                        ; =>  This Loop Header: Depth=2
                                        ;       Child Loop BB221_58 Depth 3
	v_cmp_gt_i32_e32 vcc, 4, v52
	s_nop 1
	v_cndmask_b32_e64 v0, -4, 0, vcc
	v_add_u32_e32 v19, v0, v52
	v_lshrrev_b32_e32 v0, 31, v106
	v_add_u32_e32 v0, v106, v0
	v_and_b32_e32 v1, 0xffffffe, v0
	v_sub_u32_e32 v1, v106, v1
	v_lshlrev_b32_e32 v1, 4, v1
	v_cmp_le_i32_e32 vcc, v1, v18
	v_lshlrev_b32_e32 v0, 7, v0
	v_and_b32_e32 v0, 0xffffff00, v0
	v_cndmask_b32_e32 v2, 0, v1, vcc
	v_ashrrev_i32_e32 v1, 31, v0
	v_mul_lo_u32 v2, v2, s22
	v_lshl_add_u64 v[0:1], v[16:17], 0, v[0:1]
	v_ashrrev_i32_e32 v3, 31, v2
	v_lshl_add_u64 v[0:1], v[0:1], 0, v[2:3]
	v_lshlrev_b32_e32 v20, 2, v19
	;;#ASMSTART
	global_load_dwordx4 v[12:15], v[0:1], off offset:0    
	global_load_dwordx4 v[8:11], v[0:1], off offset:64   
	;; [unrolled: 1-line block ×4, first 2 shown]
	
	;;#ASMEND
	ds_read_b32 v21, v20 offset:57344
	v_add_u32_e32 v20, 0xe000, v20
	s_waitcnt lgkmcnt(0)
	v_cmp_ne_u32_e32 vcc, v21, v90
	s_and_saveexec_b64 s[12:13], vcc
	s_cbranch_execz .LBB221_55
; %bb.57:                               ;   in Loop: Header=BB221_56 Depth=2
	s_mov_b64 s[14:15], 0
.LBB221_58:                             ;   Parent Loop BB221_7 Depth=1
                                        ;     Parent Loop BB221_56 Depth=2
                                        ; =>    This Inner Loop Header: Depth=3
	;;#ASMSTART
	s_sleep 0
	;;#ASMEND
	ds_read_b32 v21, v20
	s_waitcnt lgkmcnt(0)
	v_cmp_eq_u32_e32 vcc, v21, v90
	s_or_b64 s[14:15], vcc, s[14:15]
	s_andn2_b64 exec, exec, s[14:15]
	s_cbranch_execnz .LBB221_58
	s_branch .LBB221_55
.LBB221_59:
	s_endpgm
	.section	.rodata,"a",@progbits
	.p2align	6, 0x0
	.amdhsa_kernel _Z19_skinny_gemm_kernelILi2ELi5ELi2ELi16ELi8EEvPKhS1_P6__halfPKfiiiiiiii
		.amdhsa_group_segment_fixed_size 57400
		.amdhsa_private_segment_fixed_size 0
		.amdhsa_kernarg_size 64
		.amdhsa_user_sgpr_count 2
		.amdhsa_user_sgpr_dispatch_ptr 0
		.amdhsa_user_sgpr_queue_ptr 0
		.amdhsa_user_sgpr_kernarg_segment_ptr 1
		.amdhsa_user_sgpr_dispatch_id 0
		.amdhsa_user_sgpr_kernarg_preload_length 0
		.amdhsa_user_sgpr_kernarg_preload_offset 0
		.amdhsa_user_sgpr_private_segment_size 0
		.amdhsa_uses_dynamic_stack 0
		.amdhsa_enable_private_segment 0
		.amdhsa_system_sgpr_workgroup_id_x 1
		.amdhsa_system_sgpr_workgroup_id_y 0
		.amdhsa_system_sgpr_workgroup_id_z 0
		.amdhsa_system_sgpr_workgroup_info 0
		.amdhsa_system_vgpr_workitem_id 0
		.amdhsa_next_free_vgpr 120
		.amdhsa_next_free_sgpr 71
		.amdhsa_accum_offset 120
		.amdhsa_reserve_vcc 1
		.amdhsa_float_round_mode_32 0
		.amdhsa_float_round_mode_16_64 0
		.amdhsa_float_denorm_mode_32 3
		.amdhsa_float_denorm_mode_16_64 3
		.amdhsa_dx10_clamp 1
		.amdhsa_ieee_mode 1
		.amdhsa_fp16_overflow 0
		.amdhsa_tg_split 0
		.amdhsa_exception_fp_ieee_invalid_op 0
		.amdhsa_exception_fp_denorm_src 0
		.amdhsa_exception_fp_ieee_div_zero 0
		.amdhsa_exception_fp_ieee_overflow 0
		.amdhsa_exception_fp_ieee_underflow 0
		.amdhsa_exception_fp_ieee_inexact 0
		.amdhsa_exception_int_div_zero 0
	.end_amdhsa_kernel
	.section	.text._Z19_skinny_gemm_kernelILi2ELi5ELi2ELi16ELi8EEvPKhS1_P6__halfPKfiiiiiiii,"axG",@progbits,_Z19_skinny_gemm_kernelILi2ELi5ELi2ELi16ELi8EEvPKhS1_P6__halfPKfiiiiiiii,comdat
.Lfunc_end221:
	.size	_Z19_skinny_gemm_kernelILi2ELi5ELi2ELi16ELi8EEvPKhS1_P6__halfPKfiiiiiiii, .Lfunc_end221-_Z19_skinny_gemm_kernelILi2ELi5ELi2ELi16ELi8EEvPKhS1_P6__halfPKfiiiiiiii
                                        ; -- End function
	.set _Z19_skinny_gemm_kernelILi2ELi5ELi2ELi16ELi8EEvPKhS1_P6__halfPKfiiiiiiii.num_vgpr, 120
	.set _Z19_skinny_gemm_kernelILi2ELi5ELi2ELi16ELi8EEvPKhS1_P6__halfPKfiiiiiiii.num_agpr, 0
	.set _Z19_skinny_gemm_kernelILi2ELi5ELi2ELi16ELi8EEvPKhS1_P6__halfPKfiiiiiiii.numbered_sgpr, 71
	.set _Z19_skinny_gemm_kernelILi2ELi5ELi2ELi16ELi8EEvPKhS1_P6__halfPKfiiiiiiii.num_named_barrier, 0
	.set _Z19_skinny_gemm_kernelILi2ELi5ELi2ELi16ELi8EEvPKhS1_P6__halfPKfiiiiiiii.private_seg_size, 0
	.set _Z19_skinny_gemm_kernelILi2ELi5ELi2ELi16ELi8EEvPKhS1_P6__halfPKfiiiiiiii.uses_vcc, 1
	.set _Z19_skinny_gemm_kernelILi2ELi5ELi2ELi16ELi8EEvPKhS1_P6__halfPKfiiiiiiii.uses_flat_scratch, 0
	.set _Z19_skinny_gemm_kernelILi2ELi5ELi2ELi16ELi8EEvPKhS1_P6__halfPKfiiiiiiii.has_dyn_sized_stack, 0
	.set _Z19_skinny_gemm_kernelILi2ELi5ELi2ELi16ELi8EEvPKhS1_P6__halfPKfiiiiiiii.has_recursion, 0
	.set _Z19_skinny_gemm_kernelILi2ELi5ELi2ELi16ELi8EEvPKhS1_P6__halfPKfiiiiiiii.has_indirect_call, 0
	.section	.AMDGPU.csdata,"",@progbits
; Kernel info:
; codeLenInByte = 7252
; TotalNumSgprs: 77
; NumVgprs: 120
; NumAgprs: 0
; TotalNumVgprs: 120
; ScratchSize: 0
; MemoryBound: 0
; FloatMode: 240
; IeeeMode: 1
; LDSByteSize: 57400 bytes/workgroup (compile time only)
; SGPRBlocks: 9
; VGPRBlocks: 14
; NumSGPRsForWavesPerEU: 77
; NumVGPRsForWavesPerEU: 120
; AccumOffset: 120
; Occupancy: 4
; WaveLimiterHint : 0
; COMPUTE_PGM_RSRC2:SCRATCH_EN: 0
; COMPUTE_PGM_RSRC2:USER_SGPR: 2
; COMPUTE_PGM_RSRC2:TRAP_HANDLER: 0
; COMPUTE_PGM_RSRC2:TGID_X_EN: 1
; COMPUTE_PGM_RSRC2:TGID_Y_EN: 0
; COMPUTE_PGM_RSRC2:TGID_Z_EN: 0
; COMPUTE_PGM_RSRC2:TIDIG_COMP_CNT: 0
; COMPUTE_PGM_RSRC3_GFX90A:ACCUM_OFFSET: 29
; COMPUTE_PGM_RSRC3_GFX90A:TG_SPLIT: 0
	.section	.text._Z19_skinny_gemm_kernelILi2ELi5ELi2ELi32ELi4EEvPKhS1_P6__halfPKfiiiiiiii,"axG",@progbits,_Z19_skinny_gemm_kernelILi2ELi5ELi2ELi32ELi4EEvPKhS1_P6__halfPKfiiiiiiii,comdat
	.protected	_Z19_skinny_gemm_kernelILi2ELi5ELi2ELi32ELi4EEvPKhS1_P6__halfPKfiiiiiiii ; -- Begin function _Z19_skinny_gemm_kernelILi2ELi5ELi2ELi32ELi4EEvPKhS1_P6__halfPKfiiiiiiii
	.globl	_Z19_skinny_gemm_kernelILi2ELi5ELi2ELi32ELi4EEvPKhS1_P6__halfPKfiiiiiiii
	.p2align	8
	.type	_Z19_skinny_gemm_kernelILi2ELi5ELi2ELi32ELi4EEvPKhS1_P6__halfPKfiiiiiiii,@function
_Z19_skinny_gemm_kernelILi2ELi5ELi2ELi32ELi4EEvPKhS1_P6__halfPKfiiiiiiii: ; @_Z19_skinny_gemm_kernelILi2ELi5ELi2ELi32ELi4EEvPKhS1_P6__halfPKfiiiiiiii
; %bb.0:
	v_cmp_gt_u32_e32 vcc, 14, v0
	s_and_saveexec_b64 s[4:5], vcc
; %bb.1:
	v_lshlrev_b32_e32 v1, 2, v0
	v_mov_b32_e32 v2, 0
	ds_write_b32 v1, v2 offset:28672
; %bb.2:
	s_or_b64 exec, exec, s[4:5]
	s_load_dwordx8 s[24:31], s[0:1], 0x20
	s_waitcnt lgkmcnt(0)
	s_barrier
	s_add_i32 s3, s24, 63
	s_ashr_i32 s5, s3, 31
	s_add_i32 s4, s25, 0x9f
	s_lshr_b32 s5, s5, 26
	s_mul_hi_i32 s4, s4, 0x66666667
	s_add_i32 s3, s3, s5
	s_ashr_i32 s14, s3, 6
	s_lshr_b32 s3, s4, 31
	s_ashr_i32 s4, s4, 6
	s_add_i32 s15, s4, s3
	s_mul_i32 s3, s15, s14
	s_mul_i32 s3, s3, s28
	s_add_i32 s4, s3, 0x12f
	s_mul_hi_i32 s4, s4, 0x6bca1af3
	s_lshr_b32 s5, s4, 31
	s_ashr_i32 s4, s4, 7
	s_add_i32 s4, s4, s5
	s_add_i32 s5, s2, 1
	s_mul_i32 s5, s4, s5
	v_cvt_f64_i32_e32 v[2:3], s3
	v_cvt_f64_u32_e32 v[4:5], s5
	v_min_f64 v[2:3], v[2:3], v[4:5]
	v_cvt_i32_f64_e32 v1, v[2:3]
	s_mul_i32 s2, s4, s2
	v_cmp_ge_i32_e32 vcc, s2, v1
	scratch_store_dword off, v1, off offset:4 ; 4-byte Folded Spill
	s_cbranch_vccnz .LBB222_55
; %bb.3:
	s_load_dwordx8 s[16:23], s[0:1], 0x0
	v_lshrrev_b32_e32 v1, 6, v0
	s_add_i32 s0, s30, s29
	v_cmp_le_i32_e64 s[34:35], s0, v1
	v_mov_b32_e32 v2, s29
	v_cmp_le_i32_e64 s[36:37], s29, v1
	v_mov_b32_e32 v3, s30
	v_cndmask_b32_e64 v3, 0, v3, s[34:35]
	v_cndmask_b32_e64 v2, 0, v2, s[36:37]
	s_abs_i32 s1, s28
	v_add_u32_e32 v2, v2, v3
	v_cvt_f32_u32_e32 v3, s1
	v_sub_u32_e32 v88, v1, v2
	s_ashr_i32 s3, s26, 31
	s_lshr_b32 s3, s3, 26
	v_rcp_iflag_f32_e32 v2, v3
	s_sub_i32 s6, 0, s1
	s_add_i32 s3, s26, s3
	s_ashr_i32 s3, s3, 6
	v_mul_f32_e32 v2, 0x4f7ffffe, v2
	v_cvt_u32_f32_e32 v2, v2
	s_abs_i32 s5, s3
	s_xor_b32 s4, s3, s28
	s_ashr_i32 s4, s4, 31
	v_readfirstlane_b32 s7, v2
	s_mul_i32 s6, s6, s7
	s_mul_hi_u32 s6, s7, s6
	s_add_i32 s7, s7, s6
	s_mul_hi_u32 s6, s5, s7
	s_mul_i32 s7, s6, s1
	s_sub_i32 s5, s5, s7
	s_add_i32 s7, s6, 1
	s_sub_i32 s8, s5, s1
	s_cmp_ge_u32 s5, s1
	s_cselect_b32 s6, s7, s6
	s_cselect_b32 s5, s8, s5
	s_add_i32 s7, s6, 1
	s_cmp_ge_u32 s5, s1
	s_cselect_b32 s1, s7, s6
	s_add_i32 s0, s0, s31
	v_and_b32_e32 v85, 31, v0
	v_lshrrev_b32_e32 v2, 3, v0
	v_cmp_gt_i32_e64 s[42:43], s0, v1
	v_lshlrev_b32_e32 v1, 2, v85
	v_and_b32_e32 v3, 4, v2
	v_lshlrev_b32_e32 v2, 6, v3
	v_or_b32_e32 v4, 0x5000, v1
	v_or_b32_e32 v5, v4, v2
	scratch_store_dword off, v5, off        ; 4-byte Folded Spill
	v_and_b32_e32 v5, 1, v0
	v_or_b32_e32 v98, v1, v2
	v_lshlrev_b32_e32 v2, 1, v5
	v_sub_u32_e32 v2, v0, v2
	v_add_u32_e32 v2, 1, v2
	v_and_b32_e32 v6, 63, v2
	v_bitop3_b32 v2, v0, 1, v0 bitop3:0xc
	scratch_store_dword off, v2, off offset:32 ; 4-byte Folded Spill
	v_bitop3_b32 v2, v0, 3, 1 bitop3:0x6c
	scratch_store_dword off, v2, off offset:36 ; 4-byte Folded Spill
	;; [unrolled: 2-line block ×8, first 2 shown]
	v_or_b32_e32 v2, 32, v85
	s_add_i32 s39, s28, -1
	scratch_store_dword off, v2, off offset:64 ; 4-byte Folded Spill
	v_or_b32_e32 v2, 64, v85
	v_lshrrev_b32_e32 v7, 1, v0
	s_abs_i32 s28, s14
	scratch_store_dword off, v2, off offset:68 ; 4-byte Folded Spill
	v_or_b32_e32 v2, 0x60, v85
	v_and_b32_e32 v8, 16, v7
	v_cvt_f32_u32_e32 v7, s28
	scratch_store_dword off, v2, off offset:72 ; 4-byte Folded Spill
	v_or_b32_e32 v2, 0x80, v85
	scratch_store_dword off, v2, off offset:76 ; 4-byte Folded Spill
	v_and_b32_e32 v2, 30, v0
	v_lshlrev_b32_e32 v0, 4, v0
                                        ; implicit-def: $vgpr127 : SGPR spill to VGPR lane
	v_and_b32_e32 v0, 0x200, v0
	v_writelane_b32 v127, s14, 0
	s_xor_b32 s1, s1, s4
	v_or_b32_e32 v111, v1, v0
	v_rcp_iflag_f32_e32 v1, v7
	v_writelane_b32 v127, s15, 1
	s_sub_i32 s38, s1, s4
	s_waitcnt lgkmcnt(0)
	v_writelane_b32 v127, s16, 2
	s_mul_i32 s1, s38, s39
	s_sub_i32 s40, s3, s1
	v_writelane_b32 v127, s17, 3
	s_abs_i32 s3, s15
	v_writelane_b32 v127, s18, 4
	v_or_b32_e32 v113, v4, v0
	v_mul_f32_e32 v0, 0x4f7ffffe, v1
	v_cvt_f32_u32_e32 v1, s3
	v_writelane_b32 v127, s19, 5
	v_writelane_b32 v127, s20, 6
	;; [unrolled: 1-line block ×4, first 2 shown]
	v_cvt_u32_f32_e32 v0, v0
	v_rcp_iflag_f32_e32 v1, v1
	v_writelane_b32 v127, s23, 9
	v_cndmask_b32_e64 v95, 0, 1, s[34:35]
	v_writelane_b32 v127, s34, 10
	v_readfirstlane_b32 s1, v0
	v_mul_f32_e32 v0, 0x4f7ffffe, v1
	v_writelane_b32 v127, s35, 11
	v_writelane_b32 v127, s36, 12
	v_cvt_u32_f32_e32 v0, v0
	s_sub_i32 s0, 0, s28
	v_writelane_b32 v127, s37, 13
	v_writelane_b32 v127, s38, 14
	;; [unrolled: 1-line block ×3, first 2 shown]
	s_mul_i32 s0, s0, s1
	v_writelane_b32 v127, s40, 16
	s_mul_hi_u32 s0, s1, s0
	v_writelane_b32 v127, s42, 17
	s_ashr_i32 s41, s14, 31
	s_add_i32 s44, s1, s0
	s_sub_i32 s0, 0, s3
	v_readfirstlane_b32 s1, v0
	v_writelane_b32 v127, s43, 18
	s_mul_i32 s0, s0, s1
	v_mbcnt_lo_u32_b32 v0, -1, 0
	v_writelane_b32 v127, s41, 19
	s_ashr_i32 s45, s15, 31
	s_mul_hi_u32 s0, s1, s0
	v_mbcnt_hi_u32_b32 v0, -1, v0
	v_writelane_b32 v127, s44, 20
	v_mov_b32_e32 v97, 0
	v_mul_lo_u32 v10, s27, v85
	s_add_i32 s46, s1, s0
	v_and_or_b32 v0, v0, 64, v6
	v_writelane_b32 v127, s45, 21
	v_ashrrev_i32_e32 v11, 31, v10
	v_mov_b32_e32 v9, v97
	s_lshl_b32 s33, s27, 5
	v_mul_lo_u32 v7, s26, v85
	v_or_b32_e32 v114, v5, v3
	v_lshlrev_b32_e32 v96, 1, v2
	v_lshlrev_b32_e32 v115, 2, v0
	v_mov_b32_e32 v116, v88
	v_writelane_b32 v127, s46, 22
	scratch_store_dwordx2 off, v[10:11], off offset:80 ; 8-byte Folded Spill
	scratch_store_dwordx2 off, v[8:9], off offset:8 ; 8-byte Folded Spill
	scratch_store_dword off, v7, off offset:16 ; 4-byte Folded Spill
	scratch_store_dword off, v85, off offset:28 ; 4-byte Folded Spill
	s_branch .LBB222_7
.LBB222_4:                              ;   in Loop: Header=BB222_7 Depth=1
	s_or_b64 exec, exec, s[6:7]
.LBB222_5:                              ;   in Loop: Header=BB222_7 Depth=1
	s_or_b64 exec, exec, s[4:5]
	v_subrev_u32_e32 v116, s12, v116
.LBB222_6:                              ;   in Loop: Header=BB222_7 Depth=1
	s_or_b64 exec, exec, s[0:1]
	scratch_load_dword v0, off, off offset:4 ; 4-byte Folded Reload
	s_add_i32 s2, s2, 1
	s_waitcnt vmcnt(0)
	v_cmp_ge_i32_e32 vcc, s2, v0
	s_cbranch_vccnz .LBB222_55
.LBB222_7:                              ; =>This Loop Header: Depth=1
                                        ;     Child Loop BB222_13 Depth 2
                                        ;       Child Loop BB222_15 Depth 3
                                        ;       Child Loop BB222_18 Depth 3
	;; [unrolled: 1-line block ×6, first 2 shown]
                                        ;     Child Loop BB222_34 Depth 2
                                        ;     Child Loop BB222_42 Depth 2
                                        ;       Child Loop BB222_44 Depth 3
                                        ;     Child Loop BB222_52 Depth 2
                                        ;       Child Loop BB222_54 Depth 3
	s_abs_i32 s1, s2
	s_mul_hi_u32 s4, s1, s44
	s_mul_i32 s5, s4, s28
	s_ashr_i32 s0, s2, 31
	s_sub_i32 s1, s1, s5
	s_xor_b32 s0, s0, s41
	s_add_i32 s5, s4, 1
	s_sub_i32 s6, s1, s28
	s_cmp_ge_u32 s1, s28
	s_cselect_b32 s4, s5, s4
	s_cselect_b32 s1, s6, s1
	s_add_i32 s5, s4, 1
	s_cmp_ge_u32 s1, s28
	s_cselect_b32 s1, s5, s4
	s_xor_b32 s1, s1, s0
	s_sub_i32 s0, s1, s0
	s_abs_i32 s4, s0
	s_mul_i32 s1, s0, s14
	s_mul_hi_u32 s5, s4, s46
	s_sub_i32 s1, s2, s1
	s_mul_i32 s6, s5, s3
	s_lshl_b32 s47, s1, 6
	s_ashr_i32 s1, s0, 31
	s_sub_i32 s4, s4, s6
	s_xor_b32 s1, s1, s45
	s_add_i32 s6, s5, 1
	s_sub_i32 s7, s4, s3
	s_cmp_ge_u32 s4, s3
	s_cselect_b32 s5, s6, s5
	s_cselect_b32 s4, s7, s4
	s_add_i32 s6, s5, 1
	s_cmp_ge_u32 s4, s3
	s_cselect_b32 s4, s6, s5
	s_xor_b32 s4, s4, s1
	s_sub_i32 s1, s4, s1
	s_mul_i32 s4, s1, s38
	s_lshl_b32 s13, s4, 6
	s_cmp_eq_u32 s1, s39
	s_cselect_b32 s98, s40, s38
	s_sub_i32 s4, s47, s24
	s_add_i32 s4, s4, 64
	s_max_i32 s99, s4, 0
	s_and_saveexec_b64 s[4:5], s[36:37]
	s_xor_b64 s[48:49], exec, s[4:5]
	s_cbranch_execz .LBB222_48
; %bb.8:                                ;   in Loop: Header=BB222_7 Depth=1
	s_mul_i32 s1, s1, s15
	s_sub_i32 s0, s0, s1
	s_mulk_i32 s0, 0xa0
	s_sub_i32 s70, s0, s25
	s_addk_i32 s70, 0xa0
	v_writelane_b32 v127, s48, 23
	s_max_i32 s1, s70, 0
	s_mov_b32 s4, s13
	v_writelane_b32 v127, s49, 24
	s_sub_i32 s68, s0, s1
	s_and_saveexec_b64 s[0:1], s[34:35]
	s_xor_b64 s[0:1], exec, s[0:1]
	s_cbranch_execz .LBB222_38
; %bb.9:                                ;   in Loop: Header=BB222_7 Depth=1
	s_mov_b64 s[6:7], exec
	v_writelane_b32 v127, s6, 25
	s_nop 1
	v_writelane_b32 v127, s7, 26
	s_and_b64 s[6:7], s[6:7], s[42:43]
	s_mov_b64 exec, s[6:7]
	s_cbranch_execz .LBB222_37
; %bb.10:                               ;   in Loop: Header=BB222_7 Depth=1
	global_load_dword v117, v97, s[22:23]
	v_mov_b32_e32 v79, 0
	v_cmp_gt_i32_e32 vcc, s98, v116
	v_mov_b32_e32 v78, v79
	v_mov_b32_e32 v77, v79
	v_mov_b32_e32 v76, v79
	v_mov_b32_e32 v75, v79
	v_mov_b32_e32 v74, v79
	v_mov_b32_e32 v73, v79
	v_mov_b32_e32 v72, v79
	v_mov_b32_e32 v71, v79
	v_mov_b32_e32 v70, v79
	v_mov_b32_e32 v69, v79
	v_mov_b32_e32 v68, v79
	v_mov_b32_e32 v67, v79
	v_mov_b32_e32 v66, v79
	v_mov_b32_e32 v65, v79
	v_mov_b32_e32 v64, v79
	v_mov_b32_e32 v63, v79
	v_mov_b32_e32 v62, v79
	v_mov_b32_e32 v61, v79
	v_mov_b32_e32 v60, v79
	v_mov_b32_e32 v59, v79
	v_mov_b32_e32 v58, v79
	v_mov_b32_e32 v57, v79
	v_mov_b32_e32 v56, v79
	v_mov_b32_e32 v55, v79
	v_mov_b32_e32 v54, v79
	v_mov_b32_e32 v53, v79
	v_mov_b32_e32 v52, v79
	v_mov_b32_e32 v51, v79
	v_mov_b32_e32 v50, v79
	v_mov_b32_e32 v49, v79
	v_mov_b32_e32 v48, v79
	v_mov_b32_e32 v47, v79
	v_mov_b32_e32 v46, v79
	v_mov_b32_e32 v45, v79
	v_mov_b32_e32 v44, v79
	v_mov_b32_e32 v43, v79
	v_mov_b32_e32 v42, v79
	v_mov_b32_e32 v41, v79
	v_mov_b32_e32 v40, v79
	v_mov_b32_e32 v39, v79
	v_mov_b32_e32 v38, v79
	v_mov_b32_e32 v37, v79
	v_mov_b32_e32 v36, v79
	v_mov_b32_e32 v35, v79
	v_mov_b32_e32 v34, v79
	v_mov_b32_e32 v33, v79
	v_mov_b32_e32 v32, v79
	v_mov_b32_e32 v31, v79
	v_mov_b32_e32 v30, v79
	v_mov_b32_e32 v29, v79
	v_mov_b32_e32 v28, v79
	v_mov_b32_e32 v27, v79
	v_mov_b32_e32 v26, v79
	v_mov_b32_e32 v25, v79
	v_mov_b32_e32 v24, v79
	v_mov_b32_e32 v23, v79
	v_mov_b32_e32 v22, v79
	v_mov_b32_e32 v21, v79
	v_mov_b32_e32 v20, v79
	v_mov_b32_e32 v19, v79
	v_mov_b32_e32 v18, v79
	v_mov_b32_e32 v17, v79
	v_mov_b32_e32 v16, v79
	v_mov_b32_e32 v15, v79
	v_mov_b32_e32 v14, v79
	v_mov_b32_e32 v13, v79
	v_mov_b32_e32 v12, v79
	v_mov_b32_e32 v11, v79
	v_mov_b32_e32 v10, v79
	v_mov_b32_e32 v9, v79
	v_mov_b32_e32 v8, v79
	v_mov_b32_e32 v7, v79
	v_mov_b32_e32 v6, v79
	v_mov_b32_e32 v5, v79
	v_mov_b32_e32 v4, v79
	v_mov_b32_e32 v3, v79
	v_mov_b32_e32 v2, v79
	v_mov_b32_e32 v1, v79
	v_mov_b32_e32 v0, v79
	s_and_saveexec_b64 s[6:7], vcc
	s_cbranch_execz .LBB222_32
; %bb.11:                               ;   in Loop: Header=BB222_7 Depth=1
	v_mov_b32_e32 v0, 0
	s_mov_b64 s[8:9], 0
	v_mov_b32_e32 v1, v0
	v_mov_b32_e32 v2, v0
	;; [unrolled: 1-line block ×79, first 2 shown]
	s_branch .LBB222_13
.LBB222_12:                             ;   in Loop: Header=BB222_13 Depth=2
	s_or_b64 exec, exec, s[10:11]
	v_add_u32_e32 v81, 0x2000, v80
	ds_read2_b32 v[82:83], v81 offset1:32
	v_add_u32_e32 v116, s31, v116
	s_waitcnt lgkmcnt(0)
	v_mfma_f32_32x32x16_fp8_fp8 v[0:15], v[92:93], v[82:83], v[0:15]
	ds_read2_b32 v[82:83], v81 offset0:128 offset1:160
	s_waitcnt lgkmcnt(0)
	v_mfma_f32_32x32x16_fp8_fp8 v[0:15], v[90:91], v[82:83], v[0:15]
	v_add_u32_e32 v82, 0x2400, v80
	ds_read2_b32 v[80:81], v82 offset1:32
	ds_read2_b32 v[82:83], v82 offset0:128 offset1:160
	ds_write_b32 v119, v120 offset:28708
	s_waitcnt lgkmcnt(2)
	v_mfma_f32_32x32x16_fp8_fp8 v[0:15], v[88:89], v[80:81], v[0:15]
	v_add_u32_e32 v88, s31, v118
	v_add_u32_e32 v80, 2, v95
	v_cmp_lt_i32_e32 vcc, 1, v88
	s_nop 1
	v_cndmask_b32_e32 v95, v95, v80, vcc
	v_cmp_le_i32_e32 vcc, s98, v116
	s_waitcnt lgkmcnt(1)
	v_mfma_f32_32x32x16_fp8_fp8 v[0:15], v[86:87], v[82:83], v[0:15]
	s_or_b64 s[8:9], vcc, s[8:9]
	s_andn2_b64 exec, exec, s[8:9]
	s_cbranch_execz .LBB222_31
.LBB222_13:                             ;   Parent Loop BB222_7 Depth=1
                                        ; =>  This Loop Header: Depth=2
                                        ;       Child Loop BB222_15 Depth 3
                                        ;       Child Loop BB222_18 Depth 3
	;; [unrolled: 1-line block ×6, first 2 shown]
	v_cmp_gt_i32_e32 vcc, 2, v88
	s_nop 1
	v_cndmask_b32_e64 v80, -2, 0, vcc
	v_add_u32_e32 v118, v80, v88
	v_mul_lo_u32 v119, v118, 40
	ds_read_b32 v80, v119 offset:28672
	s_waitcnt lgkmcnt(0)
	v_cmp_ne_u32_e32 vcc, v80, v95
	s_and_saveexec_b64 s[10:11], vcc
	s_cbranch_execz .LBB222_16
; %bb.14:                               ;   in Loop: Header=BB222_13 Depth=2
	s_mov_b64 s[12:13], 0
.LBB222_15:                             ;   Parent Loop BB222_7 Depth=1
                                        ;     Parent Loop BB222_13 Depth=2
                                        ; =>    This Inner Loop Header: Depth=3
	;;#ASMSTART
	s_sleep 0
	;;#ASMEND
	ds_read_b32 v80, v119 offset:28672
	s_waitcnt lgkmcnt(0)
	v_cmp_eq_u32_e32 vcc, v80, v95
	s_or_b64 s[12:13], vcc, s[12:13]
	s_andn2_b64 exec, exec, s[12:13]
	s_cbranch_execnz .LBB222_15
.LBB222_16:                             ;   in Loop: Header=BB222_13 Depth=2
	s_or_b64 exec, exec, s[10:11]
	scratch_load_dword v80, off, off        ; 4-byte Folded Reload
	v_add_u32_e32 v120, 1, v95
	s_waitcnt vmcnt(0)
	v_lshl_add_u32 v80, v118, 11, v80
	ds_read2_b32 v[92:93], v80 offset1:32
	ds_read2_b32 v[90:91], v80 offset0:128 offset1:160
	v_add_u32_e32 v80, 0x400, v80
	ds_read2_b32 v[88:89], v80 offset1:32
	ds_read_b32 v81, v119 offset:28676
	ds_read2_b32 v[86:87], v80 offset0:128 offset1:160
	ds_write_b32 v119, v120 offset:28672
	s_waitcnt lgkmcnt(2)
	v_cmp_ne_u32_e32 vcc, v81, v95
	s_and_saveexec_b64 s[10:11], vcc
	s_cbranch_execz .LBB222_19
; %bb.17:                               ;   in Loop: Header=BB222_13 Depth=2
	s_mov_b64 s[12:13], 0
.LBB222_18:                             ;   Parent Loop BB222_7 Depth=1
                                        ;     Parent Loop BB222_13 Depth=2
                                        ; =>    This Inner Loop Header: Depth=3
	;;#ASMSTART
	s_sleep 0
	;;#ASMEND
	ds_read_b32 v80, v119 offset:28676
	s_waitcnt lgkmcnt(0)
	v_cmp_eq_u32_e32 vcc, v80, v95
	s_or_b64 s[12:13], vcc, s[12:13]
	s_andn2_b64 exec, exec, s[12:13]
	s_cbranch_execnz .LBB222_18
.LBB222_19:                             ;   in Loop: Header=BB222_13 Depth=2
	s_or_b64 exec, exec, s[10:11]
	s_movk_i32 s5, 0x2800
	v_mul_lo_u32 v80, v118, s5
	v_or_b32_e32 v81, v98, v80
	ds_read2_b32 v[82:83], v81 offset1:32
	ds_write_b32 v119, v120 offset:28676
	s_waitcnt lgkmcnt(1)
	v_mfma_f32_32x32x16_fp8_fp8 v[64:79], v[92:93], v[82:83], v[64:79]
	ds_read2_b32 v[82:83], v81 offset0:128 offset1:160
	v_add_u32_e32 v81, 0x400, v81
	s_waitcnt lgkmcnt(0)
	v_mfma_f32_32x32x16_fp8_fp8 v[64:79], v[90:91], v[82:83], v[64:79]
	ds_read2_b32 v[82:83], v81 offset1:32
	s_waitcnt lgkmcnt(0)
	v_mfma_f32_32x32x16_fp8_fp8 v[64:79], v[88:89], v[82:83], v[64:79]
	ds_read2_b32 v[82:83], v81 offset0:128 offset1:160
	ds_read_b32 v81, v119 offset:28684
	s_waitcnt lgkmcnt(0)
	v_cmp_ne_u32_e32 vcc, v81, v95
	v_mfma_f32_32x32x16_fp8_fp8 v[64:79], v[86:87], v[82:83], v[64:79]
	s_and_saveexec_b64 s[10:11], vcc
	s_cbranch_execz .LBB222_22
; %bb.20:                               ;   in Loop: Header=BB222_13 Depth=2
	s_mov_b64 s[12:13], 0
.LBB222_21:                             ;   Parent Loop BB222_7 Depth=1
                                        ;     Parent Loop BB222_13 Depth=2
                                        ; =>    This Inner Loop Header: Depth=3
	;;#ASMSTART
	s_sleep 0
	;;#ASMEND
	ds_read_b32 v81, v119 offset:28684
	s_waitcnt lgkmcnt(0)
	v_cmp_eq_u32_e32 vcc, v81, v95
	s_or_b64 s[12:13], vcc, s[12:13]
	s_andn2_b64 exec, exec, s[12:13]
	s_cbranch_execnz .LBB222_21
.LBB222_22:                             ;   in Loop: Header=BB222_13 Depth=2
	s_or_b64 exec, exec, s[10:11]
	v_add_u32_e32 v80, v98, v80
	v_add_u32_e32 v81, 0x800, v80
	ds_read2_b32 v[82:83], v81 offset1:32
	ds_write_b32 v119, v120 offset:28684
	s_waitcnt lgkmcnt(1)
	v_mfma_f32_32x32x16_fp8_fp8 v[48:63], v[92:93], v[82:83], v[48:63]
	ds_read2_b32 v[82:83], v81 offset0:128 offset1:160
	v_add_u32_e32 v81, 0xc00, v80
	s_waitcnt lgkmcnt(0)
	v_mfma_f32_32x32x16_fp8_fp8 v[48:63], v[90:91], v[82:83], v[48:63]
	ds_read2_b32 v[82:83], v81 offset1:32
	s_waitcnt lgkmcnt(0)
	v_mfma_f32_32x32x16_fp8_fp8 v[48:63], v[88:89], v[82:83], v[48:63]
	ds_read2_b32 v[82:83], v81 offset0:128 offset1:160
	ds_read_b32 v81, v119 offset:28692
	s_waitcnt lgkmcnt(0)
	v_cmp_ne_u32_e32 vcc, v81, v95
	v_mfma_f32_32x32x16_fp8_fp8 v[48:63], v[86:87], v[82:83], v[48:63]
	s_and_saveexec_b64 s[10:11], vcc
	s_cbranch_execz .LBB222_25
; %bb.23:                               ;   in Loop: Header=BB222_13 Depth=2
	s_mov_b64 s[12:13], 0
.LBB222_24:                             ;   Parent Loop BB222_7 Depth=1
                                        ;     Parent Loop BB222_13 Depth=2
                                        ; =>    This Inner Loop Header: Depth=3
	;;#ASMSTART
	s_sleep 0
	;;#ASMEND
	ds_read_b32 v81, v119 offset:28692
	s_waitcnt lgkmcnt(0)
	v_cmp_eq_u32_e32 vcc, v81, v95
	s_or_b64 s[12:13], vcc, s[12:13]
	s_andn2_b64 exec, exec, s[12:13]
	s_cbranch_execnz .LBB222_24
.LBB222_25:                             ;   in Loop: Header=BB222_13 Depth=2
	s_or_b64 exec, exec, s[10:11]
	v_add_u32_e32 v81, 0x1000, v80
	ds_read2_b32 v[82:83], v81 offset1:32
	s_waitcnt lgkmcnt(0)
	v_mfma_f32_32x32x16_fp8_fp8 v[32:47], v[92:93], v[82:83], v[32:47]
	ds_read2_b32 v[82:83], v81 offset0:128 offset1:160
	v_add_u32_e32 v81, 0x1400, v80
	s_waitcnt lgkmcnt(0)
	v_mfma_f32_32x32x16_fp8_fp8 v[32:47], v[90:91], v[82:83], v[32:47]
	ds_read2_b32 v[82:83], v81 offset1:32
	s_waitcnt lgkmcnt(0)
	v_mfma_f32_32x32x16_fp8_fp8 v[32:47], v[88:89], v[82:83], v[32:47]
	ds_read_b32 v84, v119 offset:28700
	ds_read2_b32 v[82:83], v81 offset0:128 offset1:160
	ds_write_b32 v119, v120 offset:28692
	s_waitcnt lgkmcnt(2)
	v_cmp_ne_u32_e32 vcc, v84, v95
	s_waitcnt lgkmcnt(1)
	v_mfma_f32_32x32x16_fp8_fp8 v[32:47], v[86:87], v[82:83], v[32:47]
	s_and_saveexec_b64 s[10:11], vcc
	s_cbranch_execz .LBB222_28
; %bb.26:                               ;   in Loop: Header=BB222_13 Depth=2
	s_mov_b64 s[12:13], 0
.LBB222_27:                             ;   Parent Loop BB222_7 Depth=1
                                        ;     Parent Loop BB222_13 Depth=2
                                        ; =>    This Inner Loop Header: Depth=3
	;;#ASMSTART
	s_sleep 0
	;;#ASMEND
	ds_read_b32 v81, v119 offset:28700
	s_waitcnt lgkmcnt(0)
	v_cmp_eq_u32_e32 vcc, v81, v95
	s_or_b64 s[12:13], vcc, s[12:13]
	s_andn2_b64 exec, exec, s[12:13]
	s_cbranch_execnz .LBB222_27
.LBB222_28:                             ;   in Loop: Header=BB222_13 Depth=2
	s_or_b64 exec, exec, s[10:11]
	v_add_u32_e32 v81, 0x1800, v80
	ds_read2_b32 v[82:83], v81 offset1:32
	s_waitcnt lgkmcnt(0)
	v_mfma_f32_32x32x16_fp8_fp8 v[16:31], v[92:93], v[82:83], v[16:31]
	ds_read2_b32 v[82:83], v81 offset0:128 offset1:160
	v_add_u32_e32 v81, 0x1c00, v80
	s_waitcnt lgkmcnt(0)
	v_mfma_f32_32x32x16_fp8_fp8 v[16:31], v[90:91], v[82:83], v[16:31]
	ds_read2_b32 v[82:83], v81 offset1:32
	s_waitcnt lgkmcnt(0)
	v_mfma_f32_32x32x16_fp8_fp8 v[16:31], v[88:89], v[82:83], v[16:31]
	ds_read_b32 v84, v119 offset:28708
	ds_read2_b32 v[82:83], v81 offset0:128 offset1:160
	ds_write_b32 v119, v120 offset:28700
	s_waitcnt lgkmcnt(2)
	v_cmp_ne_u32_e32 vcc, v84, v95
	s_waitcnt lgkmcnt(1)
	v_mfma_f32_32x32x16_fp8_fp8 v[16:31], v[86:87], v[82:83], v[16:31]
	s_and_saveexec_b64 s[10:11], vcc
	s_cbranch_execz .LBB222_12
; %bb.29:                               ;   in Loop: Header=BB222_13 Depth=2
	s_mov_b64 s[12:13], 0
.LBB222_30:                             ;   Parent Loop BB222_7 Depth=1
                                        ;     Parent Loop BB222_13 Depth=2
                                        ; =>    This Inner Loop Header: Depth=3
	;;#ASMSTART
	s_sleep 0
	;;#ASMEND
	ds_read_b32 v81, v119 offset:28708
	s_waitcnt lgkmcnt(0)
	v_cmp_eq_u32_e32 vcc, v81, v95
	s_or_b64 s[12:13], vcc, s[12:13]
	s_andn2_b64 exec, exec, s[12:13]
	s_cbranch_execnz .LBB222_30
	s_branch .LBB222_12
.LBB222_31:                             ;   in Loop: Header=BB222_7 Depth=1
	s_or_b64 exec, exec, s[8:9]
.LBB222_32:                             ;   in Loop: Header=BB222_7 Depth=1
	s_or_b64 exec, exec, s[6:7]
	scratch_load_dword v99, off, off offset:32 ; 4-byte Folded Reload
	scratch_load_dword v106, off, off offset:40 ; 4-byte Folded Reload
	v_cmp_le_i32_e32 vcc, s70, v85
	v_writelane_b32 v127, s47, 27
	s_mul_i32 s6, s47, s25
	s_waitcnt vmcnt(2)
	v_cndmask_b32_e32 v80, 0, v117, vcc
	v_pk_mul_f32 v[64:65], v[80:81], v[64:65] op_sel_hi:[0,1]
	v_pk_mul_f32 v[78:79], v[80:81], v[78:79] op_sel_hi:[0,1]
	;; [unrolled: 1-line block ×8, first 2 shown]
	s_ashr_i32 s7, s6, 31
	s_lshl_b64 s[6:7], s[6:7], 1
	s_add_u32 s71, s20, s6
	s_addc_u32 s72, s21, s7
	s_ashr_i32 s69, s68, 31
	s_mov_b32 s82, s68
	s_lshl_b64 s[68:69], s[68:69], 1
	v_writelane_b32 v127, s82, 28
	s_add_u32 s68, s71, s68
	s_addc_u32 s69, s72, s69
	v_writelane_b32 v127, s83, 29
	v_writelane_b32 v127, s68, 30
	scratch_store_dwordx2 off, v[96:97], off offset:20 ; 8-byte Folded Spill
	v_subrev_u32_e32 v116, s98, v116
	v_writelane_b32 v127, s69, 31
	s_mov_b32 s5, 0
	s_waitcnt vmcnt(2)
	v_cmp_eq_u32_e64 s[64:65], 1, v99
	s_nop 1
	v_cndmask_b32_e64 v80, v64, v65, s[64:65]
	v_cmp_eq_u32_e64 s[38:39], 2, v99
	v_cmp_eq_u32_e64 s[40:41], 3, v99
	v_cmp_eq_u32_e64 s[42:43], 4, v99
	v_cndmask_b32_e64 v80, v80, v66, s[38:39]
	v_cndmask_b32_e64 v80, v80, v67, s[40:41]
	v_cndmask_b32_e64 v80, v80, v68, s[42:43]
	v_cmp_eq_u32_e64 s[44:45], 5, v99
	v_cmp_eq_u32_e64 s[46:47], 6, v99
	v_cmp_eq_u32_e64 s[48:49], 7, v99
	v_cndmask_b32_e64 v80, v80, v69, s[44:45]
	v_cndmask_b32_e64 v80, v80, v70, s[46:47]
	;; [unrolled: 6-line block ×5, first 2 shown]
	ds_bpermute_b32 v80, v115, v80
	s_waitcnt vmcnt(1)
	v_cmp_eq_u32_e64 s[72:73], 8, v106
	s_waitcnt lgkmcnt(0)
	v_cndmask_b32_e64 v79, v79, v80, s[66:67]
	v_cndmask_b32_e64 v78, v78, v80, s[62:63]
	;; [unrolled: 1-line block ×16, first 2 shown]
	scratch_load_dword v80, off, off offset:36 ; 4-byte Folded Reload
	s_waitcnt vmcnt(0)
	v_cmp_eq_u32_e32 vcc, 1, v80
	s_nop 1
	v_cndmask_b32_e32 v64, v87, v90, vcc
	v_cmp_eq_u32_e64 s[6:7], 2, v80
	v_cmp_eq_u32_e64 s[8:9], 3, v80
	v_cmp_eq_u32_e64 s[10:11], 4, v80
	v_cndmask_b32_e64 v64, v64, v66, s[6:7]
	v_cndmask_b32_e64 v64, v64, v86, s[8:9]
	v_cndmask_b32_e64 v64, v64, v85, s[10:11]
	v_cmp_eq_u32_e64 s[12:13], 5, v80
	v_cmp_eq_u32_e64 s[14:15], 6, v80
	v_cmp_eq_u32_e64 s[16:17], 7, v80
	v_cndmask_b32_e64 v64, v64, v84, s[12:13]
	v_cndmask_b32_e64 v64, v64, v83, s[14:15]
	v_cndmask_b32_e64 v64, v64, v82, s[16:17]
	;; [unrolled: 6-line block ×4, first 2 shown]
	v_cmp_eq_u32_e64 s[80:81], 14, v80
	v_cmp_eq_u32_e64 s[34:35], 15, v80
	s_nop 0
	v_cndmask_b32_e64 v64, v64, v78, s[80:81]
	v_cndmask_b32_e64 v64, v64, v79, s[34:35]
	ds_bpermute_b32 v89, v115, v64
	scratch_load_dword v64, off, off offset:64 ; 4-byte Folded Reload
	s_waitcnt lgkmcnt(0)
	v_cndmask_b32_e64 v65, v79, v89, s[34:35]
	v_cndmask_b32_e64 v79, v66, v89, s[6:7]
	scratch_load_dword v66, off, off offset:72 ; 4-byte Folded Reload
	v_cndmask_b32_e64 v67, v78, v89, s[80:81]
	v_cndmask_b32_e64 v70, v75, v89, s[74:75]
	v_cndmask_b32_e64 v71, v74, v89, s[22:23]
	v_cndmask_b32_e64 v72, v73, v89, s[20:21]
	v_cndmask_b32_e64 v73, v81, v89, s[18:19]
	v_cndmask_b32_e64 v74, v82, v89, s[16:17]
	v_cndmask_b32_e64 v75, v83, v89, s[14:15]
	v_cndmask_b32_e64 v78, v86, v89, s[8:9]
	v_cndmask_b32_e32 v86, v90, v89, vcc
	v_cndmask_b32_e64 v68, v77, v89, s[78:79]
	v_cndmask_b32_e64 v77, v85, v89, s[10:11]
	;; [unrolled: 1-line block ×4, first 2 shown]
	s_waitcnt vmcnt(1)
	v_cmp_le_i32_e64 s[68:69], s70, v64
	s_nop 1
	v_cndmask_b32_e64 v64, 0, v117, s[68:69]
	v_pk_mul_f32 v[62:63], v[64:65], v[62:63] op_sel_hi:[0,1]
	v_pk_mul_f32 v[60:61], v[64:65], v[60:61] op_sel_hi:[0,1]
	;; [unrolled: 1-line block ×8, first 2 shown]
	scratch_load_dword v64, off, off offset:68 ; 4-byte Folded Reload
	v_cndmask_b32_e64 v81, v48, v49, s[64:65]
	v_cndmask_b32_e64 v81, v81, v50, s[38:39]
	;; [unrolled: 1-line block ×15, first 2 shown]
	ds_bpermute_b32 v122, v115, v81
	s_waitcnt vmcnt(0)
	v_cmp_le_i32_e64 s[68:69], s70, v64
	s_nop 1
	v_cndmask_b32_e64 v64, 0, v117, s[68:69]
	v_cmp_le_i32_e64 s[68:69], s70, v66
	v_pk_mul_f32 v[32:33], v[64:65], v[32:33] op_sel_hi:[0,1]
	v_pk_mul_f32 v[34:35], v[64:65], v[34:35] op_sel_hi:[0,1]
	v_cndmask_b32_e64 v66, 0, v117, s[68:69]
	v_cmp_eq_u32_e64 s[68:69], 0, v80
	scratch_load_dword v80, off, off offset:76 ; 4-byte Folded Reload
	v_pk_mul_f32 v[82:83], v[66:67], v[28:29] op_sel_hi:[0,1]
	v_cndmask_b32_e64 v28, v32, v33, s[64:65]
	v_cndmask_b32_e64 v28, v28, v34, s[38:39]
	v_pk_mul_f32 v[36:37], v[64:65], v[36:37] op_sel_hi:[0,1]
	v_cndmask_b32_e64 v28, v28, v35, s[40:41]
	v_cndmask_b32_e64 v28, v28, v36, s[42:43]
	;; [unrolled: 3-line block ×7, first 2 shown]
	v_pk_mul_f32 v[16:17], v[66:67], v[16:17] op_sel_hi:[0,1]
	v_cndmask_b32_e64 v28, v28, v47, s[66:67]
	v_pk_mul_f32 v[18:19], v[66:67], v[18:19] op_sel_hi:[0,1]
	ds_bpermute_b32 v123, v115, v28
	v_cndmask_b32_e64 v28, v16, v17, s[64:65]
	v_cndmask_b32_e64 v28, v28, v18, s[38:39]
	v_pk_mul_f32 v[20:21], v[66:67], v[20:21] op_sel_hi:[0,1]
	v_cndmask_b32_e64 v28, v28, v19, s[40:41]
	v_cndmask_b32_e64 v28, v28, v20, s[42:43]
	v_pk_mul_f32 v[22:23], v[66:67], v[22:23] op_sel_hi:[0,1]
	;; [unrolled: 3-line block ×4, first 2 shown]
	v_cndmask_b32_e64 v28, v28, v25, s[52:53]
	v_cndmask_b32_e64 v28, v28, v26, s[54:55]
	;; [unrolled: 1-line block ×4, first 2 shown]
	v_pk_mul_f32 v[30:31], v[66:67], v[30:31] op_sel_hi:[0,1]
	v_cndmask_b32_e64 v28, v28, v83, s[60:61]
	v_cndmask_b32_e64 v28, v28, v30, s[62:63]
	;; [unrolled: 1-line block ×3, first 2 shown]
	ds_bpermute_b32 v124, v115, v28
	v_cndmask_b32_e64 v87, v87, v89, s[68:69]
	s_waitcnt lgkmcnt(2)
	v_cndmask_b32_e64 v28, v63, v122, s[66:67]
	s_waitcnt lgkmcnt(1)
	v_cndmask_b32_e64 v63, v47, v123, s[66:67]
	v_cndmask_b32_e64 v29, v62, v122, s[62:63]
	s_waitcnt lgkmcnt(0)
	v_cndmask_b32_e64 v85, v31, v124, s[66:67]
	v_cndmask_b32_e64 v62, v46, v123, s[62:63]
	;; [unrolled: 1-line block ×27, first 2 shown]
	s_waitcnt vmcnt(0)
	v_cmp_le_i32_e64 s[70:71], s70, v80
	s_nop 1
	v_cndmask_b32_e64 v80, 0, v117, s[70:71]
	v_pk_mul_f32 v[0:1], v[80:81], v[0:1] op_sel_hi:[0,1]
	v_pk_mul_f32 v[96:97], v[80:81], v[8:9] op_sel_hi:[0,1]
	;; [unrolled: 1-line block ×3, first 2 shown]
	v_cndmask_b32_e64 v9, v0, v1, s[64:65]
	v_cndmask_b32_e64 v9, v9, v2, s[38:39]
	v_pk_mul_f32 v[4:5], v[80:81], v[4:5] op_sel_hi:[0,1]
	v_cndmask_b32_e64 v9, v9, v3, s[40:41]
	v_cndmask_b32_e64 v9, v9, v4, s[42:43]
	v_pk_mul_f32 v[118:119], v[80:81], v[6:7] op_sel_hi:[0,1]
	v_cndmask_b32_e64 v9, v9, v5, s[44:45]
	v_cndmask_b32_e64 v9, v9, v118, s[46:47]
	;; [unrolled: 1-line block ×4, first 2 shown]
	v_pk_mul_f32 v[10:11], v[80:81], v[10:11] op_sel_hi:[0,1]
	v_cndmask_b32_e64 v9, v9, v97, s[52:53]
	v_cndmask_b32_e64 v9, v9, v10, s[54:55]
	v_pk_mul_f32 v[12:13], v[80:81], v[12:13] op_sel_hi:[0,1]
	v_cndmask_b32_e64 v9, v9, v11, s[56:57]
	v_cndmask_b32_e64 v9, v9, v12, s[58:59]
	;; [unrolled: 3-line block ×3, first 2 shown]
	v_cndmask_b32_e64 v9, v9, v15, s[66:67]
	ds_bpermute_b32 v125, v115, v9
	v_cmp_eq_u32_e64 s[70:71], 1, v106
	v_cndmask_b32_e64 v6, v49, v122, s[64:65]
	v_cndmask_b32_e64 v7, v33, v123, s[64:65]
	;; [unrolled: 1-line block ×4, first 2 shown]
	v_cmp_eq_u32_e64 s[64:65], 2, v106
	s_waitcnt lgkmcnt(0)
	v_cndmask_b32_e64 v101, v15, v125, s[66:67]
	v_cmp_eq_u32_e64 s[66:67], 3, v106
	v_cndmask_b32_e64 v9, v64, v79, s[64:65]
	v_cndmask_b32_e64 v102, v14, v125, s[62:63]
	;; [unrolled: 1-line block ×3, first 2 shown]
	v_cmp_eq_u32_e64 s[62:63], 4, v106
	v_cndmask_b32_e64 v103, v13, v125, s[60:61]
	v_cmp_eq_u32_e64 s[60:61], 5, v106
	v_cndmask_b32_e64 v9, v9, v77, s[62:63]
	v_cndmask_b32_e64 v104, v12, v125, s[58:59]
	v_cndmask_b32_e64 v9, v9, v76, s[60:61]
	v_cmp_eq_u32_e64 s[58:59], 6, v106
	v_cndmask_b32_e64 v33, v59, v122, s[56:57]
	v_cndmask_b32_e64 v59, v27, v124, s[56:57]
	v_cndmask_b32_e64 v9, v9, v75, s[58:59]
	v_cndmask_b32_e64 v105, v11, v125, s[56:57]
	v_cmp_eq_u32_e64 s[56:57], 7, v106
	v_cndmask_b32_e64 v80, v41, v123, s[52:53]
	;; [unrolled: 5-line block ×3, first 2 shown]
	v_cndmask_b32_e64 v109, v96, v125, s[50:51]
	v_cndmask_b32_e64 v9, v9, v72, s[52:53]
	v_cmp_eq_u32_e64 s[50:51], 10, v106
	v_cndmask_b32_e64 v64, v42, v123, s[54:55]
	v_cndmask_b32_e64 v107, v10, v125, s[54:55]
	v_cndmask_b32_e64 v9, v9, v71, s[50:51]
	v_cmp_eq_u32_e64 s[54:55], 11, v106
	v_cndmask_b32_e64 v96, v23, v124, s[48:49]
	v_cndmask_b32_e64 v110, v119, v125, s[48:49]
	v_cndmask_b32_e64 v9, v9, v70, s[54:55]
	v_cmp_eq_u32_e64 s[48:49], 12, v106
	v_cndmask_b32_e64 v112, v118, v125, s[46:47]
	v_cndmask_b32_e64 v118, v53, v122, s[44:45]
	v_cndmask_b32_e64 v9, v9, v69, s[48:49]
	;; [unrolled: 1-line block ×4, first 2 shown]
	v_cmp_eq_u32_e64 s[44:45], 13, v106
	v_cndmask_b32_e64 v117, v4, v125, s[42:43]
	v_cmp_eq_u32_e64 s[42:43], 14, v106
	v_cndmask_b32_e64 v5, v9, v68, s[44:45]
	v_cndmask_b32_e64 v37, v35, v123, s[40:41]
	;; [unrolled: 1-line block ×4, first 2 shown]
	v_cmp_eq_u32_e64 s[40:41], 15, v106
	v_cndmask_b32_e64 v2, v2, v125, s[38:39]
	v_cndmask_b32_e64 v97, v22, v124, s[46:47]
	;; [unrolled: 1-line block ×3, first 2 shown]
	ds_bpermute_b32 v23, v115, v3
	v_cndmask_b32_e64 v49, v54, v122, s[46:47]
	v_cndmask_b32_e64 v54, v16, v124, s[36:37]
	s_waitcnt lgkmcnt(0)
	v_cndmask_b32_e64 v5, v68, v23, s[44:45]
	v_cndmask_b32_e64 v9, v69, v23, s[48:49]
	;; [unrolled: 1-line block ×4, first 2 shown]
	v_cmp_ne_u32_e64 s[38:39], 0, v99
	scratch_load_dword v99, off, off offset:44 ; 4-byte Folded Reload
	v_cndmask_b32_e64 v10, v70, v23, s[54:55]
	v_cndmask_b32_e64 v70, v1, v125, s[38:39]
	v_cmp_eq_u32_e64 s[38:39], 0, v106
	v_cndmask_b32_e64 v3, v65, v23, s[40:41]
	v_cndmask_b32_e64 v4, v67, v23, s[42:43]
	;; [unrolled: 1-line block ×15, first 2 shown]
	v_cndmask_b32_e32 v0, v23, v6, vcc
	v_cndmask_b32_e64 v0, v0, v68, s[6:7]
	v_cndmask_b32_e64 v0, v0, v36, s[8:9]
	v_cndmask_b32_e64 v0, v0, v66, s[10:11]
	v_cndmask_b32_e64 v0, v0, v118, s[12:13]
	v_cndmask_b32_e64 v0, v0, v49, s[14:15]
	v_cndmask_b32_e64 v0, v0, v47, s[16:17]
	v_cndmask_b32_e64 v0, v0, v46, s[18:19]
	v_cndmask_b32_e64 v0, v0, v45, s[20:21]
	v_cndmask_b32_e64 v0, v0, v44, s[22:23]
	v_cndmask_b32_e64 v0, v0, v33, s[74:75]
	v_cndmask_b32_e64 v0, v0, v31, s[76:77]
	v_cndmask_b32_e64 v0, v0, v30, s[78:79]
	v_cndmask_b32_e64 v0, v0, v29, s[80:81]
	v_cndmask_b32_e64 v0, v0, v28, s[34:35]
	ds_bpermute_b32 v122, v115, v0
	v_cndmask_b32_e32 v0, v38, v7, vcc
	v_cndmask_b32_e64 v0, v0, v69, s[6:7]
	v_cndmask_b32_e64 v0, v0, v37, s[8:9]
	v_cndmask_b32_e64 v0, v0, v84, s[10:11]
	v_cndmask_b32_e64 v0, v0, v119, s[12:13]
	v_cndmask_b32_e64 v0, v0, v83, s[14:15]
	v_cndmask_b32_e64 v0, v0, v82, s[16:17]
	v_cndmask_b32_e64 v0, v0, v81, s[18:19]
	v_cndmask_b32_e64 v0, v0, v80, s[20:21]
	v_cndmask_b32_e64 v0, v0, v64, s[22:23]
	v_cndmask_b32_e64 v0, v0, v43, s[74:75]
	v_cndmask_b32_e64 v0, v0, v60, s[76:77]
	v_cndmask_b32_e64 v0, v0, v61, s[78:79]
	v_cndmask_b32_e64 v0, v0, v62, s[80:81]
	v_cndmask_b32_e64 v0, v0, v63, s[34:35]
	ds_bpermute_b32 v123, v115, v0
	;; [unrolled: 16-line block ×4, first 2 shown]
	s_waitcnt lgkmcnt(2)
	v_cndmask_b32_e64 v48, v83, v123, s[14:15]
	scratch_load_dword v83, off, off offset:48 ; 4-byte Folded Reload
	s_waitcnt vmcnt(1)
	v_cmp_eq_u32_e64 s[36:37], 1, v99
	v_cndmask_b32_e64 v24, v28, v122, s[34:35]
	v_cndmask_b32_e64 v39, v63, v123, s[34:35]
	;; [unrolled: 1-line block ×3, first 2 shown]
	s_waitcnt lgkmcnt(1)
	v_cndmask_b32_e64 v55, v85, v124, s[34:35]
	s_waitcnt lgkmcnt(0)
	v_cndmask_b32_e64 v72, v101, v125, s[34:35]
	v_cmp_eq_u32_e64 s[34:35], 2, v99
	v_cmp_eq_u32_e64 s[88:89], 3, v99
	;; [unrolled: 1-line block ×3, first 2 shown]
	v_cndmask_b32_e64 v0, v0, v21, s[34:35]
	v_cndmask_b32_e64 v0, v0, v20, s[88:89]
	;; [unrolled: 1-line block ×3, first 2 shown]
	v_cmp_eq_u32_e64 s[94:95], 5, v99
	v_cmp_eq_u32_e64 s[96:97], 6, v99
	v_cndmask_b32_e64 v25, v29, v122, s[80:81]
	v_cndmask_b32_e64 v0, v0, v17, s[94:95]
	;; [unrolled: 1-line block ×8, first 2 shown]
	v_cmp_eq_u32_e64 s[22:23], 7, v99
	v_cndmask_b32_e64 v28, v33, v122, s[74:75]
	v_cndmask_b32_e64 v43, v43, v123, s[74:75]
	;; [unrolled: 1-line block ×5, first 2 shown]
	v_cmp_eq_u32_e64 s[74:75], 8, v99
	v_cndmask_b32_e64 v40, v62, v123, s[80:81]
	v_cndmask_b32_e64 v27, v31, v122, s[76:77]
	;; [unrolled: 1-line block ×7, first 2 shown]
	v_cmp_eq_u32_e64 s[18:19], 9, v99
	v_cndmask_b32_e64 v32, v47, v122, s[16:17]
	v_cndmask_b32_e64 v47, v82, v123, s[16:17]
	;; [unrolled: 1-line block ×5, first 2 shown]
	v_cmp_eq_u32_e64 s[16:17], 10, v99
	v_cndmask_b32_e64 v33, v49, v122, s[14:15]
	v_cndmask_b32_e64 v64, v97, v124, s[14:15]
	;; [unrolled: 1-line block ×4, first 2 shown]
	v_cmp_eq_u32_e64 s[14:15], 11, v99
	v_cndmask_b32_e64 v56, v89, v124, s[80:81]
	v_cndmask_b32_e64 v34, v118, v122, s[12:13]
	;; [unrolled: 1-line block ×6, first 2 shown]
	v_cmp_eq_u32_e64 s[12:13], 12, v99
	v_cmp_eq_u32_e64 s[84:85], 13, v99
	v_cndmask_b32_e64 v57, v90, v124, s[78:79]
	v_cndmask_b32_e64 v0, v0, v9, s[12:13]
	;; [unrolled: 1-line block ×7, first 2 shown]
	v_cmp_eq_u32_e64 s[10:11], 14, v99
	v_cndmask_b32_e64 v58, v91, v124, s[76:77]
	v_cndmask_b32_e64 v36, v36, v122, s[8:9]
	;; [unrolled: 1-line block ×6, first 2 shown]
	v_cmp_eq_u32_e64 s[8:9], 15, v99
	v_cndmask_b32_e64 v26, v30, v122, s[78:79]
	v_cndmask_b32_e64 v30, v45, v122, s[20:21]
	;; [unrolled: 1-line block ×4, first 2 shown]
	ds_bpermute_b32 v80, v115, v0
	v_cndmask_b32_e64 v92, v2, v125, s[6:7]
	v_cndmask_b32_e64 v37, v68, v122, s[6:7]
	v_cndmask_b32_e32 v53, v7, v123, vcc
	v_cndmask_b32_e64 v38, v38, v123, s[68:69]
	s_waitcnt lgkmcnt(0)
	v_cndmask_b32_e64 v2, v4, v80, s[10:11]
	v_cndmask_b32_e64 v4, v9, v80, s[12:13]
	;; [unrolled: 1-line block ×7, first 2 shown]
	v_cndmask_b32_e32 v19, v6, v122, vcc
	v_cndmask_b32_e64 v20, v23, v122, s[68:69]
	v_cndmask_b32_e64 v6, v20, v19, s[70:71]
	;; [unrolled: 1-line block ×19, first 2 shown]
	v_cndmask_b32_e32 v93, v70, v125, vcc
	v_cndmask_b32_e64 v70, v54, v124, s[68:69]
	ds_bpermute_b32 v54, v115, v6
	v_cndmask_b32_e64 v6, v38, v53, s[70:71]
	v_cndmask_b32_e64 v6, v6, v52, s[64:65]
	;; [unrolled: 1-line block ×15, first 2 shown]
	v_cndmask_b32_e32 v69, v8, v124, vcc
	v_cmp_eq_u32_e64 s[6:7], 0, v99
	v_cndmask_b32_e64 v6, v6, v39, s[40:41]
	v_cndmask_b32_e64 v0, v3, v80, s[8:9]
	;; [unrolled: 1-line block ×10, first 2 shown]
	ds_bpermute_b32 v80, v115, v6
	v_cndmask_b32_e64 v6, v70, v69, s[70:71]
	v_cndmask_b32_e64 v6, v6, v68, s[64:65]
	;; [unrolled: 1-line block ×16, first 2 shown]
	ds_bpermute_b32 v81, v115, v6
	v_cndmask_b32_e64 v6, v107, v93, s[70:71]
	v_cndmask_b32_e64 v6, v6, v92, s[64:65]
	;; [unrolled: 1-line block ×19, first 2 shown]
	ds_bpermute_b32 v82, v115, v6
	s_waitcnt vmcnt(0)
	v_cmp_eq_u32_e64 s[20:21], 1, v83
	v_cmp_eq_u32_e64 s[46:47], 2, v83
	s_waitcnt lgkmcnt(3)
	v_cndmask_b32_e64 v22, v25, v54, s[42:43]
	v_cndmask_b32_e64 v6, v1, v18, s[20:21]
	s_waitcnt lgkmcnt(0)
	v_cndmask_b32_e64 v108, v72, v82, s[40:41]
	v_cndmask_b32_e64 v6, v6, v17, s[46:47]
	;; [unrolled: 1-line block ×5, first 2 shown]
	v_cmp_eq_u32_e64 s[42:43], 3, v83
	v_cndmask_b32_e64 v21, v24, v54, s[40:41]
	v_cndmask_b32_e64 v39, v39, v80, s[40:41]
	;; [unrolled: 1-line block ×4, first 2 shown]
	v_cmp_eq_u32_e64 s[40:41], 4, v83
	v_cndmask_b32_e64 v117, v74, v82, s[44:45]
	v_cndmask_b32_e64 v24, v27, v54, s[48:49]
	;; [unrolled: 1-line block ×6, first 2 shown]
	v_cmp_eq_u32_e64 s[48:49], 5, v83
	v_cndmask_b32_e64 v25, v28, v54, s[54:55]
	v_cndmask_b32_e64 v43, v43, v80, s[54:55]
	;; [unrolled: 1-line block ×5, first 2 shown]
	v_cmp_eq_u32_e64 s[54:55], 6, v83
	scratch_load_dword v99, off, off offset:52 ; 4-byte Folded Reload
	v_cmp_eq_u32_e64 s[68:69], 7, v83
	v_cndmask_b32_e64 v6, v6, v13, s[54:55]
	v_cmp_eq_u32_e64 s[76:77], 8, v83
	v_cndmask_b32_e64 v6, v6, v12, s[68:69]
	v_cndmask_b32_e64 v121, v78, v82, s[52:53]
	v_cndmask_b32_e64 v6, v6, v11, s[76:77]
	v_cndmask_b32_e64 v28, v31, v54, s[72:73]
	v_cndmask_b32_e64 v46, v46, v80, s[72:73]
	v_cndmask_b32_e64 v78, v62, v81, s[72:73]
	v_cndmask_b32_e64 v122, v79, v82, s[72:73]
	v_cmp_eq_u32_e64 s[72:73], 9, v83
	v_cmp_eq_u32_e64 s[78:79], 10, v83
	;; [unrolled: 1-line block ×3, first 2 shown]
	v_cndmask_b32_e64 v6, v6, v10, s[72:73]
	v_cndmask_b32_e64 v6, v6, v9, s[78:79]
	;; [unrolled: 1-line block ×3, first 2 shown]
	v_cmp_eq_u32_e64 s[82:83], 12, v83
	v_cndmask_b32_e64 v23, v26, v54, s[44:45]
	v_cndmask_b32_e64 v26, v29, v54, s[50:51]
	;; [unrolled: 1-line block ×8, first 2 shown]
	v_cmp_eq_u32_e64 s[62:63], 13, v83
	v_cmp_eq_u32_e64 s[86:87], 14, v83
	;; [unrolled: 1-line block ×3, first 2 shown]
	v_cndmask_b32_e64 v6, v6, v3, s[62:63]
	v_cndmask_b32_e64 v6, v6, v2, s[86:87]
	;; [unrolled: 1-line block ×6, first 2 shown]
	ds_bpermute_b32 v36, v115, v6
	v_cndmask_b32_e64 v35, v19, v54, s[70:71]
	v_cndmask_b32_e64 v20, v20, v54, s[38:39]
	;; [unrolled: 1-line block ×4, first 2 shown]
	s_waitcnt lgkmcnt(0)
	v_cndmask_b32_e64 v7, v10, v36, s[72:73]
	v_cndmask_b32_e64 v10, v13, v36, s[54:55]
	;; [unrolled: 1-line block ×21, first 2 shown]
	ds_bpermute_b32 v102, v115, v16
	v_cndmask_b32_e64 v16, v54, v53, s[36:37]
	v_cndmask_b32_e64 v51, v51, v80, s[66:67]
	;; [unrolled: 1-line block ×25, first 2 shown]
	ds_bpermute_b32 v103, v115, v16
	v_cndmask_b32_e64 v16, v70, v69, s[36:37]
	v_cndmask_b32_e64 v67, v67, v81, s[66:67]
	;; [unrolled: 1-line block ×26, first 2 shown]
	ds_bpermute_b32 v104, v115, v16
	v_cndmask_b32_e64 v16, v107, v110, s[36:37]
	v_cndmask_b32_e64 v125, v91, v82, s[66:67]
	;; [unrolled: 1-line block ×19, first 2 shown]
	ds_bpermute_b32 v105, v115, v16
	v_cmp_eq_u32_e64 s[50:51], 0, v83
	v_cndmask_b32_e64 v6, v9, v36, s[78:79]
	v_cndmask_b32_e64 v9, v12, v36, s[68:69]
	;; [unrolled: 1-line block ×5, first 2 shown]
	s_waitcnt vmcnt(0)
	v_cmp_eq_u32_e32 vcc, 1, v99
	v_cndmask_b32_e64 v8, v11, v36, s[76:77]
	v_cndmask_b32_e64 v11, v14, v36, s[48:49]
	;; [unrolled: 1-line block ×3, first 2 shown]
	v_cndmask_b32_e32 v16, v1, v15, vcc
	s_waitcnt lgkmcnt(3)
	v_cndmask_b32_e64 v21, v21, v102, s[8:9]
	s_waitcnt lgkmcnt(2)
	v_cndmask_b32_e64 v55, v39, v103, s[8:9]
	;; [unrolled: 2-line block ×4, first 2 shown]
	v_cmp_eq_u32_e64 s[8:9], 2, v99
	v_cndmask_b32_e64 v0, v0, v36, s[90:91]
	v_cndmask_b32_e64 v2, v2, v36, s[86:87]
	;; [unrolled: 1-line block ×10, first 2 shown]
	v_cmp_eq_u32_e64 s[10:11], 3, v99
	v_cmp_eq_u32_e64 s[44:45], 4, v99
	;; [unrolled: 1-line block ×3, first 2 shown]
	v_cndmask_b32_e64 v16, v16, v13, s[10:11]
	v_cndmask_b32_e64 v16, v16, v12, s[44:45]
	;; [unrolled: 1-line block ×3, first 2 shown]
	v_cmp_eq_u32_e64 s[56:57], 6, v99
	v_cmp_eq_u32_e64 s[58:59], 7, v99
	;; [unrolled: 1-line block ×3, first 2 shown]
	v_cndmask_b32_e64 v16, v16, v10, s[56:57]
	v_cndmask_b32_e64 v16, v16, v9, s[58:59]
	;; [unrolled: 1-line block ×3, first 2 shown]
	v_cmp_eq_u32_e64 s[64:65], 9, v99
	v_cmp_eq_u32_e64 s[70:71], 10, v99
	v_cndmask_b32_e64 v28, v28, v102, s[74:75]
	v_cndmask_b32_e64 v16, v16, v7, s[64:65]
	;; [unrolled: 1-line block ×6, first 2 shown]
	v_cmp_eq_u32_e64 s[74:75], 11, v99
	v_cmp_eq_u32_e64 s[66:67], 12, v99
	v_cndmask_b32_e64 v37, v23, v102, s[84:85]
	v_cndmask_b32_e64 v16, v16, v5, s[74:75]
	;; [unrolled: 1-line block ×6, first 2 shown]
	v_cmp_eq_u32_e64 s[84:85], 13, v99
	v_cndmask_b32_e64 v33, v33, v102, s[88:89]
	v_cndmask_b32_e64 v51, v51, v103, s[88:89]
	;; [unrolled: 1-line block ×5, first 2 shown]
	v_cmp_eq_u32_e64 s[88:89], 14, v99
	v_cndmask_b32_e64 v32, v32, v102, s[92:93]
	v_cndmask_b32_e64 v50, v50, v103, s[92:93]
	;; [unrolled: 1-line block ×5, first 2 shown]
	v_cmp_eq_u32_e64 s[92:93], 15, v99
	v_cndmask_b32_e64 v41, v27, v102, s[18:19]
	v_cndmask_b32_e64 v58, v42, v103, s[12:13]
	;; [unrolled: 1-line block ×3, first 2 shown]
	ds_bpermute_b32 v27, v115, v16
	v_cndmask_b32_e64 v31, v31, v102, s[94:95]
	v_cndmask_b32_e64 v49, v49, v103, s[94:95]
	;; [unrolled: 1-line block ×4, first 2 shown]
	s_waitcnt lgkmcnt(0)
	v_cndmask_b32_e64 v18, v5, v27, s[74:75]
	scratch_load_dword v5, off, off offset:56 ; 4-byte Folded Reload
	v_cndmask_b32_e64 v35, v35, v102, s[36:37]
	v_cmp_eq_u32_e64 s[94:95], 0, v99
	v_cndmask_b32_e64 v42, v20, v102, s[6:7]
	v_cndmask_b32_e64 v38, v24, v102, s[12:13]
	;; [unrolled: 1-line block ×18, first 2 shown]
	v_cndmask_b32_e32 v15, v15, v27, vcc
	v_cndmask_b32_e64 v27, v1, v27, s[94:95]
	v_cndmask_b32_e64 v1, v42, v35, s[20:21]
	;; [unrolled: 1-line block ×22, first 2 shown]
	ds_bpermute_b32 v106, v115, v1
	v_cndmask_b32_e64 v1, v65, v64, s[20:21]
	v_cndmask_b32_e64 v1, v1, v52, s[46:47]
	v_cndmask_b32_e64 v1, v1, v51, s[42:43]
	v_cndmask_b32_e64 v1, v1, v50, s[40:41]
	v_cndmask_b32_e64 v48, v48, v103, s[96:97]
	v_cndmask_b32_e64 v1, v1, v49, s[48:49]
	v_cndmask_b32_e64 v63, v47, v103, s[22:23]
	v_cndmask_b32_e64 v1, v1, v48, s[54:55]
	v_cndmask_b32_e64 v1, v1, v63, s[68:69]
	v_cndmask_b32_e64 v61, v45, v103, s[18:19]
	v_cndmask_b32_e64 v1, v1, v62, s[76:77]
	v_cndmask_b32_e64 v60, v44, v103, s[16:17]
	v_cndmask_b32_e64 v1, v1, v61, s[72:73]
	v_cndmask_b32_e64 v59, v43, v103, s[14:15]
	v_cndmask_b32_e64 v1, v1, v60, s[78:79]
	v_cndmask_b32_e64 v1, v1, v59, s[80:81]
	v_cndmask_b32_e64 v1, v1, v58, s[82:83]
	v_cndmask_b32_e64 v1, v1, v57, s[62:63]
	v_cndmask_b32_e64 v1, v1, v56, s[86:87]
	v_cndmask_b32_e64 v85, v118, v105, s[12:13]
	v_cndmask_b32_e64 v112, v119, v105, s[14:15]
	v_cndmask_b32_e64 v118, v69, v104, s[36:37]
	v_cndmask_b32_e64 v110, v110, v105, s[36:37]
	v_cndmask_b32_e64 v119, v70, v104, s[6:7]
	v_cndmask_b32_e64 v102, v107, v105, s[6:7]
	v_cndmask_b32_e64 v1, v1, v55, s[90:91]
	v_cndmask_b32_e64 v117, v68, v104, s[34:35]
	v_cndmask_b32_e64 v101, v126, v105, s[34:35]
	ds_bpermute_b32 v99, v115, v1
	v_cndmask_b32_e64 v1, v119, v118, s[20:21]
	v_cndmask_b32_e64 v3, v102, v110, s[20:21]
	;; [unrolled: 1-line block ×37, first 2 shown]
	s_waitcnt vmcnt(0)
	v_cmp_eq_u32_e64 s[6:7], 1, v5
	v_cndmask_b32_e64 v1, v1, v71, s[90:91]
	v_cndmask_b32_e64 v3, v3, v108, s[90:91]
	ds_bpermute_b32 v1, v115, v1
	ds_bpermute_b32 v3, v115, v3
	v_cndmask_b32_e64 v4, v27, v15, s[6:7]
	v_cmp_eq_u32_e64 s[12:13], 2, v5
	v_cmp_eq_u32_e64 s[14:15], 3, v5
	;; [unrolled: 1-line block ×3, first 2 shown]
	v_cndmask_b32_e64 v4, v4, v14, s[12:13]
	v_cndmask_b32_e64 v4, v4, v13, s[14:15]
	v_cndmask_b32_e64 v4, v4, v12, s[16:17]
	v_cmp_eq_u32_e64 s[18:19], 5, v5
	v_cmp_eq_u32_e64 s[22:23], 6, v5
	s_waitcnt lgkmcnt(3)
	v_cndmask_b32_e64 v53, v40, v106, s[78:79]
	v_cndmask_b32_e64 v4, v4, v26, s[18:19]
	;; [unrolled: 1-line block ×3, first 2 shown]
	s_waitcnt lgkmcnt(2)
	v_cndmask_b32_e64 v78, v60, v99, s[78:79]
	s_waitcnt lgkmcnt(1)
	v_cndmask_b32_e64 v125, v76, v1, s[78:79]
	;; [unrolled: 2-line block ×3, first 2 shown]
	v_cmp_eq_u32_e64 s[78:79], 7, v5
	v_cndmask_b32_e64 v54, v41, v106, s[72:73]
	v_cndmask_b32_e64 v61, v61, v99, s[72:73]
	;; [unrolled: 1-line block ×5, first 2 shown]
	v_cmp_eq_u32_e64 s[72:73], 8, v5
	v_cndmask_b32_e64 v66, v55, v99, s[90:91]
	v_cndmask_b32_e64 v55, v28, v106, s[76:77]
	;; [unrolled: 1-line block ×6, first 2 shown]
	v_cmp_eq_u32_e64 s[76:77], 9, v5
	v_cmp_eq_u32_e64 s[34:35], 10, v5
	;; [unrolled: 1-line block ×3, first 2 shown]
	v_cndmask_b32_e64 v4, v4, v22, s[76:77]
	v_cndmask_b32_e64 v4, v4, v19, s[34:35]
	v_cndmask_b32_e64 v4, v4, v18, s[36:37]
	v_cmp_eq_u32_e64 s[38:39], 12, v5
	v_cndmask_b32_e64 v120, v71, v1, s[90:91]
	v_cndmask_b32_e64 v121, v72, v1, s[86:87]
	v_cndmask_b32_e64 v87, v63, v99, s[68:69]
	v_cndmask_b32_e64 v4, v4, v17, s[38:39]
	v_cndmask_b32_e64 v105, v32, v106, s[40:41]
	v_cndmask_b32_e64 v63, v50, v99, s[40:41]
	v_cndmask_b32_e64 v71, v92, v1, s[40:41]
	v_cndmask_b32_e64 v72, v97, v3, s[40:41]
	v_cmp_eq_u32_e64 s[40:41], 13, v5
	v_cndmask_b32_e64 v68, v57, v99, s[62:63]
	v_cndmask_b32_e64 v123, v74, v1, s[82:83]
	v_cndmask_b32_e64 v57, v30, v106, s[54:55]
	v_cndmask_b32_e64 v4, v4, v16, s[40:41]
	v_cndmask_b32_e64 v74, v33, v106, s[42:43]
	;; [unrolled: 9-line block ×3, first 2 shown]
	v_cmp_eq_u32_e64 s[46:47], 15, v5
	v_cndmask_b32_e64 v67, v56, v99, s[86:87]
	v_cndmask_b32_e64 v104, v109, v3, s[86:87]
	;; [unrolled: 1-line block ×3, first 2 shown]
	ds_bpermute_b32 v28, v115, v8
	v_cndmask_b32_e64 v69, v58, v99, s[82:83]
	v_cndmask_b32_e64 v70, v59, v99, s[80:81]
	;; [unrolled: 1-line block ×5, first 2 shown]
	s_waitcnt lgkmcnt(0)
	v_cndmask_b32_e64 v9, v2, v28, s[42:43]
	v_cndmask_b32_e64 v10, v16, v28, s[40:41]
	;; [unrolled: 1-line block ×5, first 2 shown]
	scratch_load_dword v99, off, off offset:60 ; 4-byte Folded Reload
	v_cndmask_b32_e64 v11, v17, v28, s[38:39]
	v_cndmask_b32_e64 v20, v18, v28, s[36:37]
	;; [unrolled: 1-line block ×8, first 2 shown]
	v_cmp_eq_u32_e64 s[20:21], 0, v5
	v_cndmask_b32_e64 v43, v21, v106, s[90:91]
	v_cndmask_b32_e64 v8, v0, v28, s[46:47]
	;; [unrolled: 1-line block ×16, first 2 shown]
	v_cndmask_b32_e32 v1, v28, v12, vcc
	v_cndmask_b32_e64 v1, v1, v93, s[8:9]
	v_cndmask_b32_e64 v1, v1, v74, s[10:11]
	;; [unrolled: 1-line block ×20, first 2 shown]
	ds_bpermute_b32 v42, v115, v1
	v_cndmask_b32_e32 v1, v16, v13, vcc
	v_cndmask_b32_e64 v1, v1, v4, s[8:9]
	v_cndmask_b32_e64 v1, v1, v60, s[10:11]
	;; [unrolled: 1-line block ×14, first 2 shown]
	ds_bpermute_b32 v29, v115, v1
	v_cndmask_b32_e32 v1, v19, v14, vcc
	v_cndmask_b32_e64 v1, v1, v97, s[8:9]
	v_cndmask_b32_e64 v1, v1, v30, s[10:11]
	;; [unrolled: 1-line block ×15, first 2 shown]
	ds_bpermute_b32 v31, v115, v1
	v_cndmask_b32_e32 v1, v27, v15, vcc
	v_cndmask_b32_e64 v1, v1, v7, s[8:9]
	v_cndmask_b32_e64 v1, v1, v6, s[10:11]
	;; [unrolled: 1-line block ×20, first 2 shown]
	ds_bpermute_b32 v40, v115, v1
	s_waitcnt vmcnt(0)
	v_cmp_eq_u32_e64 s[48:49], 1, v99
	v_cmp_eq_u32_e64 s[50:51], 2, v99
	;; [unrolled: 1-line block ×3, first 2 shown]
	v_cndmask_b32_e64 v1, v0, v18, s[48:49]
	v_cndmask_b32_e64 v1, v1, v17, s[50:51]
	;; [unrolled: 1-line block ×3, first 2 shown]
	v_cmp_eq_u32_e64 s[62:63], 4, v99
	s_waitcnt lgkmcnt(3)
	v_cndmask_b32_e64 v75, v46, v42, s[66:67]
	s_waitcnt lgkmcnt(2)
	v_cndmask_b32_e64 v39, v69, v29, s[66:67]
	v_cndmask_b32_e64 v1, v1, v92, s[62:63]
	s_waitcnt lgkmcnt(1)
	v_cndmask_b32_e64 v35, v123, v31, s[66:67]
	s_waitcnt lgkmcnt(0)
	v_cndmask_b32_e64 v51, v85, v40, s[66:67]
	v_cmp_eq_u32_e64 s[66:67], 5, v99
	v_cmp_eq_u32_e64 s[68:69], 6, v99
	v_cndmask_b32_e64 v59, v43, v42, s[92:93]
	v_cndmask_b32_e64 v1, v1, v26, s[66:67]
	v_cndmask_b32_e64 v1, v1, v25, s[68:69]
	v_cndmask_b32_e64 v77, v53, v42, s[70:71]
	v_cndmask_b32_e64 v43, v78, v29, s[70:71]
	v_cndmask_b32_e64 v53, v125, v31, s[70:71]
	v_cndmask_b32_e64 v65, v80, v40, s[70:71]
	v_cmp_eq_u32_e64 s[70:71], 7, v99
	v_cndmask_b32_e64 v36, v66, v29, s[92:93]
	v_cndmask_b32_e64 v62, v44, v42, s[88:89]
	v_cndmask_b32_e64 v1, v1, v24, s[70:71]
	v_cndmask_b32_e64 v78, v54, v42, s[64:65]
	v_cndmask_b32_e64 v44, v61, v29, s[64:65]
	v_cndmask_b32_e64 v54, v126, v31, s[64:65]
	v_cndmask_b32_e64 v66, v81, v40, s[64:65]
	;; [unrolled: 8-line block ×3, first 2 shown]
	v_cmp_eq_u32_e64 s[60:61], 9, v99
	v_cndmask_b32_e64 v38, v68, v29, s[84:85]
	v_cndmask_b32_e64 v86, v56, v42, s[58:59]
	v_cndmask_b32_e64 v1, v1, v22, s[60:61]
	v_cndmask_b32_e64 v46, v87, v29, s[58:59]
	v_cndmask_b32_e64 v56, v108, v31, s[58:59]
	v_cndmask_b32_e64 v68, v83, v40, s[58:59]
	v_cmp_eq_u32_e64 s[58:59], 10, v99
	v_cndmask_b32_e64 v76, v47, v42, s[74:75]
	v_cndmask_b32_e64 v87, v57, v42, s[56:57]
	v_cndmask_b32_e64 v1, v1, v21, s[58:59]
	v_cndmask_b32_e64 v47, v89, v29, s[56:57]
	v_cndmask_b32_e64 v57, v109, v31, s[56:57]
	v_cndmask_b32_e64 v69, v96, v40, s[56:57]
	;; [unrolled: 7-line block ×3, first 2 shown]
	v_cmp_eq_u32_e64 s[52:53], 12, v99
	v_cndmask_b32_e64 v82, v105, v42, s[44:45]
	v_cndmask_b32_e64 v81, v63, v29, s[44:45]
	v_cndmask_b32_e64 v1, v1, v11, s[52:53]
	v_cndmask_b32_e64 v63, v71, v31, s[44:45]
	v_cndmask_b32_e64 v71, v72, v40, s[44:45]
	v_cmp_eq_u32_e64 s[44:45], 13, v99
	v_cndmask_b32_e64 v74, v74, v42, s[10:11]
	v_cndmask_b32_e64 v60, v60, v29, s[10:11]
	v_cndmask_b32_e64 v1, v1, v10, s[44:45]
	v_cndmask_b32_e64 v72, v30, v31, s[10:11]
	v_cndmask_b32_e64 v83, v6, v40, s[10:11]
	;; [unrolled: 6-line block ×3, first 2 shown]
	v_cndmask_b32_e64 v89, v7, v40, s[8:9]
	v_cmp_eq_u32_e64 s[8:9], 15, v99
	v_cndmask_b32_e32 v91, v12, v42, vcc
	v_cndmask_b32_e32 v93, v13, v29, vcc
	v_cndmask_b32_e64 v1, v1, v8, s[8:9]
	ds_bpermute_b32 v90, v115, v1
	v_cndmask_b32_e32 v96, v15, v40, vcc
	v_cndmask_b32_e32 v94, v14, v31, vcc
	v_cndmask_b32_e64 v16, v16, v29, s[94:95]
	v_cndmask_b32_e64 v32, v120, v31, s[92:93]
	s_waitcnt lgkmcnt(0)
	v_cndmask_b32_e64 v12, v11, v90, s[52:53]
	v_cndmask_b32_e64 v11, v20, v90, s[56:57]
	;; [unrolled: 1-line block ×20, first 2 shown]
	ds_bpermute_b32 v21, v115, v1
	v_cndmask_b32_e64 v3, v2, v90, s[54:55]
	v_cndmask_b32_e64 v2, v17, v90, s[50:51]
	;; [unrolled: 1-line block ×4, first 2 shown]
	s_waitcnt lgkmcnt(0)
	v_cndmask_b32_e64 v17, v59, v21, s[46:47]
	v_cndmask_b32_e64 v42, v78, v21, s[76:77]
	;; [unrolled: 1-line block ×36, first 2 shown]
	ds_bpermute_b32 v80, v115, v20
	v_cndmask_b32_e64 v33, v121, v31, s[88:89]
	v_cndmask_b32_e64 v34, v122, v31, s[84:85]
	;; [unrolled: 1-line block ×4, first 2 shown]
	s_waitcnt lgkmcnt(0)
	v_cndmask_b32_e64 v31, v17, v80, s[8:9]
	v_cndmask_b32_e64 v17, v16, v93, s[6:7]
	;; [unrolled: 1-line block ×16, first 2 shown]
	ds_bpermute_b32 v17, v115, v17
	v_cndmask_b32_e64 v20, v76, v80, s[62:63]
	v_cndmask_b32_e64 v21, v75, v80, s[66:67]
	;; [unrolled: 1-line block ×4, first 2 shown]
	s_waitcnt lgkmcnt(0)
	v_cndmask_b32_e64 v76, v81, v17, s[16:17]
	v_cndmask_b32_e64 v81, v84, v17, s[12:13]
	;; [unrolled: 1-line block ×38, first 2 shown]
	v_cmp_eq_u32_e32 vcc, 0, v99
	v_cndmask_b32_e64 v16, v16, v36, s[8:9]
	v_cndmask_b32_e64 v5, v26, v90, s[66:67]
	;; [unrolled: 1-line block ×3, first 2 shown]
	v_cndmask_b32_e32 v0, v0, v90, vcc
	ds_bpermute_b32 v90, v115, v16
	v_cndmask_b32_e64 v26, v25, v80, s[58:59]
	v_cndmask_b32_e64 v25, v42, v80, s[60:61]
	;; [unrolled: 1-line block ×4, first 2 shown]
	s_waitcnt lgkmcnt(0)
	v_cndmask_b32_e64 v47, v36, v90, s[8:9]
	v_cndmask_b32_e64 v36, v82, v94, s[6:7]
	;; [unrolled: 1-line block ×18, first 2 shown]
	ds_bpermute_b32 v59, v115, v36
	v_cndmask_b32_e64 v18, v77, v80, s[50:51]
	v_cndmask_b32_e64 v17, v78, v80, s[48:49]
	v_cndmask_b32_e32 v16, v79, v80, vcc
	v_cndmask_b32_e64 v46, v37, v90, s[10:11]
	s_waitcnt lgkmcnt(0)
	v_cndmask_b32_e64 v80, v94, v59, s[6:7]
	v_cndmask_b32_e64 v82, v82, v59, s[20:21]
	;; [unrolled: 1-line block ×39, first 2 shown]
	ds_bpermute_b32 v85, v115, v32
	v_cndmask_b32_e64 v35, v60, v90, s[54:55]
	v_cndmask_b32_e64 v34, v81, v90, s[50:51]
	;; [unrolled: 1-line block ×3, first 2 shown]
	v_cndmask_b32_e32 v32, v87, v90, vcc
	s_waitcnt lgkmcnt(0)
	v_cndmask_b32_e64 v59, v52, v85, s[56:57]
	v_cndmask_b32_e64 v52, v86, v96, s[6:7]
	;; [unrolled: 1-line block ×18, first 2 shown]
	ds_bpermute_b32 v73, v115, v52
	v_cndmask_b32_e64 v60, v74, v85, s[52:53]
	v_cndmask_b32_e64 v57, v54, v85, s[60:61]
	;; [unrolled: 1-line block ×4, first 2 shown]
	s_waitcnt lgkmcnt(0)
	v_cndmask_b32_e64 v90, v96, v73, s[6:7]
	scratch_load_dwordx2 v[96:97], off, off offset:20 ; 8-byte Folded Reload
	v_cndmask_b32_e64 v86, v86, v73, s[20:21]
	v_cndmask_b32_e64 v74, v48, v73, s[46:47]
	;; [unrolled: 1-line block ×31, first 2 shown]
	ds_bpermute_b32 v91, v115, v48
	v_readlane_b32 s6, v127, 30
	v_readlane_b32 s7, v127, 31
	;; [unrolled: 1-line block ×5, first 2 shown]
	v_cndmask_b32_e64 v62, v62, v85, s[10:11]
	v_cndmask_b32_e64 v58, v53, v85, s[58:59]
	v_cndmask_b32_e64 v53, v77, v85, s[66:67]
	v_cndmask_b32_e64 v52, v78, v85, s[62:63]
	v_cndmask_b32_e64 v51, v72, v85, s[54:55]
	v_cndmask_b32_e64 v50, v79, v85, s[50:51]
	v_cndmask_b32_e64 v49, v80, v85, s[48:49]
	v_cndmask_b32_e32 v48, v82, v85, vcc
	s_waitcnt lgkmcnt(0)
	v_cndmask_b32_e64 v79, v74, v91, s[8:9]
	v_cndmask_b32_e64 v78, v75, v91, s[10:11]
	;; [unrolled: 1-line block ×15, first 2 shown]
	v_cndmask_b32_e32 v64, v86, v91, vcc
	s_mov_b32 s12, 0
	v_readlane_b32 s35, v127, 11
	v_readlane_b32 s37, v127, 13
	;; [unrolled: 1-line block ×10, first 2 shown]
                                        ; implicit-def: $sgpr8_sgpr9
	s_waitcnt vmcnt(0)
	v_lshl_add_u64 v[86:87], s[6:7], 0, v[96:97]
	s_mov_b64 s[6:7], 0
	s_branch .LBB222_34
.LBB222_33:                             ;   in Loop: Header=BB222_34 Depth=2
	s_or_b64 exec, exec, s[10:11]
	s_and_b64 s[10:11], exec, s[8:9]
	s_or_b64 s[6:7], s[10:11], s[6:7]
	s_andn2_b64 exec, exec, s[6:7]
	s_cbranch_execz .LBB222_36
.LBB222_34:                             ;   Parent Loop BB222_7 Depth=1
                                        ; =>  This Inner Loop Header: Depth=2
	s_and_b32 s10, s12, 2
	s_and_b32 s11, s5, 24
	s_or_b32 s10, s11, s10
	v_or_b32_e32 v80, s10, v114
	v_add_u32_e32 v81, s99, v80
	v_cmp_gt_u32_e32 vcc, 32, v81
	s_or_b64 s[8:9], s[8:9], exec
	s_and_saveexec_b64 s[10:11], vcc
	s_cbranch_execz .LBB222_33
; %bb.35:                               ;   in Loop: Header=BB222_34 Depth=2
	s_add_i32 s13, s12, 1
	s_set_gpr_idx_on s12, gpr_idx(SRC0)
	v_mov_b32_e32 v81, v0
	s_set_gpr_idx_off
	v_cvt_f16_f32_e32 v82, v81
	s_set_gpr_idx_on s13, gpr_idx(SRC0)
	v_mov_b32_e32 v81, v0
	s_set_gpr_idx_off
	v_cvt_f16_f32_sdwa v83, v81 dst_sel:WORD_1 dst_unused:UNUSED_PAD src0_sel:DWORD
	v_mul_lo_u32 v80, v80, s25
	v_ashrrev_i32_e32 v81, 31, v80
	v_lshl_add_u64 v[80:81], v[80:81], 1, v[86:87]
	v_or_b32_e32 v82, v83, v82
	;;#ASMSTART
	global_atomic_pk_add_f16 v[80:81], v82, off
	
	;;#ASMEND
	s_set_gpr_idx_on s12, gpr_idx(SRC0)
	v_mov_b32_e32 v82, v16
	s_set_gpr_idx_off
	v_cvt_f16_f32_e32 v84, v82
	s_set_gpr_idx_on s13, gpr_idx(SRC0)
	v_mov_b32_e32 v82, v16
	s_set_gpr_idx_off
	v_cvt_f16_f32_sdwa v85, v82 dst_sel:WORD_1 dst_unused:UNUSED_PAD src0_sel:DWORD
	v_lshl_add_u64 v[82:83], v[80:81], 0, 64
	s_mov_b64 s[14:15], 0x80
	s_add_i32 s5, s5, 4
	v_or_b32_e32 v84, v85, v84
	;;#ASMSTART
	global_atomic_pk_add_f16 v[82:83], v84, off
	
	;;#ASMEND
	s_set_gpr_idx_on s12, gpr_idx(SRC0)
	v_mov_b32_e32 v82, v32
	s_set_gpr_idx_off
	v_cvt_f16_f32_e32 v84, v82
	s_set_gpr_idx_on s13, gpr_idx(SRC0)
	v_mov_b32_e32 v82, v32
	s_set_gpr_idx_off
	v_cvt_f16_f32_sdwa v85, v82 dst_sel:WORD_1 dst_unused:UNUSED_PAD src0_sel:DWORD
	v_lshl_add_u64 v[82:83], v[80:81], 0, s[14:15]
	s_mov_b64 s[14:15], 0xc0
	v_or_b32_e32 v84, v85, v84
	;;#ASMSTART
	global_atomic_pk_add_f16 v[82:83], v84, off
	
	;;#ASMEND
	s_set_gpr_idx_on s12, gpr_idx(SRC0)
	v_mov_b32_e32 v82, v48
	s_set_gpr_idx_off
	v_cvt_f16_f32_e32 v84, v82
	s_set_gpr_idx_on s13, gpr_idx(SRC0)
	v_mov_b32_e32 v82, v48
	s_set_gpr_idx_off
	v_cvt_f16_f32_sdwa v85, v82 dst_sel:WORD_1 dst_unused:UNUSED_PAD src0_sel:DWORD
	v_lshl_add_u64 v[82:83], v[80:81], 0, s[14:15]
	s_mov_b64 s[14:15], 0x100
	v_lshl_add_u64 v[80:81], v[80:81], 0, s[14:15]
	v_or_b32_e32 v84, v85, v84
	;;#ASMSTART
	global_atomic_pk_add_f16 v[82:83], v84, off
	
	;;#ASMEND
	s_set_gpr_idx_on s12, gpr_idx(SRC0)
	v_mov_b32_e32 v82, v64
	s_set_gpr_idx_off
	v_cvt_f16_f32_e32 v82, v82
	s_set_gpr_idx_on s13, gpr_idx(SRC0)
	v_mov_b32_e32 v83, v64
	s_set_gpr_idx_off
	s_add_i32 s12, s12, 2
	v_cvt_f16_f32_sdwa v83, v83 dst_sel:WORD_1 dst_unused:UNUSED_PAD src0_sel:DWORD
	s_cmp_eq_u32 s12, 16
	s_cselect_b64 s[14:15], -1, 0
	s_andn2_b64 s[8:9], s[8:9], exec
	s_and_b64 s[14:15], s[14:15], exec
	s_or_b64 s[8:9], s[8:9], s[14:15]
	v_or_b32_e32 v82, v83, v82
	;;#ASMSTART
	global_atomic_pk_add_f16 v[80:81], v82, off
	
	;;#ASMEND
	s_branch .LBB222_33
.LBB222_36:                             ;   in Loop: Header=BB222_7 Depth=1
	s_or_b64 exec, exec, s[6:7]
	scratch_load_dword v85, off, off offset:28 ; 4-byte Folded Reload
	v_readlane_b32 s16, v127, 2
	v_readlane_b32 s14, v127, 0
	;; [unrolled: 1-line block ×13, first 2 shown]
.LBB222_37:                             ;   in Loop: Header=BB222_7 Depth=1
	v_readlane_b32 s6, v127, 25
	v_readlane_b32 s7, v127, 26
	s_or_b64 exec, exec, s[6:7]
.LBB222_38:                             ;   in Loop: Header=BB222_7 Depth=1
	s_or_saveexec_b64 s[0:1], s[0:1]
	v_readlane_b32 s48, v127, 23
	s_mov_b32 s13, s4
	v_readlane_b32 s49, v127, 24
	s_xor_b64 exec, exec, s[0:1]
	s_cbranch_execz .LBB222_47
; %bb.39:                               ;   in Loop: Header=BB222_7 Depth=1
	s_mul_i32 s12, s98, 5
	v_cmp_gt_i32_e32 vcc, s12, v116
	s_and_saveexec_b64 s[6:7], vcc
	s_cbranch_execz .LBB222_46
; %bb.40:                               ;   in Loop: Header=BB222_7 Depth=1
	scratch_load_dwordx2 v[0:1], off, off offset:80 ; 8-byte Folded Reload
	scratch_load_dwordx2 v[2:3], off, off offset:8 ; 8-byte Folded Reload
	s_mul_i32 s4, s68, s27
	s_ashr_i32 s5, s4, 31
	s_add_u32 s4, s18, s4
	s_addc_u32 s5, s19, s5
	s_ashr_i32 s8, s13, 31
	s_add_u32 s4, s4, s13
	s_addc_u32 s5, s5, s8
	s_waitcnt vmcnt(1)
	v_lshl_add_u64 v[0:1], s[4:5], 0, v[0:1]
	s_waitcnt vmcnt(0)
	v_lshl_add_u64 v[8:9], v[0:1], 0, v[2:3]
	s_mov_b64 s[4:5], 0
	s_branch .LBB222_42
.LBB222_41:                             ;   in Loop: Header=BB222_42 Depth=2
	s_or_b64 exec, exec, s[8:9]
	v_lshl_or_b32 v12, v10, 11, v111
	;;#ASMSTART
	s_waitcnt vmcnt(1)
	;;#ASMEND
	ds_write2_b32 v12, v4, v5 offset1:32
	ds_write2_b32 v12, v6, v7 offset0:64 offset1:96
	v_add_u32_e32 v4, 0x400, v12
	v_add_u32_e32 v116, s30, v116
	;;#ASMSTART
	s_waitcnt vmcnt(0)
	;;#ASMEND
	ds_write2_b32 v4, v0, v1 offset1:32
	ds_write2_b32 v4, v2, v3 offset0:64 offset1:96
	v_add_u32_e32 v0, 1, v95
	v_add_u32_e32 v88, s30, v10
	v_cmp_le_i32_e32 vcc, s12, v116
	ds_write_b32 v11, v0 offset:16
	v_add_u32_e32 v0, 2, v95
	s_or_b64 s[4:5], vcc, s[4:5]
	v_cmp_lt_i32_e32 vcc, 9, v88
	s_nop 1
	v_cndmask_b32_e32 v95, v95, v0, vcc
	s_andn2_b64 exec, exec, s[4:5]
	s_cbranch_execz .LBB222_45
.LBB222_42:                             ;   Parent Loop BB222_7 Depth=1
                                        ; =>  This Loop Header: Depth=2
                                        ;       Child Loop BB222_44 Depth 3
	v_cmp_gt_i32_e32 vcc, 10, v88
	s_mov_b32 s8, 0x66666667
	s_nop 0
	v_cndmask_b32_e64 v0, -10, 0, vcc
	v_add_u32_e32 v10, v0, v88
	v_mul_hi_i32 v0, v116, s8
	v_lshrrev_b32_e32 v1, 31, v0
	v_ashrrev_i32_e32 v0, 1, v0
	v_add_u32_e32 v0, v0, v1
	v_lshl_add_u32 v1, v0, 2, v0
	v_sub_u32_e32 v2, v116, v1
	v_lshlrev_b32_e32 v0, 6, v0
	v_ashrrev_i32_e32 v1, 31, v0
	v_mul_lo_u32 v2, s33, v2
	v_lshl_add_u64 v[0:1], v[8:9], 0, v[0:1]
	v_ashrrev_i32_e32 v3, 31, v2
	v_lshl_add_u64 v[0:1], v[0:1], 0, v[2:3]
	v_lshlrev_b32_e32 v11, 2, v10
	;;#ASMSTART
	global_load_dwordx4 v[4:7], v[0:1], off offset:0   sc0 sc1 nt  
	global_load_dwordx4 v[0:3], v[0:1], off offset:32  sc0 sc1 nt  
	
	;;#ASMEND
	ds_read_b32 v12, v11 offset:28688
	v_add_u32_e32 v11, 0x7000, v11
	s_waitcnt lgkmcnt(0)
	v_cmp_ne_u32_e32 vcc, v12, v95
	s_and_saveexec_b64 s[8:9], vcc
	s_cbranch_execz .LBB222_41
; %bb.43:                               ;   in Loop: Header=BB222_42 Depth=2
	s_mov_b64 s[10:11], 0
.LBB222_44:                             ;   Parent Loop BB222_7 Depth=1
                                        ;     Parent Loop BB222_42 Depth=2
                                        ; =>    This Inner Loop Header: Depth=3
	;;#ASMSTART
	s_sleep 0
	;;#ASMEND
	ds_read_b32 v12, v11 offset:16
	s_waitcnt lgkmcnt(0)
	v_cmp_eq_u32_e32 vcc, v12, v95
	s_or_b64 s[10:11], vcc, s[10:11]
	s_andn2_b64 exec, exec, s[10:11]
	s_cbranch_execnz .LBB222_44
	s_branch .LBB222_41
.LBB222_45:                             ;   in Loop: Header=BB222_7 Depth=1
	s_or_b64 exec, exec, s[4:5]
.LBB222_46:                             ;   in Loop: Header=BB222_7 Depth=1
	s_or_b64 exec, exec, s[6:7]
	v_subrev_u32_e32 v116, s12, v116
.LBB222_47:                             ;   in Loop: Header=BB222_7 Depth=1
	s_or_b64 exec, exec, s[0:1]
.LBB222_48:                             ;   in Loop: Header=BB222_7 Depth=1
	s_andn2_saveexec_b64 s[0:1], s[48:49]
	s_cbranch_execz .LBB222_6
; %bb.49:                               ;   in Loop: Header=BB222_7 Depth=1
	s_lshl_b32 s12, s98, 1
	v_cmp_gt_i32_e32 vcc, s12, v116
	s_and_saveexec_b64 s[4:5], vcc
	s_cbranch_execz .LBB222_5
; %bb.50:                               ;   in Loop: Header=BB222_7 Depth=1
	scratch_load_dword v0, off, off offset:16 ; 4-byte Folded Reload
	scratch_load_dwordx2 v[4:5], off, off offset:8 ; 8-byte Folded Reload
	s_mul_i32 s6, s47, s26
	s_ashr_i32 s7, s6, 31
	s_add_u32 s6, s16, s6
	s_waitcnt vmcnt(2)
	v_add_u32_e32 v2, s99, v85
	s_addc_u32 s7, s17, s7
	s_ashr_i32 s8, s13, 31
	v_cmp_gt_u32_e32 vcc, 64, v2
	s_add_u32 s6, s6, s13
	s_addc_u32 s7, s7, s8
	v_sub_u32_e32 v10, 63, v2
	s_waitcnt vmcnt(1)
	v_cndmask_b32_e32 v0, 0, v0, vcc
	v_ashrrev_i32_e32 v1, 31, v0
	v_lshl_add_u64 v[0:1], s[6:7], 0, v[0:1]
	s_waitcnt vmcnt(0)
	v_lshl_add_u64 v[8:9], v[0:1], 0, v[4:5]
	s_mov_b64 s[6:7], 0
	s_branch .LBB222_52
.LBB222_51:                             ;   in Loop: Header=BB222_52 Depth=2
	s_or_b64 exec, exec, s[8:9]
	v_lshl_add_u32 v13, v11, 11, v113
	;;#ASMSTART
	s_waitcnt vmcnt(1)
	;;#ASMEND
	ds_write2_b32 v13, v4, v5 offset1:32
	ds_write2_b32 v13, v6, v7 offset0:64 offset1:96
	v_add_u32_e32 v4, 0x400, v13
	v_add_u32_e32 v116, s29, v116
	;;#ASMSTART
	s_waitcnt vmcnt(0)
	;;#ASMEND
	ds_write2_b32 v4, v0, v1 offset1:32
	ds_write2_b32 v4, v2, v3 offset0:64 offset1:96
	v_add_u32_e32 v0, 1, v95
	v_add_u32_e32 v88, s29, v11
	v_cmp_le_i32_e32 vcc, s12, v116
	ds_write_b32 v12, v0
	v_add_u32_e32 v0, 2, v95
	s_or_b64 s[6:7], vcc, s[6:7]
	v_cmp_lt_i32_e32 vcc, 3, v88
	s_nop 1
	v_cndmask_b32_e32 v95, v95, v0, vcc
	s_andn2_b64 exec, exec, s[6:7]
	s_cbranch_execz .LBB222_4
.LBB222_52:                             ;   Parent Loop BB222_7 Depth=1
                                        ; =>  This Loop Header: Depth=2
                                        ;       Child Loop BB222_54 Depth 3
	v_cmp_gt_i32_e32 vcc, 4, v88
	s_nop 1
	v_cndmask_b32_e64 v0, -4, 0, vcc
	v_add_u32_e32 v11, v0, v88
	v_lshrrev_b32_e32 v0, 31, v116
	v_add_u32_e32 v0, v116, v0
	v_and_b32_e32 v1, 0x7fffffe, v0
	v_sub_u32_e32 v1, v116, v1
	v_lshlrev_b32_e32 v1, 5, v1
	v_cmp_le_i32_e32 vcc, v1, v10
	v_lshlrev_b32_e32 v0, 5, v0
	v_and_b32_e32 v0, 0xffffffc0, v0
	v_cndmask_b32_e32 v2, 0, v1, vcc
	v_ashrrev_i32_e32 v1, 31, v0
	v_mul_lo_u32 v2, v2, s26
	v_lshl_add_u64 v[0:1], v[8:9], 0, v[0:1]
	v_ashrrev_i32_e32 v3, 31, v2
	v_lshl_add_u64 v[0:1], v[0:1], 0, v[2:3]
	v_lshlrev_b32_e32 v12, 2, v11
	;;#ASMSTART
	global_load_dwordx4 v[4:7], v[0:1], off offset:0   
	global_load_dwordx4 v[0:3], v[0:1], off offset:32  
	
	;;#ASMEND
	ds_read_b32 v13, v12 offset:28672
	v_add_u32_e32 v12, 0x7000, v12
	s_waitcnt lgkmcnt(0)
	v_cmp_ne_u32_e32 vcc, v13, v95
	s_and_saveexec_b64 s[8:9], vcc
	s_cbranch_execz .LBB222_51
; %bb.53:                               ;   in Loop: Header=BB222_52 Depth=2
	s_mov_b64 s[10:11], 0
.LBB222_54:                             ;   Parent Loop BB222_7 Depth=1
                                        ;     Parent Loop BB222_52 Depth=2
                                        ; =>    This Inner Loop Header: Depth=3
	;;#ASMSTART
	s_sleep 0
	;;#ASMEND
	ds_read_b32 v13, v12
	s_waitcnt lgkmcnt(0)
	v_cmp_eq_u32_e32 vcc, v13, v95
	s_or_b64 s[10:11], vcc, s[10:11]
	s_andn2_b64 exec, exec, s[10:11]
	s_cbranch_execnz .LBB222_54
	s_branch .LBB222_51
.LBB222_55:
	s_endpgm
	.section	.rodata,"a",@progbits
	.p2align	6, 0x0
	.amdhsa_kernel _Z19_skinny_gemm_kernelILi2ELi5ELi2ELi32ELi4EEvPKhS1_P6__halfPKfiiiiiiii
		.amdhsa_group_segment_fixed_size 28728
		.amdhsa_private_segment_fixed_size 92
		.amdhsa_kernarg_size 64
		.amdhsa_user_sgpr_count 2
		.amdhsa_user_sgpr_dispatch_ptr 0
		.amdhsa_user_sgpr_queue_ptr 0
		.amdhsa_user_sgpr_kernarg_segment_ptr 1
		.amdhsa_user_sgpr_dispatch_id 0
		.amdhsa_user_sgpr_kernarg_preload_length 0
		.amdhsa_user_sgpr_kernarg_preload_offset 0
		.amdhsa_user_sgpr_private_segment_size 0
		.amdhsa_uses_dynamic_stack 0
		.amdhsa_enable_private_segment 1
		.amdhsa_system_sgpr_workgroup_id_x 1
		.amdhsa_system_sgpr_workgroup_id_y 0
		.amdhsa_system_sgpr_workgroup_id_z 0
		.amdhsa_system_sgpr_workgroup_info 0
		.amdhsa_system_vgpr_workitem_id 0
		.amdhsa_next_free_vgpr 128
		.amdhsa_next_free_sgpr 100
		.amdhsa_accum_offset 128
		.amdhsa_reserve_vcc 1
		.amdhsa_float_round_mode_32 0
		.amdhsa_float_round_mode_16_64 0
		.amdhsa_float_denorm_mode_32 3
		.amdhsa_float_denorm_mode_16_64 3
		.amdhsa_dx10_clamp 1
		.amdhsa_ieee_mode 1
		.amdhsa_fp16_overflow 0
		.amdhsa_tg_split 0
		.amdhsa_exception_fp_ieee_invalid_op 0
		.amdhsa_exception_fp_denorm_src 0
		.amdhsa_exception_fp_ieee_div_zero 0
		.amdhsa_exception_fp_ieee_overflow 0
		.amdhsa_exception_fp_ieee_underflow 0
		.amdhsa_exception_fp_ieee_inexact 0
		.amdhsa_exception_int_div_zero 0
	.end_amdhsa_kernel
	.section	.text._Z19_skinny_gemm_kernelILi2ELi5ELi2ELi32ELi4EEvPKhS1_P6__halfPKfiiiiiiii,"axG",@progbits,_Z19_skinny_gemm_kernelILi2ELi5ELi2ELi32ELi4EEvPKhS1_P6__halfPKfiiiiiiii,comdat
.Lfunc_end222:
	.size	_Z19_skinny_gemm_kernelILi2ELi5ELi2ELi32ELi4EEvPKhS1_P6__halfPKfiiiiiiii, .Lfunc_end222-_Z19_skinny_gemm_kernelILi2ELi5ELi2ELi32ELi4EEvPKhS1_P6__halfPKfiiiiiiii
                                        ; -- End function
	.set _Z19_skinny_gemm_kernelILi2ELi5ELi2ELi32ELi4EEvPKhS1_P6__halfPKfiiiiiiii.num_vgpr, 128
	.set _Z19_skinny_gemm_kernelILi2ELi5ELi2ELi32ELi4EEvPKhS1_P6__halfPKfiiiiiiii.num_agpr, 0
	.set _Z19_skinny_gemm_kernelILi2ELi5ELi2ELi32ELi4EEvPKhS1_P6__halfPKfiiiiiiii.numbered_sgpr, 100
	.set _Z19_skinny_gemm_kernelILi2ELi5ELi2ELi32ELi4EEvPKhS1_P6__halfPKfiiiiiiii.num_named_barrier, 0
	.set _Z19_skinny_gemm_kernelILi2ELi5ELi2ELi32ELi4EEvPKhS1_P6__halfPKfiiiiiiii.private_seg_size, 92
	.set _Z19_skinny_gemm_kernelILi2ELi5ELi2ELi32ELi4EEvPKhS1_P6__halfPKfiiiiiiii.uses_vcc, 1
	.set _Z19_skinny_gemm_kernelILi2ELi5ELi2ELi32ELi4EEvPKhS1_P6__halfPKfiiiiiiii.uses_flat_scratch, 0
	.set _Z19_skinny_gemm_kernelILi2ELi5ELi2ELi32ELi4EEvPKhS1_P6__halfPKfiiiiiiii.has_dyn_sized_stack, 0
	.set _Z19_skinny_gemm_kernelILi2ELi5ELi2ELi32ELi4EEvPKhS1_P6__halfPKfiiiiiiii.has_recursion, 0
	.set _Z19_skinny_gemm_kernelILi2ELi5ELi2ELi32ELi4EEvPKhS1_P6__halfPKfiiiiiiii.has_indirect_call, 0
	.section	.AMDGPU.csdata,"",@progbits
; Kernel info:
; codeLenInByte = 16856
; TotalNumSgprs: 106
; NumVgprs: 128
; NumAgprs: 0
; TotalNumVgprs: 128
; ScratchSize: 92
; MemoryBound: 0
; FloatMode: 240
; IeeeMode: 1
; LDSByteSize: 28728 bytes/workgroup (compile time only)
; SGPRBlocks: 13
; VGPRBlocks: 15
; NumSGPRsForWavesPerEU: 106
; NumVGPRsForWavesPerEU: 128
; AccumOffset: 128
; Occupancy: 4
; WaveLimiterHint : 0
; COMPUTE_PGM_RSRC2:SCRATCH_EN: 1
; COMPUTE_PGM_RSRC2:USER_SGPR: 2
; COMPUTE_PGM_RSRC2:TRAP_HANDLER: 0
; COMPUTE_PGM_RSRC2:TGID_X_EN: 1
; COMPUTE_PGM_RSRC2:TGID_Y_EN: 0
; COMPUTE_PGM_RSRC2:TGID_Z_EN: 0
; COMPUTE_PGM_RSRC2:TIDIG_COMP_CNT: 0
; COMPUTE_PGM_RSRC3_GFX90A:ACCUM_OFFSET: 31
; COMPUTE_PGM_RSRC3_GFX90A:TG_SPLIT: 0
	.section	.text._Z19_skinny_gemm_kernelILi2ELi5ELi2ELi32ELi8EEvPKhS1_P6__halfPKfiiiiiiii,"axG",@progbits,_Z19_skinny_gemm_kernelILi2ELi5ELi2ELi32ELi8EEvPKhS1_P6__halfPKfiiiiiiii,comdat
	.protected	_Z19_skinny_gemm_kernelILi2ELi5ELi2ELi32ELi8EEvPKhS1_P6__halfPKfiiiiiiii ; -- Begin function _Z19_skinny_gemm_kernelILi2ELi5ELi2ELi32ELi8EEvPKhS1_P6__halfPKfiiiiiiii
	.globl	_Z19_skinny_gemm_kernelILi2ELi5ELi2ELi32ELi8EEvPKhS1_P6__halfPKfiiiiiiii
	.p2align	8
	.type	_Z19_skinny_gemm_kernelILi2ELi5ELi2ELi32ELi8EEvPKhS1_P6__halfPKfiiiiiiii,@function
_Z19_skinny_gemm_kernelILi2ELi5ELi2ELi32ELi8EEvPKhS1_P6__halfPKfiiiiiiii: ; @_Z19_skinny_gemm_kernelILi2ELi5ELi2ELi32ELi8EEvPKhS1_P6__halfPKfiiiiiiii
; %bb.0:
	v_cmp_gt_u32_e32 vcc, 14, v0
	s_and_saveexec_b64 s[4:5], vcc
; %bb.1:
	v_lshlrev_b32_e32 v1, 2, v0
	v_mov_b32_e32 v2, 0
	ds_write_b32 v1, v2 offset:57344
; %bb.2:
	s_or_b64 exec, exec, s[4:5]
	s_load_dwordx8 s[24:31], s[0:1], 0x20
	s_waitcnt lgkmcnt(0)
	s_barrier
	s_add_i32 s3, s24, 63
	s_ashr_i32 s5, s3, 31
	s_add_i32 s4, s25, 0x9f
	s_lshr_b32 s5, s5, 26
	s_mul_hi_i32 s4, s4, 0x66666667
	s_add_i32 s3, s3, s5
	s_ashr_i32 s14, s3, 6
	s_lshr_b32 s3, s4, 31
	s_ashr_i32 s4, s4, 6
	s_add_i32 s15, s4, s3
	s_mul_i32 s3, s15, s14
	s_mul_i32 s3, s3, s28
	s_add_i32 s4, s3, 0x12f
	s_mul_hi_i32 s4, s4, 0x6bca1af3
	s_lshr_b32 s5, s4, 31
	s_ashr_i32 s4, s4, 7
	s_add_i32 s4, s4, s5
	s_add_i32 s5, s2, 1
	s_mul_i32 s5, s4, s5
	v_cvt_f64_i32_e32 v[2:3], s3
	v_cvt_f64_u32_e32 v[4:5], s5
	v_min_f64 v[2:3], v[2:3], v[4:5]
	v_cvt_i32_f64_e32 v1, v[2:3]
	s_mul_i32 s2, s4, s2
	v_cmp_ge_i32_e32 vcc, s2, v1
	scratch_store_dword off, v1, off offset:16 ; 4-byte Folded Spill
	s_cbranch_vccnz .LBB223_55
; %bb.3:
	s_load_dwordx8 s[16:23], s[0:1], 0x0
	v_lshrrev_b32_e32 v1, 6, v0
	s_add_i32 s0, s30, s29
	v_cmp_le_i32_e64 s[34:35], s0, v1
	v_mov_b32_e32 v2, s29
	v_cmp_le_i32_e64 s[36:37], s29, v1
	v_mov_b32_e32 v3, s30
	v_cndmask_b32_e64 v3, 0, v3, s[34:35]
	v_cndmask_b32_e64 v2, 0, v2, s[36:37]
	s_abs_i32 s1, s28
	v_add_u32_e32 v2, v2, v3
	v_cvt_f32_u32_e32 v3, s1
	v_sub_u32_e32 v88, v1, v2
	s_ashr_i32 s3, s26, 31
	s_lshr_b32 s3, s3, 25
	v_rcp_iflag_f32_e32 v2, v3
	s_sub_i32 s6, 0, s1
	s_add_i32 s3, s26, s3
	s_ashr_i32 s3, s3, 7
	v_mul_f32_e32 v2, 0x4f7ffffe, v2
	v_cvt_u32_f32_e32 v2, v2
	s_abs_i32 s5, s3
	s_xor_b32 s4, s3, s28
	s_ashr_i32 s4, s4, 31
	v_readfirstlane_b32 s7, v2
	s_mul_i32 s6, s6, s7
	s_mul_hi_u32 s6, s7, s6
	s_add_i32 s7, s7, s6
	s_mul_hi_u32 s6, s5, s7
	s_mul_i32 s7, s6, s1
	s_sub_i32 s5, s5, s7
	s_add_i32 s7, s6, 1
	s_sub_i32 s8, s5, s1
	s_cmp_ge_u32 s5, s1
	s_cselect_b32 s6, s7, s6
	s_cselect_b32 s5, s8, s5
	s_add_i32 s7, s6, 1
	s_cmp_ge_u32 s5, s1
	s_cselect_b32 s1, s7, s6
	s_add_i32 s0, s0, s31
	v_and_b32_e32 v102, 31, v0
	v_lshrrev_b32_e32 v2, 3, v0
	v_cmp_gt_i32_e64 s[42:43], s0, v1
	v_lshlrev_b32_e32 v1, 2, v102
	v_and_b32_e32 v3, 4, v2
	v_lshlrev_b32_e32 v2, 6, v3
	v_or_b32_e32 v4, 0xa000, v1
	v_or_b32_e32 v5, v4, v2
	scratch_store_dword off, v5, off offset:8 ; 4-byte Folded Spill
	v_or_b32_e32 v2, v1, v2
	v_and_b32_e32 v5, 1, v0
	scratch_store_dword off, v2, off offset:12 ; 4-byte Folded Spill
	v_lshlrev_b32_e32 v2, 1, v5
	v_sub_u32_e32 v2, v0, v2
	v_add_u32_e32 v2, 1, v2
	v_and_b32_e32 v6, 63, v2
	v_bitop3_b32 v2, v0, 1, v0 bitop3:0xc
	scratch_store_dword off, v2, off offset:40 ; 4-byte Folded Spill
	v_bitop3_b32 v2, v0, 3, 1 bitop3:0x6c
	scratch_store_dword off, v2, off offset:44 ; 4-byte Folded Spill
	;; [unrolled: 2-line block ×5, first 2 shown]
	v_bitop3_b32 v2, v0, 11, 1 bitop3:0x6c
	s_add_i32 s39, s28, -1
	scratch_store_dword off, v2, off offset:60 ; 4-byte Folded Spill
	v_bitop3_b32 v2, v0, 13, 1 bitop3:0x6c
	v_lshrrev_b32_e32 v7, 1, v0
	s_abs_i32 s28, s14
	scratch_store_dword off, v2, off offset:64 ; 4-byte Folded Spill
	v_bitop3_b32 v2, v0, 15, 1 bitop3:0x6c
	v_and_b32_e32 v8, 16, v7
	v_cvt_f32_u32_e32 v7, s28
	scratch_store_dword off, v2, off offset:68 ; 4-byte Folded Spill
	v_and_b32_e32 v2, 30, v0
	v_lshlrev_b32_e32 v0, 4, v0
	v_and_b32_e32 v0, 0x200, v0
                                        ; implicit-def: $vgpr127 : SGPR spill to VGPR lane
	v_or_b32_e32 v1, v1, v0
	v_writelane_b32 v127, s14, 0
	s_xor_b32 s1, s1, s4
	scratch_store_dword off, v1, off        ; 4-byte Folded Spill
	v_rcp_iflag_f32_e32 v1, v7
	v_writelane_b32 v127, s15, 1
	s_sub_i32 s38, s1, s4
	s_waitcnt lgkmcnt(0)
	v_writelane_b32 v127, s16, 2
	s_mul_i32 s1, s38, s39
	s_sub_i32 s40, s3, s1
	v_writelane_b32 v127, s17, 3
	v_or_b32_e32 v116, v4, v0
	v_or_b32_e32 v0, v5, v3
	s_abs_i32 s3, s15
	v_writelane_b32 v127, s18, 4
	scratch_store_dword off, v0, off offset:4 ; 4-byte Folded Spill
	v_mul_f32_e32 v0, 0x4f7ffffe, v1
	v_cvt_f32_u32_e32 v1, s3
	v_writelane_b32 v127, s19, 5
	v_writelane_b32 v127, s20, 6
	;; [unrolled: 1-line block ×4, first 2 shown]
	v_cvt_u32_f32_e32 v0, v0
	v_rcp_iflag_f32_e32 v1, v1
	v_writelane_b32 v127, s23, 9
	v_cndmask_b32_e64 v103, 0, 1, s[34:35]
	v_writelane_b32 v127, s34, 10
	v_readfirstlane_b32 s1, v0
	v_mul_f32_e32 v0, 0x4f7ffffe, v1
	v_writelane_b32 v127, s35, 11
	v_writelane_b32 v127, s36, 12
	v_cvt_u32_f32_e32 v0, v0
	s_sub_i32 s0, 0, s28
	v_writelane_b32 v127, s37, 13
	v_writelane_b32 v127, s38, 14
	;; [unrolled: 1-line block ×3, first 2 shown]
	s_mul_i32 s0, s0, s1
	v_writelane_b32 v127, s40, 16
	s_mul_hi_u32 s0, s1, s0
	v_writelane_b32 v127, s42, 17
	s_ashr_i32 s41, s14, 31
	s_add_i32 s44, s1, s0
	s_sub_i32 s0, 0, s3
	v_readfirstlane_b32 s1, v0
	v_writelane_b32 v127, s43, 18
	s_mul_i32 s0, s0, s1
	v_mbcnt_lo_u32_b32 v0, -1, 0
	v_writelane_b32 v127, s41, 19
	s_ashr_i32 s45, s15, 31
	s_mul_hi_u32 s0, s1, s0
	v_mbcnt_hi_u32_b32 v0, -1, v0
	v_writelane_b32 v127, s44, 20
	v_mov_b32_e32 v105, 0
	v_mul_lo_u32 v10, s27, v102
	s_add_i32 s46, s1, s0
	v_and_or_b32 v0, v0, 64, v6
	v_writelane_b32 v127, s45, 21
	v_ashrrev_i32_e32 v11, 31, v10
	v_mov_b32_e32 v9, v105
	s_lshl_b32 s33, s27, 5
	v_lshlrev_b32_e32 v104, 1, v2
	v_lshlrev_b32_e32 v118, 2, v0
	v_mov_b32_e32 v119, v88
	v_writelane_b32 v127, s46, 22
	scratch_store_dwordx2 off, v[10:11], off offset:72 ; 8-byte Folded Spill
	scratch_store_dwordx2 off, v[8:9], off offset:20 ; 8-byte Folded Spill
	scratch_store_dword off, v102, off offset:36 ; 4-byte Folded Spill
	s_branch .LBB223_7
.LBB223_4:                              ;   in Loop: Header=BB223_7 Depth=1
	s_or_b64 exec, exec, s[6:7]
.LBB223_5:                              ;   in Loop: Header=BB223_7 Depth=1
	s_or_b64 exec, exec, s[4:5]
	v_subrev_u32_e32 v119, s12, v119
.LBB223_6:                              ;   in Loop: Header=BB223_7 Depth=1
	s_or_b64 exec, exec, s[0:1]
	scratch_load_dword v0, off, off offset:16 ; 4-byte Folded Reload
	s_add_i32 s2, s2, 1
	s_waitcnt vmcnt(0)
	v_cmp_ge_i32_e32 vcc, s2, v0
	s_cbranch_vccnz .LBB223_55
.LBB223_7:                              ; =>This Loop Header: Depth=1
                                        ;     Child Loop BB223_13 Depth 2
                                        ;       Child Loop BB223_15 Depth 3
                                        ;       Child Loop BB223_18 Depth 3
	;; [unrolled: 1-line block ×6, first 2 shown]
                                        ;     Child Loop BB223_34 Depth 2
                                        ;     Child Loop BB223_42 Depth 2
                                        ;       Child Loop BB223_44 Depth 3
                                        ;     Child Loop BB223_52 Depth 2
                                        ;       Child Loop BB223_54 Depth 3
	s_abs_i32 s1, s2
	s_mul_hi_u32 s4, s1, s44
	s_mul_i32 s5, s4, s28
	s_ashr_i32 s0, s2, 31
	s_sub_i32 s1, s1, s5
	s_xor_b32 s0, s0, s41
	s_add_i32 s5, s4, 1
	s_sub_i32 s6, s1, s28
	s_cmp_ge_u32 s1, s28
	s_cselect_b32 s4, s5, s4
	s_cselect_b32 s1, s6, s1
	s_add_i32 s5, s4, 1
	s_cmp_ge_u32 s1, s28
	s_cselect_b32 s1, s5, s4
	s_xor_b32 s1, s1, s0
	s_sub_i32 s0, s1, s0
	s_abs_i32 s4, s0
	s_mul_i32 s1, s0, s14
	s_mul_hi_u32 s5, s4, s46
	s_sub_i32 s1, s2, s1
	s_mul_i32 s6, s5, s3
	s_lshl_b32 s47, s1, 6
	s_ashr_i32 s1, s0, 31
	s_sub_i32 s4, s4, s6
	s_xor_b32 s1, s1, s45
	s_add_i32 s6, s5, 1
	s_sub_i32 s7, s4, s3
	s_cmp_ge_u32 s4, s3
	s_cselect_b32 s5, s6, s5
	s_cselect_b32 s4, s7, s4
	s_add_i32 s6, s5, 1
	s_cmp_ge_u32 s4, s3
	s_cselect_b32 s4, s6, s5
	s_xor_b32 s4, s4, s1
	s_sub_i32 s1, s4, s1
	s_mul_i32 s4, s1, s38
	s_lshl_b32 s13, s4, 7
	s_cmp_eq_u32 s1, s39
	s_cselect_b32 s98, s40, s38
	s_sub_i32 s4, s47, s24
	s_add_i32 s4, s4, 64
	s_max_i32 s99, s4, 0
	s_and_saveexec_b64 s[4:5], s[36:37]
	s_xor_b64 s[48:49], exec, s[4:5]
	s_cbranch_execz .LBB223_48
; %bb.8:                                ;   in Loop: Header=BB223_7 Depth=1
	s_mul_i32 s1, s1, s15
	s_sub_i32 s0, s0, s1
	s_mulk_i32 s0, 0xa0
	s_sub_i32 s70, s0, s25
	s_addk_i32 s70, 0xa0
	v_writelane_b32 v127, s48, 23
	s_max_i32 s1, s70, 0
	s_mov_b32 s4, s13
	v_writelane_b32 v127, s49, 24
	s_sub_i32 s68, s0, s1
	s_and_saveexec_b64 s[0:1], s[34:35]
	s_xor_b64 s[0:1], exec, s[0:1]
	s_cbranch_execz .LBB223_38
; %bb.9:                                ;   in Loop: Header=BB223_7 Depth=1
	s_mov_b64 s[6:7], exec
	v_writelane_b32 v127, s6, 25
	s_nop 1
	v_writelane_b32 v127, s7, 26
	s_and_b64 s[6:7], s[6:7], s[42:43]
	s_mov_b64 exec, s[6:7]
	s_cbranch_execz .LBB223_37
; %bb.10:                               ;   in Loop: Header=BB223_7 Depth=1
	global_load_dword v120, v105, s[22:23]
	v_mov_b32_e32 v79, 0
	v_cmp_gt_i32_e32 vcc, s98, v119
	v_mov_b32_e32 v78, v79
	v_mov_b32_e32 v77, v79
	;; [unrolled: 1-line block ×79, first 2 shown]
	s_and_saveexec_b64 s[6:7], vcc
	s_cbranch_execz .LBB223_32
; %bb.11:                               ;   in Loop: Header=BB223_7 Depth=1
	v_mov_b32_e32 v0, 0
	s_mov_b64 s[8:9], 0
	v_mov_b32_e32 v1, v0
	v_mov_b32_e32 v2, v0
	;; [unrolled: 1-line block ×79, first 2 shown]
	s_branch .LBB223_13
.LBB223_12:                             ;   in Loop: Header=BB223_13 Depth=2
	s_or_b64 exec, exec, s[10:11]
	v_add_u32_e32 v82, 0x4000, v124
	ds_read2_b32 v[80:81], v82 offset1:32
	v_add_u32_e32 v119, s31, v119
	s_waitcnt lgkmcnt(0)
	v_mfma_f32_32x32x16_fp8_fp8 v[0:15], v[100:101], v[80:81], v[0:15]
	ds_read2_b32 v[80:81], v82 offset0:128 offset1:160
	v_add_u32_e32 v82, 0x4400, v124
	s_waitcnt lgkmcnt(0)
	v_mfma_f32_32x32x16_fp8_fp8 v[0:15], v[98:99], v[80:81], v[0:15]
	ds_read2_b32 v[80:81], v82 offset1:32
	s_waitcnt lgkmcnt(0)
	v_mfma_f32_32x32x16_fp8_fp8 v[0:15], v[96:97], v[80:81], v[0:15]
	ds_read2_b32 v[80:81], v82 offset0:128 offset1:160
	v_add_u32_e32 v82, 0x4800, v124
	s_waitcnt lgkmcnt(0)
	v_mfma_f32_32x32x16_fp8_fp8 v[0:15], v[94:95], v[80:81], v[0:15]
	ds_read2_b32 v[80:81], v82 offset1:32
	s_waitcnt lgkmcnt(0)
	v_mfma_f32_32x32x16_fp8_fp8 v[0:15], v[92:93], v[80:81], v[0:15]
	ds_read2_b32 v[80:81], v82 offset0:128 offset1:160
	v_add_u32_e32 v82, 0x4c00, v124
	s_waitcnt lgkmcnt(0)
	v_mfma_f32_32x32x16_fp8_fp8 v[0:15], v[90:91], v[80:81], v[0:15]
	ds_read2_b32 v[80:81], v82 offset1:32
	ds_read2_b32 v[82:83], v82 offset0:128 offset1:160
	ds_write_b32 v122, v123 offset:57380
	s_waitcnt lgkmcnt(2)
	v_mfma_f32_32x32x16_fp8_fp8 v[0:15], v[88:89], v[80:81], v[0:15]
	v_add_u32_e32 v88, s31, v121
	v_add_u32_e32 v80, 2, v103
	v_cmp_lt_i32_e32 vcc, 1, v88
	s_nop 1
	v_cndmask_b32_e32 v103, v103, v80, vcc
	v_cmp_le_i32_e32 vcc, s98, v119
	s_waitcnt lgkmcnt(1)
	v_mfma_f32_32x32x16_fp8_fp8 v[0:15], v[86:87], v[82:83], v[0:15]
	s_or_b64 s[8:9], vcc, s[8:9]
	s_andn2_b64 exec, exec, s[8:9]
	s_cbranch_execz .LBB223_31
.LBB223_13:                             ;   Parent Loop BB223_7 Depth=1
                                        ; =>  This Loop Header: Depth=2
                                        ;       Child Loop BB223_15 Depth 3
                                        ;       Child Loop BB223_18 Depth 3
	;; [unrolled: 1-line block ×6, first 2 shown]
	v_cmp_gt_i32_e32 vcc, 2, v88
	s_nop 1
	v_cndmask_b32_e64 v80, -2, 0, vcc
	v_add_u32_e32 v121, v80, v88
	v_mul_lo_u32 v122, v121, 40
	ds_read_b32 v80, v122 offset:57344
	s_waitcnt lgkmcnt(0)
	v_cmp_ne_u32_e32 vcc, v80, v103
	s_and_saveexec_b64 s[10:11], vcc
	s_cbranch_execz .LBB223_16
; %bb.14:                               ;   in Loop: Header=BB223_13 Depth=2
	s_mov_b64 s[12:13], 0
.LBB223_15:                             ;   Parent Loop BB223_7 Depth=1
                                        ;     Parent Loop BB223_13 Depth=2
                                        ; =>    This Inner Loop Header: Depth=3
	;;#ASMSTART
	s_sleep 0
	;;#ASMEND
	ds_read_b32 v80, v122 offset:57344
	s_waitcnt lgkmcnt(0)
	v_cmp_eq_u32_e32 vcc, v80, v103
	s_or_b64 s[12:13], vcc, s[12:13]
	s_andn2_b64 exec, exec, s[12:13]
	s_cbranch_execnz .LBB223_15
.LBB223_16:                             ;   in Loop: Header=BB223_13 Depth=2
	s_or_b64 exec, exec, s[10:11]
	scratch_load_dword v80, off, off offset:8 ; 4-byte Folded Reload
	v_add_u32_e32 v123, 1, v103
	s_waitcnt vmcnt(0)
	v_lshl_add_u32 v80, v121, 12, v80
	v_add_u32_e32 v81, 0x400, v80
	ds_read2_b32 v[100:101], v80 offset1:32
	ds_read2_b32 v[98:99], v80 offset0:128 offset1:160
	ds_read2_b32 v[96:97], v81 offset1:32
	ds_read2_b32 v[94:95], v81 offset0:128 offset1:160
	v_add_u32_e32 v81, 0x800, v80
	v_add_u32_e32 v80, 0xc00, v80
	ds_read2_b32 v[92:93], v81 offset1:32
	ds_read2_b32 v[90:91], v81 offset0:128 offset1:160
	ds_read2_b32 v[88:89], v80 offset1:32
	ds_read_b32 v81, v122 offset:57348
	ds_read2_b32 v[86:87], v80 offset0:128 offset1:160
	ds_write_b32 v122, v123 offset:57344
	s_waitcnt lgkmcnt(2)
	v_cmp_ne_u32_e32 vcc, v81, v103
	s_and_saveexec_b64 s[10:11], vcc
	s_cbranch_execz .LBB223_19
; %bb.17:                               ;   in Loop: Header=BB223_13 Depth=2
	s_mov_b64 s[12:13], 0
.LBB223_18:                             ;   Parent Loop BB223_7 Depth=1
                                        ;     Parent Loop BB223_13 Depth=2
                                        ; =>    This Inner Loop Header: Depth=3
	;;#ASMSTART
	s_sleep 0
	;;#ASMEND
	ds_read_b32 v80, v122 offset:57348
	s_waitcnt lgkmcnt(0)
	v_cmp_eq_u32_e32 vcc, v80, v103
	s_or_b64 s[12:13], vcc, s[12:13]
	s_andn2_b64 exec, exec, s[12:13]
	s_cbranch_execnz .LBB223_18
.LBB223_19:                             ;   in Loop: Header=BB223_13 Depth=2
	s_or_b64 exec, exec, s[10:11]
	scratch_load_dword v81, off, off offset:12 ; 4-byte Folded Reload
	s_movk_i32 s5, 0x5000
	v_mul_lo_u32 v80, v121, s5
	ds_write_b32 v122, v123 offset:57348
	s_waitcnt vmcnt(0)
	v_or_b32_e32 v124, v81, v80
	ds_read2_b32 v[80:81], v124 offset1:32
	v_add_u32_e32 v82, 0x400, v124
	s_waitcnt lgkmcnt(0)
	v_mfma_f32_32x32x16_fp8_fp8 v[64:79], v[100:101], v[80:81], v[64:79]
	ds_read2_b32 v[80:81], v124 offset0:128 offset1:160
	s_waitcnt lgkmcnt(0)
	v_mfma_f32_32x32x16_fp8_fp8 v[64:79], v[98:99], v[80:81], v[64:79]
	ds_read2_b32 v[80:81], v82 offset1:32
	s_waitcnt lgkmcnt(0)
	v_mfma_f32_32x32x16_fp8_fp8 v[64:79], v[96:97], v[80:81], v[64:79]
	ds_read2_b32 v[80:81], v82 offset0:128 offset1:160
	v_add_u32_e32 v82, 0x800, v124
	s_waitcnt lgkmcnt(0)
	v_mfma_f32_32x32x16_fp8_fp8 v[64:79], v[94:95], v[80:81], v[64:79]
	ds_read2_b32 v[80:81], v82 offset1:32
	s_waitcnt lgkmcnt(0)
	v_mfma_f32_32x32x16_fp8_fp8 v[64:79], v[92:93], v[80:81], v[64:79]
	ds_read2_b32 v[80:81], v82 offset0:128 offset1:160
	v_add_u32_e32 v82, 0xc00, v124
	s_waitcnt lgkmcnt(0)
	v_mfma_f32_32x32x16_fp8_fp8 v[64:79], v[90:91], v[80:81], v[64:79]
	ds_read2_b32 v[80:81], v82 offset1:32
	s_waitcnt lgkmcnt(0)
	v_mfma_f32_32x32x16_fp8_fp8 v[64:79], v[88:89], v[80:81], v[64:79]
	ds_read2_b32 v[80:81], v82 offset0:128 offset1:160
	ds_read_b32 v82, v122 offset:57356
	s_waitcnt lgkmcnt(0)
	v_cmp_ne_u32_e32 vcc, v82, v103
	v_mfma_f32_32x32x16_fp8_fp8 v[64:79], v[86:87], v[80:81], v[64:79]
	s_and_saveexec_b64 s[10:11], vcc
	s_cbranch_execz .LBB223_22
; %bb.20:                               ;   in Loop: Header=BB223_13 Depth=2
	s_mov_b64 s[12:13], 0
.LBB223_21:                             ;   Parent Loop BB223_7 Depth=1
                                        ;     Parent Loop BB223_13 Depth=2
                                        ; =>    This Inner Loop Header: Depth=3
	;;#ASMSTART
	s_sleep 0
	;;#ASMEND
	ds_read_b32 v80, v122 offset:57356
	s_waitcnt lgkmcnt(0)
	v_cmp_eq_u32_e32 vcc, v80, v103
	s_or_b64 s[12:13], vcc, s[12:13]
	s_andn2_b64 exec, exec, s[12:13]
	s_cbranch_execnz .LBB223_21
.LBB223_22:                             ;   in Loop: Header=BB223_13 Depth=2
	s_or_b64 exec, exec, s[10:11]
	v_add_u32_e32 v82, 0x1000, v124
	ds_read2_b32 v[80:81], v82 offset1:32
	s_waitcnt lgkmcnt(0)
	v_mfma_f32_32x32x16_fp8_fp8 v[48:63], v[100:101], v[80:81], v[48:63]
	ds_read2_b32 v[80:81], v82 offset0:128 offset1:160
	v_add_u32_e32 v82, 0x1400, v124
	s_waitcnt lgkmcnt(0)
	v_mfma_f32_32x32x16_fp8_fp8 v[48:63], v[98:99], v[80:81], v[48:63]
	ds_read2_b32 v[80:81], v82 offset1:32
	s_waitcnt lgkmcnt(0)
	v_mfma_f32_32x32x16_fp8_fp8 v[48:63], v[96:97], v[80:81], v[48:63]
	ds_read2_b32 v[80:81], v82 offset0:128 offset1:160
	v_add_u32_e32 v82, 0x1800, v124
	s_waitcnt lgkmcnt(0)
	v_mfma_f32_32x32x16_fp8_fp8 v[48:63], v[94:95], v[80:81], v[48:63]
	ds_read2_b32 v[80:81], v82 offset1:32
	s_waitcnt lgkmcnt(0)
	v_mfma_f32_32x32x16_fp8_fp8 v[48:63], v[92:93], v[80:81], v[48:63]
	ds_read2_b32 v[80:81], v82 offset0:128 offset1:160
	v_add_u32_e32 v82, 0x1c00, v124
	s_waitcnt lgkmcnt(0)
	v_mfma_f32_32x32x16_fp8_fp8 v[48:63], v[90:91], v[80:81], v[48:63]
	ds_read2_b32 v[80:81], v82 offset1:32
	s_waitcnt lgkmcnt(0)
	v_mfma_f32_32x32x16_fp8_fp8 v[48:63], v[88:89], v[80:81], v[48:63]
	ds_read_b32 v83, v122 offset:57364
	ds_read2_b32 v[80:81], v82 offset0:128 offset1:160
	ds_write_b32 v122, v123 offset:57356
	s_waitcnt lgkmcnt(2)
	v_cmp_ne_u32_e32 vcc, v83, v103
	s_waitcnt lgkmcnt(1)
	v_mfma_f32_32x32x16_fp8_fp8 v[48:63], v[86:87], v[80:81], v[48:63]
	s_and_saveexec_b64 s[10:11], vcc
	s_cbranch_execz .LBB223_25
; %bb.23:                               ;   in Loop: Header=BB223_13 Depth=2
	s_mov_b64 s[12:13], 0
.LBB223_24:                             ;   Parent Loop BB223_7 Depth=1
                                        ;     Parent Loop BB223_13 Depth=2
                                        ; =>    This Inner Loop Header: Depth=3
	;;#ASMSTART
	s_sleep 0
	;;#ASMEND
	ds_read_b32 v80, v122 offset:57364
	s_waitcnt lgkmcnt(0)
	v_cmp_eq_u32_e32 vcc, v80, v103
	s_or_b64 s[12:13], vcc, s[12:13]
	s_andn2_b64 exec, exec, s[12:13]
	s_cbranch_execnz .LBB223_24
.LBB223_25:                             ;   in Loop: Header=BB223_13 Depth=2
	s_or_b64 exec, exec, s[10:11]
	v_add_u32_e32 v82, 0x2000, v124
	ds_read2_b32 v[80:81], v82 offset1:32
	s_waitcnt lgkmcnt(0)
	v_mfma_f32_32x32x16_fp8_fp8 v[32:47], v[100:101], v[80:81], v[32:47]
	ds_read2_b32 v[80:81], v82 offset0:128 offset1:160
	v_add_u32_e32 v82, 0x2400, v124
	s_waitcnt lgkmcnt(0)
	v_mfma_f32_32x32x16_fp8_fp8 v[32:47], v[98:99], v[80:81], v[32:47]
	ds_read2_b32 v[80:81], v82 offset1:32
	s_waitcnt lgkmcnt(0)
	v_mfma_f32_32x32x16_fp8_fp8 v[32:47], v[96:97], v[80:81], v[32:47]
	ds_read2_b32 v[80:81], v82 offset0:128 offset1:160
	v_add_u32_e32 v82, 0x2800, v124
	s_waitcnt lgkmcnt(0)
	v_mfma_f32_32x32x16_fp8_fp8 v[32:47], v[94:95], v[80:81], v[32:47]
	ds_read2_b32 v[80:81], v82 offset1:32
	s_waitcnt lgkmcnt(0)
	v_mfma_f32_32x32x16_fp8_fp8 v[32:47], v[92:93], v[80:81], v[32:47]
	ds_read2_b32 v[80:81], v82 offset0:128 offset1:160
	v_add_u32_e32 v82, 0x2c00, v124
	s_waitcnt lgkmcnt(0)
	v_mfma_f32_32x32x16_fp8_fp8 v[32:47], v[90:91], v[80:81], v[32:47]
	ds_read2_b32 v[80:81], v82 offset1:32
	s_waitcnt lgkmcnt(0)
	v_mfma_f32_32x32x16_fp8_fp8 v[32:47], v[88:89], v[80:81], v[32:47]
	ds_read_b32 v83, v122 offset:57372
	ds_read2_b32 v[80:81], v82 offset0:128 offset1:160
	ds_write_b32 v122, v123 offset:57364
	s_waitcnt lgkmcnt(2)
	v_cmp_ne_u32_e32 vcc, v83, v103
	s_waitcnt lgkmcnt(1)
	;; [unrolled: 50-line block ×3, first 2 shown]
	v_mfma_f32_32x32x16_fp8_fp8 v[16:31], v[86:87], v[80:81], v[16:31]
	s_and_saveexec_b64 s[10:11], vcc
	s_cbranch_execz .LBB223_12
; %bb.29:                               ;   in Loop: Header=BB223_13 Depth=2
	s_mov_b64 s[12:13], 0
.LBB223_30:                             ;   Parent Loop BB223_7 Depth=1
                                        ;     Parent Loop BB223_13 Depth=2
                                        ; =>    This Inner Loop Header: Depth=3
	;;#ASMSTART
	s_sleep 0
	;;#ASMEND
	ds_read_b32 v80, v122 offset:57380
	s_waitcnt lgkmcnt(0)
	v_cmp_eq_u32_e32 vcc, v80, v103
	s_or_b64 s[12:13], vcc, s[12:13]
	s_andn2_b64 exec, exec, s[12:13]
	s_cbranch_execnz .LBB223_30
	s_branch .LBB223_12
.LBB223_31:                             ;   in Loop: Header=BB223_7 Depth=1
	s_or_b64 exec, exec, s[8:9]
.LBB223_32:                             ;   in Loop: Header=BB223_7 Depth=1
	s_or_b64 exec, exec, s[6:7]
	scratch_load_dword v107, off, off offset:40 ; 4-byte Folded Reload
	scratch_load_dword v113, off, off offset:48 ; 4-byte Folded Reload
	;; [unrolled: 1-line block ×3, first 2 shown]
	v_cmp_le_i32_e32 vcc, s70, v102
	v_writelane_b32 v127, s47, 27
	s_mul_i32 s6, s47, s25
	s_waitcnt vmcnt(3)
	v_cndmask_b32_e32 v80, 0, v120, vcc
	v_pk_mul_f32 v[64:65], v[80:81], v[64:65] op_sel_hi:[0,1]
	v_pk_mul_f32 v[78:79], v[80:81], v[78:79] op_sel_hi:[0,1]
	;; [unrolled: 1-line block ×8, first 2 shown]
	s_ashr_i32 s7, s6, 31
	s_lshl_b64 s[6:7], s[6:7], 1
	s_add_u32 s71, s20, s6
	s_addc_u32 s72, s21, s7
	s_ashr_i32 s69, s68, 31
	s_mov_b32 s82, s68
	s_lshl_b64 s[68:69], s[68:69], 1
	v_writelane_b32 v127, s82, 28
	s_add_u32 s68, s71, s68
	s_addc_u32 s69, s72, s69
	v_writelane_b32 v127, s83, 29
	v_writelane_b32 v127, s68, 30
	scratch_store_dwordx2 off, v[104:105], off offset:28 ; 8-byte Folded Spill
	v_subrev_u32_e32 v119, s98, v119
	v_writelane_b32 v127, s69, 31
	s_mov_b32 s5, 0
	scratch_load_dword v115, off, off offset:60 ; 4-byte Folded Reload
	s_waitcnt vmcnt(4)
	v_cmp_eq_u32_e64 s[64:65], 1, v107
	s_nop 1
	v_cndmask_b32_e64 v80, v64, v65, s[64:65]
	v_cmp_eq_u32_e64 s[38:39], 2, v107
	v_cmp_eq_u32_e64 s[40:41], 3, v107
	v_cmp_eq_u32_e64 s[42:43], 4, v107
	v_cndmask_b32_e64 v80, v80, v66, s[38:39]
	v_cndmask_b32_e64 v80, v80, v67, s[40:41]
	v_cndmask_b32_e64 v80, v80, v68, s[42:43]
	v_cmp_eq_u32_e64 s[44:45], 5, v107
	v_cmp_eq_u32_e64 s[46:47], 6, v107
	v_cmp_eq_u32_e64 s[48:49], 7, v107
	v_cndmask_b32_e64 v80, v80, v69, s[44:45]
	v_cndmask_b32_e64 v80, v80, v70, s[46:47]
	;; [unrolled: 6-line block ×5, first 2 shown]
	ds_bpermute_b32 v80, v118, v80
	s_waitcnt vmcnt(3)
	v_cmp_eq_u32_e64 s[72:73], 8, v113
	s_waitcnt lgkmcnt(0)
	v_cndmask_b32_e64 v79, v79, v80, s[66:67]
	v_cndmask_b32_e64 v78, v78, v80, s[62:63]
	;; [unrolled: 1-line block ×16, first 2 shown]
	scratch_load_dword v80, off, off offset:44 ; 4-byte Folded Reload
	s_waitcnt vmcnt(0)
	v_cmp_eq_u32_e32 vcc, 1, v80
	s_nop 1
	v_cndmask_b32_e32 v64, v87, v90, vcc
	v_cmp_eq_u32_e64 s[6:7], 2, v80
	v_cmp_eq_u32_e64 s[8:9], 3, v80
	v_cmp_eq_u32_e64 s[10:11], 4, v80
	v_cndmask_b32_e64 v64, v64, v66, s[6:7]
	v_cndmask_b32_e64 v64, v64, v86, s[8:9]
	v_cndmask_b32_e64 v64, v64, v85, s[10:11]
	v_cmp_eq_u32_e64 s[12:13], 5, v80
	v_cmp_eq_u32_e64 s[14:15], 6, v80
	v_cmp_eq_u32_e64 s[16:17], 7, v80
	v_cndmask_b32_e64 v64, v64, v84, s[12:13]
	v_cndmask_b32_e64 v64, v64, v83, s[14:15]
	v_cndmask_b32_e64 v64, v64, v82, s[16:17]
	;; [unrolled: 6-line block ×4, first 2 shown]
	v_cmp_eq_u32_e64 s[80:81], 14, v80
	v_cmp_eq_u32_e64 s[34:35], 15, v80
	s_nop 0
	v_cndmask_b32_e64 v64, v64, v78, s[80:81]
	v_cndmask_b32_e64 v64, v64, v79, s[34:35]
	ds_bpermute_b32 v89, v118, v64
	v_or_b32_e32 v64, 32, v102
	v_cmp_le_i32_e64 s[68:69], s70, v64
	s_waitcnt lgkmcnt(0)
	v_cndmask_b32_e64 v65, v79, v89, s[34:35]
	v_cndmask_b32_e64 v64, 0, v120, s[68:69]
	v_pk_mul_f32 v[62:63], v[64:65], v[62:63] op_sel_hi:[0,1]
	v_pk_mul_f32 v[60:61], v[64:65], v[60:61] op_sel_hi:[0,1]
	;; [unrolled: 1-line block ×8, first 2 shown]
	v_or_b32_e32 v64, 64, v102
	v_cndmask_b32_e64 v79, v66, v89, s[6:7]
	v_cmp_le_i32_e64 s[68:69], s70, v64
	v_or_b32_e32 v66, 0x60, v102
	v_cndmask_b32_e64 v67, v78, v89, s[80:81]
	v_cndmask_b32_e64 v64, 0, v120, s[68:69]
	v_cmp_le_i32_e64 s[68:69], s70, v66
	v_pk_mul_f32 v[32:33], v[64:65], v[32:33] op_sel_hi:[0,1]
	v_cndmask_b32_e64 v70, v75, v89, s[74:75]
	v_cndmask_b32_e64 v66, 0, v120, s[68:69]
	;; [unrolled: 1-line block ×7, first 2 shown]
	v_pk_mul_f32 v[34:35], v[64:65], v[34:35] op_sel_hi:[0,1]
	v_cndmask_b32_e64 v81, v48, v49, s[64:65]
	v_pk_mul_f32 v[82:83], v[66:67], v[28:29] op_sel_hi:[0,1]
	v_cndmask_b32_e64 v28, v32, v33, s[64:65]
	v_cndmask_b32_e64 v81, v81, v50, s[38:39]
	v_cndmask_b32_e64 v28, v28, v34, s[38:39]
	v_pk_mul_f32 v[36:37], v[64:65], v[36:37] op_sel_hi:[0,1]
	v_cndmask_b32_e64 v81, v81, v51, s[40:41]
	v_cndmask_b32_e64 v28, v28, v35, s[40:41]
	v_cndmask_b32_e64 v81, v81, v52, s[42:43]
	v_cndmask_b32_e64 v28, v28, v36, s[42:43]
	v_pk_mul_f32 v[38:39], v[64:65], v[38:39] op_sel_hi:[0,1]
	v_cndmask_b32_e64 v81, v81, v53, s[44:45]
	;; [unrolled: 5-line block ×5, first 2 shown]
	v_cndmask_b32_e64 v28, v28, v43, s[56:57]
	v_cmp_eq_u32_e64 s[68:69], 0, v80
	v_cndmask_b32_e64 v81, v81, v60, s[58:59]
	v_cndmask_b32_e64 v28, v28, v44, s[58:59]
	v_cndmask_b32_e64 v68, v77, v89, s[78:79]
	v_cndmask_b32_e64 v69, v76, v89, s[76:77]
	v_cndmask_b32_e64 v76, v84, v89, s[12:13]
	v_cndmask_b32_e64 v77, v85, v89, s[10:11]
	v_cndmask_b32_e64 v78, v86, v89, s[8:9]
	v_cndmask_b32_e32 v86, v90, v89, vcc
	v_cndmask_b32_e64 v87, v87, v89, s[68:69]
	v_or_b32_e32 v89, 0x80, v102
	v_pk_mul_f32 v[46:47], v[64:65], v[46:47] op_sel_hi:[0,1]
	v_cndmask_b32_e64 v81, v81, v61, s[60:61]
	v_cndmask_b32_e64 v28, v28, v45, s[60:61]
	v_cmp_le_i32_e64 s[70:71], s70, v89
	v_cndmask_b32_e64 v81, v81, v62, s[62:63]
	v_cndmask_b32_e64 v28, v28, v46, s[62:63]
	;; [unrolled: 1-line block ×4, first 2 shown]
	v_pk_mul_f32 v[16:17], v[66:67], v[16:17] op_sel_hi:[0,1]
	v_cndmask_b32_e64 v28, v28, v47, s[66:67]
	v_pk_mul_f32 v[18:19], v[66:67], v[18:19] op_sel_hi:[0,1]
	ds_bpermute_b32 v123, v118, v28
	v_cndmask_b32_e64 v28, v16, v17, s[64:65]
	v_pk_mul_f32 v[0:1], v[80:81], v[0:1] op_sel_hi:[0,1]
	v_cndmask_b32_e64 v28, v28, v18, s[38:39]
	v_pk_mul_f32 v[96:97], v[80:81], v[8:9] op_sel_hi:[0,1]
	v_pk_mul_f32 v[2:3], v[80:81], v[2:3] op_sel_hi:[0,1]
	v_cndmask_b32_e64 v9, v0, v1, s[64:65]
	v_pk_mul_f32 v[20:21], v[66:67], v[20:21] op_sel_hi:[0,1]
	v_cndmask_b32_e64 v28, v28, v19, s[40:41]
	v_cndmask_b32_e64 v9, v9, v2, s[38:39]
	v_cndmask_b32_e64 v28, v28, v20, s[42:43]
	v_pk_mul_f32 v[4:5], v[80:81], v[4:5] op_sel_hi:[0,1]
	v_cndmask_b32_e64 v9, v9, v3, s[40:41]
	v_pk_mul_f32 v[22:23], v[66:67], v[22:23] op_sel_hi:[0,1]
	v_cndmask_b32_e64 v28, v28, v21, s[44:45]
	v_cndmask_b32_e64 v9, v9, v4, s[42:43]
	v_cndmask_b32_e64 v28, v28, v22, s[46:47]
	;; [unrolled: 6-line block ×3, first 2 shown]
	v_cndmask_b32_e64 v9, v9, v111, s[48:49]
	v_pk_mul_f32 v[26:27], v[66:67], v[26:27] op_sel_hi:[0,1]
	v_cndmask_b32_e64 v28, v28, v25, s[52:53]
	v_cndmask_b32_e64 v9, v9, v96, s[50:51]
	v_cndmask_b32_e64 v28, v28, v26, s[54:55]
	v_pk_mul_f32 v[10:11], v[80:81], v[10:11] op_sel_hi:[0,1]
	v_cndmask_b32_e64 v9, v9, v97, s[52:53]
	v_cndmask_b32_e64 v28, v28, v27, s[56:57]
	;; [unrolled: 1-line block ×4, first 2 shown]
	v_pk_mul_f32 v[12:13], v[80:81], v[12:13] op_sel_hi:[0,1]
	v_cndmask_b32_e64 v9, v9, v11, s[56:57]
	v_pk_mul_f32 v[30:31], v[66:67], v[30:31] op_sel_hi:[0,1]
	v_cndmask_b32_e64 v28, v28, v83, s[60:61]
	v_cndmask_b32_e64 v9, v9, v12, s[58:59]
	;; [unrolled: 1-line block ×3, first 2 shown]
	v_pk_mul_f32 v[14:15], v[80:81], v[14:15] op_sel_hi:[0,1]
	v_cndmask_b32_e64 v9, v9, v13, s[60:61]
	v_cndmask_b32_e64 v28, v28, v31, s[66:67]
	v_cndmask_b32_e64 v9, v9, v14, s[62:63]
	ds_bpermute_b32 v122, v118, v81
	ds_bpermute_b32 v124, v118, v28
	v_cndmask_b32_e64 v9, v9, v15, s[66:67]
	ds_bpermute_b32 v125, v118, v9
	v_cmp_eq_u32_e64 s[70:71], 1, v113
	s_waitcnt lgkmcnt(2)
	v_cndmask_b32_e64 v6, v49, v122, s[64:65]
	v_cndmask_b32_e64 v7, v33, v123, s[64:65]
	;; [unrolled: 1-line block ×3, first 2 shown]
	s_waitcnt lgkmcnt(1)
	v_cndmask_b32_e64 v8, v17, v124, s[64:65]
	v_cmp_eq_u32_e64 s[64:65], 2, v113
	v_cndmask_b32_e64 v28, v63, v122, s[66:67]
	v_cndmask_b32_e64 v63, v47, v123, s[66:67]
	;; [unrolled: 1-line block ×4, first 2 shown]
	s_waitcnt lgkmcnt(0)
	v_cndmask_b32_e64 v98, v15, v125, s[66:67]
	v_cmp_eq_u32_e64 s[66:67], 3, v113
	v_cndmask_b32_e64 v29, v62, v122, s[62:63]
	v_cndmask_b32_e64 v62, v46, v123, s[62:63]
	v_cndmask_b32_e64 v9, v9, v78, s[66:67]
	v_cndmask_b32_e64 v89, v30, v124, s[62:63]
	v_cndmask_b32_e64 v99, v14, v125, s[62:63]
	v_cmp_eq_u32_e64 s[62:63], 4, v113
	v_cndmask_b32_e64 v30, v61, v122, s[60:61]
	v_cndmask_b32_e64 v61, v45, v123, s[60:61]
	v_cndmask_b32_e64 v9, v9, v77, s[62:63]
	v_cndmask_b32_e64 v90, v83, v124, s[60:61]
	;; [unrolled: 6-line block ×5, first 2 shown]
	v_cndmask_b32_e64 v93, v25, v124, s[52:53]
	v_cndmask_b32_e64 v105, v97, v125, s[52:53]
	v_cmp_eq_u32_e64 s[52:53], 9, v113
	v_cndmask_b32_e64 v46, v56, v122, s[50:51]
	v_cndmask_b32_e64 v81, v40, v123, s[50:51]
	v_cndmask_b32_e64 v9, v9, v72, s[52:53]
	v_cndmask_b32_e64 v94, v24, v124, s[50:51]
	v_cndmask_b32_e64 v106, v96, v125, s[50:51]
	v_cmp_eq_u32_e64 s[50:51], 10, v113
	v_cndmask_b32_e64 v44, v58, v122, s[54:55]
	v_cndmask_b32_e64 v64, v42, v123, s[54:55]
	v_cndmask_b32_e64 v92, v26, v124, s[54:55]
	;; [unrolled: 6-line block ×5, first 2 shown]
	v_cndmask_b32_e64 v84, v36, v123, s[42:43]
	v_cndmask_b32_e64 v97, v20, v124, s[42:43]
	;; [unrolled: 1-line block ×3, first 2 shown]
	v_cmp_eq_u32_e64 s[42:43], 14, v113
	v_cndmask_b32_e64 v36, v51, v122, s[40:41]
	v_cndmask_b32_e64 v37, v35, v123, s[40:41]
	;; [unrolled: 1-line block ×5, first 2 shown]
	v_cmp_eq_u32_e64 s[40:41], 15, v113
	v_cndmask_b32_e64 v18, v18, v124, s[38:39]
	v_cndmask_b32_e64 v2, v2, v125, s[38:39]
	;; [unrolled: 1-line block ×3, first 2 shown]
	ds_bpermute_b32 v23, v118, v3
	v_cndmask_b32_e64 v96, v22, v124, s[46:47]
	v_cndmask_b32_e64 v49, v54, v122, s[46:47]
	;; [unrolled: 1-line block ×4, first 2 shown]
	s_waitcnt lgkmcnt(0)
	v_cndmask_b32_e64 v5, v68, v23, s[44:45]
	v_cndmask_b32_e64 v9, v69, v23, s[48:49]
	;; [unrolled: 1-line block ×4, first 2 shown]
	v_cmp_ne_u32_e64 s[38:39], 0, v107
	scratch_load_dword v107, off, off offset:52 ; 4-byte Folded Reload
	v_cndmask_b32_e64 v10, v70, v23, s[54:55]
	v_cndmask_b32_e64 v70, v1, v125, s[38:39]
	v_cmp_eq_u32_e64 s[38:39], 0, v113
	v_cndmask_b32_e64 v3, v65, v23, s[40:41]
	v_cndmask_b32_e64 v4, v67, v23, s[42:43]
	;; [unrolled: 1-line block ×15, first 2 shown]
	v_cndmask_b32_e32 v0, v23, v6, vcc
	v_cndmask_b32_e64 v0, v0, v68, s[6:7]
	v_cndmask_b32_e64 v0, v0, v36, s[8:9]
	;; [unrolled: 1-line block ×14, first 2 shown]
	ds_bpermute_b32 v122, v118, v0
	v_cndmask_b32_e32 v0, v38, v7, vcc
	v_cndmask_b32_e64 v0, v0, v69, s[6:7]
	v_cndmask_b32_e64 v0, v0, v37, s[8:9]
	;; [unrolled: 1-line block ×15, first 2 shown]
	ds_bpermute_b32 v123, v118, v0
	v_cndmask_b32_e32 v0, v54, v8, vcc
	v_cndmask_b32_e64 v0, v0, v18, s[6:7]
	v_cndmask_b32_e64 v0, v0, v52, s[8:9]
	;; [unrolled: 1-line block ×14, first 2 shown]
	ds_bpermute_b32 v124, v118, v0
	v_cndmask_b32_e32 v0, v71, v70, vcc
	v_cndmask_b32_e64 v0, v0, v2, s[6:7]
	v_cndmask_b32_e64 v0, v0, v53, s[8:9]
	;; [unrolled: 1-line block ×14, first 2 shown]
	ds_bpermute_b32 v125, v118, v0
	s_waitcnt lgkmcnt(2)
	v_cndmask_b32_e64 v48, v83, v123, s[14:15]
	scratch_load_dword v83, off, off offset:56 ; 4-byte Folded Reload
	s_waitcnt vmcnt(1)
	v_cmp_eq_u32_e64 s[36:37], 1, v107
	v_cndmask_b32_e64 v24, v28, v122, s[34:35]
	v_cndmask_b32_e64 v39, v63, v123, s[34:35]
	;; [unrolled: 1-line block ×3, first 2 shown]
	s_waitcnt lgkmcnt(1)
	v_cndmask_b32_e64 v55, v85, v124, s[34:35]
	s_waitcnt lgkmcnt(0)
	v_cndmask_b32_e64 v72, v98, v125, s[34:35]
	v_cmp_eq_u32_e64 s[34:35], 2, v107
	v_cmp_eq_u32_e64 s[88:89], 3, v107
	;; [unrolled: 1-line block ×3, first 2 shown]
	v_cndmask_b32_e64 v0, v0, v21, s[34:35]
	v_cndmask_b32_e64 v0, v0, v20, s[88:89]
	;; [unrolled: 1-line block ×3, first 2 shown]
	v_cmp_eq_u32_e64 s[94:95], 5, v107
	v_cmp_eq_u32_e64 s[96:97], 6, v107
	v_cndmask_b32_e64 v25, v29, v122, s[80:81]
	v_cndmask_b32_e64 v0, v0, v17, s[94:95]
	;; [unrolled: 1-line block ×8, first 2 shown]
	v_cmp_eq_u32_e64 s[22:23], 7, v107
	v_cndmask_b32_e64 v28, v33, v122, s[74:75]
	v_cndmask_b32_e64 v43, v43, v123, s[74:75]
	;; [unrolled: 1-line block ×5, first 2 shown]
	v_cmp_eq_u32_e64 s[74:75], 8, v107
	v_cndmask_b32_e64 v40, v62, v123, s[80:81]
	v_cndmask_b32_e64 v27, v31, v122, s[76:77]
	;; [unrolled: 1-line block ×7, first 2 shown]
	v_cmp_eq_u32_e64 s[18:19], 9, v107
	v_cndmask_b32_e64 v32, v47, v122, s[16:17]
	v_cndmask_b32_e64 v47, v82, v123, s[16:17]
	;; [unrolled: 1-line block ×5, first 2 shown]
	v_cmp_eq_u32_e64 s[16:17], 10, v107
	v_cndmask_b32_e64 v33, v49, v122, s[14:15]
	v_cndmask_b32_e64 v64, v96, v124, s[14:15]
	;; [unrolled: 1-line block ×4, first 2 shown]
	v_cmp_eq_u32_e64 s[14:15], 11, v107
	v_cndmask_b32_e64 v56, v89, v124, s[80:81]
	v_cndmask_b32_e64 v34, v111, v122, s[12:13]
	;; [unrolled: 1-line block ×6, first 2 shown]
	v_cmp_eq_u32_e64 s[12:13], 12, v107
	v_cmp_eq_u32_e64 s[84:85], 13, v107
	v_cndmask_b32_e64 v57, v90, v124, s[78:79]
	v_cndmask_b32_e64 v0, v0, v9, s[12:13]
	;; [unrolled: 1-line block ×7, first 2 shown]
	v_cmp_eq_u32_e64 s[10:11], 14, v107
	v_cndmask_b32_e64 v58, v91, v124, s[76:77]
	v_cndmask_b32_e64 v36, v36, v122, s[8:9]
	;; [unrolled: 1-line block ×6, first 2 shown]
	v_cmp_eq_u32_e64 s[8:9], 15, v107
	v_cndmask_b32_e64 v26, v30, v122, s[78:79]
	v_cndmask_b32_e64 v30, v45, v122, s[20:21]
	;; [unrolled: 1-line block ×4, first 2 shown]
	ds_bpermute_b32 v80, v118, v0
	v_cndmask_b32_e64 v92, v2, v125, s[6:7]
	v_cndmask_b32_e64 v37, v68, v122, s[6:7]
	v_cndmask_b32_e32 v53, v7, v123, vcc
	v_cndmask_b32_e64 v38, v38, v123, s[68:69]
	s_waitcnt lgkmcnt(0)
	v_cndmask_b32_e64 v2, v4, v80, s[10:11]
	v_cndmask_b32_e64 v4, v9, v80, s[12:13]
	;; [unrolled: 1-line block ×7, first 2 shown]
	v_cndmask_b32_e32 v19, v6, v122, vcc
	v_cndmask_b32_e64 v20, v23, v122, s[68:69]
	v_cndmask_b32_e64 v6, v20, v19, s[70:71]
	;; [unrolled: 1-line block ×19, first 2 shown]
	v_cndmask_b32_e32 v93, v70, v125, vcc
	v_cndmask_b32_e64 v70, v54, v124, s[68:69]
	ds_bpermute_b32 v54, v118, v6
	v_cndmask_b32_e64 v6, v38, v53, s[70:71]
	v_cndmask_b32_e64 v6, v6, v52, s[64:65]
	;; [unrolled: 1-line block ×15, first 2 shown]
	v_cndmask_b32_e32 v69, v8, v124, vcc
	v_cmp_eq_u32_e64 s[6:7], 0, v107
	v_cndmask_b32_e64 v6, v6, v39, s[40:41]
	v_cndmask_b32_e64 v0, v3, v80, s[8:9]
	;; [unrolled: 1-line block ×10, first 2 shown]
	ds_bpermute_b32 v80, v118, v6
	v_cndmask_b32_e64 v6, v70, v69, s[70:71]
	v_cndmask_b32_e64 v6, v6, v68, s[64:65]
	;; [unrolled: 1-line block ×16, first 2 shown]
	ds_bpermute_b32 v81, v118, v6
	v_cndmask_b32_e64 v6, v94, v93, s[70:71]
	v_cndmask_b32_e64 v6, v6, v92, s[64:65]
	;; [unrolled: 1-line block ×19, first 2 shown]
	ds_bpermute_b32 v82, v118, v6
	s_waitcnt vmcnt(0)
	v_cmp_eq_u32_e64 s[20:21], 1, v83
	v_cmp_eq_u32_e64 s[46:47], 2, v83
	s_waitcnt lgkmcnt(3)
	v_cndmask_b32_e64 v22, v25, v54, s[42:43]
	v_cndmask_b32_e64 v6, v1, v18, s[20:21]
	s_waitcnt lgkmcnt(0)
	v_cndmask_b32_e64 v95, v72, v82, s[40:41]
	v_cndmask_b32_e64 v6, v6, v17, s[46:47]
	;; [unrolled: 1-line block ×5, first 2 shown]
	v_cmp_eq_u32_e64 s[42:43], 3, v83
	v_cndmask_b32_e64 v21, v24, v54, s[40:41]
	v_cndmask_b32_e64 v39, v39, v80, s[40:41]
	;; [unrolled: 1-line block ×4, first 2 shown]
	v_cmp_eq_u32_e64 s[40:41], 4, v83
	v_cndmask_b32_e64 v97, v74, v82, s[44:45]
	v_cndmask_b32_e64 v24, v27, v54, s[48:49]
	;; [unrolled: 1-line block ×6, first 2 shown]
	v_cmp_eq_u32_e64 s[48:49], 5, v83
	v_cndmask_b32_e64 v25, v28, v54, s[54:55]
	v_cndmask_b32_e64 v43, v43, v80, s[54:55]
	;; [unrolled: 1-line block ×5, first 2 shown]
	v_cmp_eq_u32_e64 s[54:55], 6, v83
	v_cmp_eq_u32_e64 s[68:69], 7, v83
	;; [unrolled: 1-line block ×3, first 2 shown]
	v_cndmask_b32_e64 v6, v6, v13, s[54:55]
	v_cndmask_b32_e64 v6, v6, v12, s[68:69]
	;; [unrolled: 1-line block ×8, first 2 shown]
	v_cmp_eq_u32_e64 s[72:73], 9, v83
	v_cmp_eq_u32_e64 s[78:79], 10, v83
	;; [unrolled: 1-line block ×3, first 2 shown]
	v_cndmask_b32_e64 v6, v6, v10, s[72:73]
	v_cndmask_b32_e64 v6, v6, v9, s[78:79]
	;; [unrolled: 1-line block ×3, first 2 shown]
	v_cmp_eq_u32_e64 s[82:83], 12, v83
	v_cndmask_b32_e64 v23, v26, v54, s[44:45]
	v_cndmask_b32_e64 v26, v29, v54, s[50:51]
	;; [unrolled: 1-line block ×8, first 2 shown]
	v_cmp_eq_u32_e64 s[62:63], 13, v83
	v_cmp_eq_u32_e64 s[86:87], 14, v83
	v_cmp_eq_u32_e64 s[90:91], 15, v83
	v_cndmask_b32_e64 v6, v6, v3, s[62:63]
	v_cndmask_b32_e64 v6, v6, v2, s[86:87]
	;; [unrolled: 1-line block ×6, first 2 shown]
	ds_bpermute_b32 v36, v118, v6
	v_cndmask_b32_e64 v35, v19, v54, s[70:71]
	v_cndmask_b32_e64 v20, v20, v54, s[38:39]
	;; [unrolled: 1-line block ×4, first 2 shown]
	s_waitcnt lgkmcnt(0)
	v_cndmask_b32_e64 v7, v10, v36, s[72:73]
	v_cndmask_b32_e64 v10, v13, v36, s[54:55]
	;; [unrolled: 1-line block ×21, first 2 shown]
	ds_bpermute_b32 v112, v118, v16
	v_cndmask_b32_e64 v16, v54, v53, s[36:37]
	v_cndmask_b32_e64 v51, v51, v80, s[66:67]
	;; [unrolled: 1-line block ×25, first 2 shown]
	ds_bpermute_b32 v113, v118, v16
	v_cndmask_b32_e64 v16, v70, v69, s[36:37]
	v_cndmask_b32_e64 v67, v67, v81, s[66:67]
	;; [unrolled: 1-line block ×26, first 2 shown]
	ds_bpermute_b32 v114, v118, v16
	v_cndmask_b32_e64 v16, v126, v125, s[36:37]
	v_cndmask_b32_e64 v123, v91, v82, s[66:67]
	;; [unrolled: 1-line block ×19, first 2 shown]
	ds_bpermute_b32 v107, v118, v16
	v_cmp_eq_u32_e64 s[50:51], 0, v83
	v_cndmask_b32_e64 v6, v9, v36, s[78:79]
	v_cndmask_b32_e64 v9, v12, v36, s[68:69]
	;; [unrolled: 1-line block ×5, first 2 shown]
	v_cmp_eq_u32_e32 vcc, 1, v115
	v_cndmask_b32_e64 v8, v11, v36, s[76:77]
	v_cndmask_b32_e64 v11, v14, v36, s[48:49]
	;; [unrolled: 1-line block ×3, first 2 shown]
	v_cndmask_b32_e32 v16, v1, v15, vcc
	s_waitcnt lgkmcnt(3)
	v_cndmask_b32_e64 v21, v21, v112, s[8:9]
	s_waitcnt lgkmcnt(2)
	v_cndmask_b32_e64 v55, v39, v113, s[8:9]
	;; [unrolled: 2-line block ×4, first 2 shown]
	v_cmp_eq_u32_e64 s[8:9], 2, v115
	v_cndmask_b32_e64 v0, v0, v36, s[90:91]
	v_cndmask_b32_e64 v2, v2, v36, s[86:87]
	;; [unrolled: 1-line block ×10, first 2 shown]
	v_cmp_eq_u32_e64 s[10:11], 3, v115
	v_cmp_eq_u32_e64 s[44:45], 4, v115
	;; [unrolled: 1-line block ×3, first 2 shown]
	v_cndmask_b32_e64 v16, v16, v13, s[10:11]
	v_cndmask_b32_e64 v16, v16, v12, s[44:45]
	;; [unrolled: 1-line block ×3, first 2 shown]
	v_cmp_eq_u32_e64 s[56:57], 6, v115
	v_cmp_eq_u32_e64 s[58:59], 7, v115
	;; [unrolled: 1-line block ×3, first 2 shown]
	v_cndmask_b32_e64 v16, v16, v10, s[56:57]
	v_cndmask_b32_e64 v16, v16, v9, s[58:59]
	;; [unrolled: 1-line block ×3, first 2 shown]
	v_cmp_eq_u32_e64 s[64:65], 9, v115
	v_cmp_eq_u32_e64 s[70:71], 10, v115
	v_cndmask_b32_e64 v28, v28, v112, s[74:75]
	v_cndmask_b32_e64 v16, v16, v7, s[64:65]
	;; [unrolled: 1-line block ×6, first 2 shown]
	v_cmp_eq_u32_e64 s[74:75], 11, v115
	v_cmp_eq_u32_e64 s[66:67], 12, v115
	v_cndmask_b32_e64 v37, v23, v112, s[84:85]
	v_cndmask_b32_e64 v16, v16, v5, s[74:75]
	;; [unrolled: 1-line block ×6, first 2 shown]
	v_cmp_eq_u32_e64 s[84:85], 13, v115
	v_cndmask_b32_e64 v33, v33, v112, s[88:89]
	v_cndmask_b32_e64 v51, v51, v113, s[88:89]
	;; [unrolled: 1-line block ×5, first 2 shown]
	v_cmp_eq_u32_e64 s[88:89], 14, v115
	v_cndmask_b32_e64 v32, v32, v112, s[92:93]
	v_cndmask_b32_e64 v50, v50, v113, s[92:93]
	;; [unrolled: 1-line block ×5, first 2 shown]
	v_cmp_eq_u32_e64 s[92:93], 15, v115
	v_cndmask_b32_e64 v41, v27, v112, s[18:19]
	v_cndmask_b32_e64 v58, v42, v113, s[12:13]
	;; [unrolled: 1-line block ×3, first 2 shown]
	ds_bpermute_b32 v27, v118, v16
	v_cndmask_b32_e64 v31, v31, v112, s[94:95]
	v_cndmask_b32_e64 v49, v49, v113, s[94:95]
	;; [unrolled: 1-line block ×5, first 2 shown]
	v_cmp_eq_u32_e64 s[94:95], 0, v115
	v_cndmask_b32_e64 v42, v20, v112, s[6:7]
	v_cndmask_b32_e64 v38, v24, v112, s[12:13]
	;; [unrolled: 1-line block ×5, first 2 shown]
	s_waitcnt lgkmcnt(0)
	v_cndmask_b32_e64 v0, v0, v27, s[92:93]
	v_cndmask_b32_e64 v2, v2, v27, s[88:89]
	;; [unrolled: 1-line block ×14, first 2 shown]
	v_cndmask_b32_e32 v15, v15, v27, vcc
	v_cndmask_b32_e64 v27, v1, v27, s[94:95]
	v_cndmask_b32_e64 v1, v42, v35, s[20:21]
	;; [unrolled: 1-line block ×31, first 2 shown]
	ds_bpermute_b32 v107, v118, v1
	v_cndmask_b32_e64 v1, v65, v64, s[20:21]
	v_cndmask_b32_e64 v1, v1, v52, s[46:47]
	v_cndmask_b32_e64 v1, v1, v51, s[42:43]
	v_cndmask_b32_e64 v1, v1, v50, s[40:41]
	v_cndmask_b32_e64 v48, v48, v113, s[96:97]
	v_cndmask_b32_e64 v1, v1, v49, s[48:49]
	v_cndmask_b32_e64 v63, v47, v113, s[22:23]
	v_cndmask_b32_e64 v1, v1, v48, s[54:55]
	v_cndmask_b32_e64 v1, v1, v63, s[68:69]
	v_cndmask_b32_e64 v61, v45, v113, s[18:19]
	v_cndmask_b32_e64 v1, v1, v62, s[76:77]
	v_cndmask_b32_e64 v60, v44, v113, s[16:17]
	v_cndmask_b32_e64 v1, v1, v61, s[72:73]
	v_cndmask_b32_e64 v59, v43, v113, s[14:15]
	v_cndmask_b32_e64 v1, v1, v60, s[78:79]
	v_cndmask_b32_e64 v1, v1, v59, s[80:81]
	v_cndmask_b32_e64 v1, v1, v58, s[82:83]
	v_cndmask_b32_e64 v1, v1, v57, s[62:63]
	v_cndmask_b32_e64 v1, v1, v56, s[86:87]
	v_cndmask_b32_e64 v95, v69, v114, s[36:37]
	v_cndmask_b32_e64 v96, v70, v114, s[6:7]
	v_cndmask_b32_e64 v1, v1, v55, s[90:91]
	v_cndmask_b32_e64 v94, v68, v114, s[34:35]
	ds_bpermute_b32 v113, v118, v1
	v_cndmask_b32_e64 v1, v96, v95, s[20:21]
	v_cndmask_b32_e64 v1, v1, v94, s[46:47]
	;; [unrolled: 1-line block ×20, first 2 shown]
	ds_bpermute_b32 v114, v118, v1
	v_cndmask_b32_e64 v1, v126, v125, s[20:21]
	v_cndmask_b32_e64 v1, v1, v111, s[46:47]
	;; [unrolled: 1-line block ×14, first 2 shown]
	v_cmp_eq_u32_e64 s[6:7], 1, v117
	v_cndmask_b32_e64 v1, v1, v84, s[90:91]
	ds_bpermute_b32 v115, v118, v1
	v_cndmask_b32_e64 v1, v27, v15, s[6:7]
	v_cmp_eq_u32_e64 s[12:13], 2, v117
	v_cmp_eq_u32_e64 s[14:15], 3, v117
	;; [unrolled: 1-line block ×3, first 2 shown]
	v_cndmask_b32_e64 v1, v1, v14, s[12:13]
	v_cndmask_b32_e64 v1, v1, v13, s[14:15]
	;; [unrolled: 1-line block ×3, first 2 shown]
	v_cmp_eq_u32_e64 s[18:19], 5, v117
	v_cmp_eq_u32_e64 s[22:23], 6, v117
	s_waitcnt lgkmcnt(3)
	v_cndmask_b32_e64 v53, v40, v107, s[78:79]
	v_cndmask_b32_e64 v1, v1, v26, s[18:19]
	;; [unrolled: 1-line block ×3, first 2 shown]
	s_waitcnt lgkmcnt(2)
	v_cndmask_b32_e64 v78, v60, v113, s[78:79]
	s_waitcnt lgkmcnt(1)
	v_cndmask_b32_e64 v120, v76, v114, s[78:79]
	;; [unrolled: 2-line block ×3, first 2 shown]
	v_cmp_eq_u32_e64 s[78:79], 7, v117
	v_cndmask_b32_e64 v54, v41, v107, s[72:73]
	v_cndmask_b32_e64 v61, v61, v113, s[72:73]
	;; [unrolled: 1-line block ×5, first 2 shown]
	v_cmp_eq_u32_e64 s[72:73], 8, v117
	v_cndmask_b32_e64 v66, v55, v113, s[90:91]
	v_cndmask_b32_e64 v55, v28, v107, s[76:77]
	;; [unrolled: 1-line block ×6, first 2 shown]
	v_cmp_eq_u32_e64 s[76:77], 9, v117
	v_cmp_eq_u32_e64 s[34:35], 10, v117
	;; [unrolled: 1-line block ×3, first 2 shown]
	v_cndmask_b32_e64 v1, v1, v22, s[76:77]
	v_cndmask_b32_e64 v1, v1, v19, s[34:35]
	v_cndmask_b32_e64 v1, v1, v18, s[36:37]
	v_cmp_eq_u32_e64 s[38:39], 12, v117
	v_cndmask_b32_e64 v97, v71, v114, s[90:91]
	v_cndmask_b32_e64 v98, v72, v114, s[86:87]
	v_cndmask_b32_e64 v87, v63, v113, s[68:69]
	v_cndmask_b32_e64 v1, v1, v17, s[38:39]
	v_cndmask_b32_e64 v112, v32, v107, s[40:41]
	v_cndmask_b32_e64 v63, v50, v113, s[40:41]
	v_cndmask_b32_e64 v71, v92, v114, s[40:41]
	v_cndmask_b32_e64 v72, v109, v115, s[40:41]
	v_cmp_eq_u32_e64 s[40:41], 13, v117
	v_cndmask_b32_e64 v68, v57, v113, s[62:63]
	v_cndmask_b32_e64 v100, v74, v114, s[82:83]
	v_cndmask_b32_e64 v57, v30, v107, s[54:55]
	v_cndmask_b32_e64 v1, v1, v16, s[40:41]
	v_cndmask_b32_e64 v74, v33, v107, s[42:43]
	v_cndmask_b32_e64 v60, v51, v113, s[42:43]
	v_cndmask_b32_e64 v30, v93, v114, s[42:43]
	v_cndmask_b32_e64 v6, v110, v115, s[42:43]
	v_cmp_eq_u32_e64 s[42:43], 14, v117
	v_cndmask_b32_e64 v3, v34, v107, s[46:47]
	v_cndmask_b32_e64 v4, v52, v113, s[46:47]
	v_cndmask_b32_e64 v1, v1, v2, s[42:43]
	v_cndmask_b32_e64 v5, v94, v114, s[46:47]
	v_cndmask_b32_e64 v7, v111, v115, s[46:47]
	v_cmp_eq_u32_e64 s[46:47], 15, v117
	v_cndmask_b32_e64 v43, v21, v107, s[90:91]
	v_cndmask_b32_e64 v67, v56, v113, s[86:87]
	;; [unrolled: 1-line block ×3, first 2 shown]
	ds_bpermute_b32 v28, v118, v1
	v_cndmask_b32_e64 v56, v29, v107, s[68:69]
	v_cndmask_b32_e64 v69, v58, v113, s[82:83]
	;; [unrolled: 1-line block ×4, first 2 shown]
	s_waitcnt lgkmcnt(0)
	v_cndmask_b32_e64 v11, v17, v28, s[38:39]
	v_cndmask_b32_e64 v17, v14, v28, s[12:13]
	v_cndmask_b32_e64 v14, v95, v114, s[20:21]
	scratch_load_dword v95, off, off offset:68 ; 4-byte Folded Reload
	v_cndmask_b32_e64 v9, v2, v28, s[42:43]
	v_cndmask_b32_e64 v20, v18, v28, s[36:37]
	v_cndmask_b32_e64 v1, v12, v28, s[16:17]
	v_cndmask_b32_e64 v2, v13, v28, s[14:15]
	v_cndmask_b32_e64 v18, v15, v28, s[6:7]
	v_cndmask_b32_e64 v12, v35, v107, s[20:21]
	v_cndmask_b32_e64 v13, v64, v113, s[20:21]
	v_cndmask_b32_e64 v15, v125, v115, s[20:21]
	v_cmp_eq_u32_e64 s[20:21], 0, v117
	v_cndmask_b32_e64 v8, v0, v28, s[46:47]
	v_cndmask_b32_e64 v10, v16, v28, s[40:41]
	;; [unrolled: 1-line block ×10, first 2 shown]
	v_cndmask_b32_e32 v29, v28, v12, vcc
	v_cndmask_b32_e64 v29, v29, v3, s[8:9]
	v_cndmask_b32_e64 v29, v29, v74, s[10:11]
	;; [unrolled: 1-line block ×19, first 2 shown]
	ds_bpermute_b32 v42, v118, v29
	v_cndmask_b32_e32 v29, v16, v13, vcc
	v_cndmask_b32_e32 v32, v27, v15, vcc
	v_cndmask_b32_e64 v29, v29, v4, s[8:9]
	v_cndmask_b32_e64 v32, v32, v7, s[8:9]
	;; [unrolled: 1-line block ×13, first 2 shown]
	v_cndmask_b32_e32 v31, v19, v14, vcc
	v_cndmask_b32_e64 v32, v32, v108, s[52:53]
	v_cndmask_b32_e64 v105, v105, v115, s[68:69]
	;; [unrolled: 1-line block ×42, first 2 shown]
	ds_bpermute_b32 v29, v118, v29
	v_cndmask_b32_e64 v31, v31, v100, s[66:67]
	ds_bpermute_b32 v40, v118, v32
	v_cndmask_b32_e64 v31, v31, v99, s[84:85]
	v_cndmask_b32_e64 v31, v31, v98, s[88:89]
	;; [unrolled: 1-line block ×3, first 2 shown]
	ds_bpermute_b32 v31, v118, v31
	s_waitcnt lgkmcnt(2)
	v_cndmask_b32_e64 v37, v67, v29, s[88:89]
	v_cndmask_b32_e64 v38, v68, v29, s[84:85]
	s_waitcnt lgkmcnt(1)
	v_cndmask_b32_e64 v67, v104, v40, s[60:61]
	v_cndmask_b32_e64 v68, v105, v40, s[58:59]
	scratch_load_dwordx2 v[104:105], off, off offset:28 ; 8-byte Folded Reload
	s_waitcnt vmcnt(1)
	v_cmp_eq_u32_e64 s[48:49], 1, v95
	v_cmp_eq_u32_e64 s[50:51], 2, v95
	;; [unrolled: 1-line block ×3, first 2 shown]
	v_cndmask_b32_e64 v33, v0, v18, s[48:49]
	v_cndmask_b32_e64 v34, v33, v17, s[50:51]
	;; [unrolled: 1-line block ×3, first 2 shown]
	v_cmp_eq_u32_e64 s[62:63], 4, v95
	v_cndmask_b32_e64 v75, v46, v42, s[66:67]
	v_cndmask_b32_e64 v39, v69, v29, s[66:67]
	;; [unrolled: 1-line block ×3, first 2 shown]
	s_waitcnt lgkmcnt(0)
	v_cndmask_b32_e64 v35, v100, v31, s[66:67]
	v_cndmask_b32_e64 v51, v81, v40, s[66:67]
	v_cmp_eq_u32_e64 s[66:67], 5, v95
	v_cndmask_b32_e64 v59, v43, v42, s[92:93]
	v_cmp_eq_u32_e64 s[68:69], 6, v95
	v_cndmask_b32_e64 v43, v41, v26, s[66:67]
	v_cndmask_b32_e64 v62, v44, v42, s[88:89]
	;; [unrolled: 1-line block ×7, first 2 shown]
	v_cmp_eq_u32_e64 s[70:71], 7, v95
	v_cndmask_b32_e64 v36, v66, v29, s[92:93]
	v_cndmask_b32_e64 v73, v45, v42, s[84:85]
	;; [unrolled: 1-line block ×7, first 2 shown]
	v_cmp_eq_u32_e64 s[64:65], 8, v95
	v_cndmask_b32_e64 v79, v55, v42, s[60:61]
	v_cndmask_b32_e64 v55, v122, v31, s[60:61]
	v_cndmask_b32_e64 v46, v45, v23, s[64:65]
	v_cndmask_b32_e64 v45, v86, v29, s[60:61]
	v_cmp_eq_u32_e64 s[60:61], 9, v95
	v_cndmask_b32_e64 v76, v47, v42, s[74:75]
	v_cndmask_b32_e64 v86, v56, v42, s[58:59]
	v_cndmask_b32_e64 v47, v46, v22, s[60:61]
	v_cndmask_b32_e64 v46, v87, v29, s[58:59]
	v_cndmask_b32_e64 v56, v123, v31, s[58:59]
	v_cmp_eq_u32_e64 s[58:59], 10, v95
	v_cndmask_b32_e64 v87, v57, v42, s[56:57]
	;; [unrolled: 6-line block ×3, first 2 shown]
	v_cndmask_b32_e64 v41, v70, v29, s[74:75]
	v_cndmask_b32_e64 v81, v61, v20, s[56:57]
	v_cndmask_b32_e64 v80, v58, v42, s[52:53]
	v_cndmask_b32_e64 v61, v90, v29, s[52:53]
	v_cndmask_b32_e64 v58, v91, v31, s[52:53]
	v_cndmask_b32_e64 v70, v108, v40, s[52:53]
	v_cmp_eq_u32_e64 s[52:53], 12, v95
	v_cndmask_b32_e64 v64, v82, v40, s[74:75]
	v_cndmask_b32_e64 v82, v112, v42, s[44:45]
	v_cndmask_b32_e64 v83, v81, v11, s[52:53]
	v_cndmask_b32_e64 v81, v63, v29, s[44:45]
	v_cndmask_b32_e64 v63, v71, v31, s[44:45]
	v_cndmask_b32_e64 v71, v72, v40, s[44:45]
	v_cmp_eq_u32_e64 s[44:45], 13, v95
	;; [unrolled: 7-line block ×4, first 2 shown]
	v_cndmask_b32_e32 v91, v12, v42, vcc
	v_cndmask_b32_e32 v92, v13, v29, vcc
	v_cndmask_b32_e64 v3, v6, v8, s[8:9]
	ds_bpermute_b32 v90, v118, v3
	v_cndmask_b32_e32 v94, v15, v40, vcc
	v_cndmask_b32_e32 v93, v14, v31, vcc
	v_cndmask_b32_e64 v16, v16, v29, s[94:95]
	v_cndmask_b32_e64 v32, v97, v31, s[92:93]
	s_waitcnt lgkmcnt(0)
	v_cndmask_b32_e64 v12, v11, v90, s[52:53]
	v_cndmask_b32_e64 v11, v20, v90, s[56:57]
	;; [unrolled: 1-line block ×20, first 2 shown]
	ds_bpermute_b32 v21, v118, v3
	v_cndmask_b32_e64 v3, v2, v90, s[54:55]
	v_cndmask_b32_e64 v2, v17, v90, s[50:51]
	;; [unrolled: 1-line block ×4, first 2 shown]
	s_waitcnt lgkmcnt(0)
	v_cndmask_b32_e64 v17, v59, v21, s[46:47]
	v_cndmask_b32_e64 v42, v78, v21, s[76:77]
	;; [unrolled: 1-line block ×37, first 2 shown]
	ds_bpermute_b32 v80, v118, v20
	v_cndmask_b32_e64 v33, v98, v31, s[88:89]
	v_cndmask_b32_e64 v34, v99, v31, s[84:85]
	;; [unrolled: 1-line block ×4, first 2 shown]
	s_waitcnt lgkmcnt(0)
	v_cndmask_b32_e64 v31, v17, v80, s[8:9]
	v_cndmask_b32_e64 v17, v16, v92, s[6:7]
	v_cndmask_b32_e64 v17, v17, v83, s[12:13]
	v_cndmask_b32_e64 v17, v17, v60, s[14:15]
	v_cndmask_b32_e64 v17, v17, v81, s[16:17]
	v_cndmask_b32_e64 v17, v17, v61, s[18:19]
	v_cndmask_b32_e64 v17, v17, v47, s[22:23]
	v_cndmask_b32_e64 v17, v17, v46, s[78:79]
	v_cndmask_b32_e64 v17, v17, v45, s[72:73]
	v_cndmask_b32_e64 v17, v17, v44, s[76:77]
	v_cndmask_b32_e64 v17, v17, v43, s[34:35]
	v_cndmask_b32_e64 v17, v17, v41, s[36:37]
	v_cndmask_b32_e64 v17, v17, v39, s[38:39]
	v_cndmask_b32_e64 v17, v17, v38, s[40:41]
	v_cndmask_b32_e64 v17, v17, v37, s[42:43]
	v_cndmask_b32_e64 v17, v17, v36, s[46:47]
	ds_bpermute_b32 v17, v118, v17
	v_cndmask_b32_e64 v20, v76, v80, s[62:63]
	v_cndmask_b32_e64 v21, v75, v80, s[66:67]
	;; [unrolled: 1-line block ×4, first 2 shown]
	s_waitcnt lgkmcnt(0)
	v_cndmask_b32_e64 v76, v81, v17, s[16:17]
	v_cndmask_b32_e64 v81, v83, v17, s[12:13]
	v_cndmask_b32_e64 v83, v92, v17, s[6:7]
	v_cndmask_b32_e64 v87, v16, v17, s[20:21]
	v_cndmask_b32_e64 v16, v87, v83, s[48:49]
	v_cndmask_b32_e64 v60, v60, v17, s[14:15]
	v_cndmask_b32_e64 v16, v16, v81, s[50:51]
	v_cndmask_b32_e64 v16, v16, v60, s[54:55]
	v_cndmask_b32_e64 v61, v61, v17, s[18:19]
	v_cndmask_b32_e64 v16, v16, v76, s[62:63]
	v_cndmask_b32_e64 v75, v47, v17, s[22:23]
	v_cndmask_b32_e64 v16, v16, v61, s[66:67]
	v_cndmask_b32_e64 v73, v46, v17, s[78:79]
	v_cndmask_b32_e64 v16, v16, v75, s[68:69]
	v_cndmask_b32_e64 v28, v23, v80, s[52:53]
	v_cndmask_b32_e64 v23, v62, v80, s[70:71]
	v_cndmask_b32_e64 v62, v45, v17, s[72:73]
	v_cndmask_b32_e64 v16, v16, v73, s[70:71]
	v_cndmask_b32_e64 v86, v27, v40, s[94:95]
	v_cndmask_b32_e64 v27, v24, v80, s[56:57]
	v_cndmask_b32_e64 v24, v59, v80, s[64:65]
	v_cndmask_b32_e64 v59, v44, v17, s[76:77]
	v_cndmask_b32_e64 v16, v16, v62, s[64:65]
	v_cndmask_b32_e64 v40, v41, v17, s[36:37]
	v_cndmask_b32_e64 v41, v43, v17, s[34:35]
	v_cndmask_b32_e64 v16, v16, v59, s[60:61]
	v_cndmask_b32_e64 v16, v16, v41, s[58:59]
	v_cndmask_b32_e64 v39, v39, v17, s[38:39]
	v_cndmask_b32_e64 v16, v16, v40, s[56:57]
	v_cndmask_b32_e64 v38, v38, v17, s[40:41]
	v_cndmask_b32_e64 v16, v16, v39, s[52:53]
	v_cndmask_b32_e64 v37, v37, v17, s[42:43]
	v_cndmask_b32_e64 v16, v16, v38, s[44:45]
	v_cndmask_b32_e64 v36, v36, v17, s[46:47]
	v_cndmask_b32_e64 v16, v16, v37, s[10:11]
	v_cmp_eq_u32_e32 vcc, 0, v95
	v_cndmask_b32_e64 v16, v16, v36, s[8:9]
	v_cndmask_b32_e64 v5, v26, v90, s[66:67]
	v_cndmask_b32_e32 v0, v0, v90, vcc
	ds_bpermute_b32 v90, v118, v16
	v_cndmask_b32_e64 v26, v25, v80, s[58:59]
	v_cndmask_b32_e64 v25, v42, v80, s[60:61]
	;; [unrolled: 1-line block ×4, first 2 shown]
	s_waitcnt lgkmcnt(0)
	v_cndmask_b32_e64 v47, v36, v90, s[8:9]
	v_cndmask_b32_e64 v36, v82, v93, s[6:7]
	;; [unrolled: 1-line block ×18, first 2 shown]
	ds_bpermute_b32 v59, v118, v36
	v_cndmask_b32_e64 v18, v77, v80, s[50:51]
	v_cndmask_b32_e64 v17, v78, v80, s[48:49]
	v_cndmask_b32_e32 v16, v79, v80, vcc
	v_cndmask_b32_e64 v46, v37, v90, s[10:11]
	s_waitcnt lgkmcnt(0)
	v_cndmask_b32_e64 v80, v93, v59, s[6:7]
	v_cndmask_b32_e64 v82, v82, v59, s[20:21]
	;; [unrolled: 1-line block ×39, first 2 shown]
	ds_bpermute_b32 v85, v118, v32
	v_cndmask_b32_e64 v35, v60, v90, s[54:55]
	v_cndmask_b32_e64 v34, v81, v90, s[50:51]
	;; [unrolled: 1-line block ×3, first 2 shown]
	v_cndmask_b32_e32 v32, v87, v90, vcc
	s_waitcnt lgkmcnt(0)
	v_cndmask_b32_e64 v59, v52, v85, s[56:57]
	v_cndmask_b32_e64 v52, v86, v94, s[6:7]
	;; [unrolled: 1-line block ×18, first 2 shown]
	ds_bpermute_b32 v73, v118, v52
	v_cndmask_b32_e64 v60, v74, v85, s[52:53]
	v_cndmask_b32_e64 v57, v54, v85, s[60:61]
	;; [unrolled: 1-line block ×4, first 2 shown]
	s_waitcnt lgkmcnt(0)
	v_cndmask_b32_e64 v90, v94, v73, s[6:7]
	v_cndmask_b32_e64 v86, v86, v73, s[20:21]
	;; [unrolled: 1-line block ×32, first 2 shown]
	ds_bpermute_b32 v91, v118, v48
	v_readlane_b32 s6, v127, 30
	v_readlane_b32 s7, v127, 31
	;; [unrolled: 1-line block ×5, first 2 shown]
	v_cndmask_b32_e64 v62, v62, v85, s[10:11]
	v_cndmask_b32_e64 v58, v53, v85, s[58:59]
	;; [unrolled: 1-line block ×7, first 2 shown]
	v_cndmask_b32_e32 v48, v82, v85, vcc
	s_waitcnt lgkmcnt(0)
	v_cndmask_b32_e64 v79, v74, v91, s[8:9]
	v_cndmask_b32_e64 v78, v75, v91, s[10:11]
	;; [unrolled: 1-line block ×15, first 2 shown]
	v_cndmask_b32_e32 v64, v86, v91, vcc
	s_waitcnt vmcnt(0)
	v_lshl_add_u64 v[86:87], s[6:7], 0, v[104:105]
	s_mov_b64 s[6:7], 0
	s_mov_b32 s12, 0
	v_readlane_b32 s35, v127, 11
	v_readlane_b32 s37, v127, 13
	;; [unrolled: 1-line block ×10, first 2 shown]
                                        ; implicit-def: $sgpr8_sgpr9
	s_branch .LBB223_34
.LBB223_33:                             ;   in Loop: Header=BB223_34 Depth=2
	s_or_b64 exec, exec, s[10:11]
	s_and_b64 s[10:11], exec, s[8:9]
	s_or_b64 s[6:7], s[10:11], s[6:7]
	s_andn2_b64 exec, exec, s[6:7]
	s_cbranch_execz .LBB223_36
.LBB223_34:                             ;   Parent Loop BB223_7 Depth=1
                                        ; =>  This Inner Loop Header: Depth=2
	scratch_load_dword v80, off, off offset:4 ; 4-byte Folded Reload
	s_and_b32 s10, s12, 2
	s_and_b32 s11, s5, 24
	s_or_b32 s10, s11, s10
	s_or_b64 s[8:9], s[8:9], exec
	s_waitcnt vmcnt(0)
	v_or_b32_e32 v80, s10, v80
	v_add_u32_e32 v81, s99, v80
	v_cmp_gt_u32_e32 vcc, 32, v81
	s_and_saveexec_b64 s[10:11], vcc
	s_cbranch_execz .LBB223_33
; %bb.35:                               ;   in Loop: Header=BB223_34 Depth=2
	s_add_i32 s13, s12, 1
	s_set_gpr_idx_on s12, gpr_idx(SRC0)
	v_mov_b32_e32 v81, v0
	s_set_gpr_idx_off
	v_cvt_f16_f32_e32 v82, v81
	s_set_gpr_idx_on s13, gpr_idx(SRC0)
	v_mov_b32_e32 v81, v0
	s_set_gpr_idx_off
	v_cvt_f16_f32_sdwa v83, v81 dst_sel:WORD_1 dst_unused:UNUSED_PAD src0_sel:DWORD
	v_mul_lo_u32 v80, v80, s25
	v_ashrrev_i32_e32 v81, 31, v80
	v_lshl_add_u64 v[80:81], v[80:81], 1, v[86:87]
	v_or_b32_e32 v82, v83, v82
	;;#ASMSTART
	global_atomic_pk_add_f16 v[80:81], v82, off
	
	;;#ASMEND
	s_set_gpr_idx_on s12, gpr_idx(SRC0)
	v_mov_b32_e32 v82, v16
	s_set_gpr_idx_off
	v_cvt_f16_f32_e32 v84, v82
	s_set_gpr_idx_on s13, gpr_idx(SRC0)
	v_mov_b32_e32 v82, v16
	s_set_gpr_idx_off
	v_cvt_f16_f32_sdwa v85, v82 dst_sel:WORD_1 dst_unused:UNUSED_PAD src0_sel:DWORD
	v_lshl_add_u64 v[82:83], v[80:81], 0, 64
	s_mov_b64 s[14:15], 0x80
	s_add_i32 s5, s5, 4
	v_or_b32_e32 v84, v85, v84
	;;#ASMSTART
	global_atomic_pk_add_f16 v[82:83], v84, off
	
	;;#ASMEND
	s_set_gpr_idx_on s12, gpr_idx(SRC0)
	v_mov_b32_e32 v82, v32
	s_set_gpr_idx_off
	v_cvt_f16_f32_e32 v84, v82
	s_set_gpr_idx_on s13, gpr_idx(SRC0)
	v_mov_b32_e32 v82, v32
	s_set_gpr_idx_off
	v_cvt_f16_f32_sdwa v85, v82 dst_sel:WORD_1 dst_unused:UNUSED_PAD src0_sel:DWORD
	v_lshl_add_u64 v[82:83], v[80:81], 0, s[14:15]
	s_mov_b64 s[14:15], 0xc0
	v_or_b32_e32 v84, v85, v84
	;;#ASMSTART
	global_atomic_pk_add_f16 v[82:83], v84, off
	
	;;#ASMEND
	s_set_gpr_idx_on s12, gpr_idx(SRC0)
	v_mov_b32_e32 v82, v48
	s_set_gpr_idx_off
	v_cvt_f16_f32_e32 v84, v82
	s_set_gpr_idx_on s13, gpr_idx(SRC0)
	v_mov_b32_e32 v82, v48
	s_set_gpr_idx_off
	v_cvt_f16_f32_sdwa v85, v82 dst_sel:WORD_1 dst_unused:UNUSED_PAD src0_sel:DWORD
	v_lshl_add_u64 v[82:83], v[80:81], 0, s[14:15]
	s_mov_b64 s[14:15], 0x100
	v_lshl_add_u64 v[80:81], v[80:81], 0, s[14:15]
	v_or_b32_e32 v84, v85, v84
	;;#ASMSTART
	global_atomic_pk_add_f16 v[82:83], v84, off
	
	;;#ASMEND
	s_set_gpr_idx_on s12, gpr_idx(SRC0)
	v_mov_b32_e32 v82, v64
	s_set_gpr_idx_off
	v_cvt_f16_f32_e32 v82, v82
	s_set_gpr_idx_on s13, gpr_idx(SRC0)
	v_mov_b32_e32 v83, v64
	s_set_gpr_idx_off
	s_add_i32 s12, s12, 2
	v_cvt_f16_f32_sdwa v83, v83 dst_sel:WORD_1 dst_unused:UNUSED_PAD src0_sel:DWORD
	s_cmp_eq_u32 s12, 16
	s_cselect_b64 s[14:15], -1, 0
	s_andn2_b64 s[8:9], s[8:9], exec
	s_and_b64 s[14:15], s[14:15], exec
	s_or_b64 s[8:9], s[8:9], s[14:15]
	v_or_b32_e32 v82, v83, v82
	;;#ASMSTART
	global_atomic_pk_add_f16 v[80:81], v82, off
	
	;;#ASMEND
	s_branch .LBB223_33
.LBB223_36:                             ;   in Loop: Header=BB223_7 Depth=1
	s_or_b64 exec, exec, s[6:7]
	scratch_load_dword v102, off, off offset:36 ; 4-byte Folded Reload
	v_readlane_b32 s16, v127, 2
	v_readlane_b32 s14, v127, 0
	;; [unrolled: 1-line block ×13, first 2 shown]
.LBB223_37:                             ;   in Loop: Header=BB223_7 Depth=1
	v_readlane_b32 s6, v127, 25
	v_readlane_b32 s7, v127, 26
	s_or_b64 exec, exec, s[6:7]
.LBB223_38:                             ;   in Loop: Header=BB223_7 Depth=1
	s_or_saveexec_b64 s[0:1], s[0:1]
	v_readlane_b32 s48, v127, 23
	s_mov_b32 s13, s4
	v_readlane_b32 s49, v127, 24
	s_xor_b64 exec, exec, s[0:1]
	s_cbranch_execz .LBB223_47
; %bb.39:                               ;   in Loop: Header=BB223_7 Depth=1
	s_mul_i32 s12, s98, 5
	v_cmp_gt_i32_e32 vcc, s12, v119
	s_and_saveexec_b64 s[6:7], vcc
	s_cbranch_execz .LBB223_46
; %bb.40:                               ;   in Loop: Header=BB223_7 Depth=1
	scratch_load_dwordx2 v[0:1], off, off offset:72 ; 8-byte Folded Reload
	scratch_load_dwordx2 v[2:3], off, off offset:20 ; 8-byte Folded Reload
	s_mul_i32 s4, s68, s27
	s_ashr_i32 s5, s4, 31
	s_add_u32 s4, s18, s4
	s_addc_u32 s5, s19, s5
	s_ashr_i32 s8, s13, 31
	s_add_u32 s4, s4, s13
	s_addc_u32 s5, s5, s8
	s_waitcnt vmcnt(1)
	v_lshl_add_u64 v[0:1], s[4:5], 0, v[0:1]
	s_waitcnt vmcnt(0)
	v_lshl_add_u64 v[16:17], v[0:1], 0, v[2:3]
	s_mov_b64 s[4:5], 0
	s_branch .LBB223_42
.LBB223_41:                             ;   in Loop: Header=BB223_42 Depth=2
	s_or_b64 exec, exec, s[8:9]
	;;#ASMSTART
	s_waitcnt vmcnt(3)
	;;#ASMEND
	scratch_load_dword v20, off, off        ; 4-byte Folded Reload
	v_add_u32_e32 v119, s30, v119
	v_add_u32_e32 v88, s30, v18
	v_cmp_le_i32_e32 vcc, s12, v119
	s_or_b64 s[4:5], vcc, s[4:5]
	v_cmp_lt_i32_e32 vcc, 9, v88
	s_waitcnt vmcnt(0)
	v_lshl_or_b32 v20, v18, 12, v20
	ds_write2_b32 v20, v12, v13 offset1:32
	ds_write2_b32 v20, v14, v15 offset0:64 offset1:96
	v_add_u32_e32 v12, 0x400, v20
	;;#ASMSTART
	s_waitcnt vmcnt(2)
	;;#ASMEND
	ds_write2_b32 v12, v8, v9 offset1:32
	ds_write2_b32 v12, v10, v11 offset0:64 offset1:96
	v_add_u32_e32 v8, 0x800, v20
	;;#ASMSTART
	s_waitcnt vmcnt(1)
	;;#ASMEND
	;; [unrolled: 6-line block ×3, first 2 shown]
	ds_write2_b32 v4, v0, v1 offset1:32
	ds_write2_b32 v4, v2, v3 offset0:64 offset1:96
	v_add_u32_e32 v0, 1, v103
	ds_write_b32 v19, v0 offset:16
	v_add_u32_e32 v0, 2, v103
	v_cndmask_b32_e32 v103, v103, v0, vcc
	s_andn2_b64 exec, exec, s[4:5]
	s_cbranch_execz .LBB223_45
.LBB223_42:                             ;   Parent Loop BB223_7 Depth=1
                                        ; =>  This Loop Header: Depth=2
                                        ;       Child Loop BB223_44 Depth 3
	v_cmp_gt_i32_e32 vcc, 10, v88
	s_mov_b32 s8, 0x66666667
	s_nop 0
	v_cndmask_b32_e64 v0, -10, 0, vcc
	v_add_u32_e32 v18, v0, v88
	v_mul_hi_i32 v0, v119, s8
	v_lshrrev_b32_e32 v1, 31, v0
	v_ashrrev_i32_e32 v0, 1, v0
	v_add_u32_e32 v0, v0, v1
	v_lshl_add_u32 v1, v0, 2, v0
	v_sub_u32_e32 v2, v119, v1
	v_lshlrev_b32_e32 v0, 7, v0
	v_ashrrev_i32_e32 v1, 31, v0
	v_mul_lo_u32 v2, s33, v2
	v_lshl_add_u64 v[0:1], v[16:17], 0, v[0:1]
	v_ashrrev_i32_e32 v3, 31, v2
	v_lshl_add_u64 v[0:1], v[0:1], 0, v[2:3]
	v_lshlrev_b32_e32 v19, 2, v18
	;;#ASMSTART
	global_load_dwordx4 v[12:15], v[0:1], off offset:0   sc0 sc1 nt  
	global_load_dwordx4 v[8:11], v[0:1], off offset:32  sc0 sc1 nt  
	global_load_dwordx4 v[4:7], v[0:1], off offset:64  sc0 sc1 nt  
	;; [unrolled: 1-line block ×3, first 2 shown]
	
	;;#ASMEND
	ds_read_b32 v20, v19 offset:57360
	v_add_u32_e32 v19, 0xe000, v19
	s_waitcnt lgkmcnt(0)
	v_cmp_ne_u32_e32 vcc, v20, v103
	s_and_saveexec_b64 s[8:9], vcc
	s_cbranch_execz .LBB223_41
; %bb.43:                               ;   in Loop: Header=BB223_42 Depth=2
	s_mov_b64 s[10:11], 0
.LBB223_44:                             ;   Parent Loop BB223_7 Depth=1
                                        ;     Parent Loop BB223_42 Depth=2
                                        ; =>    This Inner Loop Header: Depth=3
	;;#ASMSTART
	s_sleep 0
	;;#ASMEND
	ds_read_b32 v20, v19 offset:16
	s_waitcnt lgkmcnt(0)
	v_cmp_eq_u32_e32 vcc, v20, v103
	s_or_b64 s[10:11], vcc, s[10:11]
	s_andn2_b64 exec, exec, s[10:11]
	s_cbranch_execnz .LBB223_44
	s_branch .LBB223_41
.LBB223_45:                             ;   in Loop: Header=BB223_7 Depth=1
	s_or_b64 exec, exec, s[4:5]
.LBB223_46:                             ;   in Loop: Header=BB223_7 Depth=1
	s_or_b64 exec, exec, s[6:7]
	v_subrev_u32_e32 v119, s12, v119
.LBB223_47:                             ;   in Loop: Header=BB223_7 Depth=1
	s_or_b64 exec, exec, s[0:1]
.LBB223_48:                             ;   in Loop: Header=BB223_7 Depth=1
	s_andn2_saveexec_b64 s[0:1], s[48:49]
	s_cbranch_execz .LBB223_6
; %bb.49:                               ;   in Loop: Header=BB223_7 Depth=1
	s_lshl_b32 s12, s98, 1
	v_cmp_gt_i32_e32 vcc, s12, v119
	s_and_saveexec_b64 s[4:5], vcc
	s_cbranch_execz .LBB223_5
; %bb.50:                               ;   in Loop: Header=BB223_7 Depth=1
	scratch_load_dwordx2 v[4:5], off, off offset:20 ; 8-byte Folded Reload
	s_mul_i32 s6, s47, s26
	s_ashr_i32 s7, s6, 31
	s_add_u32 s6, s16, s6
	s_waitcnt vmcnt(1)
	v_add_u32_e32 v2, s99, v102
	s_addc_u32 s7, s17, s7
	s_ashr_i32 s8, s13, 31
	v_mul_lo_u32 v0, s26, v102
	v_cmp_gt_u32_e32 vcc, 64, v2
	s_add_u32 s6, s6, s13
	s_addc_u32 s7, s7, s8
	v_cndmask_b32_e32 v0, 0, v0, vcc
	v_ashrrev_i32_e32 v1, 31, v0
	v_lshl_add_u64 v[0:1], s[6:7], 0, v[0:1]
	v_sub_u32_e32 v18, 63, v2
	s_mov_b64 s[6:7], 0
	s_waitcnt vmcnt(0)
	v_lshl_add_u64 v[16:17], v[0:1], 0, v[4:5]
	s_branch .LBB223_52
.LBB223_51:                             ;   in Loop: Header=BB223_52 Depth=2
	s_or_b64 exec, exec, s[8:9]
	v_lshl_add_u32 v21, v19, 12, v116
	;;#ASMSTART
	s_waitcnt vmcnt(3)
	;;#ASMEND
	ds_write2_b32 v21, v12, v13 offset1:32
	ds_write2_b32 v21, v14, v15 offset0:64 offset1:96
	v_add_u32_e32 v12, 0x400, v21
	;;#ASMSTART
	s_waitcnt vmcnt(2)
	;;#ASMEND
	ds_write2_b32 v12, v8, v9 offset1:32
	ds_write2_b32 v12, v10, v11 offset0:64 offset1:96
	v_add_u32_e32 v8, 0x800, v21
	;; [unrolled: 6-line block ×3, first 2 shown]
	v_add_u32_e32 v119, s29, v119
	;;#ASMSTART
	s_waitcnt vmcnt(0)
	;;#ASMEND
	ds_write2_b32 v4, v0, v1 offset1:32
	ds_write2_b32 v4, v2, v3 offset0:64 offset1:96
	v_add_u32_e32 v0, 1, v103
	v_add_u32_e32 v88, s29, v19
	v_cmp_le_i32_e32 vcc, s12, v119
	ds_write_b32 v20, v0
	v_add_u32_e32 v0, 2, v103
	s_or_b64 s[6:7], vcc, s[6:7]
	v_cmp_lt_i32_e32 vcc, 3, v88
	s_nop 1
	v_cndmask_b32_e32 v103, v103, v0, vcc
	s_andn2_b64 exec, exec, s[6:7]
	s_cbranch_execz .LBB223_4
.LBB223_52:                             ;   Parent Loop BB223_7 Depth=1
                                        ; =>  This Loop Header: Depth=2
                                        ;       Child Loop BB223_54 Depth 3
	v_cmp_gt_i32_e32 vcc, 4, v88
	s_nop 1
	v_cndmask_b32_e64 v0, -4, 0, vcc
	v_add_u32_e32 v19, v0, v88
	v_lshrrev_b32_e32 v0, 31, v119
	v_add_u32_e32 v0, v119, v0
	v_and_b32_e32 v1, 0x7fffffe, v0
	v_sub_u32_e32 v1, v119, v1
	v_lshlrev_b32_e32 v1, 5, v1
	v_cmp_le_i32_e32 vcc, v1, v18
	v_lshlrev_b32_e32 v0, 6, v0
	v_and_b32_e32 v0, 0xffffff80, v0
	v_cndmask_b32_e32 v2, 0, v1, vcc
	v_ashrrev_i32_e32 v1, 31, v0
	v_mul_lo_u32 v2, v2, s26
	v_lshl_add_u64 v[0:1], v[16:17], 0, v[0:1]
	v_ashrrev_i32_e32 v3, 31, v2
	v_lshl_add_u64 v[0:1], v[0:1], 0, v[2:3]
	v_lshlrev_b32_e32 v20, 2, v19
	;;#ASMSTART
	global_load_dwordx4 v[12:15], v[0:1], off offset:0   
	global_load_dwordx4 v[8:11], v[0:1], off offset:32  
	;; [unrolled: 1-line block ×4, first 2 shown]
	
	;;#ASMEND
	ds_read_b32 v21, v20 offset:57344
	v_add_u32_e32 v20, 0xe000, v20
	s_waitcnt lgkmcnt(0)
	v_cmp_ne_u32_e32 vcc, v21, v103
	s_and_saveexec_b64 s[8:9], vcc
	s_cbranch_execz .LBB223_51
; %bb.53:                               ;   in Loop: Header=BB223_52 Depth=2
	s_mov_b64 s[10:11], 0
.LBB223_54:                             ;   Parent Loop BB223_7 Depth=1
                                        ;     Parent Loop BB223_52 Depth=2
                                        ; =>    This Inner Loop Header: Depth=3
	;;#ASMSTART
	s_sleep 0
	;;#ASMEND
	ds_read_b32 v21, v20
	s_waitcnt lgkmcnt(0)
	v_cmp_eq_u32_e32 vcc, v21, v103
	s_or_b64 s[10:11], vcc, s[10:11]
	s_andn2_b64 exec, exec, s[10:11]
	s_cbranch_execnz .LBB223_54
	s_branch .LBB223_51
.LBB223_55:
	s_endpgm
	.section	.rodata,"a",@progbits
	.p2align	6, 0x0
	.amdhsa_kernel _Z19_skinny_gemm_kernelILi2ELi5ELi2ELi32ELi8EEvPKhS1_P6__halfPKfiiiiiiii
		.amdhsa_group_segment_fixed_size 57400
		.amdhsa_private_segment_fixed_size 84
		.amdhsa_kernarg_size 64
		.amdhsa_user_sgpr_count 2
		.amdhsa_user_sgpr_dispatch_ptr 0
		.amdhsa_user_sgpr_queue_ptr 0
		.amdhsa_user_sgpr_kernarg_segment_ptr 1
		.amdhsa_user_sgpr_dispatch_id 0
		.amdhsa_user_sgpr_kernarg_preload_length 0
		.amdhsa_user_sgpr_kernarg_preload_offset 0
		.amdhsa_user_sgpr_private_segment_size 0
		.amdhsa_uses_dynamic_stack 0
		.amdhsa_enable_private_segment 1
		.amdhsa_system_sgpr_workgroup_id_x 1
		.amdhsa_system_sgpr_workgroup_id_y 0
		.amdhsa_system_sgpr_workgroup_id_z 0
		.amdhsa_system_sgpr_workgroup_info 0
		.amdhsa_system_vgpr_workitem_id 0
		.amdhsa_next_free_vgpr 128
		.amdhsa_next_free_sgpr 100
		.amdhsa_accum_offset 128
		.amdhsa_reserve_vcc 1
		.amdhsa_float_round_mode_32 0
		.amdhsa_float_round_mode_16_64 0
		.amdhsa_float_denorm_mode_32 3
		.amdhsa_float_denorm_mode_16_64 3
		.amdhsa_dx10_clamp 1
		.amdhsa_ieee_mode 1
		.amdhsa_fp16_overflow 0
		.amdhsa_tg_split 0
		.amdhsa_exception_fp_ieee_invalid_op 0
		.amdhsa_exception_fp_denorm_src 0
		.amdhsa_exception_fp_ieee_div_zero 0
		.amdhsa_exception_fp_ieee_overflow 0
		.amdhsa_exception_fp_ieee_underflow 0
		.amdhsa_exception_fp_ieee_inexact 0
		.amdhsa_exception_int_div_zero 0
	.end_amdhsa_kernel
	.section	.text._Z19_skinny_gemm_kernelILi2ELi5ELi2ELi32ELi8EEvPKhS1_P6__halfPKfiiiiiiii,"axG",@progbits,_Z19_skinny_gemm_kernelILi2ELi5ELi2ELi32ELi8EEvPKhS1_P6__halfPKfiiiiiiii,comdat
.Lfunc_end223:
	.size	_Z19_skinny_gemm_kernelILi2ELi5ELi2ELi32ELi8EEvPKhS1_P6__halfPKfiiiiiiii, .Lfunc_end223-_Z19_skinny_gemm_kernelILi2ELi5ELi2ELi32ELi8EEvPKhS1_P6__halfPKfiiiiiiii
                                        ; -- End function
	.set _Z19_skinny_gemm_kernelILi2ELi5ELi2ELi32ELi8EEvPKhS1_P6__halfPKfiiiiiiii.num_vgpr, 128
	.set _Z19_skinny_gemm_kernelILi2ELi5ELi2ELi32ELi8EEvPKhS1_P6__halfPKfiiiiiiii.num_agpr, 0
	.set _Z19_skinny_gemm_kernelILi2ELi5ELi2ELi32ELi8EEvPKhS1_P6__halfPKfiiiiiiii.numbered_sgpr, 100
	.set _Z19_skinny_gemm_kernelILi2ELi5ELi2ELi32ELi8EEvPKhS1_P6__halfPKfiiiiiiii.num_named_barrier, 0
	.set _Z19_skinny_gemm_kernelILi2ELi5ELi2ELi32ELi8EEvPKhS1_P6__halfPKfiiiiiiii.private_seg_size, 84
	.set _Z19_skinny_gemm_kernelILi2ELi5ELi2ELi32ELi8EEvPKhS1_P6__halfPKfiiiiiiii.uses_vcc, 1
	.set _Z19_skinny_gemm_kernelILi2ELi5ELi2ELi32ELi8EEvPKhS1_P6__halfPKfiiiiiiii.uses_flat_scratch, 0
	.set _Z19_skinny_gemm_kernelILi2ELi5ELi2ELi32ELi8EEvPKhS1_P6__halfPKfiiiiiiii.has_dyn_sized_stack, 0
	.set _Z19_skinny_gemm_kernelILi2ELi5ELi2ELi32ELi8EEvPKhS1_P6__halfPKfiiiiiiii.has_recursion, 0
	.set _Z19_skinny_gemm_kernelILi2ELi5ELi2ELi32ELi8EEvPKhS1_P6__halfPKfiiiiiiii.has_indirect_call, 0
	.section	.AMDGPU.csdata,"",@progbits
; Kernel info:
; codeLenInByte = 17540
; TotalNumSgprs: 106
; NumVgprs: 128
; NumAgprs: 0
; TotalNumVgprs: 128
; ScratchSize: 84
; MemoryBound: 0
; FloatMode: 240
; IeeeMode: 1
; LDSByteSize: 57400 bytes/workgroup (compile time only)
; SGPRBlocks: 13
; VGPRBlocks: 15
; NumSGPRsForWavesPerEU: 106
; NumVGPRsForWavesPerEU: 128
; AccumOffset: 128
; Occupancy: 4
; WaveLimiterHint : 0
; COMPUTE_PGM_RSRC2:SCRATCH_EN: 1
; COMPUTE_PGM_RSRC2:USER_SGPR: 2
; COMPUTE_PGM_RSRC2:TRAP_HANDLER: 0
; COMPUTE_PGM_RSRC2:TGID_X_EN: 1
; COMPUTE_PGM_RSRC2:TGID_Y_EN: 0
; COMPUTE_PGM_RSRC2:TGID_Z_EN: 0
; COMPUTE_PGM_RSRC2:TIDIG_COMP_CNT: 0
; COMPUTE_PGM_RSRC3_GFX90A:ACCUM_OFFSET: 31
; COMPUTE_PGM_RSRC3_GFX90A:TG_SPLIT: 0
	.section	.text._Z19_skinny_gemm_kernelILi2ELi5ELi3ELi16ELi4EEvPKhS1_P6__halfPKfiiiiiiii,"axG",@progbits,_Z19_skinny_gemm_kernelILi2ELi5ELi3ELi16ELi4EEvPKhS1_P6__halfPKfiiiiiiii,comdat
	.protected	_Z19_skinny_gemm_kernelILi2ELi5ELi3ELi16ELi4EEvPKhS1_P6__halfPKfiiiiiiii ; -- Begin function _Z19_skinny_gemm_kernelILi2ELi5ELi3ELi16ELi4EEvPKhS1_P6__halfPKfiiiiiiii
	.globl	_Z19_skinny_gemm_kernelILi2ELi5ELi3ELi16ELi4EEvPKhS1_P6__halfPKfiiiiiiii
	.p2align	8
	.type	_Z19_skinny_gemm_kernelILi2ELi5ELi3ELi16ELi4EEvPKhS1_P6__halfPKfiiiiiiii,@function
_Z19_skinny_gemm_kernelILi2ELi5ELi3ELi16ELi4EEvPKhS1_P6__halfPKfiiiiiiii: ; @_Z19_skinny_gemm_kernelILi2ELi5ELi3ELi16ELi4EEvPKhS1_P6__halfPKfiiiiiiii
; %bb.0:
	v_cmp_gt_u32_e32 vcc, 21, v0
	v_lshlrev_b32_e32 v1, 2, v0
	s_and_saveexec_b64 s[4:5], vcc
; %bb.1:
	v_mov_b32_e32 v2, 0
	ds_write_b32 v1, v2 offset:43008
; %bb.2:
	s_or_b64 exec, exec, s[4:5]
	s_load_dwordx8 s[20:27], s[0:1], 0x20
	s_mov_b32 s56, 0x66666667
	s_waitcnt lgkmcnt(0)
	s_barrier
	s_add_i32 s3, s20, 31
	s_ashr_i32 s5, s3, 31
	s_lshr_b32 s5, s5, 27
	s_add_i32 s4, s21, 0x4f
	s_add_i32 s3, s3, s5
	s_ashr_i32 s33, s3, 5
	s_mul_hi_i32 s3, s4, 0x66666667
	s_lshr_b32 s4, s3, 31
	s_ashr_i32 s54, s3, 5
	s_add_i32 s54, s54, s4
	s_mul_i32 s3, s54, s33
	s_mul_i32 s3, s3, s24
	s_add_i32 s4, s3, 0x12f
	s_mul_hi_i32 s4, s4, 0x6bca1af3
	s_lshr_b32 s5, s4, 31
	s_ashr_i32 s4, s4, 7
	s_add_i32 s4, s4, s5
	s_add_i32 s5, s2, 1
	s_mul_i32 s5, s4, s5
	v_cvt_f64_i32_e32 v[2:3], s3
	v_cvt_f64_u32_e32 v[4:5], s5
	v_min_f64 v[2:3], v[2:3], v[4:5]
	v_cvt_i32_f64_e32 v41, v[2:3]
	s_mul_i32 s55, s4, s2
	v_cmp_ge_i32_e32 vcc, s55, v41
	s_cbranch_vccnz .LBB224_59
; %bb.3:
	v_lshrrev_b32_e32 v2, 6, v0
	s_add_i32 s4, s26, s25
	s_load_dwordx8 s[36:43], s[0:1], 0x0
	v_cmp_le_i32_e64 s[0:1], s4, v2
	v_mov_b32_e32 v3, s25
	v_cmp_le_i32_e64 s[2:3], s25, v2
	v_mov_b32_e32 v4, s26
	v_cndmask_b32_e64 v4, 0, v4, s[0:1]
	v_cndmask_b32_e64 v3, 0, v3, s[2:3]
	s_abs_i32 s5, s24
	v_add_u32_e32 v3, v3, v4
	v_cvt_f32_u32_e32 v4, s5
	v_sub_u32_e32 v52, v2, v3
	s_ashr_i32 s6, s22, 31
	s_lshr_b32 s6, s6, 25
	v_rcp_iflag_f32_e32 v3, v4
	s_sub_i32 s9, 0, s5
	s_add_i32 s6, s22, s6
	s_ashr_i32 s6, s6, 7
	v_mul_f32_e32 v3, 0x4f7ffffe, v3
	v_cvt_u32_f32_e32 v3, v3
	s_abs_i32 s8, s6
	s_xor_b32 s7, s6, s24
	s_ashr_i32 s7, s7, 31
	v_readfirstlane_b32 s10, v3
	s_mul_i32 s9, s9, s10
	s_mul_hi_u32 s9, s10, s9
	s_add_i32 s10, s10, s9
	s_mul_hi_u32 s9, s8, s10
	s_mul_i32 s10, s9, s5
	s_sub_i32 s8, s8, s10
	s_add_i32 s10, s9, 1
	s_sub_i32 s11, s8, s5
	s_cmp_ge_u32 s8, s5
	s_cselect_b32 s9, s10, s9
	s_cselect_b32 s8, s11, s8
	s_add_i32 s10, s9, 1
	s_cmp_ge_u32 s8, s5
	s_cselect_b32 s5, s10, s9
	s_xor_b32 s5, s5, s7
	s_sub_i32 s57, s5, s7
	s_add_i32 s24, s24, -1
	s_mul_i32 s5, s57, s24
	s_add_i32 s4, s4, s27
	s_sub_i32 s58, s6, s5
	v_cmp_gt_i32_e64 s[4:5], s4, v2
	v_lshlrev_b32_e32 v2, 1, v0
	v_lshlrev_b32_e32 v3, 4, v0
	v_and_b32_e32 v1, 60, v1
	v_and_b32_e32 v2, 64, v2
	;; [unrolled: 1-line block ×3, first 2 shown]
	v_or3_b32 v73, v1, v2, v4
	v_and_b32_e32 v1, 1, v0
	v_lshrrev_b32_e32 v4, 2, v0
	s_abs_i32 s59, s33
	v_and_or_b32 v77, v4, 12, v1
	v_cvt_f32_u32_e32 v4, s59
	v_lshlrev_b32_e32 v2, 1, v1
	v_and_b32_e32 v40, 14, v0
	v_sub_u32_e32 v2, v0, v2
	v_bitop3_b32 v74, v0, 1, v0 bitop3:0xc
	v_bitop3_b32 v75, v0, 3, 1 bitop3:0x6c
	v_and_b32_e32 v46, 48, v3
	v_bfe_u32 v79, v0, 2, 4
	v_and_b32_e32 v1, 60, v0
	v_lshlrev_b32_e32 v3, 8, v0
	v_lshlrev_b32_e32 v0, 6, v0
	v_and_b32_e32 v3, 0x200, v3
	v_and_b32_e32 v0, 64, v0
	v_or3_b32 v80, v1, v3, v0
	v_rcp_iflag_f32_e32 v0, v4
	s_abs_i32 s61, s54
	v_cvt_f32_u32_e32 v1, s61
	v_mad_u64_u32 v[42:43], s[6:7], s21, v77, v[40:41]
	v_mul_f32_e32 v0, 0x4f7ffffe, v0
	v_cvt_u32_f32_e32 v0, v0
	v_rcp_iflag_f32_e32 v1, v1
	s_sub_i32 s6, 0, s59
	v_add_u32_e32 v2, 1, v2
	v_readfirstlane_b32 s7, v0
	v_mul_f32_e32 v0, 0x4f7ffffe, v1
	v_cvt_u32_f32_e32 v0, v0
	s_mul_i32 s6, s6, s7
	s_mul_hi_u32 s6, s7, s6
	s_add_i32 s63, s7, s6
	s_sub_i32 s6, 0, s61
	v_readfirstlane_b32 s7, v0
	v_mbcnt_lo_u32_b32 v0, -1, 0
	v_and_b32_e32 v2, 63, v2
	s_mul_i32 s6, s6, s7
	v_mbcnt_hi_u32_b32 v0, -1, v0
	v_lshl_add_u32 v44, s21, 4, v42
	v_mul_lo_u32 v48, s23, v79
	s_mul_hi_u32 s6, s7, s6
	v_and_or_b32 v0, v0, 64, v2
	v_cndmask_b32_e64 v72, 0, 1, s[0:1]
	s_ashr_i32 s29, s21, 31
	s_mov_b32 s28, s21
	v_or_b32_e32 v76, 64, v40
	v_ashrrev_i32_e32 v43, 31, v42
	v_or_b32_e32 v78, 16, v77
	v_ashrrev_i32_e32 v45, 31, v44
	v_ashrrev_i32_e32 v49, 31, v48
	v_mov_b32_e32 v47, 0
	s_lshl_b32 s60, s23, 4
	v_mul_lo_u32 v81, s22, v79
	v_or_b32_e32 v82, 0x7800, v80
	s_ashr_i32 s62, s33, 31
	s_ashr_i32 s64, s54, 31
	s_add_i32 s65, s7, s6
	s_movk_i32 s66, 0x2800
	s_mov_b64 s[30:31], 0x60
	s_mov_b64 s[34:35], 0x80
	v_lshlrev_b32_e32 v83, 2, v0
	v_mov_b32_e32 v84, v52
	s_branch .LBB224_7
.LBB224_4:                              ;   in Loop: Header=BB224_7 Depth=1
	s_or_b64 exec, exec, s[10:11]
.LBB224_5:                              ;   in Loop: Header=BB224_7 Depth=1
	s_or_b64 exec, exec, s[8:9]
	v_subrev_u32_e32 v84, s16, v84
.LBB224_6:                              ;   in Loop: Header=BB224_7 Depth=1
	s_or_b64 exec, exec, s[6:7]
	s_add_i32 s55, s55, 1
	v_cmp_ge_i32_e32 vcc, s55, v41
	s_cbranch_vccnz .LBB224_59
.LBB224_7:                              ; =>This Loop Header: Depth=1
                                        ;     Child Loop BB224_13 Depth 2
                                        ;       Child Loop BB224_15 Depth 3
                                        ;       Child Loop BB224_18 Depth 3
	;; [unrolled: 1-line block ×7, first 2 shown]
                                        ;     Child Loop BB224_46 Depth 2
                                        ;       Child Loop BB224_48 Depth 3
                                        ;     Child Loop BB224_56 Depth 2
                                        ;       Child Loop BB224_58 Depth 3
	s_abs_i32 s7, s55
	s_mul_hi_u32 s8, s7, s63
	s_mul_i32 s9, s8, s59
	s_ashr_i32 s6, s55, 31
	s_sub_i32 s7, s7, s9
	s_xor_b32 s6, s6, s62
	s_add_i32 s9, s8, 1
	s_sub_i32 s10, s7, s59
	s_cmp_ge_u32 s7, s59
	s_cselect_b32 s8, s9, s8
	s_cselect_b32 s7, s10, s7
	s_add_i32 s9, s8, 1
	s_cmp_ge_u32 s7, s59
	s_cselect_b32 s7, s9, s8
	s_xor_b32 s7, s7, s6
	s_sub_i32 s6, s7, s6
	s_abs_i32 s8, s6
	s_mul_i32 s7, s6, s33
	s_mul_hi_u32 s9, s8, s65
	s_sub_i32 s7, s55, s7
	s_mul_i32 s10, s9, s61
	s_lshl_b32 s67, s7, 5
	s_ashr_i32 s7, s6, 31
	s_sub_i32 s8, s8, s10
	s_xor_b32 s7, s7, s64
	s_add_i32 s10, s9, 1
	s_sub_i32 s11, s8, s61
	s_cmp_ge_u32 s8, s61
	s_cselect_b32 s9, s10, s9
	s_cselect_b32 s8, s11, s8
	s_add_i32 s10, s9, 1
	s_cmp_ge_u32 s8, s61
	s_cselect_b32 s8, s10, s9
	s_xor_b32 s8, s8, s7
	s_sub_i32 s7, s8, s7
	s_mul_i32 s8, s7, s57
	s_lshl_b32 s68, s8, 7
	s_cmp_eq_u32 s7, s24
	s_cselect_b32 s70, s58, s57
	s_sub_i32 s8, s67, s20
	s_add_i32 s8, s8, 32
	s_max_i32 s69, s8, 0
	s_and_saveexec_b64 s[8:9], s[2:3]
	s_xor_b64 s[44:45], exec, s[8:9]
	s_cbranch_execz .LBB224_52
; %bb.8:                                ;   in Loop: Header=BB224_7 Depth=1
	s_mul_i32 s7, s7, s54
	s_sub_i32 s6, s6, s7
	s_mulk_i32 s6, 0x50
	s_sub_i32 s47, s6, s21
	s_addk_i32 s47, 0x50
	s_max_i32 s7, s47, 0
	s_sub_i32 s46, s6, s7
	s_and_saveexec_b64 s[6:7], s[0:1]
	s_xor_b64 s[48:49], exec, s[6:7]
	s_cbranch_execz .LBB224_42
; %bb.9:                                ;   in Loop: Header=BB224_7 Depth=1
	s_and_saveexec_b64 s[50:51], s[4:5]
	s_cbranch_execz .LBB224_41
; %bb.10:                               ;   in Loop: Header=BB224_7 Depth=1
	s_waitcnt lgkmcnt(0)
	global_load_dword v85, v47, s[42:43]
	v_mov_b32_e32 v39, 0
	v_cmp_gt_i32_e32 vcc, s70, v84
	v_mov_b32_e32 v38, v39
	v_mov_b32_e32 v37, v39
	;; [unrolled: 1-line block ×39, first 2 shown]
	s_and_saveexec_b64 s[6:7], vcc
	s_cbranch_execz .LBB224_35
; %bb.11:                               ;   in Loop: Header=BB224_7 Depth=1
	v_mov_b32_e32 v4, 0
	s_mov_b64 s[8:9], 0
	v_mov_b32_e32 v5, v4
	v_mov_b32_e32 v6, v4
	;; [unrolled: 1-line block ×39, first 2 shown]
	s_branch .LBB224_13
.LBB224_12:                             ;   in Loop: Header=BB224_13 Depth=2
	s_or_b64 exec, exec, s[10:11]
	v_add_u32_e32 v67, 0x2000, v66
	ds_read2_b32 v[68:69], v67 offset1:32
	v_add_u32_e32 v70, 0x2400, v66
	v_add_u32_e32 v84, s27, v84
	s_waitcnt lgkmcnt(0)
	v_mfma_f32_16x16x32_fp8_fp8 v[20:23], v[50:51], v[68:69], v[20:23]
	ds_read2_b32 v[50:51], v67 offset0:128 offset1:160
	ds_read2_b32 v[66:67], v70 offset1:32
	v_mfma_f32_16x16x32_fp8_fp8 v[4:7], v[60:61], v[68:69], v[4:7]
	s_waitcnt lgkmcnt(1)
	v_mfma_f32_16x16x32_fp8_fp8 v[20:23], v[52:53], v[50:51], v[20:23]
	v_add_u32_e32 v52, s27, v86
	v_cmp_lt_i32_e32 vcc, 2, v52
	v_mfma_f32_16x16x32_fp8_fp8 v[4:7], v[62:63], v[50:51], v[4:7]
	v_add_u32_e32 v50, 2, v72
	v_cndmask_b32_e32 v72, v72, v50, vcc
	v_cmp_le_i32_e32 vcc, s70, v84
	s_waitcnt lgkmcnt(0)
	v_mfma_f32_16x16x32_fp8_fp8 v[20:23], v[54:55], v[66:67], v[20:23]
	ds_read2_b32 v[54:55], v70 offset0:128 offset1:160
	s_or_b64 s[8:9], vcc, s[8:9]
	;;#ASMSTART
	s_waitcnt lgkmcnt(0)
	;;#ASMEND
	v_mfma_f32_16x16x32_fp8_fp8 v[4:7], v[64:65], v[66:67], v[4:7]
	ds_write_b32 v87, v88 offset:43048
	s_waitcnt lgkmcnt(1)
	v_mfma_f32_16x16x32_fp8_fp8 v[20:23], v[56:57], v[54:55], v[20:23]
	v_mfma_f32_16x16x32_fp8_fp8 v[4:7], v[58:59], v[54:55], v[4:7]
	s_andn2_b64 exec, exec, s[8:9]
	s_cbranch_execz .LBB224_34
.LBB224_13:                             ;   Parent Loop BB224_7 Depth=1
                                        ; =>  This Loop Header: Depth=2
                                        ;       Child Loop BB224_15 Depth 3
                                        ;       Child Loop BB224_18 Depth 3
	;; [unrolled: 1-line block ×7, first 2 shown]
	v_cmp_gt_i32_e32 vcc, 3, v52
	s_nop 1
	v_cndmask_b32_e64 v50, -3, 0, vcc
	v_add_u32_e32 v86, v50, v52
	v_mul_lo_u32 v87, v86, 20
	ds_read_b32 v50, v87 offset:43032
	s_waitcnt lgkmcnt(0)
	v_cmp_ne_u32_e32 vcc, v50, v72
	s_and_saveexec_b64 s[10:11], vcc
	s_cbranch_execz .LBB224_16
; %bb.14:                               ;   in Loop: Header=BB224_13 Depth=2
	s_mov_b64 s[12:13], 0
.LBB224_15:                             ;   Parent Loop BB224_7 Depth=1
                                        ;     Parent Loop BB224_13 Depth=2
                                        ; =>    This Inner Loop Header: Depth=3
	;;#ASMSTART
	s_sleep 0
	;;#ASMEND
	ds_read_b32 v50, v87 offset:43032
	s_waitcnt lgkmcnt(0)
	v_cmp_eq_u32_e32 vcc, v50, v72
	s_or_b64 s[12:13], vcc, s[12:13]
	s_andn2_b64 exec, exec, s[12:13]
	s_cbranch_execnz .LBB224_15
.LBB224_16:                             ;   in Loop: Header=BB224_13 Depth=2
	s_or_b64 exec, exec, s[10:11]
	v_mul_lo_u32 v89, v86, s66
	v_or_b32_e32 v50, v73, v89
	ds_read2_b32 v[58:59], v50 offset1:32
	ds_read2_b32 v[66:67], v50 offset0:128 offset1:160
	v_add_u32_e32 v50, 0x400, v50
	v_add_u32_e32 v88, 1, v72
	ds_read2_b32 v[70:71], v50 offset1:32
	ds_read2_b32 v[68:69], v50 offset0:128 offset1:160
	;;#ASMSTART
	s_waitcnt lgkmcnt(0)
	;;#ASMEND
	ds_write_b32 v87, v88 offset:43032
	v_lshlrev_b32_e32 v90, 3, v86
	ds_read_b32 v50, v90 offset:43008
	s_waitcnt lgkmcnt(0)
	v_cmp_ne_u32_e32 vcc, v50, v72
	s_and_saveexec_b64 s[10:11], vcc
	s_cbranch_execz .LBB224_19
; %bb.17:                               ;   in Loop: Header=BB224_13 Depth=2
	s_mov_b64 s[12:13], 0
.LBB224_18:                             ;   Parent Loop BB224_7 Depth=1
                                        ;     Parent Loop BB224_13 Depth=2
                                        ; =>    This Inner Loop Header: Depth=3
	;;#ASMSTART
	s_sleep 0
	;;#ASMEND
	ds_read_b32 v50, v90 offset:43008
	s_waitcnt lgkmcnt(0)
	v_cmp_eq_u32_e32 vcc, v50, v72
	s_or_b64 s[12:13], vcc, s[12:13]
	s_andn2_b64 exec, exec, s[12:13]
	s_cbranch_execnz .LBB224_18
.LBB224_19:                             ;   in Loop: Header=BB224_13 Depth=2
	s_or_b64 exec, exec, s[10:11]
	v_lshlrev_b32_e32 v50, 12, v86
	v_or_b32_e32 v51, 0x7800, v73
	v_add_u32_e32 v64, v51, v50
	ds_read2_b32 v[50:51], v64 offset1:32
	ds_read2_b32 v[52:53], v64 offset0:128 offset1:160
	v_add_u32_e32 v56, 0x400, v64
	ds_read2_b32 v[54:55], v56 offset1:32
	ds_read2_b32 v[56:57], v56 offset0:128 offset1:160
	ds_read_b32 v60, v90 offset:43012
	ds_write_b32 v90, v88 offset:43008
	s_waitcnt lgkmcnt(5)
	v_mfma_f32_16x16x32_fp8_fp8 v[36:39], v[50:51], v[58:59], v[36:39]
	s_waitcnt lgkmcnt(1)
	v_cmp_ne_u32_e32 vcc, v60, v72
	v_mfma_f32_16x16x32_fp8_fp8 v[36:39], v[52:53], v[66:67], v[36:39]
	v_mfma_f32_16x16x32_fp8_fp8 v[36:39], v[54:55], v[70:71], v[36:39]
	;; [unrolled: 1-line block ×3, first 2 shown]
	s_and_saveexec_b64 s[10:11], vcc
	s_cbranch_execz .LBB224_22
; %bb.20:                               ;   in Loop: Header=BB224_13 Depth=2
	s_mov_b64 s[12:13], 0
.LBB224_21:                             ;   Parent Loop BB224_7 Depth=1
                                        ;     Parent Loop BB224_13 Depth=2
                                        ; =>    This Inner Loop Header: Depth=3
	;;#ASMSTART
	s_sleep 0
	;;#ASMEND
	ds_read_b32 v60, v90 offset:43012
	s_waitcnt lgkmcnt(0)
	v_cmp_eq_u32_e32 vcc, v60, v72
	s_or_b64 s[12:13], vcc, s[12:13]
	s_andn2_b64 exec, exec, s[12:13]
	s_cbranch_execnz .LBB224_21
.LBB224_22:                             ;   in Loop: Header=BB224_13 Depth=2
	s_or_b64 exec, exec, s[10:11]
	v_add_u32_e32 v62, 0x800, v64
	ds_read2_b32 v[60:61], v62 offset1:32
	ds_read2_b32 v[62:63], v62 offset0:128 offset1:160
	v_add_u32_e32 v91, 0xc00, v64
	ds_read2_b32 v[64:65], v91 offset1:32
	ds_write_b32 v90, v88 offset:43012
	s_waitcnt lgkmcnt(3)
	v_mfma_f32_16x16x32_fp8_fp8 v[16:19], v[60:61], v[58:59], v[16:19]
	ds_read2_b32 v[58:59], v91 offset0:128 offset1:160
	s_waitcnt lgkmcnt(3)
	v_mfma_f32_16x16x32_fp8_fp8 v[16:19], v[62:63], v[66:67], v[16:19]
	ds_read_b32 v66, v87 offset:43036
	s_waitcnt lgkmcnt(0)
	v_cmp_ne_u32_e32 vcc, v66, v72
	v_mfma_f32_16x16x32_fp8_fp8 v[16:19], v[64:65], v[70:71], v[16:19]
	v_mfma_f32_16x16x32_fp8_fp8 v[16:19], v[58:59], v[68:69], v[16:19]
	s_and_saveexec_b64 s[10:11], vcc
	s_cbranch_execz .LBB224_25
; %bb.23:                               ;   in Loop: Header=BB224_13 Depth=2
	s_mov_b64 s[12:13], 0
.LBB224_24:                             ;   Parent Loop BB224_7 Depth=1
                                        ;     Parent Loop BB224_13 Depth=2
                                        ; =>    This Inner Loop Header: Depth=3
	;;#ASMSTART
	s_sleep 0
	;;#ASMEND
	ds_read_b32 v66, v87 offset:43036
	s_waitcnt lgkmcnt(0)
	v_cmp_eq_u32_e32 vcc, v66, v72
	s_or_b64 s[12:13], vcc, s[12:13]
	s_andn2_b64 exec, exec, s[12:13]
	s_cbranch_execnz .LBB224_24
.LBB224_25:                             ;   in Loop: Header=BB224_13 Depth=2
	s_or_b64 exec, exec, s[10:11]
	v_add_u32_e32 v66, v73, v89
	v_add_u32_e32 v67, 0x800, v66
	ds_read2_b32 v[68:69], v67 offset1:32
	s_waitcnt lgkmcnt(0)
	v_mfma_f32_16x16x32_fp8_fp8 v[32:35], v[50:51], v[68:69], v[32:35]
	v_mfma_f32_16x16x32_fp8_fp8 v[12:15], v[60:61], v[68:69], v[12:15]
	ds_read2_b32 v[68:69], v67 offset0:128 offset1:160
	v_add_u32_e32 v67, 0xc00, v66
	ds_read2_b32 v[70:71], v67 offset1:32
	s_waitcnt lgkmcnt(1)
	v_mfma_f32_16x16x32_fp8_fp8 v[32:35], v[52:53], v[68:69], v[32:35]
	ds_read2_b32 v[90:91], v67 offset0:128 offset1:160
	;;#ASMSTART
	s_waitcnt lgkmcnt(0)
	;;#ASMEND
	ds_read_b32 v67, v87 offset:43040
	v_mfma_f32_16x16x32_fp8_fp8 v[12:15], v[62:63], v[68:69], v[12:15]
	ds_write_b32 v87, v88 offset:43036
	s_waitcnt lgkmcnt(1)
	v_cmp_ne_u32_e32 vcc, v67, v72
	v_mfma_f32_16x16x32_fp8_fp8 v[32:35], v[54:55], v[70:71], v[32:35]
	v_mfma_f32_16x16x32_fp8_fp8 v[12:15], v[64:65], v[70:71], v[12:15]
	v_mfma_f32_16x16x32_fp8_fp8 v[32:35], v[56:57], v[90:91], v[32:35]
	v_mfma_f32_16x16x32_fp8_fp8 v[12:15], v[58:59], v[90:91], v[12:15]
	s_and_saveexec_b64 s[10:11], vcc
	s_cbranch_execz .LBB224_28
; %bb.26:                               ;   in Loop: Header=BB224_13 Depth=2
	s_mov_b64 s[12:13], 0
.LBB224_27:                             ;   Parent Loop BB224_7 Depth=1
                                        ;     Parent Loop BB224_13 Depth=2
                                        ; =>    This Inner Loop Header: Depth=3
	;;#ASMSTART
	s_sleep 0
	;;#ASMEND
	ds_read_b32 v67, v87 offset:43040
	s_waitcnt lgkmcnt(0)
	v_cmp_eq_u32_e32 vcc, v67, v72
	s_or_b64 s[12:13], vcc, s[12:13]
	s_andn2_b64 exec, exec, s[12:13]
	s_cbranch_execnz .LBB224_27
.LBB224_28:                             ;   in Loop: Header=BB224_13 Depth=2
	s_or_b64 exec, exec, s[10:11]
	v_add_u32_e32 v67, 0x1000, v66
	ds_read2_b32 v[68:69], v67 offset1:32
	ds_read2_b32 v[70:71], v67 offset0:128 offset1:160
	v_add_u32_e32 v67, 0x1400, v66
	ds_read2_b32 v[90:91], v67 offset1:32
	ds_read2_b32 v[92:93], v67 offset0:128 offset1:160
	s_waitcnt lgkmcnt(3)
	v_mfma_f32_16x16x32_fp8_fp8 v[28:31], v[50:51], v[68:69], v[28:31]
	;;#ASMSTART
	s_waitcnt lgkmcnt(0)
	;;#ASMEND
	ds_read_b32 v67, v87 offset:43044
	ds_write_b32 v87, v88 offset:43040
	v_mfma_f32_16x16x32_fp8_fp8 v[8:11], v[60:61], v[68:69], v[8:11]
	s_waitcnt lgkmcnt(1)
	v_cmp_ne_u32_e32 vcc, v67, v72
	v_mfma_f32_16x16x32_fp8_fp8 v[28:31], v[52:53], v[70:71], v[28:31]
	v_mfma_f32_16x16x32_fp8_fp8 v[8:11], v[62:63], v[70:71], v[8:11]
	;; [unrolled: 1-line block ×6, first 2 shown]
	s_and_saveexec_b64 s[10:11], vcc
	s_cbranch_execz .LBB224_31
; %bb.29:                               ;   in Loop: Header=BB224_13 Depth=2
	s_mov_b64 s[12:13], 0
.LBB224_30:                             ;   Parent Loop BB224_7 Depth=1
                                        ;     Parent Loop BB224_13 Depth=2
                                        ; =>    This Inner Loop Header: Depth=3
	;;#ASMSTART
	s_sleep 0
	;;#ASMEND
	ds_read_b32 v67, v87 offset:43044
	s_waitcnt lgkmcnt(0)
	v_cmp_eq_u32_e32 vcc, v67, v72
	s_or_b64 s[12:13], vcc, s[12:13]
	s_andn2_b64 exec, exec, s[12:13]
	s_cbranch_execnz .LBB224_30
.LBB224_31:                             ;   in Loop: Header=BB224_13 Depth=2
	s_or_b64 exec, exec, s[10:11]
	v_add_u32_e32 v67, 0x1800, v66
	ds_read2_b32 v[68:69], v67 offset1:32
	ds_read2_b32 v[70:71], v67 offset0:128 offset1:160
	v_add_u32_e32 v67, 0x1c00, v66
	ds_read2_b32 v[90:91], v67 offset1:32
	ds_read2_b32 v[92:93], v67 offset0:128 offset1:160
	s_waitcnt lgkmcnt(3)
	v_mfma_f32_16x16x32_fp8_fp8 v[24:27], v[50:51], v[68:69], v[24:27]
	;;#ASMSTART
	s_waitcnt lgkmcnt(0)
	;;#ASMEND
	ds_read_b32 v67, v87 offset:43048
	ds_write_b32 v87, v88 offset:43044
	v_mfma_f32_16x16x32_fp8_fp8 v[0:3], v[60:61], v[68:69], v[0:3]
	s_waitcnt lgkmcnt(1)
	v_cmp_ne_u32_e32 vcc, v67, v72
	v_mfma_f32_16x16x32_fp8_fp8 v[24:27], v[52:53], v[70:71], v[24:27]
	v_mfma_f32_16x16x32_fp8_fp8 v[0:3], v[62:63], v[70:71], v[0:3]
	;; [unrolled: 1-line block ×6, first 2 shown]
	s_and_saveexec_b64 s[10:11], vcc
	s_cbranch_execz .LBB224_12
; %bb.32:                               ;   in Loop: Header=BB224_13 Depth=2
	s_mov_b64 s[12:13], 0
.LBB224_33:                             ;   Parent Loop BB224_7 Depth=1
                                        ;     Parent Loop BB224_13 Depth=2
                                        ; =>    This Inner Loop Header: Depth=3
	;;#ASMSTART
	s_sleep 0
	;;#ASMEND
	ds_read_b32 v67, v87 offset:43048
	s_waitcnt lgkmcnt(0)
	v_cmp_eq_u32_e32 vcc, v67, v72
	s_or_b64 s[12:13], vcc, s[12:13]
	s_andn2_b64 exec, exec, s[12:13]
	s_cbranch_execnz .LBB224_33
	s_branch .LBB224_12
.LBB224_34:                             ;   in Loop: Header=BB224_7 Depth=1
	s_or_b64 exec, exec, s[8:9]
.LBB224_35:                             ;   in Loop: Header=BB224_7 Depth=1
	s_or_b64 exec, exec, s[6:7]
	v_cmp_le_i32_e32 vcc, s47, v40
	v_cmp_eq_u32_e64 s[12:13], 1, v74
	v_cmp_eq_u32_e64 s[6:7], 3, v74
	s_waitcnt vmcnt(0)
	v_cndmask_b32_e32 v50, 0, v85, vcc
	v_pk_mul_f32 v[36:37], v[50:51], v[36:37] op_sel_hi:[0,1]
	v_pk_mul_f32 v[54:55], v[50:51], v[38:39] op_sel_hi:[0,1]
	v_cndmask_b32_e64 v38, v36, v37, s[12:13]
	v_cmp_eq_u32_e32 vcc, 2, v74
	v_cmp_eq_u32_e64 s[8:9], 0, v74
	v_cmp_eq_u32_e64 s[10:11], 1, v75
	v_cndmask_b32_e32 v38, v38, v54, vcc
	v_cndmask_b32_e64 v38, v38, v55, s[6:7]
	ds_bpermute_b32 v51, v83, v38
	v_cmp_eq_u32_e64 s[16:17], 3, v75
	s_waitcnt lgkmcnt(0)
	v_cndmask_b32_e64 v38, v55, v51, s[6:7]
	v_cndmask_b32_e32 v39, v54, v51, vcc
	v_cndmask_b32_e64 v37, v37, v51, s[12:13]
	v_cndmask_b32_e64 v51, v36, v51, s[8:9]
	v_or_b32_e32 v36, 16, v40
	v_cmp_le_i32_e64 s[14:15], s47, v36
	v_cndmask_b32_e64 v53, v51, v37, s[10:11]
	s_nop 0
	v_cndmask_b32_e64 v36, 0, v85, s[14:15]
	v_pk_mul_f32 v[32:33], v[36:37], v[32:33] op_sel_hi:[0,1]
	v_pk_mul_f32 v[54:55], v[36:37], v[34:35] op_sel_hi:[0,1]
	v_cndmask_b32_e64 v34, v32, v33, s[12:13]
	v_cndmask_b32_e32 v34, v34, v54, vcc
	v_cndmask_b32_e64 v34, v34, v55, s[6:7]
	ds_bpermute_b32 v56, v83, v34
	v_cmp_eq_u32_e64 s[14:15], 2, v75
	s_waitcnt lgkmcnt(0)
	v_cndmask_b32_e64 v57, v32, v56, s[8:9]
	v_or_b32_e32 v32, 32, v40
	v_cmp_le_i32_e64 s[18:19], s47, v32
	v_cndmask_b32_e64 v33, v33, v56, s[12:13]
	v_cndmask_b32_e64 v34, v53, v39, s[14:15]
	;; [unrolled: 1-line block ×3, first 2 shown]
	v_pk_mul_f32 v[28:29], v[32:33], v[28:29] op_sel_hi:[0,1]
	v_cndmask_b32_e64 v35, v55, v56, s[6:7]
	v_cndmask_b32_e32 v53, v54, v56, vcc
	v_pk_mul_f32 v[54:55], v[32:33], v[30:31] op_sel_hi:[0,1]
	v_cndmask_b32_e64 v30, v28, v29, s[12:13]
	v_cndmask_b32_e32 v30, v30, v54, vcc
	v_cndmask_b32_e64 v30, v30, v55, s[6:7]
	ds_bpermute_b32 v56, v83, v30
	v_cndmask_b32_e64 v30, v57, v33, s[10:11]
	v_cndmask_b32_e64 v30, v30, v53, s[14:15]
	;; [unrolled: 1-line block ×4, first 2 shown]
	s_waitcnt lgkmcnt(0)
	v_cndmask_b32_e64 v59, v28, v56, s[8:9]
	v_or_b32_e32 v28, 48, v40
	v_cmp_le_i32_e64 s[18:19], s47, v28
	v_cndmask_b32_e64 v29, v29, v56, s[12:13]
	v_cndmask_b32_e64 v31, v55, v56, s[6:7]
	;; [unrolled: 1-line block ×3, first 2 shown]
	v_pk_mul_f32 v[24:25], v[28:29], v[24:25] op_sel_hi:[0,1]
	v_pk_mul_f32 v[60:61], v[28:29], v[26:27] op_sel_hi:[0,1]
	v_cndmask_b32_e64 v26, v24, v25, s[12:13]
	v_cndmask_b32_e32 v26, v26, v60, vcc
	v_cndmask_b32_e64 v26, v26, v61, s[6:7]
	v_cndmask_b32_e32 v54, v54, v56, vcc
	ds_bpermute_b32 v56, v83, v26
	v_cmp_le_i32_e64 s[18:19], s47, v76
	v_cndmask_b32_e64 v26, v59, v29, s[10:11]
	v_cndmask_b32_e64 v26, v26, v54, s[14:15]
	;; [unrolled: 1-line block ×3, first 2 shown]
	s_waitcnt lgkmcnt(0)
	v_cndmask_b32_e64 v27, v61, v56, s[6:7]
	v_cndmask_b32_e64 v61, v24, v56, s[8:9]
	;; [unrolled: 1-line block ×3, first 2 shown]
	v_pk_mul_f32 v[64:65], v[24:25], v[20:21] op_sel_hi:[0,1]
	v_pk_mul_f32 v[62:63], v[24:25], v[22:23] op_sel_hi:[0,1]
	v_cndmask_b32_e64 v20, v64, v65, s[12:13]
	v_cndmask_b32_e32 v20, v20, v62, vcc
	v_cndmask_b32_e64 v20, v20, v63, s[6:7]
	ds_bpermute_b32 v21, v83, v20
	v_cndmask_b32_e32 v55, v60, v56, vcc
	v_cndmask_b32_e64 v60, v25, v56, s[12:13]
	v_cndmask_b32_e64 v20, v61, v60, s[10:11]
	;; [unrolled: 1-line block ×4, first 2 shown]
	s_waitcnt lgkmcnt(0)
	v_cndmask_b32_e32 v56, v62, v21, vcc
	v_cmp_ne_u32_e32 vcc, 0, v74
	ds_bpermute_b32 v22, v83, v20
	v_cndmask_b32_e64 v23, v63, v21, s[6:7]
	v_cndmask_b32_e32 v20, v65, v21, vcc
	v_cndmask_b32_e64 v21, v64, v21, s[8:9]
	v_cndmask_b32_e64 v25, v21, v20, s[10:11]
	;; [unrolled: 1-line block ×4, first 2 shown]
	ds_bpermute_b32 v34, v83, v34
	ds_bpermute_b32 v30, v83, v30
	;; [unrolled: 1-line block ×4, first 2 shown]
	v_add_u32_e32 v25, s69, v77
	v_cmp_gt_u32_e32 vcc, 32, v25
	s_and_saveexec_b64 s[18:19], vcc
	s_cbranch_execz .LBB224_40
; %bb.36:                               ;   in Loop: Header=BB224_7 Depth=1
	v_cmp_eq_u32_e64 s[8:9], 1, v75
	v_cmp_eq_u32_e64 s[10:11], 0, v75
	v_cmp_eq_u32_e32 vcc, 3, v75
	s_waitcnt lgkmcnt(3)
	v_cndmask_b32_e64 v37, v37, v34, s[8:9]
	s_waitcnt lgkmcnt(2)
	v_cndmask_b32_e64 v33, v33, v30, s[8:9]
	;; [unrolled: 2-line block ×3, first 2 shown]
	v_cndmask_b32_e64 v62, v60, v22, s[8:9]
	s_waitcnt lgkmcnt(0)
	v_cndmask_b32_e64 v64, v20, v58, s[8:9]
	s_mul_i32 s8, s67, s21
	s_ashr_i32 s9, s8, 31
	v_cndmask_b32_e64 v51, v51, v34, s[10:11]
	s_lshl_b64 s[8:9], s[8:9], 1
	v_cndmask_b32_e64 v57, v57, v30, s[10:11]
	v_cndmask_b32_e64 v59, v59, v26, s[10:11]
	;; [unrolled: 1-line block ×4, first 2 shown]
	s_add_u32 s10, s40, s8
	v_cvt_f16_f32_e32 v51, v51
	v_cvt_f16_f32_sdwa v37, v37 dst_sel:WORD_1 dst_unused:UNUSED_PAD src0_sel:DWORD
	s_addc_u32 s11, s41, s9
	s_ashr_i32 s47, s46, 31
	s_lshl_b64 s[8:9], s[46:47], 1
	s_add_u32 s52, s10, s8
	s_addc_u32 s53, s11, s9
	v_or_b32_e32 v37, v37, v51
	v_lshl_add_u64 v[20:21], v[42:43], 1, s[52:53]
	;;#ASMSTART
	global_atomic_pk_add_f16 v[20:21], v37, off
	
	;;#ASMEND
	v_cvt_f16_f32_e32 v37, v57
	v_cvt_f16_f32_sdwa v33, v33 dst_sel:WORD_1 dst_unused:UNUSED_PAD src0_sel:DWORD
	v_cvt_f16_f32_e32 v51, v59
	v_cvt_f16_f32_sdwa v29, v29 dst_sel:WORD_1 dst_unused:UNUSED_PAD src0_sel:DWORD
	v_lshl_add_u64 v[60:61], v[20:21], 0, 32
	v_or_b32_e32 v33, v33, v37
	;;#ASMSTART
	global_atomic_pk_add_f16 v[60:61], v33, off
	
	;;#ASMEND
	v_or_b32_e32 v29, v29, v51
	v_lshl_add_u64 v[60:61], v[20:21], 0, 64
	;;#ASMSTART
	global_atomic_pk_add_f16 v[60:61], v29, off
	
	;;#ASMEND
	v_cvt_f16_f32_e32 v29, v63
	v_cvt_f16_f32_sdwa v33, v62 dst_sel:WORD_1 dst_unused:UNUSED_PAD src0_sel:DWORD
	v_cvt_f16_f32_e32 v37, v65
	v_cvt_f16_f32_sdwa v51, v64 dst_sel:WORD_1 dst_unused:UNUSED_PAD src0_sel:DWORD
	v_cmp_eq_u32_e64 s[6:7], 2, v75
	v_lshl_add_u64 v[60:61], v[20:21], 0, s[30:31]
	v_or_b32_e32 v29, v33, v29
	v_cmp_gt_u32_e64 s[8:9], 30, v25
	;;#ASMSTART
	global_atomic_pk_add_f16 v[60:61], v29, off
	
	;;#ASMEND
	v_lshl_add_u64 v[60:61], v[20:21], 0, s[34:35]
	v_or_b32_e32 v29, v51, v37
	;;#ASMSTART
	global_atomic_pk_add_f16 v[60:61], v29, off
	
	;;#ASMEND
	s_and_b64 exec, exec, s[8:9]
	s_cbranch_execz .LBB224_40
; %bb.37:                               ;   in Loop: Header=BB224_7 Depth=1
	v_cndmask_b32_e32 v38, v38, v34, vcc
	v_cndmask_b32_e64 v34, v39, v34, s[6:7]
	v_cndmask_b32_e32 v35, v35, v30, vcc
	v_cndmask_b32_e64 v30, v53, v30, s[6:7]
	;; [unrolled: 2-line block ×3, first 2 shown]
	v_cndmask_b32_e32 v53, v23, v58, vcc
	v_cvt_f16_f32_e32 v22, v34
	v_cvt_f16_f32_sdwa v23, v38 dst_sel:WORD_1 dst_unused:UNUSED_PAD src0_sel:DWORD
	v_cvt_f16_f32_e32 v30, v30
	v_cvt_f16_f32_sdwa v34, v35 dst_sel:WORD_1 dst_unused:UNUSED_PAD src0_sel:DWORD
	v_cndmask_b32_e32 v31, v31, v26, vcc
	v_cndmask_b32_e64 v26, v54, v26, s[6:7]
	v_lshl_add_u64 v[20:21], s[28:29], 2, v[20:21]
	v_or_b32_e32 v22, v23, v22
	v_or_b32_e32 v30, v34, v30
	;;#ASMSTART
	global_atomic_pk_add_f16 v[20:21], v22, off
	
	;;#ASMEND
	v_lshl_add_u64 v[22:23], v[20:21], 0, 32
	;;#ASMSTART
	global_atomic_pk_add_f16 v[22:23], v30, off
	
	;;#ASMEND
	v_cvt_f16_f32_e32 v26, v26
	v_cvt_f16_f32_sdwa v30, v31 dst_sel:WORD_1 dst_unused:UNUSED_PAD src0_sel:DWORD
	v_cvt_f16_f32_e32 v31, v39
	v_cvt_f16_f32_sdwa v27, v27 dst_sel:WORD_1 dst_unused:UNUSED_PAD src0_sel:DWORD
	v_mov_b32_e32 v51, v50
	v_or_b32_e32 v26, v30, v26
	v_lshl_add_u64 v[22:23], v[20:21], 0, 64
	;;#ASMSTART
	global_atomic_pk_add_f16 v[22:23], v26, off
	
	;;#ASMEND
	v_or_b32_e32 v30, v27, v31
	v_mov_b32_e32 v26, v50
	v_mov_b32_e32 v27, v50
	v_pk_mul_f32 v[18:19], v[26:27], v[18:19]
	v_pk_mul_f32 v[26:27], v[50:51], v[16:17]
	v_cmp_eq_u32_e64 s[8:9], 1, v74
	v_mov_b32_e32 v37, v36
	v_lshl_add_u64 v[22:23], v[20:21], 0, s[30:31]
	v_cndmask_b32_e64 v16, v26, v27, s[8:9]
	v_cmp_eq_u32_e32 vcc, 2, v74
	;;#ASMSTART
	global_atomic_pk_add_f16 v[22:23], v30, off
	
	;;#ASMEND
	v_lshl_add_u64 v[30:31], v[20:21], 0, s[34:35]
	v_mov_b32_e32 v20, v36
	v_mov_b32_e32 v21, v36
	v_cndmask_b32_e64 v54, v56, v58, s[6:7]
	v_cndmask_b32_e32 v16, v16, v18, vcc
	v_cmp_eq_u32_e64 s[6:7], 3, v74
	v_pk_mul_f32 v[14:15], v[20:21], v[14:15]
	v_pk_mul_f32 v[20:21], v[36:37], v[12:13]
	v_cndmask_b32_e64 v16, v16, v19, s[6:7]
	v_cndmask_b32_e64 v12, v20, v21, s[8:9]
	ds_bpermute_b32 v34, v83, v16
	v_cndmask_b32_e32 v12, v12, v14, vcc
	v_cndmask_b32_e64 v12, v12, v15, s[6:7]
	ds_bpermute_b32 v23, v83, v12
	v_cmp_eq_u32_e64 s[10:11], 0, v74
	s_waitcnt lgkmcnt(1)
	v_cndmask_b32_e64 v16, v19, v34, s[6:7]
	v_cndmask_b32_e32 v17, v18, v34, vcc
	v_cndmask_b32_e64 v18, v27, v34, s[8:9]
	v_cndmask_b32_e64 v19, v26, v34, s[10:11]
	v_cmp_eq_u32_e64 s[12:13], 1, v75
	v_cmp_eq_u32_e64 s[14:15], 2, v75
	v_mov_b32_e32 v33, v32
	v_cndmask_b32_e64 v22, v19, v18, s[12:13]
	v_cndmask_b32_e64 v12, v22, v17, s[14:15]
	s_waitcnt lgkmcnt(0)
	v_cndmask_b32_e64 v13, v15, v23, s[6:7]
	v_cndmask_b32_e32 v14, v14, v23, vcc
	v_cndmask_b32_e64 v15, v21, v23, s[8:9]
	v_cndmask_b32_e64 v20, v20, v23, s[10:11]
	v_mov_b32_e32 v22, v32
	v_mov_b32_e32 v23, v32
	v_pk_mul_f32 v[10:11], v[22:23], v[10:11]
	v_pk_mul_f32 v[22:23], v[32:33], v[8:9]
	v_mov_b32_e32 v29, v28
	v_cndmask_b32_e64 v8, v22, v23, s[8:9]
	v_cndmask_b32_e32 v8, v8, v10, vcc
	v_cndmask_b32_e64 v8, v8, v11, s[6:7]
	ds_bpermute_b32 v26, v83, v8
	v_mov_b32_e32 v27, v28
	v_cmp_eq_u32_e64 s[16:17], 3, v75
	v_mov_b32_e32 v25, v24
	v_cndmask_b32_e64 v8, v20, v15, s[12:13]
	s_waitcnt lgkmcnt(0)
	v_cndmask_b32_e64 v9, v11, v26, s[6:7]
	v_cndmask_b32_e32 v10, v10, v26, vcc
	v_cndmask_b32_e64 v21, v23, v26, s[8:9]
	v_cndmask_b32_e64 v22, v22, v26, s[10:11]
	v_mov_b32_e32 v26, v28
	v_pk_mul_f32 v[28:29], v[28:29], v[0:1]
	v_pk_mul_f32 v[26:27], v[26:27], v[2:3]
	v_cndmask_b32_e64 v0, v28, v29, s[8:9]
	v_cndmask_b32_e32 v0, v0, v26, vcc
	v_cndmask_b32_e64 v0, v0, v27, s[6:7]
	ds_bpermute_b32 v1, v83, v0
	v_cndmask_b32_e64 v0, v22, v21, s[12:13]
	v_cndmask_b32_e64 v0, v0, v10, s[14:15]
	;; [unrolled: 1-line block ×3, first 2 shown]
	ds_bpermute_b32 v2, v83, v0
	s_waitcnt lgkmcnt(1)
	v_cndmask_b32_e64 v3, v27, v1, s[6:7]
	v_cndmask_b32_e32 v11, v26, v1, vcc
	v_cndmask_b32_e64 v0, v29, v1, s[8:9]
	v_cndmask_b32_e64 v1, v28, v1, s[10:11]
	v_mov_b32_e32 v26, v24
	v_mov_b32_e32 v27, v24
	v_pk_mul_f32 v[28:29], v[24:25], v[4:5]
	v_pk_mul_f32 v[26:27], v[26:27], v[6:7]
	v_cndmask_b32_e64 v4, v28, v29, s[8:9]
	v_cndmask_b32_e32 v4, v4, v26, vcc
	v_cndmask_b32_e64 v4, v4, v27, s[6:7]
	ds_bpermute_b32 v7, v83, v4
	v_cndmask_b32_e64 v4, v1, v0, s[12:13]
	v_cndmask_b32_e64 v4, v4, v11, s[14:15]
	;; [unrolled: 1-line block ×3, first 2 shown]
	ds_bpermute_b32 v6, v83, v4
	s_waitcnt lgkmcnt(1)
	v_cndmask_b32_e32 v5, v26, v7, vcc
	v_cmp_ne_u32_e32 vcc, 0, v74
	v_cndmask_b32_e64 v25, v28, v7, s[10:11]
	v_cndmask_b32_e64 v4, v27, v7, s[6:7]
	v_cndmask_b32_e32 v24, v29, v7, vcc
	v_cndmask_b32_e64 v7, v25, v24, s[12:13]
	v_cvt_f16_f32_e32 v35, v54
	v_cvt_f16_f32_sdwa v38, v53 dst_sel:WORD_1 dst_unused:UNUSED_PAD src0_sel:DWORD
	v_cndmask_b32_e64 v8, v8, v14, s[14:15]
	v_cndmask_b32_e64 v7, v7, v5, s[14:15]
	;; [unrolled: 1-line block ×5, first 2 shown]
	ds_bpermute_b32 v12, v83, v12
	ds_bpermute_b32 v8, v83, v8
	;; [unrolled: 1-line block ×3, first 2 shown]
	v_or_b32_e32 v23, v38, v35
	;;#ASMSTART
	global_atomic_pk_add_f16 v[30:31], v23, off
	
	;;#ASMEND
	v_add_u32_e32 v23, s69, v78
	v_cmp_gt_u32_e32 vcc, 32, v23
	s_and_b64 exec, exec, vcc
	s_cbranch_execz .LBB224_40
; %bb.38:                               ;   in Loop: Header=BB224_7 Depth=1
	v_cmp_eq_u32_e64 s[8:9], 1, v75
	v_cmp_eq_u32_e64 s[10:11], 0, v75
	v_cmp_eq_u32_e32 vcc, 3, v75
	s_waitcnt lgkmcnt(2)
	v_cndmask_b32_e64 v18, v18, v12, s[8:9]
	v_cndmask_b32_e64 v19, v19, v12, s[10:11]
	s_waitcnt lgkmcnt(1)
	v_cndmask_b32_e64 v15, v15, v8, s[8:9]
	v_cndmask_b32_e64 v20, v20, v8, s[10:11]
	;; [unrolled: 1-line block ×4, first 2 shown]
	v_cvt_f16_f32_e32 v19, v19
	v_cvt_f16_f32_sdwa v18, v18 dst_sel:WORD_1 dst_unused:UNUSED_PAD src0_sel:DWORD
	v_cvt_f16_f32_e32 v20, v20
	v_cvt_f16_f32_sdwa v15, v15 dst_sel:WORD_1 dst_unused:UNUSED_PAD src0_sel:DWORD
	;; [unrolled: 2-line block ×3, first 2 shown]
	v_cndmask_b32_e64 v26, v0, v6, s[8:9]
	v_cndmask_b32_e64 v27, v1, v6, s[10:11]
	v_lshl_add_u64 v[0:1], v[44:45], 1, s[52:53]
	v_or_b32_e32 v18, v18, v19
	v_or_b32_e32 v15, v15, v20
	;;#ASMSTART
	global_atomic_pk_add_f16 v[0:1], v18, off
	
	;;#ASMEND
	v_lshl_add_u64 v[18:19], v[0:1], 0, 32
	;;#ASMSTART
	global_atomic_pk_add_f16 v[18:19], v15, off
	
	;;#ASMEND
	v_or_b32_e32 v15, v21, v22
	s_waitcnt lgkmcnt(0)
	v_cndmask_b32_e64 v24, v24, v7, s[8:9]
	v_cndmask_b32_e64 v25, v25, v7, s[10:11]
	v_lshl_add_u64 v[18:19], v[0:1], 0, 64
	;;#ASMSTART
	global_atomic_pk_add_f16 v[18:19], v15, off
	
	;;#ASMEND
	v_cvt_f16_f32_e32 v15, v27
	v_cvt_f16_f32_sdwa v20, v26 dst_sel:WORD_1 dst_unused:UNUSED_PAD src0_sel:DWORD
	v_cvt_f16_f32_e32 v21, v25
	v_cvt_f16_f32_sdwa v22, v24 dst_sel:WORD_1 dst_unused:UNUSED_PAD src0_sel:DWORD
	v_cmp_eq_u32_e64 s[6:7], 2, v75
	v_lshl_add_u64 v[18:19], v[0:1], 0, s[30:31]
	v_or_b32_e32 v15, v20, v15
	v_cmp_gt_u32_e64 s[8:9], 30, v23
	;;#ASMSTART
	global_atomic_pk_add_f16 v[18:19], v15, off
	
	;;#ASMEND
	v_lshl_add_u64 v[18:19], v[0:1], 0, s[34:35]
	v_or_b32_e32 v15, v22, v21
	;;#ASMSTART
	global_atomic_pk_add_f16 v[18:19], v15, off
	
	;;#ASMEND
	s_and_b64 exec, exec, s[8:9]
	s_cbranch_execz .LBB224_40
; %bb.39:                               ;   in Loop: Header=BB224_7 Depth=1
	v_cndmask_b32_e32 v15, v16, v12, vcc
	v_cndmask_b32_e64 v12, v17, v12, s[6:7]
	v_cndmask_b32_e32 v13, v13, v8, vcc
	v_cndmask_b32_e64 v8, v14, v8, s[6:7]
	;; [unrolled: 2-line block ×3, first 2 shown]
	v_cndmask_b32_e32 v14, v3, v6, vcc
	v_cvt_f16_f32_e32 v2, v12
	v_cvt_f16_f32_sdwa v3, v15 dst_sel:WORD_1 dst_unused:UNUSED_PAD src0_sel:DWORD
	v_cndmask_b32_e32 v4, v4, v7, vcc
	v_cndmask_b32_e64 v5, v5, v7, s[6:7]
	v_cvt_f16_f32_e32 v7, v8
	v_cvt_f16_f32_sdwa v8, v13 dst_sel:WORD_1 dst_unused:UNUSED_PAD src0_sel:DWORD
	v_cvt_f16_f32_e32 v10, v10
	v_cvt_f16_f32_sdwa v9, v9 dst_sel:WORD_1 dst_unused:UNUSED_PAD src0_sel:DWORD
	v_lshl_add_u64 v[0:1], s[28:29], 2, v[0:1]
	v_or_b32_e32 v2, v3, v2
	v_or_b32_e32 v7, v8, v7
	v_cndmask_b32_e64 v6, v11, v6, s[6:7]
	;;#ASMSTART
	global_atomic_pk_add_f16 v[0:1], v2, off
	
	;;#ASMEND
	v_lshl_add_u64 v[2:3], v[0:1], 0, 32
	;;#ASMSTART
	global_atomic_pk_add_f16 v[2:3], v7, off
	
	;;#ASMEND
	v_or_b32_e32 v7, v9, v10
	v_lshl_add_u64 v[2:3], v[0:1], 0, 64
	;;#ASMSTART
	global_atomic_pk_add_f16 v[2:3], v7, off
	
	;;#ASMEND
	v_cvt_f16_f32_e32 v6, v6
	v_cvt_f16_f32_sdwa v7, v14 dst_sel:WORD_1 dst_unused:UNUSED_PAD src0_sel:DWORD
	v_cvt_f16_f32_e32 v5, v5
	v_cvt_f16_f32_sdwa v4, v4 dst_sel:WORD_1 dst_unused:UNUSED_PAD src0_sel:DWORD
	v_lshl_add_u64 v[2:3], v[0:1], 0, s[30:31]
	v_or_b32_e32 v6, v7, v6
	;;#ASMSTART
	global_atomic_pk_add_f16 v[2:3], v6, off
	
	;;#ASMEND
	v_lshl_add_u64 v[0:1], v[0:1], 0, s[34:35]
	v_or_b32_e32 v2, v4, v5
	;;#ASMSTART
	global_atomic_pk_add_f16 v[0:1], v2, off
	
	;;#ASMEND
.LBB224_40:                             ;   in Loop: Header=BB224_7 Depth=1
	s_or_b64 exec, exec, s[18:19]
	v_subrev_u32_e32 v84, s70, v84
.LBB224_41:                             ;   in Loop: Header=BB224_7 Depth=1
	s_or_b64 exec, exec, s[50:51]
.LBB224_42:                             ;   in Loop: Header=BB224_7 Depth=1
	s_andn2_saveexec_b64 s[6:7], s[48:49]
	s_cbranch_execz .LBB224_51
; %bb.43:                               ;   in Loop: Header=BB224_7 Depth=1
	s_mul_i32 s16, s70, 5
	v_cmp_gt_i32_e32 vcc, s16, v84
	s_and_saveexec_b64 s[8:9], vcc
	s_cbranch_execz .LBB224_50
; %bb.44:                               ;   in Loop: Header=BB224_7 Depth=1
	s_mul_i32 s10, s46, s23
	s_ashr_i32 s11, s10, 31
	s_waitcnt lgkmcnt(0)
	s_add_u32 s10, s38, s10
	s_addc_u32 s11, s39, s11
	s_ashr_i32 s12, s68, 31
	s_add_u32 s10, s10, s68
	s_addc_u32 s11, s11, s12
	v_lshl_add_u64 v[0:1], s[10:11], 0, v[48:49]
	v_lshl_add_u64 v[8:9], v[0:1], 0, v[46:47]
	s_mov_b64 s[10:11], 0
	s_branch .LBB224_46
.LBB224_45:                             ;   in Loop: Header=BB224_46 Depth=2
	s_or_b64 exec, exec, s[12:13]
	v_lshl_or_b32 v12, v10, 11, v80
	;;#ASMSTART
	s_waitcnt vmcnt(1)
	;;#ASMEND
	ds_write2_b32 v12, v4, v5 offset1:32
	ds_write2_b32 v12, v6, v7 offset0:64 offset1:96
	v_add_u32_e32 v4, 0x400, v12
	v_add_u32_e32 v84, s26, v84
	;;#ASMSTART
	s_waitcnt vmcnt(0)
	;;#ASMEND
	ds_write2_b32 v4, v0, v1 offset1:32
	ds_write2_b32 v4, v2, v3 offset0:64 offset1:96
	v_add_u32_e32 v0, 1, v72
	v_add_u32_e32 v52, s26, v10
	v_cmp_le_i32_e32 vcc, s16, v84
	ds_write_b32 v11, v0 offset:24
	v_add_u32_e32 v0, 2, v72
	s_or_b64 s[10:11], vcc, s[10:11]
	v_cmp_lt_i32_e32 vcc, 14, v52
	s_nop 1
	v_cndmask_b32_e32 v72, v72, v0, vcc
	s_andn2_b64 exec, exec, s[10:11]
	s_cbranch_execz .LBB224_49
.LBB224_46:                             ;   Parent Loop BB224_7 Depth=1
                                        ; =>  This Loop Header: Depth=2
                                        ;       Child Loop BB224_48 Depth 3
	v_cmp_gt_i32_e32 vcc, 15, v52
	s_nop 1
	v_cndmask_b32_e64 v0, -15, 0, vcc
	v_add_u32_e32 v10, v0, v52
	v_mul_hi_i32 v0, v84, s56
	v_lshrrev_b32_e32 v1, 31, v0
	v_ashrrev_i32_e32 v0, 1, v0
	v_add_u32_e32 v0, v0, v1
	v_lshl_add_u32 v1, v0, 2, v0
	v_sub_u32_e32 v2, v84, v1
	v_lshlrev_b32_e32 v0, 7, v0
	v_ashrrev_i32_e32 v1, 31, v0
	v_mul_lo_u32 v2, s60, v2
	v_lshl_add_u64 v[0:1], v[8:9], 0, v[0:1]
	v_ashrrev_i32_e32 v3, 31, v2
	v_lshl_add_u64 v[0:1], v[0:1], 0, v[2:3]
	v_lshlrev_b32_e32 v11, 2, v10
	;;#ASMSTART
	global_load_dwordx4 v[4:7], v[0:1], off offset:0   sc0 sc1 nt  
	global_load_dwordx4 v[0:3], v[0:1], off offset:64  sc0 sc1 nt  
	
	;;#ASMEND
	ds_read_b32 v12, v11 offset:43032
	v_add_u32_e32 v11, 0xa800, v11
	s_waitcnt lgkmcnt(0)
	v_cmp_ne_u32_e32 vcc, v12, v72
	s_and_saveexec_b64 s[12:13], vcc
	s_cbranch_execz .LBB224_45
; %bb.47:                               ;   in Loop: Header=BB224_46 Depth=2
	s_mov_b64 s[14:15], 0
.LBB224_48:                             ;   Parent Loop BB224_7 Depth=1
                                        ;     Parent Loop BB224_46 Depth=2
                                        ; =>    This Inner Loop Header: Depth=3
	;;#ASMSTART
	s_sleep 0
	;;#ASMEND
	ds_read_b32 v12, v11 offset:24
	s_waitcnt lgkmcnt(0)
	v_cmp_eq_u32_e32 vcc, v12, v72
	s_or_b64 s[14:15], vcc, s[14:15]
	s_andn2_b64 exec, exec, s[14:15]
	s_cbranch_execnz .LBB224_48
	s_branch .LBB224_45
.LBB224_49:                             ;   in Loop: Header=BB224_7 Depth=1
	s_or_b64 exec, exec, s[10:11]
.LBB224_50:                             ;   in Loop: Header=BB224_7 Depth=1
	s_or_b64 exec, exec, s[8:9]
	v_subrev_u32_e32 v84, s16, v84
.LBB224_51:                             ;   in Loop: Header=BB224_7 Depth=1
	s_or_b64 exec, exec, s[6:7]
.LBB224_52:                             ;   in Loop: Header=BB224_7 Depth=1
	s_andn2_saveexec_b64 s[6:7], s[44:45]
	s_cbranch_execz .LBB224_6
; %bb.53:                               ;   in Loop: Header=BB224_7 Depth=1
	s_lshl_b32 s16, s70, 1
	v_cmp_gt_i32_e32 vcc, s16, v84
	s_and_saveexec_b64 s[8:9], vcc
	s_cbranch_execz .LBB224_5
; %bb.54:                               ;   in Loop: Header=BB224_7 Depth=1
	s_mul_i32 s67, s67, s22
	s_ashr_i32 s10, s67, 31
	s_waitcnt lgkmcnt(0)
	s_add_u32 s11, s36, s67
	v_add_u32_e32 v2, s69, v79
	s_addc_u32 s12, s37, s10
	s_ashr_i32 s13, s68, 31
	v_cmp_gt_u32_e32 vcc, 32, v2
	s_add_u32 s10, s11, s68
	s_addc_u32 s11, s12, s13
	v_cndmask_b32_e32 v0, 0, v81, vcc
	v_ashrrev_i32_e32 v1, 31, v0
	v_lshl_add_u64 v[0:1], s[10:11], 0, v[0:1]
	v_lshl_add_u64 v[8:9], v[0:1], 0, v[46:47]
	v_sub_u32_e32 v10, 31, v2
	s_mov_b64 s[10:11], 0
	s_branch .LBB224_56
.LBB224_55:                             ;   in Loop: Header=BB224_56 Depth=2
	s_or_b64 exec, exec, s[12:13]
	v_lshl_add_u32 v13, v11, 11, v82
	;;#ASMSTART
	s_waitcnt vmcnt(1)
	;;#ASMEND
	ds_write2_b32 v13, v4, v5 offset1:32
	ds_write2_b32 v13, v6, v7 offset0:64 offset1:96
	v_add_u32_e32 v4, 0x400, v13
	v_add_u32_e32 v84, s25, v84
	;;#ASMSTART
	s_waitcnt vmcnt(0)
	;;#ASMEND
	ds_write2_b32 v4, v0, v1 offset1:32
	ds_write2_b32 v4, v2, v3 offset0:64 offset1:96
	v_add_u32_e32 v0, 1, v72
	v_add_u32_e32 v52, s25, v11
	v_cmp_le_i32_e32 vcc, s16, v84
	ds_write_b32 v12, v0
	v_add_u32_e32 v0, 2, v72
	s_or_b64 s[10:11], vcc, s[10:11]
	v_cmp_lt_i32_e32 vcc, 5, v52
	s_nop 1
	v_cndmask_b32_e32 v72, v72, v0, vcc
	s_andn2_b64 exec, exec, s[10:11]
	s_cbranch_execz .LBB224_4
.LBB224_56:                             ;   Parent Loop BB224_7 Depth=1
                                        ; =>  This Loop Header: Depth=2
                                        ;       Child Loop BB224_58 Depth 3
	v_cmp_gt_i32_e32 vcc, 6, v52
	s_nop 1
	v_cndmask_b32_e64 v0, -6, 0, vcc
	v_add_u32_e32 v11, v0, v52
	v_lshrrev_b32_e32 v0, 31, v84
	v_add_u32_e32 v0, v84, v0
	v_and_b32_e32 v1, 0xffffffe, v0
	v_sub_u32_e32 v1, v84, v1
	v_lshlrev_b32_e32 v1, 4, v1
	v_cmp_le_i32_e32 vcc, v1, v10
	v_lshlrev_b32_e32 v0, 6, v0
	v_and_b32_e32 v0, 0xffffff80, v0
	v_cndmask_b32_e32 v2, 0, v1, vcc
	v_ashrrev_i32_e32 v1, 31, v0
	v_mul_lo_u32 v2, v2, s22
	v_lshl_add_u64 v[0:1], v[8:9], 0, v[0:1]
	v_ashrrev_i32_e32 v3, 31, v2
	v_lshl_add_u64 v[0:1], v[0:1], 0, v[2:3]
	v_lshlrev_b32_e32 v12, 2, v11
	;;#ASMSTART
	global_load_dwordx4 v[4:7], v[0:1], off offset:0   
	global_load_dwordx4 v[0:3], v[0:1], off offset:64  
	
	;;#ASMEND
	ds_read_b32 v13, v12 offset:43008
	v_add_u32_e32 v12, 0xa800, v12
	s_waitcnt lgkmcnt(0)
	v_cmp_ne_u32_e32 vcc, v13, v72
	s_and_saveexec_b64 s[12:13], vcc
	s_cbranch_execz .LBB224_55
; %bb.57:                               ;   in Loop: Header=BB224_56 Depth=2
	s_mov_b64 s[14:15], 0
.LBB224_58:                             ;   Parent Loop BB224_7 Depth=1
                                        ;     Parent Loop BB224_56 Depth=2
                                        ; =>    This Inner Loop Header: Depth=3
	;;#ASMSTART
	s_sleep 0
	;;#ASMEND
	ds_read_b32 v13, v12
	s_waitcnt lgkmcnt(0)
	v_cmp_eq_u32_e32 vcc, v13, v72
	s_or_b64 s[14:15], vcc, s[14:15]
	s_andn2_b64 exec, exec, s[14:15]
	s_cbranch_execnz .LBB224_58
	s_branch .LBB224_55
.LBB224_59:
	s_endpgm
	.section	.rodata,"a",@progbits
	.p2align	6, 0x0
	.amdhsa_kernel _Z19_skinny_gemm_kernelILi2ELi5ELi3ELi16ELi4EEvPKhS1_P6__halfPKfiiiiiiii
		.amdhsa_group_segment_fixed_size 43092
		.amdhsa_private_segment_fixed_size 0
		.amdhsa_kernarg_size 64
		.amdhsa_user_sgpr_count 2
		.amdhsa_user_sgpr_dispatch_ptr 0
		.amdhsa_user_sgpr_queue_ptr 0
		.amdhsa_user_sgpr_kernarg_segment_ptr 1
		.amdhsa_user_sgpr_dispatch_id 0
		.amdhsa_user_sgpr_kernarg_preload_length 0
		.amdhsa_user_sgpr_kernarg_preload_offset 0
		.amdhsa_user_sgpr_private_segment_size 0
		.amdhsa_uses_dynamic_stack 0
		.amdhsa_enable_private_segment 0
		.amdhsa_system_sgpr_workgroup_id_x 1
		.amdhsa_system_sgpr_workgroup_id_y 0
		.amdhsa_system_sgpr_workgroup_id_z 0
		.amdhsa_system_sgpr_workgroup_info 0
		.amdhsa_system_vgpr_workitem_id 0
		.amdhsa_next_free_vgpr 94
		.amdhsa_next_free_sgpr 71
		.amdhsa_accum_offset 96
		.amdhsa_reserve_vcc 1
		.amdhsa_float_round_mode_32 0
		.amdhsa_float_round_mode_16_64 0
		.amdhsa_float_denorm_mode_32 3
		.amdhsa_float_denorm_mode_16_64 3
		.amdhsa_dx10_clamp 1
		.amdhsa_ieee_mode 1
		.amdhsa_fp16_overflow 0
		.amdhsa_tg_split 0
		.amdhsa_exception_fp_ieee_invalid_op 0
		.amdhsa_exception_fp_denorm_src 0
		.amdhsa_exception_fp_ieee_div_zero 0
		.amdhsa_exception_fp_ieee_overflow 0
		.amdhsa_exception_fp_ieee_underflow 0
		.amdhsa_exception_fp_ieee_inexact 0
		.amdhsa_exception_int_div_zero 0
	.end_amdhsa_kernel
	.section	.text._Z19_skinny_gemm_kernelILi2ELi5ELi3ELi16ELi4EEvPKhS1_P6__halfPKfiiiiiiii,"axG",@progbits,_Z19_skinny_gemm_kernelILi2ELi5ELi3ELi16ELi4EEvPKhS1_P6__halfPKfiiiiiiii,comdat
.Lfunc_end224:
	.size	_Z19_skinny_gemm_kernelILi2ELi5ELi3ELi16ELi4EEvPKhS1_P6__halfPKfiiiiiiii, .Lfunc_end224-_Z19_skinny_gemm_kernelILi2ELi5ELi3ELi16ELi4EEvPKhS1_P6__halfPKfiiiiiiii
                                        ; -- End function
	.set _Z19_skinny_gemm_kernelILi2ELi5ELi3ELi16ELi4EEvPKhS1_P6__halfPKfiiiiiiii.num_vgpr, 94
	.set _Z19_skinny_gemm_kernelILi2ELi5ELi3ELi16ELi4EEvPKhS1_P6__halfPKfiiiiiiii.num_agpr, 0
	.set _Z19_skinny_gemm_kernelILi2ELi5ELi3ELi16ELi4EEvPKhS1_P6__halfPKfiiiiiiii.numbered_sgpr, 71
	.set _Z19_skinny_gemm_kernelILi2ELi5ELi3ELi16ELi4EEvPKhS1_P6__halfPKfiiiiiiii.num_named_barrier, 0
	.set _Z19_skinny_gemm_kernelILi2ELi5ELi3ELi16ELi4EEvPKhS1_P6__halfPKfiiiiiiii.private_seg_size, 0
	.set _Z19_skinny_gemm_kernelILi2ELi5ELi3ELi16ELi4EEvPKhS1_P6__halfPKfiiiiiiii.uses_vcc, 1
	.set _Z19_skinny_gemm_kernelILi2ELi5ELi3ELi16ELi4EEvPKhS1_P6__halfPKfiiiiiiii.uses_flat_scratch, 0
	.set _Z19_skinny_gemm_kernelILi2ELi5ELi3ELi16ELi4EEvPKhS1_P6__halfPKfiiiiiiii.has_dyn_sized_stack, 0
	.set _Z19_skinny_gemm_kernelILi2ELi5ELi3ELi16ELi4EEvPKhS1_P6__halfPKfiiiiiiii.has_recursion, 0
	.set _Z19_skinny_gemm_kernelILi2ELi5ELi3ELi16ELi4EEvPKhS1_P6__halfPKfiiiiiiii.has_indirect_call, 0
	.section	.AMDGPU.csdata,"",@progbits
; Kernel info:
; codeLenInByte = 6336
; TotalNumSgprs: 77
; NumVgprs: 94
; NumAgprs: 0
; TotalNumVgprs: 94
; ScratchSize: 0
; MemoryBound: 0
; FloatMode: 240
; IeeeMode: 1
; LDSByteSize: 43092 bytes/workgroup (compile time only)
; SGPRBlocks: 9
; VGPRBlocks: 11
; NumSGPRsForWavesPerEU: 77
; NumVGPRsForWavesPerEU: 94
; AccumOffset: 96
; Occupancy: 5
; WaveLimiterHint : 0
; COMPUTE_PGM_RSRC2:SCRATCH_EN: 0
; COMPUTE_PGM_RSRC2:USER_SGPR: 2
; COMPUTE_PGM_RSRC2:TRAP_HANDLER: 0
; COMPUTE_PGM_RSRC2:TGID_X_EN: 1
; COMPUTE_PGM_RSRC2:TGID_Y_EN: 0
; COMPUTE_PGM_RSRC2:TGID_Z_EN: 0
; COMPUTE_PGM_RSRC2:TIDIG_COMP_CNT: 0
; COMPUTE_PGM_RSRC3_GFX90A:ACCUM_OFFSET: 23
; COMPUTE_PGM_RSRC3_GFX90A:TG_SPLIT: 0
	.section	.text._Z19_skinny_gemm_kernelILi2ELi5ELi3ELi32ELi4EEvPKhS1_P6__halfPKfiiiiiiii,"axG",@progbits,_Z19_skinny_gemm_kernelILi2ELi5ELi3ELi32ELi4EEvPKhS1_P6__halfPKfiiiiiiii,comdat
	.protected	_Z19_skinny_gemm_kernelILi2ELi5ELi3ELi32ELi4EEvPKhS1_P6__halfPKfiiiiiiii ; -- Begin function _Z19_skinny_gemm_kernelILi2ELi5ELi3ELi32ELi4EEvPKhS1_P6__halfPKfiiiiiiii
	.globl	_Z19_skinny_gemm_kernelILi2ELi5ELi3ELi32ELi4EEvPKhS1_P6__halfPKfiiiiiiii
	.p2align	8
	.type	_Z19_skinny_gemm_kernelILi2ELi5ELi3ELi32ELi4EEvPKhS1_P6__halfPKfiiiiiiii,@function
_Z19_skinny_gemm_kernelILi2ELi5ELi3ELi32ELi4EEvPKhS1_P6__halfPKfiiiiiiii: ; @_Z19_skinny_gemm_kernelILi2ELi5ELi3ELi32ELi4EEvPKhS1_P6__halfPKfiiiiiiii
; %bb.0:
	v_cmp_gt_u32_e32 vcc, 21, v0
	s_and_saveexec_b64 s[4:5], vcc
; %bb.1:
	v_lshlrev_b32_e32 v1, 2, v0
	v_mov_b32_e32 v2, 0
	ds_write_b32 v1, v2 offset:43008
; %bb.2:
	s_or_b64 exec, exec, s[4:5]
	s_load_dwordx8 s[24:31], s[0:1], 0x20
	s_waitcnt lgkmcnt(0)
	s_barrier
	s_add_i32 s3, s24, 63
	s_ashr_i32 s5, s3, 31
	s_add_i32 s4, s25, 0x9f
	s_lshr_b32 s5, s5, 26
	s_mul_hi_i32 s4, s4, 0x66666667
	s_add_i32 s3, s3, s5
	s_ashr_i32 s14, s3, 6
	s_lshr_b32 s3, s4, 31
	s_ashr_i32 s4, s4, 6
	s_add_i32 s15, s4, s3
	s_mul_i32 s3, s15, s14
	s_mul_i32 s3, s3, s28
	s_add_i32 s4, s3, 0x12f
	s_mul_hi_i32 s4, s4, 0x6bca1af3
	s_lshr_b32 s5, s4, 31
	s_ashr_i32 s4, s4, 7
	s_add_i32 s4, s4, s5
	s_add_i32 s5, s2, 1
	s_mul_i32 s5, s4, s5
	v_cvt_f64_i32_e32 v[2:3], s3
	v_cvt_f64_u32_e32 v[4:5], s5
	v_min_f64 v[2:3], v[2:3], v[4:5]
	v_cvt_i32_f64_e32 v1, v[2:3]
	s_mul_i32 s2, s4, s2
	v_cmp_ge_i32_e32 vcc, s2, v1
	scratch_store_dword off, v1, off offset:4 ; 4-byte Folded Spill
	s_cbranch_vccnz .LBB225_55
; %bb.3:
	s_load_dwordx8 s[16:23], s[0:1], 0x0
	v_lshrrev_b32_e32 v1, 6, v0
	s_add_i32 s0, s30, s29
	v_cmp_le_i32_e64 s[34:35], s0, v1
	v_mov_b32_e32 v2, s29
	v_cmp_le_i32_e64 s[36:37], s29, v1
	v_mov_b32_e32 v3, s30
	v_cndmask_b32_e64 v3, 0, v3, s[34:35]
	v_cndmask_b32_e64 v2, 0, v2, s[36:37]
	s_abs_i32 s1, s28
	v_add_u32_e32 v2, v2, v3
	v_cvt_f32_u32_e32 v3, s1
	v_sub_u32_e32 v88, v1, v2
	s_ashr_i32 s3, s26, 31
	s_lshr_b32 s3, s3, 26
	v_rcp_iflag_f32_e32 v2, v3
	s_sub_i32 s6, 0, s1
	s_add_i32 s3, s26, s3
	s_ashr_i32 s3, s3, 6
	v_mul_f32_e32 v2, 0x4f7ffffe, v2
	v_cvt_u32_f32_e32 v2, v2
	s_abs_i32 s5, s3
	s_xor_b32 s4, s3, s28
	s_ashr_i32 s4, s4, 31
	v_readfirstlane_b32 s7, v2
	s_mul_i32 s6, s6, s7
	s_mul_hi_u32 s6, s7, s6
	s_add_i32 s7, s7, s6
	s_mul_hi_u32 s6, s5, s7
	s_mul_i32 s7, s6, s1
	s_sub_i32 s5, s5, s7
	s_add_i32 s7, s6, 1
	s_sub_i32 s8, s5, s1
	s_cmp_ge_u32 s5, s1
	s_cselect_b32 s6, s7, s6
	s_cselect_b32 s5, s8, s5
	s_add_i32 s7, s6, 1
	s_cmp_ge_u32 s5, s1
	s_cselect_b32 s1, s7, s6
	s_add_i32 s0, s0, s31
	v_and_b32_e32 v85, 31, v0
	v_lshrrev_b32_e32 v2, 3, v0
	v_cmp_gt_i32_e64 s[42:43], s0, v1
	v_lshlrev_b32_e32 v1, 2, v85
	v_and_b32_e32 v3, 4, v2
	v_lshlrev_b32_e32 v2, 6, v3
	v_or_b32_e32 v4, 0x7800, v1
	v_or_b32_e32 v5, v4, v2
	scratch_store_dword off, v5, off        ; 4-byte Folded Spill
	v_and_b32_e32 v5, 1, v0
	v_or_b32_e32 v98, v1, v2
	v_lshlrev_b32_e32 v2, 1, v5
	v_sub_u32_e32 v2, v0, v2
	v_add_u32_e32 v2, 1, v2
	v_and_b32_e32 v6, 63, v2
	v_bitop3_b32 v2, v0, 1, v0 bitop3:0xc
	scratch_store_dword off, v2, off offset:32 ; 4-byte Folded Spill
	v_bitop3_b32 v2, v0, 3, 1 bitop3:0x6c
	scratch_store_dword off, v2, off offset:36 ; 4-byte Folded Spill
	;; [unrolled: 2-line block ×8, first 2 shown]
	v_or_b32_e32 v2, 32, v85
	s_add_i32 s39, s28, -1
	scratch_store_dword off, v2, off offset:64 ; 4-byte Folded Spill
	v_or_b32_e32 v2, 64, v85
	v_lshrrev_b32_e32 v7, 1, v0
	s_abs_i32 s28, s14
	scratch_store_dword off, v2, off offset:68 ; 4-byte Folded Spill
	v_or_b32_e32 v2, 0x60, v85
	v_and_b32_e32 v8, 16, v7
	v_cvt_f32_u32_e32 v7, s28
	scratch_store_dword off, v2, off offset:72 ; 4-byte Folded Spill
	v_or_b32_e32 v2, 0x80, v85
	scratch_store_dword off, v2, off offset:76 ; 4-byte Folded Spill
	v_and_b32_e32 v2, 30, v0
	v_lshlrev_b32_e32 v0, 4, v0
                                        ; implicit-def: $vgpr127 : SGPR spill to VGPR lane
	v_and_b32_e32 v0, 0x200, v0
	v_writelane_b32 v127, s14, 0
	s_xor_b32 s1, s1, s4
	v_or_b32_e32 v111, v1, v0
	v_rcp_iflag_f32_e32 v1, v7
	v_writelane_b32 v127, s15, 1
	s_sub_i32 s38, s1, s4
	s_waitcnt lgkmcnt(0)
	v_writelane_b32 v127, s16, 2
	s_mul_i32 s1, s38, s39
	s_sub_i32 s40, s3, s1
	v_writelane_b32 v127, s17, 3
	s_abs_i32 s3, s15
	v_writelane_b32 v127, s18, 4
	v_or_b32_e32 v113, v4, v0
	v_mul_f32_e32 v0, 0x4f7ffffe, v1
	v_cvt_f32_u32_e32 v1, s3
	v_writelane_b32 v127, s19, 5
	v_writelane_b32 v127, s20, 6
	;; [unrolled: 1-line block ×4, first 2 shown]
	v_cvt_u32_f32_e32 v0, v0
	v_rcp_iflag_f32_e32 v1, v1
	v_writelane_b32 v127, s23, 9
	v_cndmask_b32_e64 v95, 0, 1, s[34:35]
	v_writelane_b32 v127, s34, 10
	v_readfirstlane_b32 s1, v0
	v_mul_f32_e32 v0, 0x4f7ffffe, v1
	v_writelane_b32 v127, s35, 11
	v_writelane_b32 v127, s36, 12
	v_cvt_u32_f32_e32 v0, v0
	s_sub_i32 s0, 0, s28
	v_writelane_b32 v127, s37, 13
	v_writelane_b32 v127, s38, 14
	;; [unrolled: 1-line block ×3, first 2 shown]
	s_mul_i32 s0, s0, s1
	v_writelane_b32 v127, s40, 16
	s_mul_hi_u32 s0, s1, s0
	v_writelane_b32 v127, s42, 17
	s_ashr_i32 s41, s14, 31
	s_add_i32 s44, s1, s0
	s_sub_i32 s0, 0, s3
	v_readfirstlane_b32 s1, v0
	v_writelane_b32 v127, s43, 18
	s_mul_i32 s0, s0, s1
	v_mbcnt_lo_u32_b32 v0, -1, 0
	v_writelane_b32 v127, s41, 19
	s_ashr_i32 s45, s15, 31
	s_mul_hi_u32 s0, s1, s0
	v_mbcnt_hi_u32_b32 v0, -1, v0
	v_writelane_b32 v127, s44, 20
	v_mov_b32_e32 v97, 0
	v_mul_lo_u32 v10, s27, v85
	s_add_i32 s46, s1, s0
	v_and_or_b32 v0, v0, 64, v6
	v_writelane_b32 v127, s45, 21
	v_ashrrev_i32_e32 v11, 31, v10
	v_mov_b32_e32 v9, v97
	s_lshl_b32 s33, s27, 5
	v_mul_lo_u32 v7, s26, v85
	v_or_b32_e32 v114, v5, v3
	v_lshlrev_b32_e32 v96, 1, v2
	v_lshlrev_b32_e32 v115, 2, v0
	v_mov_b32_e32 v116, v88
	v_writelane_b32 v127, s46, 22
	scratch_store_dwordx2 off, v[10:11], off offset:80 ; 8-byte Folded Spill
	scratch_store_dwordx2 off, v[8:9], off offset:8 ; 8-byte Folded Spill
	scratch_store_dword off, v7, off offset:16 ; 4-byte Folded Spill
	scratch_store_dword off, v85, off offset:28 ; 4-byte Folded Spill
	s_branch .LBB225_7
.LBB225_4:                              ;   in Loop: Header=BB225_7 Depth=1
	s_or_b64 exec, exec, s[6:7]
.LBB225_5:                              ;   in Loop: Header=BB225_7 Depth=1
	s_or_b64 exec, exec, s[4:5]
	v_subrev_u32_e32 v116, s12, v116
.LBB225_6:                              ;   in Loop: Header=BB225_7 Depth=1
	s_or_b64 exec, exec, s[0:1]
	scratch_load_dword v0, off, off offset:4 ; 4-byte Folded Reload
	s_add_i32 s2, s2, 1
	s_waitcnt vmcnt(0)
	v_cmp_ge_i32_e32 vcc, s2, v0
	s_cbranch_vccnz .LBB225_55
.LBB225_7:                              ; =>This Loop Header: Depth=1
                                        ;     Child Loop BB225_13 Depth 2
                                        ;       Child Loop BB225_15 Depth 3
                                        ;       Child Loop BB225_18 Depth 3
	;; [unrolled: 1-line block ×6, first 2 shown]
                                        ;     Child Loop BB225_34 Depth 2
                                        ;     Child Loop BB225_42 Depth 2
                                        ;       Child Loop BB225_44 Depth 3
                                        ;     Child Loop BB225_52 Depth 2
                                        ;       Child Loop BB225_54 Depth 3
	s_abs_i32 s1, s2
	s_mul_hi_u32 s4, s1, s44
	s_mul_i32 s5, s4, s28
	s_ashr_i32 s0, s2, 31
	s_sub_i32 s1, s1, s5
	s_xor_b32 s0, s0, s41
	s_add_i32 s5, s4, 1
	s_sub_i32 s6, s1, s28
	s_cmp_ge_u32 s1, s28
	s_cselect_b32 s4, s5, s4
	s_cselect_b32 s1, s6, s1
	s_add_i32 s5, s4, 1
	s_cmp_ge_u32 s1, s28
	s_cselect_b32 s1, s5, s4
	s_xor_b32 s1, s1, s0
	s_sub_i32 s0, s1, s0
	s_abs_i32 s4, s0
	s_mul_i32 s1, s0, s14
	s_mul_hi_u32 s5, s4, s46
	s_sub_i32 s1, s2, s1
	s_mul_i32 s6, s5, s3
	s_lshl_b32 s47, s1, 6
	s_ashr_i32 s1, s0, 31
	s_sub_i32 s4, s4, s6
	s_xor_b32 s1, s1, s45
	s_add_i32 s6, s5, 1
	s_sub_i32 s7, s4, s3
	s_cmp_ge_u32 s4, s3
	s_cselect_b32 s5, s6, s5
	s_cselect_b32 s4, s7, s4
	s_add_i32 s6, s5, 1
	s_cmp_ge_u32 s4, s3
	s_cselect_b32 s4, s6, s5
	s_xor_b32 s4, s4, s1
	s_sub_i32 s1, s4, s1
	s_mul_i32 s4, s1, s38
	s_lshl_b32 s13, s4, 6
	s_cmp_eq_u32 s1, s39
	s_cselect_b32 s98, s40, s38
	s_sub_i32 s4, s47, s24
	s_add_i32 s4, s4, 64
	s_max_i32 s99, s4, 0
	s_and_saveexec_b64 s[4:5], s[36:37]
	s_xor_b64 s[48:49], exec, s[4:5]
	s_cbranch_execz .LBB225_48
; %bb.8:                                ;   in Loop: Header=BB225_7 Depth=1
	s_mul_i32 s1, s1, s15
	s_sub_i32 s0, s0, s1
	s_mulk_i32 s0, 0xa0
	s_sub_i32 s70, s0, s25
	s_addk_i32 s70, 0xa0
	v_writelane_b32 v127, s48, 23
	s_max_i32 s1, s70, 0
	s_mov_b32 s4, s13
	v_writelane_b32 v127, s49, 24
	s_sub_i32 s68, s0, s1
	s_and_saveexec_b64 s[0:1], s[34:35]
	s_xor_b64 s[0:1], exec, s[0:1]
	s_cbranch_execz .LBB225_38
; %bb.9:                                ;   in Loop: Header=BB225_7 Depth=1
	s_mov_b64 s[6:7], exec
	v_writelane_b32 v127, s6, 25
	s_nop 1
	v_writelane_b32 v127, s7, 26
	s_and_b64 s[6:7], s[6:7], s[42:43]
	s_mov_b64 exec, s[6:7]
	s_cbranch_execz .LBB225_37
; %bb.10:                               ;   in Loop: Header=BB225_7 Depth=1
	global_load_dword v117, v97, s[22:23]
	v_mov_b32_e32 v79, 0
	v_cmp_gt_i32_e32 vcc, s98, v116
	v_mov_b32_e32 v78, v79
	v_mov_b32_e32 v77, v79
	;; [unrolled: 1-line block ×79, first 2 shown]
	s_and_saveexec_b64 s[6:7], vcc
	s_cbranch_execz .LBB225_32
; %bb.11:                               ;   in Loop: Header=BB225_7 Depth=1
	v_mov_b32_e32 v0, 0
	s_mov_b64 s[8:9], 0
	v_mov_b32_e32 v1, v0
	v_mov_b32_e32 v2, v0
	;; [unrolled: 1-line block ×79, first 2 shown]
	s_branch .LBB225_13
.LBB225_12:                             ;   in Loop: Header=BB225_13 Depth=2
	s_or_b64 exec, exec, s[10:11]
	v_add_u32_e32 v81, 0x2000, v80
	ds_read2_b32 v[82:83], v81 offset1:32
	v_add_u32_e32 v116, s31, v116
	s_waitcnt lgkmcnt(0)
	v_mfma_f32_32x32x16_fp8_fp8 v[0:15], v[92:93], v[82:83], v[0:15]
	ds_read2_b32 v[82:83], v81 offset0:128 offset1:160
	s_waitcnt lgkmcnt(0)
	v_mfma_f32_32x32x16_fp8_fp8 v[0:15], v[90:91], v[82:83], v[0:15]
	v_add_u32_e32 v82, 0x2400, v80
	ds_read2_b32 v[80:81], v82 offset1:32
	ds_read2_b32 v[82:83], v82 offset0:128 offset1:160
	ds_write_b32 v119, v120 offset:43044
	s_waitcnt lgkmcnt(2)
	v_mfma_f32_32x32x16_fp8_fp8 v[0:15], v[88:89], v[80:81], v[0:15]
	v_add_u32_e32 v88, s31, v118
	v_add_u32_e32 v80, 2, v95
	v_cmp_lt_i32_e32 vcc, 2, v88
	s_nop 1
	v_cndmask_b32_e32 v95, v95, v80, vcc
	v_cmp_le_i32_e32 vcc, s98, v116
	s_waitcnt lgkmcnt(1)
	v_mfma_f32_32x32x16_fp8_fp8 v[0:15], v[86:87], v[82:83], v[0:15]
	s_or_b64 s[8:9], vcc, s[8:9]
	s_andn2_b64 exec, exec, s[8:9]
	s_cbranch_execz .LBB225_31
.LBB225_13:                             ;   Parent Loop BB225_7 Depth=1
                                        ; =>  This Loop Header: Depth=2
                                        ;       Child Loop BB225_15 Depth 3
                                        ;       Child Loop BB225_18 Depth 3
	;; [unrolled: 1-line block ×6, first 2 shown]
	v_cmp_gt_i32_e32 vcc, 3, v88
	s_nop 1
	v_cndmask_b32_e64 v80, -3, 0, vcc
	v_add_u32_e32 v118, v80, v88
	v_mul_lo_u32 v119, v118, 40
	ds_read_b32 v80, v119 offset:43008
	s_waitcnt lgkmcnt(0)
	v_cmp_ne_u32_e32 vcc, v80, v95
	s_and_saveexec_b64 s[10:11], vcc
	s_cbranch_execz .LBB225_16
; %bb.14:                               ;   in Loop: Header=BB225_13 Depth=2
	s_mov_b64 s[12:13], 0
.LBB225_15:                             ;   Parent Loop BB225_7 Depth=1
                                        ;     Parent Loop BB225_13 Depth=2
                                        ; =>    This Inner Loop Header: Depth=3
	;;#ASMSTART
	s_sleep 0
	;;#ASMEND
	ds_read_b32 v80, v119 offset:43008
	s_waitcnt lgkmcnt(0)
	v_cmp_eq_u32_e32 vcc, v80, v95
	s_or_b64 s[12:13], vcc, s[12:13]
	s_andn2_b64 exec, exec, s[12:13]
	s_cbranch_execnz .LBB225_15
.LBB225_16:                             ;   in Loop: Header=BB225_13 Depth=2
	s_or_b64 exec, exec, s[10:11]
	scratch_load_dword v80, off, off        ; 4-byte Folded Reload
	v_add_u32_e32 v120, 1, v95
	s_waitcnt vmcnt(0)
	v_lshl_add_u32 v80, v118, 11, v80
	ds_read2_b32 v[92:93], v80 offset1:32
	ds_read2_b32 v[90:91], v80 offset0:128 offset1:160
	v_add_u32_e32 v80, 0x400, v80
	ds_read2_b32 v[88:89], v80 offset1:32
	ds_read_b32 v81, v119 offset:43012
	ds_read2_b32 v[86:87], v80 offset0:128 offset1:160
	ds_write_b32 v119, v120 offset:43008
	s_waitcnt lgkmcnt(2)
	v_cmp_ne_u32_e32 vcc, v81, v95
	s_and_saveexec_b64 s[10:11], vcc
	s_cbranch_execz .LBB225_19
; %bb.17:                               ;   in Loop: Header=BB225_13 Depth=2
	s_mov_b64 s[12:13], 0
.LBB225_18:                             ;   Parent Loop BB225_7 Depth=1
                                        ;     Parent Loop BB225_13 Depth=2
                                        ; =>    This Inner Loop Header: Depth=3
	;;#ASMSTART
	s_sleep 0
	;;#ASMEND
	ds_read_b32 v80, v119 offset:43012
	s_waitcnt lgkmcnt(0)
	v_cmp_eq_u32_e32 vcc, v80, v95
	s_or_b64 s[12:13], vcc, s[12:13]
	s_andn2_b64 exec, exec, s[12:13]
	s_cbranch_execnz .LBB225_18
.LBB225_19:                             ;   in Loop: Header=BB225_13 Depth=2
	s_or_b64 exec, exec, s[10:11]
	s_movk_i32 s5, 0x2800
	v_mul_lo_u32 v80, v118, s5
	v_or_b32_e32 v81, v98, v80
	ds_read2_b32 v[82:83], v81 offset1:32
	ds_write_b32 v119, v120 offset:43012
	s_waitcnt lgkmcnt(1)
	v_mfma_f32_32x32x16_fp8_fp8 v[64:79], v[92:93], v[82:83], v[64:79]
	ds_read2_b32 v[82:83], v81 offset0:128 offset1:160
	v_add_u32_e32 v81, 0x400, v81
	s_waitcnt lgkmcnt(0)
	v_mfma_f32_32x32x16_fp8_fp8 v[64:79], v[90:91], v[82:83], v[64:79]
	ds_read2_b32 v[82:83], v81 offset1:32
	s_waitcnt lgkmcnt(0)
	v_mfma_f32_32x32x16_fp8_fp8 v[64:79], v[88:89], v[82:83], v[64:79]
	ds_read2_b32 v[82:83], v81 offset0:128 offset1:160
	ds_read_b32 v81, v119 offset:43020
	s_waitcnt lgkmcnt(0)
	v_cmp_ne_u32_e32 vcc, v81, v95
	v_mfma_f32_32x32x16_fp8_fp8 v[64:79], v[86:87], v[82:83], v[64:79]
	s_and_saveexec_b64 s[10:11], vcc
	s_cbranch_execz .LBB225_22
; %bb.20:                               ;   in Loop: Header=BB225_13 Depth=2
	s_mov_b64 s[12:13], 0
.LBB225_21:                             ;   Parent Loop BB225_7 Depth=1
                                        ;     Parent Loop BB225_13 Depth=2
                                        ; =>    This Inner Loop Header: Depth=3
	;;#ASMSTART
	s_sleep 0
	;;#ASMEND
	ds_read_b32 v81, v119 offset:43020
	s_waitcnt lgkmcnt(0)
	v_cmp_eq_u32_e32 vcc, v81, v95
	s_or_b64 s[12:13], vcc, s[12:13]
	s_andn2_b64 exec, exec, s[12:13]
	s_cbranch_execnz .LBB225_21
.LBB225_22:                             ;   in Loop: Header=BB225_13 Depth=2
	s_or_b64 exec, exec, s[10:11]
	v_add_u32_e32 v80, v98, v80
	v_add_u32_e32 v81, 0x800, v80
	ds_read2_b32 v[82:83], v81 offset1:32
	ds_write_b32 v119, v120 offset:43020
	s_waitcnt lgkmcnt(1)
	v_mfma_f32_32x32x16_fp8_fp8 v[48:63], v[92:93], v[82:83], v[48:63]
	ds_read2_b32 v[82:83], v81 offset0:128 offset1:160
	v_add_u32_e32 v81, 0xc00, v80
	s_waitcnt lgkmcnt(0)
	v_mfma_f32_32x32x16_fp8_fp8 v[48:63], v[90:91], v[82:83], v[48:63]
	ds_read2_b32 v[82:83], v81 offset1:32
	s_waitcnt lgkmcnt(0)
	v_mfma_f32_32x32x16_fp8_fp8 v[48:63], v[88:89], v[82:83], v[48:63]
	ds_read2_b32 v[82:83], v81 offset0:128 offset1:160
	ds_read_b32 v81, v119 offset:43028
	s_waitcnt lgkmcnt(0)
	v_cmp_ne_u32_e32 vcc, v81, v95
	v_mfma_f32_32x32x16_fp8_fp8 v[48:63], v[86:87], v[82:83], v[48:63]
	s_and_saveexec_b64 s[10:11], vcc
	s_cbranch_execz .LBB225_25
; %bb.23:                               ;   in Loop: Header=BB225_13 Depth=2
	s_mov_b64 s[12:13], 0
.LBB225_24:                             ;   Parent Loop BB225_7 Depth=1
                                        ;     Parent Loop BB225_13 Depth=2
                                        ; =>    This Inner Loop Header: Depth=3
	;;#ASMSTART
	s_sleep 0
	;;#ASMEND
	ds_read_b32 v81, v119 offset:43028
	s_waitcnt lgkmcnt(0)
	v_cmp_eq_u32_e32 vcc, v81, v95
	s_or_b64 s[12:13], vcc, s[12:13]
	s_andn2_b64 exec, exec, s[12:13]
	s_cbranch_execnz .LBB225_24
.LBB225_25:                             ;   in Loop: Header=BB225_13 Depth=2
	s_or_b64 exec, exec, s[10:11]
	v_add_u32_e32 v81, 0x1000, v80
	ds_read2_b32 v[82:83], v81 offset1:32
	s_waitcnt lgkmcnt(0)
	v_mfma_f32_32x32x16_fp8_fp8 v[32:47], v[92:93], v[82:83], v[32:47]
	ds_read2_b32 v[82:83], v81 offset0:128 offset1:160
	v_add_u32_e32 v81, 0x1400, v80
	s_waitcnt lgkmcnt(0)
	v_mfma_f32_32x32x16_fp8_fp8 v[32:47], v[90:91], v[82:83], v[32:47]
	ds_read2_b32 v[82:83], v81 offset1:32
	s_waitcnt lgkmcnt(0)
	v_mfma_f32_32x32x16_fp8_fp8 v[32:47], v[88:89], v[82:83], v[32:47]
	ds_read_b32 v84, v119 offset:43036
	ds_read2_b32 v[82:83], v81 offset0:128 offset1:160
	ds_write_b32 v119, v120 offset:43028
	s_waitcnt lgkmcnt(2)
	v_cmp_ne_u32_e32 vcc, v84, v95
	s_waitcnt lgkmcnt(1)
	v_mfma_f32_32x32x16_fp8_fp8 v[32:47], v[86:87], v[82:83], v[32:47]
	s_and_saveexec_b64 s[10:11], vcc
	s_cbranch_execz .LBB225_28
; %bb.26:                               ;   in Loop: Header=BB225_13 Depth=2
	s_mov_b64 s[12:13], 0
.LBB225_27:                             ;   Parent Loop BB225_7 Depth=1
                                        ;     Parent Loop BB225_13 Depth=2
                                        ; =>    This Inner Loop Header: Depth=3
	;;#ASMSTART
	s_sleep 0
	;;#ASMEND
	ds_read_b32 v81, v119 offset:43036
	s_waitcnt lgkmcnt(0)
	v_cmp_eq_u32_e32 vcc, v81, v95
	s_or_b64 s[12:13], vcc, s[12:13]
	s_andn2_b64 exec, exec, s[12:13]
	s_cbranch_execnz .LBB225_27
.LBB225_28:                             ;   in Loop: Header=BB225_13 Depth=2
	s_or_b64 exec, exec, s[10:11]
	v_add_u32_e32 v81, 0x1800, v80
	ds_read2_b32 v[82:83], v81 offset1:32
	s_waitcnt lgkmcnt(0)
	v_mfma_f32_32x32x16_fp8_fp8 v[16:31], v[92:93], v[82:83], v[16:31]
	ds_read2_b32 v[82:83], v81 offset0:128 offset1:160
	v_add_u32_e32 v81, 0x1c00, v80
	s_waitcnt lgkmcnt(0)
	v_mfma_f32_32x32x16_fp8_fp8 v[16:31], v[90:91], v[82:83], v[16:31]
	ds_read2_b32 v[82:83], v81 offset1:32
	s_waitcnt lgkmcnt(0)
	v_mfma_f32_32x32x16_fp8_fp8 v[16:31], v[88:89], v[82:83], v[16:31]
	ds_read_b32 v84, v119 offset:43044
	ds_read2_b32 v[82:83], v81 offset0:128 offset1:160
	ds_write_b32 v119, v120 offset:43036
	s_waitcnt lgkmcnt(2)
	v_cmp_ne_u32_e32 vcc, v84, v95
	s_waitcnt lgkmcnt(1)
	v_mfma_f32_32x32x16_fp8_fp8 v[16:31], v[86:87], v[82:83], v[16:31]
	s_and_saveexec_b64 s[10:11], vcc
	s_cbranch_execz .LBB225_12
; %bb.29:                               ;   in Loop: Header=BB225_13 Depth=2
	s_mov_b64 s[12:13], 0
.LBB225_30:                             ;   Parent Loop BB225_7 Depth=1
                                        ;     Parent Loop BB225_13 Depth=2
                                        ; =>    This Inner Loop Header: Depth=3
	;;#ASMSTART
	s_sleep 0
	;;#ASMEND
	ds_read_b32 v81, v119 offset:43044
	s_waitcnt lgkmcnt(0)
	v_cmp_eq_u32_e32 vcc, v81, v95
	s_or_b64 s[12:13], vcc, s[12:13]
	s_andn2_b64 exec, exec, s[12:13]
	s_cbranch_execnz .LBB225_30
	s_branch .LBB225_12
.LBB225_31:                             ;   in Loop: Header=BB225_7 Depth=1
	s_or_b64 exec, exec, s[8:9]
.LBB225_32:                             ;   in Loop: Header=BB225_7 Depth=1
	s_or_b64 exec, exec, s[6:7]
	scratch_load_dword v99, off, off offset:32 ; 4-byte Folded Reload
	scratch_load_dword v106, off, off offset:40 ; 4-byte Folded Reload
	v_cmp_le_i32_e32 vcc, s70, v85
	v_writelane_b32 v127, s47, 27
	s_mul_i32 s6, s47, s25
	s_waitcnt vmcnt(2)
	v_cndmask_b32_e32 v80, 0, v117, vcc
	v_pk_mul_f32 v[64:65], v[80:81], v[64:65] op_sel_hi:[0,1]
	v_pk_mul_f32 v[78:79], v[80:81], v[78:79] op_sel_hi:[0,1]
	;; [unrolled: 1-line block ×8, first 2 shown]
	s_ashr_i32 s7, s6, 31
	s_lshl_b64 s[6:7], s[6:7], 1
	s_add_u32 s71, s20, s6
	s_addc_u32 s72, s21, s7
	s_ashr_i32 s69, s68, 31
	s_mov_b32 s82, s68
	s_lshl_b64 s[68:69], s[68:69], 1
	v_writelane_b32 v127, s82, 28
	s_add_u32 s68, s71, s68
	s_addc_u32 s69, s72, s69
	v_writelane_b32 v127, s83, 29
	v_writelane_b32 v127, s68, 30
	scratch_store_dwordx2 off, v[96:97], off offset:20 ; 8-byte Folded Spill
	v_subrev_u32_e32 v116, s98, v116
	v_writelane_b32 v127, s69, 31
	s_mov_b32 s5, 0
	s_waitcnt vmcnt(2)
	v_cmp_eq_u32_e64 s[64:65], 1, v99
	s_nop 1
	v_cndmask_b32_e64 v80, v64, v65, s[64:65]
	v_cmp_eq_u32_e64 s[38:39], 2, v99
	v_cmp_eq_u32_e64 s[40:41], 3, v99
	v_cmp_eq_u32_e64 s[42:43], 4, v99
	v_cndmask_b32_e64 v80, v80, v66, s[38:39]
	v_cndmask_b32_e64 v80, v80, v67, s[40:41]
	v_cndmask_b32_e64 v80, v80, v68, s[42:43]
	v_cmp_eq_u32_e64 s[44:45], 5, v99
	v_cmp_eq_u32_e64 s[46:47], 6, v99
	v_cmp_eq_u32_e64 s[48:49], 7, v99
	v_cndmask_b32_e64 v80, v80, v69, s[44:45]
	v_cndmask_b32_e64 v80, v80, v70, s[46:47]
	;; [unrolled: 6-line block ×5, first 2 shown]
	ds_bpermute_b32 v80, v115, v80
	s_waitcnt vmcnt(1)
	v_cmp_eq_u32_e64 s[72:73], 8, v106
	s_waitcnt lgkmcnt(0)
	v_cndmask_b32_e64 v79, v79, v80, s[66:67]
	v_cndmask_b32_e64 v78, v78, v80, s[62:63]
	;; [unrolled: 1-line block ×16, first 2 shown]
	scratch_load_dword v80, off, off offset:36 ; 4-byte Folded Reload
	s_waitcnt vmcnt(0)
	v_cmp_eq_u32_e32 vcc, 1, v80
	s_nop 1
	v_cndmask_b32_e32 v64, v87, v90, vcc
	v_cmp_eq_u32_e64 s[6:7], 2, v80
	v_cmp_eq_u32_e64 s[8:9], 3, v80
	v_cmp_eq_u32_e64 s[10:11], 4, v80
	v_cndmask_b32_e64 v64, v64, v66, s[6:7]
	v_cndmask_b32_e64 v64, v64, v86, s[8:9]
	v_cndmask_b32_e64 v64, v64, v85, s[10:11]
	v_cmp_eq_u32_e64 s[12:13], 5, v80
	v_cmp_eq_u32_e64 s[14:15], 6, v80
	v_cmp_eq_u32_e64 s[16:17], 7, v80
	v_cndmask_b32_e64 v64, v64, v84, s[12:13]
	v_cndmask_b32_e64 v64, v64, v83, s[14:15]
	v_cndmask_b32_e64 v64, v64, v82, s[16:17]
	;; [unrolled: 6-line block ×4, first 2 shown]
	v_cmp_eq_u32_e64 s[80:81], 14, v80
	v_cmp_eq_u32_e64 s[34:35], 15, v80
	s_nop 0
	v_cndmask_b32_e64 v64, v64, v78, s[80:81]
	v_cndmask_b32_e64 v64, v64, v79, s[34:35]
	ds_bpermute_b32 v89, v115, v64
	scratch_load_dword v64, off, off offset:64 ; 4-byte Folded Reload
	s_waitcnt lgkmcnt(0)
	v_cndmask_b32_e64 v65, v79, v89, s[34:35]
	v_cndmask_b32_e64 v79, v66, v89, s[6:7]
	scratch_load_dword v66, off, off offset:72 ; 4-byte Folded Reload
	v_cndmask_b32_e64 v67, v78, v89, s[80:81]
	v_cndmask_b32_e64 v70, v75, v89, s[74:75]
	;; [unrolled: 1-line block ×8, first 2 shown]
	v_cndmask_b32_e32 v86, v90, v89, vcc
	v_cndmask_b32_e64 v68, v77, v89, s[78:79]
	v_cndmask_b32_e64 v77, v85, v89, s[10:11]
	;; [unrolled: 1-line block ×4, first 2 shown]
	s_waitcnt vmcnt(1)
	v_cmp_le_i32_e64 s[68:69], s70, v64
	s_nop 1
	v_cndmask_b32_e64 v64, 0, v117, s[68:69]
	v_pk_mul_f32 v[62:63], v[64:65], v[62:63] op_sel_hi:[0,1]
	v_pk_mul_f32 v[60:61], v[64:65], v[60:61] op_sel_hi:[0,1]
	;; [unrolled: 1-line block ×8, first 2 shown]
	scratch_load_dword v64, off, off offset:68 ; 4-byte Folded Reload
	v_cndmask_b32_e64 v81, v48, v49, s[64:65]
	v_cndmask_b32_e64 v81, v81, v50, s[38:39]
	;; [unrolled: 1-line block ×15, first 2 shown]
	ds_bpermute_b32 v122, v115, v81
	s_waitcnt vmcnt(0)
	v_cmp_le_i32_e64 s[68:69], s70, v64
	s_nop 1
	v_cndmask_b32_e64 v64, 0, v117, s[68:69]
	v_cmp_le_i32_e64 s[68:69], s70, v66
	v_pk_mul_f32 v[32:33], v[64:65], v[32:33] op_sel_hi:[0,1]
	v_pk_mul_f32 v[34:35], v[64:65], v[34:35] op_sel_hi:[0,1]
	v_cndmask_b32_e64 v66, 0, v117, s[68:69]
	v_cmp_eq_u32_e64 s[68:69], 0, v80
	scratch_load_dword v80, off, off offset:76 ; 4-byte Folded Reload
	v_pk_mul_f32 v[82:83], v[66:67], v[28:29] op_sel_hi:[0,1]
	v_cndmask_b32_e64 v28, v32, v33, s[64:65]
	v_cndmask_b32_e64 v28, v28, v34, s[38:39]
	v_pk_mul_f32 v[36:37], v[64:65], v[36:37] op_sel_hi:[0,1]
	v_cndmask_b32_e64 v28, v28, v35, s[40:41]
	v_cndmask_b32_e64 v28, v28, v36, s[42:43]
	;; [unrolled: 3-line block ×7, first 2 shown]
	v_pk_mul_f32 v[16:17], v[66:67], v[16:17] op_sel_hi:[0,1]
	v_cndmask_b32_e64 v28, v28, v47, s[66:67]
	v_pk_mul_f32 v[18:19], v[66:67], v[18:19] op_sel_hi:[0,1]
	ds_bpermute_b32 v123, v115, v28
	v_cndmask_b32_e64 v28, v16, v17, s[64:65]
	v_cndmask_b32_e64 v28, v28, v18, s[38:39]
	v_pk_mul_f32 v[20:21], v[66:67], v[20:21] op_sel_hi:[0,1]
	v_cndmask_b32_e64 v28, v28, v19, s[40:41]
	v_cndmask_b32_e64 v28, v28, v20, s[42:43]
	v_pk_mul_f32 v[22:23], v[66:67], v[22:23] op_sel_hi:[0,1]
	;; [unrolled: 3-line block ×4, first 2 shown]
	v_cndmask_b32_e64 v28, v28, v25, s[52:53]
	v_cndmask_b32_e64 v28, v28, v26, s[54:55]
	;; [unrolled: 1-line block ×4, first 2 shown]
	v_pk_mul_f32 v[30:31], v[66:67], v[30:31] op_sel_hi:[0,1]
	v_cndmask_b32_e64 v28, v28, v83, s[60:61]
	v_cndmask_b32_e64 v28, v28, v30, s[62:63]
	;; [unrolled: 1-line block ×3, first 2 shown]
	ds_bpermute_b32 v124, v115, v28
	v_cndmask_b32_e64 v87, v87, v89, s[68:69]
	s_waitcnt lgkmcnt(2)
	v_cndmask_b32_e64 v28, v63, v122, s[66:67]
	s_waitcnt lgkmcnt(1)
	v_cndmask_b32_e64 v63, v47, v123, s[66:67]
	v_cndmask_b32_e64 v29, v62, v122, s[62:63]
	s_waitcnt lgkmcnt(0)
	v_cndmask_b32_e64 v85, v31, v124, s[66:67]
	v_cndmask_b32_e64 v62, v46, v123, s[62:63]
	;; [unrolled: 1-line block ×27, first 2 shown]
	s_waitcnt vmcnt(0)
	v_cmp_le_i32_e64 s[70:71], s70, v80
	s_nop 1
	v_cndmask_b32_e64 v80, 0, v117, s[70:71]
	v_pk_mul_f32 v[0:1], v[80:81], v[0:1] op_sel_hi:[0,1]
	v_pk_mul_f32 v[96:97], v[80:81], v[8:9] op_sel_hi:[0,1]
	;; [unrolled: 1-line block ×3, first 2 shown]
	v_cndmask_b32_e64 v9, v0, v1, s[64:65]
	v_cndmask_b32_e64 v9, v9, v2, s[38:39]
	v_pk_mul_f32 v[4:5], v[80:81], v[4:5] op_sel_hi:[0,1]
	v_cndmask_b32_e64 v9, v9, v3, s[40:41]
	v_cndmask_b32_e64 v9, v9, v4, s[42:43]
	v_pk_mul_f32 v[118:119], v[80:81], v[6:7] op_sel_hi:[0,1]
	v_cndmask_b32_e64 v9, v9, v5, s[44:45]
	v_cndmask_b32_e64 v9, v9, v118, s[46:47]
	;; [unrolled: 1-line block ×4, first 2 shown]
	v_pk_mul_f32 v[10:11], v[80:81], v[10:11] op_sel_hi:[0,1]
	v_cndmask_b32_e64 v9, v9, v97, s[52:53]
	v_cndmask_b32_e64 v9, v9, v10, s[54:55]
	v_pk_mul_f32 v[12:13], v[80:81], v[12:13] op_sel_hi:[0,1]
	v_cndmask_b32_e64 v9, v9, v11, s[56:57]
	v_cndmask_b32_e64 v9, v9, v12, s[58:59]
	;; [unrolled: 3-line block ×3, first 2 shown]
	v_cndmask_b32_e64 v9, v9, v15, s[66:67]
	ds_bpermute_b32 v125, v115, v9
	v_cmp_eq_u32_e64 s[70:71], 1, v106
	v_cndmask_b32_e64 v6, v49, v122, s[64:65]
	v_cndmask_b32_e64 v7, v33, v123, s[64:65]
	;; [unrolled: 1-line block ×4, first 2 shown]
	v_cmp_eq_u32_e64 s[64:65], 2, v106
	s_waitcnt lgkmcnt(0)
	v_cndmask_b32_e64 v101, v15, v125, s[66:67]
	v_cmp_eq_u32_e64 s[66:67], 3, v106
	v_cndmask_b32_e64 v9, v64, v79, s[64:65]
	v_cndmask_b32_e64 v102, v14, v125, s[62:63]
	;; [unrolled: 1-line block ×3, first 2 shown]
	v_cmp_eq_u32_e64 s[62:63], 4, v106
	v_cndmask_b32_e64 v103, v13, v125, s[60:61]
	v_cmp_eq_u32_e64 s[60:61], 5, v106
	v_cndmask_b32_e64 v9, v9, v77, s[62:63]
	v_cndmask_b32_e64 v104, v12, v125, s[58:59]
	v_cndmask_b32_e64 v9, v9, v76, s[60:61]
	v_cmp_eq_u32_e64 s[58:59], 6, v106
	v_cndmask_b32_e64 v33, v59, v122, s[56:57]
	v_cndmask_b32_e64 v59, v27, v124, s[56:57]
	v_cndmask_b32_e64 v9, v9, v75, s[58:59]
	v_cndmask_b32_e64 v105, v11, v125, s[56:57]
	v_cmp_eq_u32_e64 s[56:57], 7, v106
	v_cndmask_b32_e64 v80, v41, v123, s[52:53]
	;; [unrolled: 5-line block ×3, first 2 shown]
	v_cndmask_b32_e64 v109, v96, v125, s[50:51]
	v_cndmask_b32_e64 v9, v9, v72, s[52:53]
	v_cmp_eq_u32_e64 s[50:51], 10, v106
	v_cndmask_b32_e64 v64, v42, v123, s[54:55]
	v_cndmask_b32_e64 v107, v10, v125, s[54:55]
	v_cndmask_b32_e64 v9, v9, v71, s[50:51]
	v_cmp_eq_u32_e64 s[54:55], 11, v106
	v_cndmask_b32_e64 v96, v23, v124, s[48:49]
	;; [unrolled: 4-line block ×3, first 2 shown]
	v_cndmask_b32_e64 v118, v53, v122, s[44:45]
	v_cndmask_b32_e64 v9, v9, v69, s[48:49]
	;; [unrolled: 1-line block ×4, first 2 shown]
	v_cmp_eq_u32_e64 s[44:45], 13, v106
	v_cndmask_b32_e64 v117, v4, v125, s[42:43]
	v_cmp_eq_u32_e64 s[42:43], 14, v106
	v_cndmask_b32_e64 v5, v9, v68, s[44:45]
	v_cndmask_b32_e64 v37, v35, v123, s[40:41]
	v_cndmask_b32_e64 v4, v5, v67, s[42:43]
	v_cndmask_b32_e64 v53, v3, v125, s[40:41]
	v_cmp_eq_u32_e64 s[40:41], 15, v106
	v_cndmask_b32_e64 v2, v2, v125, s[38:39]
	v_cndmask_b32_e64 v97, v22, v124, s[46:47]
	;; [unrolled: 1-line block ×3, first 2 shown]
	ds_bpermute_b32 v23, v115, v3
	v_cndmask_b32_e64 v49, v54, v122, s[46:47]
	v_cndmask_b32_e64 v54, v16, v124, s[36:37]
	s_waitcnt lgkmcnt(0)
	v_cndmask_b32_e64 v5, v68, v23, s[44:45]
	v_cndmask_b32_e64 v9, v69, v23, s[48:49]
	;; [unrolled: 1-line block ×4, first 2 shown]
	v_cmp_ne_u32_e64 s[38:39], 0, v99
	scratch_load_dword v99, off, off offset:44 ; 4-byte Folded Reload
	v_cndmask_b32_e64 v10, v70, v23, s[54:55]
	v_cndmask_b32_e64 v70, v1, v125, s[38:39]
	v_cmp_eq_u32_e64 s[38:39], 0, v106
	v_cndmask_b32_e64 v3, v65, v23, s[40:41]
	v_cndmask_b32_e64 v4, v67, v23, s[42:43]
	;; [unrolled: 1-line block ×15, first 2 shown]
	v_cndmask_b32_e32 v0, v23, v6, vcc
	v_cndmask_b32_e64 v0, v0, v68, s[6:7]
	v_cndmask_b32_e64 v0, v0, v36, s[8:9]
	v_cndmask_b32_e64 v0, v0, v66, s[10:11]
	v_cndmask_b32_e64 v0, v0, v118, s[12:13]
	v_cndmask_b32_e64 v0, v0, v49, s[14:15]
	v_cndmask_b32_e64 v0, v0, v47, s[16:17]
	v_cndmask_b32_e64 v0, v0, v46, s[18:19]
	v_cndmask_b32_e64 v0, v0, v45, s[20:21]
	v_cndmask_b32_e64 v0, v0, v44, s[22:23]
	v_cndmask_b32_e64 v0, v0, v33, s[74:75]
	v_cndmask_b32_e64 v0, v0, v31, s[76:77]
	v_cndmask_b32_e64 v0, v0, v30, s[78:79]
	v_cndmask_b32_e64 v0, v0, v29, s[80:81]
	v_cndmask_b32_e64 v0, v0, v28, s[34:35]
	ds_bpermute_b32 v122, v115, v0
	v_cndmask_b32_e32 v0, v38, v7, vcc
	v_cndmask_b32_e64 v0, v0, v69, s[6:7]
	v_cndmask_b32_e64 v0, v0, v37, s[8:9]
	v_cndmask_b32_e64 v0, v0, v84, s[10:11]
	v_cndmask_b32_e64 v0, v0, v119, s[12:13]
	v_cndmask_b32_e64 v0, v0, v83, s[14:15]
	v_cndmask_b32_e64 v0, v0, v82, s[16:17]
	v_cndmask_b32_e64 v0, v0, v81, s[18:19]
	v_cndmask_b32_e64 v0, v0, v80, s[20:21]
	v_cndmask_b32_e64 v0, v0, v64, s[22:23]
	v_cndmask_b32_e64 v0, v0, v43, s[74:75]
	v_cndmask_b32_e64 v0, v0, v60, s[76:77]
	v_cndmask_b32_e64 v0, v0, v61, s[78:79]
	v_cndmask_b32_e64 v0, v0, v62, s[80:81]
	v_cndmask_b32_e64 v0, v0, v63, s[34:35]
	ds_bpermute_b32 v123, v115, v0
	;; [unrolled: 16-line block ×4, first 2 shown]
	s_waitcnt lgkmcnt(2)
	v_cndmask_b32_e64 v48, v83, v123, s[14:15]
	scratch_load_dword v83, off, off offset:48 ; 4-byte Folded Reload
	s_waitcnt vmcnt(1)
	v_cmp_eq_u32_e64 s[36:37], 1, v99
	v_cndmask_b32_e64 v24, v28, v122, s[34:35]
	v_cndmask_b32_e64 v39, v63, v123, s[34:35]
	;; [unrolled: 1-line block ×3, first 2 shown]
	s_waitcnt lgkmcnt(1)
	v_cndmask_b32_e64 v55, v85, v124, s[34:35]
	s_waitcnt lgkmcnt(0)
	v_cndmask_b32_e64 v72, v101, v125, s[34:35]
	v_cmp_eq_u32_e64 s[34:35], 2, v99
	v_cmp_eq_u32_e64 s[88:89], 3, v99
	;; [unrolled: 1-line block ×3, first 2 shown]
	v_cndmask_b32_e64 v0, v0, v21, s[34:35]
	v_cndmask_b32_e64 v0, v0, v20, s[88:89]
	;; [unrolled: 1-line block ×3, first 2 shown]
	v_cmp_eq_u32_e64 s[94:95], 5, v99
	v_cmp_eq_u32_e64 s[96:97], 6, v99
	v_cndmask_b32_e64 v25, v29, v122, s[80:81]
	v_cndmask_b32_e64 v0, v0, v17, s[94:95]
	;; [unrolled: 1-line block ×8, first 2 shown]
	v_cmp_eq_u32_e64 s[22:23], 7, v99
	v_cndmask_b32_e64 v28, v33, v122, s[74:75]
	v_cndmask_b32_e64 v43, v43, v123, s[74:75]
	;; [unrolled: 1-line block ×5, first 2 shown]
	v_cmp_eq_u32_e64 s[74:75], 8, v99
	v_cndmask_b32_e64 v40, v62, v123, s[80:81]
	v_cndmask_b32_e64 v27, v31, v122, s[76:77]
	;; [unrolled: 1-line block ×7, first 2 shown]
	v_cmp_eq_u32_e64 s[18:19], 9, v99
	v_cndmask_b32_e64 v32, v47, v122, s[16:17]
	v_cndmask_b32_e64 v47, v82, v123, s[16:17]
	;; [unrolled: 1-line block ×5, first 2 shown]
	v_cmp_eq_u32_e64 s[16:17], 10, v99
	v_cndmask_b32_e64 v33, v49, v122, s[14:15]
	v_cndmask_b32_e64 v64, v97, v124, s[14:15]
	;; [unrolled: 1-line block ×4, first 2 shown]
	v_cmp_eq_u32_e64 s[14:15], 11, v99
	v_cndmask_b32_e64 v56, v89, v124, s[80:81]
	v_cndmask_b32_e64 v34, v118, v122, s[12:13]
	;; [unrolled: 1-line block ×6, first 2 shown]
	v_cmp_eq_u32_e64 s[12:13], 12, v99
	v_cmp_eq_u32_e64 s[84:85], 13, v99
	v_cndmask_b32_e64 v57, v90, v124, s[78:79]
	v_cndmask_b32_e64 v0, v0, v9, s[12:13]
	;; [unrolled: 1-line block ×7, first 2 shown]
	v_cmp_eq_u32_e64 s[10:11], 14, v99
	v_cndmask_b32_e64 v58, v91, v124, s[76:77]
	v_cndmask_b32_e64 v36, v36, v122, s[8:9]
	;; [unrolled: 1-line block ×6, first 2 shown]
	v_cmp_eq_u32_e64 s[8:9], 15, v99
	v_cndmask_b32_e64 v26, v30, v122, s[78:79]
	v_cndmask_b32_e64 v30, v45, v122, s[20:21]
	;; [unrolled: 1-line block ×4, first 2 shown]
	ds_bpermute_b32 v80, v115, v0
	v_cndmask_b32_e64 v92, v2, v125, s[6:7]
	v_cndmask_b32_e64 v37, v68, v122, s[6:7]
	v_cndmask_b32_e32 v53, v7, v123, vcc
	v_cndmask_b32_e64 v38, v38, v123, s[68:69]
	s_waitcnt lgkmcnt(0)
	v_cndmask_b32_e64 v2, v4, v80, s[10:11]
	v_cndmask_b32_e64 v4, v9, v80, s[12:13]
	v_cndmask_b32_e64 v9, v11, v80, s[16:17]
	v_cndmask_b32_e64 v11, v13, v80, s[74:75]
	v_cndmask_b32_e64 v13, v15, v80, s[96:97]
	v_cndmask_b32_e64 v15, v19, v80, s[92:93]
	v_cndmask_b32_e64 v16, v20, v80, s[88:89]
	v_cndmask_b32_e32 v19, v6, v122, vcc
	v_cndmask_b32_e64 v20, v23, v122, s[68:69]
	v_cndmask_b32_e64 v6, v20, v19, s[70:71]
	;; [unrolled: 1-line block ×19, first 2 shown]
	v_cndmask_b32_e32 v93, v70, v125, vcc
	v_cndmask_b32_e64 v70, v54, v124, s[68:69]
	ds_bpermute_b32 v54, v115, v6
	v_cndmask_b32_e64 v6, v38, v53, s[70:71]
	v_cndmask_b32_e64 v6, v6, v52, s[64:65]
	;; [unrolled: 1-line block ×15, first 2 shown]
	v_cndmask_b32_e32 v69, v8, v124, vcc
	v_cmp_eq_u32_e64 s[6:7], 0, v99
	v_cndmask_b32_e64 v6, v6, v39, s[40:41]
	v_cndmask_b32_e64 v0, v3, v80, s[8:9]
	;; [unrolled: 1-line block ×10, first 2 shown]
	ds_bpermute_b32 v80, v115, v6
	v_cndmask_b32_e64 v6, v70, v69, s[70:71]
	v_cndmask_b32_e64 v6, v6, v68, s[64:65]
	;; [unrolled: 1-line block ×16, first 2 shown]
	ds_bpermute_b32 v81, v115, v6
	v_cndmask_b32_e64 v6, v107, v93, s[70:71]
	v_cndmask_b32_e64 v6, v6, v92, s[64:65]
	;; [unrolled: 1-line block ×19, first 2 shown]
	ds_bpermute_b32 v82, v115, v6
	s_waitcnt vmcnt(0)
	v_cmp_eq_u32_e64 s[20:21], 1, v83
	v_cmp_eq_u32_e64 s[46:47], 2, v83
	s_waitcnt lgkmcnt(3)
	v_cndmask_b32_e64 v22, v25, v54, s[42:43]
	v_cndmask_b32_e64 v6, v1, v18, s[20:21]
	s_waitcnt lgkmcnt(0)
	v_cndmask_b32_e64 v108, v72, v82, s[40:41]
	v_cndmask_b32_e64 v6, v6, v17, s[46:47]
	;; [unrolled: 1-line block ×5, first 2 shown]
	v_cmp_eq_u32_e64 s[42:43], 3, v83
	v_cndmask_b32_e64 v21, v24, v54, s[40:41]
	v_cndmask_b32_e64 v39, v39, v80, s[40:41]
	;; [unrolled: 1-line block ×4, first 2 shown]
	v_cmp_eq_u32_e64 s[40:41], 4, v83
	v_cndmask_b32_e64 v117, v74, v82, s[44:45]
	v_cndmask_b32_e64 v24, v27, v54, s[48:49]
	;; [unrolled: 1-line block ×6, first 2 shown]
	v_cmp_eq_u32_e64 s[48:49], 5, v83
	v_cndmask_b32_e64 v25, v28, v54, s[54:55]
	v_cndmask_b32_e64 v43, v43, v80, s[54:55]
	;; [unrolled: 1-line block ×5, first 2 shown]
	v_cmp_eq_u32_e64 s[54:55], 6, v83
	scratch_load_dword v99, off, off offset:52 ; 4-byte Folded Reload
	v_cmp_eq_u32_e64 s[68:69], 7, v83
	v_cndmask_b32_e64 v6, v6, v13, s[54:55]
	v_cmp_eq_u32_e64 s[76:77], 8, v83
	v_cndmask_b32_e64 v6, v6, v12, s[68:69]
	v_cndmask_b32_e64 v121, v78, v82, s[52:53]
	;; [unrolled: 1-line block ×7, first 2 shown]
	v_cmp_eq_u32_e64 s[72:73], 9, v83
	v_cmp_eq_u32_e64 s[78:79], 10, v83
	;; [unrolled: 1-line block ×3, first 2 shown]
	v_cndmask_b32_e64 v6, v6, v10, s[72:73]
	v_cndmask_b32_e64 v6, v6, v9, s[78:79]
	;; [unrolled: 1-line block ×3, first 2 shown]
	v_cmp_eq_u32_e64 s[82:83], 12, v83
	v_cndmask_b32_e64 v23, v26, v54, s[44:45]
	v_cndmask_b32_e64 v26, v29, v54, s[50:51]
	;; [unrolled: 1-line block ×8, first 2 shown]
	v_cmp_eq_u32_e64 s[62:63], 13, v83
	v_cmp_eq_u32_e64 s[86:87], 14, v83
	;; [unrolled: 1-line block ×3, first 2 shown]
	v_cndmask_b32_e64 v6, v6, v3, s[62:63]
	v_cndmask_b32_e64 v6, v6, v2, s[86:87]
	;; [unrolled: 1-line block ×6, first 2 shown]
	ds_bpermute_b32 v36, v115, v6
	v_cndmask_b32_e64 v35, v19, v54, s[70:71]
	v_cndmask_b32_e64 v20, v20, v54, s[38:39]
	;; [unrolled: 1-line block ×4, first 2 shown]
	s_waitcnt lgkmcnt(0)
	v_cndmask_b32_e64 v7, v10, v36, s[72:73]
	v_cndmask_b32_e64 v10, v13, v36, s[54:55]
	;; [unrolled: 1-line block ×21, first 2 shown]
	ds_bpermute_b32 v102, v115, v16
	v_cndmask_b32_e64 v16, v54, v53, s[36:37]
	v_cndmask_b32_e64 v51, v51, v80, s[66:67]
	;; [unrolled: 1-line block ×25, first 2 shown]
	ds_bpermute_b32 v103, v115, v16
	v_cndmask_b32_e64 v16, v70, v69, s[36:37]
	v_cndmask_b32_e64 v67, v67, v81, s[66:67]
	;; [unrolled: 1-line block ×26, first 2 shown]
	ds_bpermute_b32 v104, v115, v16
	v_cndmask_b32_e64 v16, v107, v110, s[36:37]
	v_cndmask_b32_e64 v125, v91, v82, s[66:67]
	;; [unrolled: 1-line block ×19, first 2 shown]
	ds_bpermute_b32 v105, v115, v16
	v_cmp_eq_u32_e64 s[50:51], 0, v83
	v_cndmask_b32_e64 v6, v9, v36, s[78:79]
	v_cndmask_b32_e64 v9, v12, v36, s[68:69]
	v_cndmask_b32_e64 v12, v15, v36, s[40:41]
	v_cndmask_b32_e64 v15, v18, v36, s[20:21]
	v_cndmask_b32_e64 v1, v1, v36, s[50:51]
	s_waitcnt vmcnt(0)
	v_cmp_eq_u32_e32 vcc, 1, v99
	v_cndmask_b32_e64 v8, v11, v36, s[76:77]
	v_cndmask_b32_e64 v11, v14, v36, s[48:49]
	;; [unrolled: 1-line block ×3, first 2 shown]
	v_cndmask_b32_e32 v16, v1, v15, vcc
	s_waitcnt lgkmcnt(3)
	v_cndmask_b32_e64 v21, v21, v102, s[8:9]
	s_waitcnt lgkmcnt(2)
	v_cndmask_b32_e64 v55, v39, v103, s[8:9]
	;; [unrolled: 2-line block ×4, first 2 shown]
	v_cmp_eq_u32_e64 s[8:9], 2, v99
	v_cndmask_b32_e64 v0, v0, v36, s[90:91]
	v_cndmask_b32_e64 v2, v2, v36, s[86:87]
	v_cndmask_b32_e64 v3, v3, v36, s[62:63]
	v_cndmask_b32_e64 v4, v4, v36, s[82:83]
	v_cndmask_b32_e64 v5, v5, v36, s[80:81]
	v_cndmask_b32_e64 v16, v16, v14, s[8:9]
	v_cndmask_b32_e64 v36, v22, v102, s[10:11]
	v_cndmask_b32_e64 v56, v40, v103, s[10:11]
	v_cndmask_b32_e64 v72, v72, v104, s[10:11]
	v_cndmask_b32_e64 v109, v109, v105, s[10:11]
	v_cmp_eq_u32_e64 s[10:11], 3, v99
	v_cmp_eq_u32_e64 s[44:45], 4, v99
	;; [unrolled: 1-line block ×3, first 2 shown]
	v_cndmask_b32_e64 v16, v16, v13, s[10:11]
	v_cndmask_b32_e64 v16, v16, v12, s[44:45]
	;; [unrolled: 1-line block ×3, first 2 shown]
	v_cmp_eq_u32_e64 s[56:57], 6, v99
	v_cmp_eq_u32_e64 s[58:59], 7, v99
	v_cmp_eq_u32_e64 s[60:61], 8, v99
	v_cndmask_b32_e64 v16, v16, v10, s[56:57]
	v_cndmask_b32_e64 v16, v16, v9, s[58:59]
	;; [unrolled: 1-line block ×3, first 2 shown]
	v_cmp_eq_u32_e64 s[64:65], 9, v99
	v_cmp_eq_u32_e64 s[70:71], 10, v99
	v_cndmask_b32_e64 v28, v28, v102, s[74:75]
	v_cndmask_b32_e64 v16, v16, v7, s[64:65]
	;; [unrolled: 1-line block ×6, first 2 shown]
	v_cmp_eq_u32_e64 s[74:75], 11, v99
	v_cmp_eq_u32_e64 s[66:67], 12, v99
	v_cndmask_b32_e64 v37, v23, v102, s[84:85]
	v_cndmask_b32_e64 v16, v16, v5, s[74:75]
	;; [unrolled: 1-line block ×6, first 2 shown]
	v_cmp_eq_u32_e64 s[84:85], 13, v99
	v_cndmask_b32_e64 v33, v33, v102, s[88:89]
	v_cndmask_b32_e64 v51, v51, v103, s[88:89]
	;; [unrolled: 1-line block ×5, first 2 shown]
	v_cmp_eq_u32_e64 s[88:89], 14, v99
	v_cndmask_b32_e64 v32, v32, v102, s[92:93]
	v_cndmask_b32_e64 v50, v50, v103, s[92:93]
	;; [unrolled: 1-line block ×5, first 2 shown]
	v_cmp_eq_u32_e64 s[92:93], 15, v99
	v_cndmask_b32_e64 v41, v27, v102, s[18:19]
	v_cndmask_b32_e64 v58, v42, v103, s[12:13]
	;; [unrolled: 1-line block ×3, first 2 shown]
	ds_bpermute_b32 v27, v115, v16
	v_cndmask_b32_e64 v31, v31, v102, s[94:95]
	v_cndmask_b32_e64 v49, v49, v103, s[94:95]
	v_cndmask_b32_e64 v91, v65, v104, s[94:95]
	v_cndmask_b32_e64 v94, v89, v105, s[94:95]
	s_waitcnt lgkmcnt(0)
	v_cndmask_b32_e64 v18, v5, v27, s[74:75]
	scratch_load_dword v5, off, off offset:56 ; 4-byte Folded Reload
	v_cndmask_b32_e64 v35, v35, v102, s[36:37]
	v_cmp_eq_u32_e64 s[94:95], 0, v99
	v_cndmask_b32_e64 v42, v20, v102, s[6:7]
	v_cndmask_b32_e64 v38, v24, v102, s[12:13]
	;; [unrolled: 1-line block ×18, first 2 shown]
	v_cndmask_b32_e32 v15, v15, v27, vcc
	v_cndmask_b32_e64 v27, v1, v27, s[94:95]
	v_cndmask_b32_e64 v1, v42, v35, s[20:21]
	;; [unrolled: 1-line block ×22, first 2 shown]
	ds_bpermute_b32 v106, v115, v1
	v_cndmask_b32_e64 v1, v65, v64, s[20:21]
	v_cndmask_b32_e64 v1, v1, v52, s[46:47]
	;; [unrolled: 1-line block ×28, first 2 shown]
	ds_bpermute_b32 v99, v115, v1
	v_cndmask_b32_e64 v1, v119, v118, s[20:21]
	v_cndmask_b32_e64 v3, v102, v110, s[20:21]
	;; [unrolled: 1-line block ×37, first 2 shown]
	s_waitcnt vmcnt(0)
	v_cmp_eq_u32_e64 s[6:7], 1, v5
	v_cndmask_b32_e64 v1, v1, v71, s[90:91]
	v_cndmask_b32_e64 v3, v3, v108, s[90:91]
	ds_bpermute_b32 v1, v115, v1
	ds_bpermute_b32 v3, v115, v3
	v_cndmask_b32_e64 v4, v27, v15, s[6:7]
	v_cmp_eq_u32_e64 s[12:13], 2, v5
	v_cmp_eq_u32_e64 s[14:15], 3, v5
	v_cmp_eq_u32_e64 s[16:17], 4, v5
	v_cndmask_b32_e64 v4, v4, v14, s[12:13]
	v_cndmask_b32_e64 v4, v4, v13, s[14:15]
	;; [unrolled: 1-line block ×3, first 2 shown]
	v_cmp_eq_u32_e64 s[18:19], 5, v5
	v_cmp_eq_u32_e64 s[22:23], 6, v5
	s_waitcnt lgkmcnt(3)
	v_cndmask_b32_e64 v53, v40, v106, s[78:79]
	v_cndmask_b32_e64 v4, v4, v26, s[18:19]
	;; [unrolled: 1-line block ×3, first 2 shown]
	s_waitcnt lgkmcnt(2)
	v_cndmask_b32_e64 v78, v60, v99, s[78:79]
	s_waitcnt lgkmcnt(1)
	v_cndmask_b32_e64 v125, v76, v1, s[78:79]
	s_waitcnt lgkmcnt(0)
	v_cndmask_b32_e64 v80, v80, v3, s[78:79]
	v_cmp_eq_u32_e64 s[78:79], 7, v5
	v_cndmask_b32_e64 v54, v41, v106, s[72:73]
	v_cndmask_b32_e64 v61, v61, v99, s[72:73]
	;; [unrolled: 1-line block ×5, first 2 shown]
	v_cmp_eq_u32_e64 s[72:73], 8, v5
	v_cndmask_b32_e64 v66, v55, v99, s[90:91]
	v_cndmask_b32_e64 v55, v28, v106, s[76:77]
	;; [unrolled: 1-line block ×6, first 2 shown]
	v_cmp_eq_u32_e64 s[76:77], 9, v5
	v_cmp_eq_u32_e64 s[34:35], 10, v5
	;; [unrolled: 1-line block ×3, first 2 shown]
	v_cndmask_b32_e64 v4, v4, v22, s[76:77]
	v_cndmask_b32_e64 v4, v4, v19, s[34:35]
	v_cndmask_b32_e64 v4, v4, v18, s[36:37]
	v_cmp_eq_u32_e64 s[38:39], 12, v5
	v_cndmask_b32_e64 v120, v71, v1, s[90:91]
	v_cndmask_b32_e64 v121, v72, v1, s[86:87]
	v_cndmask_b32_e64 v87, v63, v99, s[68:69]
	v_cndmask_b32_e64 v4, v4, v17, s[38:39]
	v_cndmask_b32_e64 v105, v32, v106, s[40:41]
	v_cndmask_b32_e64 v63, v50, v99, s[40:41]
	v_cndmask_b32_e64 v71, v92, v1, s[40:41]
	v_cndmask_b32_e64 v72, v97, v3, s[40:41]
	v_cmp_eq_u32_e64 s[40:41], 13, v5
	v_cndmask_b32_e64 v68, v57, v99, s[62:63]
	v_cndmask_b32_e64 v123, v74, v1, s[82:83]
	v_cndmask_b32_e64 v57, v30, v106, s[54:55]
	v_cndmask_b32_e64 v4, v4, v16, s[40:41]
	v_cndmask_b32_e64 v74, v33, v106, s[42:43]
	;; [unrolled: 9-line block ×3, first 2 shown]
	v_cmp_eq_u32_e64 s[46:47], 15, v5
	v_cndmask_b32_e64 v67, v56, v99, s[86:87]
	v_cndmask_b32_e64 v104, v109, v3, s[86:87]
	;; [unrolled: 1-line block ×3, first 2 shown]
	ds_bpermute_b32 v28, v115, v8
	v_cndmask_b32_e64 v69, v58, v99, s[82:83]
	v_cndmask_b32_e64 v70, v59, v99, s[80:81]
	;; [unrolled: 1-line block ×5, first 2 shown]
	s_waitcnt lgkmcnt(0)
	v_cndmask_b32_e64 v9, v2, v28, s[42:43]
	v_cndmask_b32_e64 v10, v16, v28, s[40:41]
	;; [unrolled: 1-line block ×5, first 2 shown]
	scratch_load_dword v99, off, off offset:60 ; 4-byte Folded Reload
	v_cndmask_b32_e64 v11, v17, v28, s[38:39]
	v_cndmask_b32_e64 v20, v18, v28, s[36:37]
	;; [unrolled: 1-line block ×8, first 2 shown]
	v_cmp_eq_u32_e64 s[20:21], 0, v5
	v_cndmask_b32_e64 v43, v21, v106, s[90:91]
	v_cndmask_b32_e64 v8, v0, v28, s[46:47]
	;; [unrolled: 1-line block ×16, first 2 shown]
	v_cndmask_b32_e32 v1, v28, v12, vcc
	v_cndmask_b32_e64 v1, v1, v93, s[8:9]
	v_cndmask_b32_e64 v1, v1, v74, s[10:11]
	;; [unrolled: 1-line block ×20, first 2 shown]
	ds_bpermute_b32 v42, v115, v1
	v_cndmask_b32_e32 v1, v16, v13, vcc
	v_cndmask_b32_e64 v1, v1, v4, s[8:9]
	v_cndmask_b32_e64 v1, v1, v60, s[10:11]
	;; [unrolled: 1-line block ×14, first 2 shown]
	ds_bpermute_b32 v29, v115, v1
	v_cndmask_b32_e32 v1, v19, v14, vcc
	v_cndmask_b32_e64 v1, v1, v97, s[8:9]
	v_cndmask_b32_e64 v1, v1, v30, s[10:11]
	;; [unrolled: 1-line block ×15, first 2 shown]
	ds_bpermute_b32 v31, v115, v1
	v_cndmask_b32_e32 v1, v27, v15, vcc
	v_cndmask_b32_e64 v1, v1, v7, s[8:9]
	v_cndmask_b32_e64 v1, v1, v6, s[10:11]
	v_cndmask_b32_e64 v94, v94, v3, s[48:49]
	v_cndmask_b32_e64 v1, v1, v72, s[44:45]
	v_cndmask_b32_e64 v96, v96, v3, s[54:55]
	v_cndmask_b32_e64 v1, v1, v94, s[52:53]
	v_cndmask_b32_e64 v83, v83, v3, s[68:69]
	v_cndmask_b32_e64 v1, v1, v96, s[56:57]
	v_cndmask_b32_e64 v1, v1, v83, s[58:59]
	v_cndmask_b32_e64 v1, v1, v82, s[60:61]
	v_cndmask_b32_e64 v1, v1, v81, s[64:65]
	v_cndmask_b32_e64 v112, v112, v3, s[80:81]
	v_cndmask_b32_e64 v1, v1, v80, s[70:71]
	v_cndmask_b32_e64 v85, v85, v3, s[82:83]
	v_cndmask_b32_e64 v1, v1, v112, s[74:75]
	v_cndmask_b32_e64 v84, v84, v3, s[62:63]
	v_cndmask_b32_e64 v1, v1, v85, s[66:67]
	v_cndmask_b32_e64 v1, v1, v84, s[84:85]
	v_cndmask_b32_e64 v1, v1, v104, s[88:89]
	v_cndmask_b32_e64 v1, v1, v103, s[92:93]
	ds_bpermute_b32 v40, v115, v1
	s_waitcnt vmcnt(0)
	v_cmp_eq_u32_e64 s[48:49], 1, v99
	v_cmp_eq_u32_e64 s[50:51], 2, v99
	;; [unrolled: 1-line block ×3, first 2 shown]
	v_cndmask_b32_e64 v1, v0, v18, s[48:49]
	v_cndmask_b32_e64 v1, v1, v17, s[50:51]
	v_cndmask_b32_e64 v1, v1, v2, s[54:55]
	v_cmp_eq_u32_e64 s[62:63], 4, v99
	s_waitcnt lgkmcnt(3)
	v_cndmask_b32_e64 v75, v46, v42, s[66:67]
	s_waitcnt lgkmcnt(2)
	v_cndmask_b32_e64 v39, v69, v29, s[66:67]
	v_cndmask_b32_e64 v1, v1, v92, s[62:63]
	s_waitcnt lgkmcnt(1)
	v_cndmask_b32_e64 v35, v123, v31, s[66:67]
	s_waitcnt lgkmcnt(0)
	v_cndmask_b32_e64 v51, v85, v40, s[66:67]
	v_cmp_eq_u32_e64 s[66:67], 5, v99
	v_cmp_eq_u32_e64 s[68:69], 6, v99
	v_cndmask_b32_e64 v59, v43, v42, s[92:93]
	v_cndmask_b32_e64 v1, v1, v26, s[66:67]
	v_cndmask_b32_e64 v1, v1, v25, s[68:69]
	v_cndmask_b32_e64 v77, v53, v42, s[70:71]
	v_cndmask_b32_e64 v43, v78, v29, s[70:71]
	v_cndmask_b32_e64 v53, v125, v31, s[70:71]
	v_cndmask_b32_e64 v65, v80, v40, s[70:71]
	v_cmp_eq_u32_e64 s[70:71], 7, v99
	v_cndmask_b32_e64 v36, v66, v29, s[92:93]
	v_cndmask_b32_e64 v62, v44, v42, s[88:89]
	v_cndmask_b32_e64 v1, v1, v24, s[70:71]
	v_cndmask_b32_e64 v78, v54, v42, s[64:65]
	v_cndmask_b32_e64 v44, v61, v29, s[64:65]
	v_cndmask_b32_e64 v54, v126, v31, s[64:65]
	v_cndmask_b32_e64 v66, v81, v40, s[64:65]
	;; [unrolled: 8-line block ×3, first 2 shown]
	v_cmp_eq_u32_e64 s[60:61], 9, v99
	v_cndmask_b32_e64 v38, v68, v29, s[84:85]
	v_cndmask_b32_e64 v86, v56, v42, s[58:59]
	v_cndmask_b32_e64 v1, v1, v22, s[60:61]
	v_cndmask_b32_e64 v46, v87, v29, s[58:59]
	v_cndmask_b32_e64 v56, v108, v31, s[58:59]
	v_cndmask_b32_e64 v68, v83, v40, s[58:59]
	v_cmp_eq_u32_e64 s[58:59], 10, v99
	v_cndmask_b32_e64 v76, v47, v42, s[74:75]
	v_cndmask_b32_e64 v87, v57, v42, s[56:57]
	v_cndmask_b32_e64 v1, v1, v21, s[58:59]
	v_cndmask_b32_e64 v47, v89, v29, s[56:57]
	v_cndmask_b32_e64 v57, v109, v31, s[56:57]
	v_cndmask_b32_e64 v69, v96, v40, s[56:57]
	;; [unrolled: 7-line block ×3, first 2 shown]
	v_cmp_eq_u32_e64 s[52:53], 12, v99
	v_cndmask_b32_e64 v82, v105, v42, s[44:45]
	v_cndmask_b32_e64 v81, v63, v29, s[44:45]
	v_cndmask_b32_e64 v1, v1, v11, s[52:53]
	v_cndmask_b32_e64 v63, v71, v31, s[44:45]
	v_cndmask_b32_e64 v71, v72, v40, s[44:45]
	v_cmp_eq_u32_e64 s[44:45], 13, v99
	v_cndmask_b32_e64 v74, v74, v42, s[10:11]
	v_cndmask_b32_e64 v60, v60, v29, s[10:11]
	v_cndmask_b32_e64 v1, v1, v10, s[44:45]
	v_cndmask_b32_e64 v72, v30, v31, s[10:11]
	v_cndmask_b32_e64 v83, v6, v40, s[10:11]
	;; [unrolled: 6-line block ×3, first 2 shown]
	v_cndmask_b32_e64 v89, v7, v40, s[8:9]
	v_cmp_eq_u32_e64 s[8:9], 15, v99
	v_cndmask_b32_e32 v91, v12, v42, vcc
	v_cndmask_b32_e32 v93, v13, v29, vcc
	v_cndmask_b32_e64 v1, v1, v8, s[8:9]
	ds_bpermute_b32 v90, v115, v1
	v_cndmask_b32_e32 v96, v15, v40, vcc
	v_cndmask_b32_e32 v94, v14, v31, vcc
	v_cndmask_b32_e64 v16, v16, v29, s[94:95]
	v_cndmask_b32_e64 v32, v120, v31, s[92:93]
	s_waitcnt lgkmcnt(0)
	v_cndmask_b32_e64 v12, v11, v90, s[52:53]
	v_cndmask_b32_e64 v11, v20, v90, s[56:57]
	;; [unrolled: 1-line block ×20, first 2 shown]
	ds_bpermute_b32 v21, v115, v1
	v_cndmask_b32_e64 v3, v2, v90, s[54:55]
	v_cndmask_b32_e64 v2, v17, v90, s[50:51]
	;; [unrolled: 1-line block ×4, first 2 shown]
	s_waitcnt lgkmcnt(0)
	v_cndmask_b32_e64 v17, v59, v21, s[46:47]
	v_cndmask_b32_e64 v42, v78, v21, s[76:77]
	;; [unrolled: 1-line block ×36, first 2 shown]
	ds_bpermute_b32 v80, v115, v20
	v_cndmask_b32_e64 v33, v121, v31, s[88:89]
	v_cndmask_b32_e64 v34, v122, v31, s[84:85]
	;; [unrolled: 1-line block ×4, first 2 shown]
	s_waitcnt lgkmcnt(0)
	v_cndmask_b32_e64 v31, v17, v80, s[8:9]
	v_cndmask_b32_e64 v17, v16, v93, s[6:7]
	;; [unrolled: 1-line block ×16, first 2 shown]
	ds_bpermute_b32 v17, v115, v17
	v_cndmask_b32_e64 v20, v76, v80, s[62:63]
	v_cndmask_b32_e64 v21, v75, v80, s[66:67]
	;; [unrolled: 1-line block ×4, first 2 shown]
	s_waitcnt lgkmcnt(0)
	v_cndmask_b32_e64 v76, v81, v17, s[16:17]
	v_cndmask_b32_e64 v81, v84, v17, s[12:13]
	;; [unrolled: 1-line block ×38, first 2 shown]
	v_cmp_eq_u32_e32 vcc, 0, v99
	v_cndmask_b32_e64 v16, v16, v36, s[8:9]
	v_cndmask_b32_e64 v5, v26, v90, s[66:67]
	;; [unrolled: 1-line block ×3, first 2 shown]
	v_cndmask_b32_e32 v0, v0, v90, vcc
	ds_bpermute_b32 v90, v115, v16
	v_cndmask_b32_e64 v26, v25, v80, s[58:59]
	v_cndmask_b32_e64 v25, v42, v80, s[60:61]
	;; [unrolled: 1-line block ×4, first 2 shown]
	s_waitcnt lgkmcnt(0)
	v_cndmask_b32_e64 v47, v36, v90, s[8:9]
	v_cndmask_b32_e64 v36, v82, v94, s[6:7]
	;; [unrolled: 1-line block ×18, first 2 shown]
	ds_bpermute_b32 v59, v115, v36
	v_cndmask_b32_e64 v18, v77, v80, s[50:51]
	v_cndmask_b32_e64 v17, v78, v80, s[48:49]
	v_cndmask_b32_e32 v16, v79, v80, vcc
	v_cndmask_b32_e64 v46, v37, v90, s[10:11]
	s_waitcnt lgkmcnt(0)
	v_cndmask_b32_e64 v80, v94, v59, s[6:7]
	v_cndmask_b32_e64 v82, v82, v59, s[20:21]
	;; [unrolled: 1-line block ×39, first 2 shown]
	ds_bpermute_b32 v85, v115, v32
	v_cndmask_b32_e64 v35, v60, v90, s[54:55]
	v_cndmask_b32_e64 v34, v81, v90, s[50:51]
	;; [unrolled: 1-line block ×3, first 2 shown]
	v_cndmask_b32_e32 v32, v87, v90, vcc
	s_waitcnt lgkmcnt(0)
	v_cndmask_b32_e64 v59, v52, v85, s[56:57]
	v_cndmask_b32_e64 v52, v86, v96, s[6:7]
	;; [unrolled: 1-line block ×18, first 2 shown]
	ds_bpermute_b32 v73, v115, v52
	v_cndmask_b32_e64 v60, v74, v85, s[52:53]
	v_cndmask_b32_e64 v57, v54, v85, s[60:61]
	;; [unrolled: 1-line block ×4, first 2 shown]
	s_waitcnt lgkmcnt(0)
	v_cndmask_b32_e64 v90, v96, v73, s[6:7]
	scratch_load_dwordx2 v[96:97], off, off offset:20 ; 8-byte Folded Reload
	v_cndmask_b32_e64 v86, v86, v73, s[20:21]
	v_cndmask_b32_e64 v74, v48, v73, s[46:47]
	;; [unrolled: 1-line block ×31, first 2 shown]
	ds_bpermute_b32 v91, v115, v48
	v_readlane_b32 s6, v127, 30
	v_readlane_b32 s7, v127, 31
	;; [unrolled: 1-line block ×5, first 2 shown]
	v_cndmask_b32_e64 v62, v62, v85, s[10:11]
	v_cndmask_b32_e64 v58, v53, v85, s[58:59]
	;; [unrolled: 1-line block ×7, first 2 shown]
	v_cndmask_b32_e32 v48, v82, v85, vcc
	s_waitcnt lgkmcnt(0)
	v_cndmask_b32_e64 v79, v74, v91, s[8:9]
	v_cndmask_b32_e64 v78, v75, v91, s[10:11]
	;; [unrolled: 1-line block ×15, first 2 shown]
	v_cndmask_b32_e32 v64, v86, v91, vcc
	s_mov_b32 s12, 0
	v_readlane_b32 s35, v127, 11
	v_readlane_b32 s37, v127, 13
	;; [unrolled: 1-line block ×10, first 2 shown]
                                        ; implicit-def: $sgpr8_sgpr9
	s_waitcnt vmcnt(0)
	v_lshl_add_u64 v[86:87], s[6:7], 0, v[96:97]
	s_mov_b64 s[6:7], 0
	s_branch .LBB225_34
.LBB225_33:                             ;   in Loop: Header=BB225_34 Depth=2
	s_or_b64 exec, exec, s[10:11]
	s_and_b64 s[10:11], exec, s[8:9]
	s_or_b64 s[6:7], s[10:11], s[6:7]
	s_andn2_b64 exec, exec, s[6:7]
	s_cbranch_execz .LBB225_36
.LBB225_34:                             ;   Parent Loop BB225_7 Depth=1
                                        ; =>  This Inner Loop Header: Depth=2
	s_and_b32 s10, s12, 2
	s_and_b32 s11, s5, 24
	s_or_b32 s10, s11, s10
	v_or_b32_e32 v80, s10, v114
	v_add_u32_e32 v81, s99, v80
	v_cmp_gt_u32_e32 vcc, 32, v81
	s_or_b64 s[8:9], s[8:9], exec
	s_and_saveexec_b64 s[10:11], vcc
	s_cbranch_execz .LBB225_33
; %bb.35:                               ;   in Loop: Header=BB225_34 Depth=2
	s_add_i32 s13, s12, 1
	s_set_gpr_idx_on s12, gpr_idx(SRC0)
	v_mov_b32_e32 v81, v0
	s_set_gpr_idx_off
	v_cvt_f16_f32_e32 v82, v81
	s_set_gpr_idx_on s13, gpr_idx(SRC0)
	v_mov_b32_e32 v81, v0
	s_set_gpr_idx_off
	v_cvt_f16_f32_sdwa v83, v81 dst_sel:WORD_1 dst_unused:UNUSED_PAD src0_sel:DWORD
	v_mul_lo_u32 v80, v80, s25
	v_ashrrev_i32_e32 v81, 31, v80
	v_lshl_add_u64 v[80:81], v[80:81], 1, v[86:87]
	v_or_b32_e32 v82, v83, v82
	;;#ASMSTART
	global_atomic_pk_add_f16 v[80:81], v82, off
	
	;;#ASMEND
	s_set_gpr_idx_on s12, gpr_idx(SRC0)
	v_mov_b32_e32 v82, v16
	s_set_gpr_idx_off
	v_cvt_f16_f32_e32 v84, v82
	s_set_gpr_idx_on s13, gpr_idx(SRC0)
	v_mov_b32_e32 v82, v16
	s_set_gpr_idx_off
	v_cvt_f16_f32_sdwa v85, v82 dst_sel:WORD_1 dst_unused:UNUSED_PAD src0_sel:DWORD
	v_lshl_add_u64 v[82:83], v[80:81], 0, 64
	s_mov_b64 s[14:15], 0x80
	s_add_i32 s5, s5, 4
	v_or_b32_e32 v84, v85, v84
	;;#ASMSTART
	global_atomic_pk_add_f16 v[82:83], v84, off
	
	;;#ASMEND
	s_set_gpr_idx_on s12, gpr_idx(SRC0)
	v_mov_b32_e32 v82, v32
	s_set_gpr_idx_off
	v_cvt_f16_f32_e32 v84, v82
	s_set_gpr_idx_on s13, gpr_idx(SRC0)
	v_mov_b32_e32 v82, v32
	s_set_gpr_idx_off
	v_cvt_f16_f32_sdwa v85, v82 dst_sel:WORD_1 dst_unused:UNUSED_PAD src0_sel:DWORD
	v_lshl_add_u64 v[82:83], v[80:81], 0, s[14:15]
	s_mov_b64 s[14:15], 0xc0
	v_or_b32_e32 v84, v85, v84
	;;#ASMSTART
	global_atomic_pk_add_f16 v[82:83], v84, off
	
	;;#ASMEND
	s_set_gpr_idx_on s12, gpr_idx(SRC0)
	v_mov_b32_e32 v82, v48
	s_set_gpr_idx_off
	v_cvt_f16_f32_e32 v84, v82
	s_set_gpr_idx_on s13, gpr_idx(SRC0)
	v_mov_b32_e32 v82, v48
	s_set_gpr_idx_off
	v_cvt_f16_f32_sdwa v85, v82 dst_sel:WORD_1 dst_unused:UNUSED_PAD src0_sel:DWORD
	v_lshl_add_u64 v[82:83], v[80:81], 0, s[14:15]
	s_mov_b64 s[14:15], 0x100
	v_lshl_add_u64 v[80:81], v[80:81], 0, s[14:15]
	v_or_b32_e32 v84, v85, v84
	;;#ASMSTART
	global_atomic_pk_add_f16 v[82:83], v84, off
	
	;;#ASMEND
	s_set_gpr_idx_on s12, gpr_idx(SRC0)
	v_mov_b32_e32 v82, v64
	s_set_gpr_idx_off
	v_cvt_f16_f32_e32 v82, v82
	s_set_gpr_idx_on s13, gpr_idx(SRC0)
	v_mov_b32_e32 v83, v64
	s_set_gpr_idx_off
	s_add_i32 s12, s12, 2
	v_cvt_f16_f32_sdwa v83, v83 dst_sel:WORD_1 dst_unused:UNUSED_PAD src0_sel:DWORD
	s_cmp_eq_u32 s12, 16
	s_cselect_b64 s[14:15], -1, 0
	s_andn2_b64 s[8:9], s[8:9], exec
	s_and_b64 s[14:15], s[14:15], exec
	s_or_b64 s[8:9], s[8:9], s[14:15]
	v_or_b32_e32 v82, v83, v82
	;;#ASMSTART
	global_atomic_pk_add_f16 v[80:81], v82, off
	
	;;#ASMEND
	s_branch .LBB225_33
.LBB225_36:                             ;   in Loop: Header=BB225_7 Depth=1
	s_or_b64 exec, exec, s[6:7]
	scratch_load_dword v85, off, off offset:28 ; 4-byte Folded Reload
	v_readlane_b32 s16, v127, 2
	v_readlane_b32 s14, v127, 0
	;; [unrolled: 1-line block ×13, first 2 shown]
.LBB225_37:                             ;   in Loop: Header=BB225_7 Depth=1
	v_readlane_b32 s6, v127, 25
	v_readlane_b32 s7, v127, 26
	s_or_b64 exec, exec, s[6:7]
.LBB225_38:                             ;   in Loop: Header=BB225_7 Depth=1
	s_or_saveexec_b64 s[0:1], s[0:1]
	v_readlane_b32 s48, v127, 23
	s_mov_b32 s13, s4
	v_readlane_b32 s49, v127, 24
	s_xor_b64 exec, exec, s[0:1]
	s_cbranch_execz .LBB225_47
; %bb.39:                               ;   in Loop: Header=BB225_7 Depth=1
	s_mul_i32 s12, s98, 5
	v_cmp_gt_i32_e32 vcc, s12, v116
	s_and_saveexec_b64 s[6:7], vcc
	s_cbranch_execz .LBB225_46
; %bb.40:                               ;   in Loop: Header=BB225_7 Depth=1
	scratch_load_dwordx2 v[0:1], off, off offset:80 ; 8-byte Folded Reload
	scratch_load_dwordx2 v[2:3], off, off offset:8 ; 8-byte Folded Reload
	s_mul_i32 s4, s68, s27
	s_ashr_i32 s5, s4, 31
	s_add_u32 s4, s18, s4
	s_addc_u32 s5, s19, s5
	s_ashr_i32 s8, s13, 31
	s_add_u32 s4, s4, s13
	s_addc_u32 s5, s5, s8
	s_waitcnt vmcnt(1)
	v_lshl_add_u64 v[0:1], s[4:5], 0, v[0:1]
	s_waitcnt vmcnt(0)
	v_lshl_add_u64 v[8:9], v[0:1], 0, v[2:3]
	s_mov_b64 s[4:5], 0
	s_branch .LBB225_42
.LBB225_41:                             ;   in Loop: Header=BB225_42 Depth=2
	s_or_b64 exec, exec, s[8:9]
	v_lshl_or_b32 v12, v10, 11, v111
	;;#ASMSTART
	s_waitcnt vmcnt(1)
	;;#ASMEND
	ds_write2_b32 v12, v4, v5 offset1:32
	ds_write2_b32 v12, v6, v7 offset0:64 offset1:96
	v_add_u32_e32 v4, 0x400, v12
	v_add_u32_e32 v116, s30, v116
	;;#ASMSTART
	s_waitcnt vmcnt(0)
	;;#ASMEND
	ds_write2_b32 v4, v0, v1 offset1:32
	ds_write2_b32 v4, v2, v3 offset0:64 offset1:96
	v_add_u32_e32 v0, 1, v95
	v_add_u32_e32 v88, s30, v10
	v_cmp_le_i32_e32 vcc, s12, v116
	ds_write_b32 v11, v0 offset:24
	v_add_u32_e32 v0, 2, v95
	s_or_b64 s[4:5], vcc, s[4:5]
	v_cmp_lt_i32_e32 vcc, 14, v88
	s_nop 1
	v_cndmask_b32_e32 v95, v95, v0, vcc
	s_andn2_b64 exec, exec, s[4:5]
	s_cbranch_execz .LBB225_45
.LBB225_42:                             ;   Parent Loop BB225_7 Depth=1
                                        ; =>  This Loop Header: Depth=2
                                        ;       Child Loop BB225_44 Depth 3
	v_cmp_gt_i32_e32 vcc, 15, v88
	s_mov_b32 s8, 0x66666667
	s_nop 0
	v_cndmask_b32_e64 v0, -15, 0, vcc
	v_add_u32_e32 v10, v0, v88
	v_mul_hi_i32 v0, v116, s8
	v_lshrrev_b32_e32 v1, 31, v0
	v_ashrrev_i32_e32 v0, 1, v0
	v_add_u32_e32 v0, v0, v1
	v_lshl_add_u32 v1, v0, 2, v0
	v_sub_u32_e32 v2, v116, v1
	v_lshlrev_b32_e32 v0, 6, v0
	v_ashrrev_i32_e32 v1, 31, v0
	v_mul_lo_u32 v2, s33, v2
	v_lshl_add_u64 v[0:1], v[8:9], 0, v[0:1]
	v_ashrrev_i32_e32 v3, 31, v2
	v_lshl_add_u64 v[0:1], v[0:1], 0, v[2:3]
	v_lshlrev_b32_e32 v11, 2, v10
	;;#ASMSTART
	global_load_dwordx4 v[4:7], v[0:1], off offset:0   sc0 sc1 nt  
	global_load_dwordx4 v[0:3], v[0:1], off offset:32  sc0 sc1 nt  
	
	;;#ASMEND
	ds_read_b32 v12, v11 offset:43032
	v_add_u32_e32 v11, 0xa800, v11
	s_waitcnt lgkmcnt(0)
	v_cmp_ne_u32_e32 vcc, v12, v95
	s_and_saveexec_b64 s[8:9], vcc
	s_cbranch_execz .LBB225_41
; %bb.43:                               ;   in Loop: Header=BB225_42 Depth=2
	s_mov_b64 s[10:11], 0
.LBB225_44:                             ;   Parent Loop BB225_7 Depth=1
                                        ;     Parent Loop BB225_42 Depth=2
                                        ; =>    This Inner Loop Header: Depth=3
	;;#ASMSTART
	s_sleep 0
	;;#ASMEND
	ds_read_b32 v12, v11 offset:24
	s_waitcnt lgkmcnt(0)
	v_cmp_eq_u32_e32 vcc, v12, v95
	s_or_b64 s[10:11], vcc, s[10:11]
	s_andn2_b64 exec, exec, s[10:11]
	s_cbranch_execnz .LBB225_44
	s_branch .LBB225_41
.LBB225_45:                             ;   in Loop: Header=BB225_7 Depth=1
	s_or_b64 exec, exec, s[4:5]
.LBB225_46:                             ;   in Loop: Header=BB225_7 Depth=1
	s_or_b64 exec, exec, s[6:7]
	v_subrev_u32_e32 v116, s12, v116
.LBB225_47:                             ;   in Loop: Header=BB225_7 Depth=1
	s_or_b64 exec, exec, s[0:1]
.LBB225_48:                             ;   in Loop: Header=BB225_7 Depth=1
	s_andn2_saveexec_b64 s[0:1], s[48:49]
	s_cbranch_execz .LBB225_6
; %bb.49:                               ;   in Loop: Header=BB225_7 Depth=1
	s_lshl_b32 s12, s98, 1
	v_cmp_gt_i32_e32 vcc, s12, v116
	s_and_saveexec_b64 s[4:5], vcc
	s_cbranch_execz .LBB225_5
; %bb.50:                               ;   in Loop: Header=BB225_7 Depth=1
	scratch_load_dword v0, off, off offset:16 ; 4-byte Folded Reload
	scratch_load_dwordx2 v[4:5], off, off offset:8 ; 8-byte Folded Reload
	s_mul_i32 s6, s47, s26
	s_ashr_i32 s7, s6, 31
	s_add_u32 s6, s16, s6
	s_waitcnt vmcnt(2)
	v_add_u32_e32 v2, s99, v85
	s_addc_u32 s7, s17, s7
	s_ashr_i32 s8, s13, 31
	v_cmp_gt_u32_e32 vcc, 64, v2
	s_add_u32 s6, s6, s13
	s_addc_u32 s7, s7, s8
	v_sub_u32_e32 v10, 63, v2
	s_waitcnt vmcnt(1)
	v_cndmask_b32_e32 v0, 0, v0, vcc
	v_ashrrev_i32_e32 v1, 31, v0
	v_lshl_add_u64 v[0:1], s[6:7], 0, v[0:1]
	s_waitcnt vmcnt(0)
	v_lshl_add_u64 v[8:9], v[0:1], 0, v[4:5]
	s_mov_b64 s[6:7], 0
	s_branch .LBB225_52
.LBB225_51:                             ;   in Loop: Header=BB225_52 Depth=2
	s_or_b64 exec, exec, s[8:9]
	v_lshl_add_u32 v13, v11, 11, v113
	;;#ASMSTART
	s_waitcnt vmcnt(1)
	;;#ASMEND
	ds_write2_b32 v13, v4, v5 offset1:32
	ds_write2_b32 v13, v6, v7 offset0:64 offset1:96
	v_add_u32_e32 v4, 0x400, v13
	v_add_u32_e32 v116, s29, v116
	;;#ASMSTART
	s_waitcnt vmcnt(0)
	;;#ASMEND
	ds_write2_b32 v4, v0, v1 offset1:32
	ds_write2_b32 v4, v2, v3 offset0:64 offset1:96
	v_add_u32_e32 v0, 1, v95
	v_add_u32_e32 v88, s29, v11
	v_cmp_le_i32_e32 vcc, s12, v116
	ds_write_b32 v12, v0
	v_add_u32_e32 v0, 2, v95
	s_or_b64 s[6:7], vcc, s[6:7]
	v_cmp_lt_i32_e32 vcc, 5, v88
	s_nop 1
	v_cndmask_b32_e32 v95, v95, v0, vcc
	s_andn2_b64 exec, exec, s[6:7]
	s_cbranch_execz .LBB225_4
.LBB225_52:                             ;   Parent Loop BB225_7 Depth=1
                                        ; =>  This Loop Header: Depth=2
                                        ;       Child Loop BB225_54 Depth 3
	v_cmp_gt_i32_e32 vcc, 6, v88
	s_nop 1
	v_cndmask_b32_e64 v0, -6, 0, vcc
	v_add_u32_e32 v11, v0, v88
	v_lshrrev_b32_e32 v0, 31, v116
	v_add_u32_e32 v0, v116, v0
	v_and_b32_e32 v1, 0x7fffffe, v0
	v_sub_u32_e32 v1, v116, v1
	v_lshlrev_b32_e32 v1, 5, v1
	v_cmp_le_i32_e32 vcc, v1, v10
	v_lshlrev_b32_e32 v0, 5, v0
	v_and_b32_e32 v0, 0xffffffc0, v0
	v_cndmask_b32_e32 v2, 0, v1, vcc
	v_ashrrev_i32_e32 v1, 31, v0
	v_mul_lo_u32 v2, v2, s26
	v_lshl_add_u64 v[0:1], v[8:9], 0, v[0:1]
	v_ashrrev_i32_e32 v3, 31, v2
	v_lshl_add_u64 v[0:1], v[0:1], 0, v[2:3]
	v_lshlrev_b32_e32 v12, 2, v11
	;;#ASMSTART
	global_load_dwordx4 v[4:7], v[0:1], off offset:0   
	global_load_dwordx4 v[0:3], v[0:1], off offset:32  
	
	;;#ASMEND
	ds_read_b32 v13, v12 offset:43008
	v_add_u32_e32 v12, 0xa800, v12
	s_waitcnt lgkmcnt(0)
	v_cmp_ne_u32_e32 vcc, v13, v95
	s_and_saveexec_b64 s[8:9], vcc
	s_cbranch_execz .LBB225_51
; %bb.53:                               ;   in Loop: Header=BB225_52 Depth=2
	s_mov_b64 s[10:11], 0
.LBB225_54:                             ;   Parent Loop BB225_7 Depth=1
                                        ;     Parent Loop BB225_52 Depth=2
                                        ; =>    This Inner Loop Header: Depth=3
	;;#ASMSTART
	s_sleep 0
	;;#ASMEND
	ds_read_b32 v13, v12
	s_waitcnt lgkmcnt(0)
	v_cmp_eq_u32_e32 vcc, v13, v95
	s_or_b64 s[10:11], vcc, s[10:11]
	s_andn2_b64 exec, exec, s[10:11]
	s_cbranch_execnz .LBB225_54
	s_branch .LBB225_51
.LBB225_55:
	s_endpgm
	.section	.rodata,"a",@progbits
	.p2align	6, 0x0
	.amdhsa_kernel _Z19_skinny_gemm_kernelILi2ELi5ELi3ELi32ELi4EEvPKhS1_P6__halfPKfiiiiiiii
		.amdhsa_group_segment_fixed_size 43092
		.amdhsa_private_segment_fixed_size 92
		.amdhsa_kernarg_size 64
		.amdhsa_user_sgpr_count 2
		.amdhsa_user_sgpr_dispatch_ptr 0
		.amdhsa_user_sgpr_queue_ptr 0
		.amdhsa_user_sgpr_kernarg_segment_ptr 1
		.amdhsa_user_sgpr_dispatch_id 0
		.amdhsa_user_sgpr_kernarg_preload_length 0
		.amdhsa_user_sgpr_kernarg_preload_offset 0
		.amdhsa_user_sgpr_private_segment_size 0
		.amdhsa_uses_dynamic_stack 0
		.amdhsa_enable_private_segment 1
		.amdhsa_system_sgpr_workgroup_id_x 1
		.amdhsa_system_sgpr_workgroup_id_y 0
		.amdhsa_system_sgpr_workgroup_id_z 0
		.amdhsa_system_sgpr_workgroup_info 0
		.amdhsa_system_vgpr_workitem_id 0
		.amdhsa_next_free_vgpr 128
		.amdhsa_next_free_sgpr 100
		.amdhsa_accum_offset 128
		.amdhsa_reserve_vcc 1
		.amdhsa_float_round_mode_32 0
		.amdhsa_float_round_mode_16_64 0
		.amdhsa_float_denorm_mode_32 3
		.amdhsa_float_denorm_mode_16_64 3
		.amdhsa_dx10_clamp 1
		.amdhsa_ieee_mode 1
		.amdhsa_fp16_overflow 0
		.amdhsa_tg_split 0
		.amdhsa_exception_fp_ieee_invalid_op 0
		.amdhsa_exception_fp_denorm_src 0
		.amdhsa_exception_fp_ieee_div_zero 0
		.amdhsa_exception_fp_ieee_overflow 0
		.amdhsa_exception_fp_ieee_underflow 0
		.amdhsa_exception_fp_ieee_inexact 0
		.amdhsa_exception_int_div_zero 0
	.end_amdhsa_kernel
	.section	.text._Z19_skinny_gemm_kernelILi2ELi5ELi3ELi32ELi4EEvPKhS1_P6__halfPKfiiiiiiii,"axG",@progbits,_Z19_skinny_gemm_kernelILi2ELi5ELi3ELi32ELi4EEvPKhS1_P6__halfPKfiiiiiiii,comdat
.Lfunc_end225:
	.size	_Z19_skinny_gemm_kernelILi2ELi5ELi3ELi32ELi4EEvPKhS1_P6__halfPKfiiiiiiii, .Lfunc_end225-_Z19_skinny_gemm_kernelILi2ELi5ELi3ELi32ELi4EEvPKhS1_P6__halfPKfiiiiiiii
                                        ; -- End function
	.set _Z19_skinny_gemm_kernelILi2ELi5ELi3ELi32ELi4EEvPKhS1_P6__halfPKfiiiiiiii.num_vgpr, 128
	.set _Z19_skinny_gemm_kernelILi2ELi5ELi3ELi32ELi4EEvPKhS1_P6__halfPKfiiiiiiii.num_agpr, 0
	.set _Z19_skinny_gemm_kernelILi2ELi5ELi3ELi32ELi4EEvPKhS1_P6__halfPKfiiiiiiii.numbered_sgpr, 100
	.set _Z19_skinny_gemm_kernelILi2ELi5ELi3ELi32ELi4EEvPKhS1_P6__halfPKfiiiiiiii.num_named_barrier, 0
	.set _Z19_skinny_gemm_kernelILi2ELi5ELi3ELi32ELi4EEvPKhS1_P6__halfPKfiiiiiiii.private_seg_size, 92
	.set _Z19_skinny_gemm_kernelILi2ELi5ELi3ELi32ELi4EEvPKhS1_P6__halfPKfiiiiiiii.uses_vcc, 1
	.set _Z19_skinny_gemm_kernelILi2ELi5ELi3ELi32ELi4EEvPKhS1_P6__halfPKfiiiiiiii.uses_flat_scratch, 0
	.set _Z19_skinny_gemm_kernelILi2ELi5ELi3ELi32ELi4EEvPKhS1_P6__halfPKfiiiiiiii.has_dyn_sized_stack, 0
	.set _Z19_skinny_gemm_kernelILi2ELi5ELi3ELi32ELi4EEvPKhS1_P6__halfPKfiiiiiiii.has_recursion, 0
	.set _Z19_skinny_gemm_kernelILi2ELi5ELi3ELi32ELi4EEvPKhS1_P6__halfPKfiiiiiiii.has_indirect_call, 0
	.section	.AMDGPU.csdata,"",@progbits
; Kernel info:
; codeLenInByte = 16856
; TotalNumSgprs: 106
; NumVgprs: 128
; NumAgprs: 0
; TotalNumVgprs: 128
; ScratchSize: 92
; MemoryBound: 0
; FloatMode: 240
; IeeeMode: 1
; LDSByteSize: 43092 bytes/workgroup (compile time only)
; SGPRBlocks: 13
; VGPRBlocks: 15
; NumSGPRsForWavesPerEU: 106
; NumVGPRsForWavesPerEU: 128
; AccumOffset: 128
; Occupancy: 4
; WaveLimiterHint : 0
; COMPUTE_PGM_RSRC2:SCRATCH_EN: 1
; COMPUTE_PGM_RSRC2:USER_SGPR: 2
; COMPUTE_PGM_RSRC2:TRAP_HANDLER: 0
; COMPUTE_PGM_RSRC2:TGID_X_EN: 1
; COMPUTE_PGM_RSRC2:TGID_Y_EN: 0
; COMPUTE_PGM_RSRC2:TGID_Z_EN: 0
; COMPUTE_PGM_RSRC2:TIDIG_COMP_CNT: 0
; COMPUTE_PGM_RSRC3_GFX90A:ACCUM_OFFSET: 31
; COMPUTE_PGM_RSRC3_GFX90A:TG_SPLIT: 0
	.section	.text._Z19_skinny_gemm_kernelILi2ELi5ELi4ELi16ELi4EEvPKhS1_P6__halfPKfiiiiiiii,"axG",@progbits,_Z19_skinny_gemm_kernelILi2ELi5ELi4ELi16ELi4EEvPKhS1_P6__halfPKfiiiiiiii,comdat
	.protected	_Z19_skinny_gemm_kernelILi2ELi5ELi4ELi16ELi4EEvPKhS1_P6__halfPKfiiiiiiii ; -- Begin function _Z19_skinny_gemm_kernelILi2ELi5ELi4ELi16ELi4EEvPKhS1_P6__halfPKfiiiiiiii
	.globl	_Z19_skinny_gemm_kernelILi2ELi5ELi4ELi16ELi4EEvPKhS1_P6__halfPKfiiiiiiii
	.p2align	8
	.type	_Z19_skinny_gemm_kernelILi2ELi5ELi4ELi16ELi4EEvPKhS1_P6__halfPKfiiiiiiii,@function
_Z19_skinny_gemm_kernelILi2ELi5ELi4ELi16ELi4EEvPKhS1_P6__halfPKfiiiiiiii: ; @_Z19_skinny_gemm_kernelILi2ELi5ELi4ELi16ELi4EEvPKhS1_P6__halfPKfiiiiiiii
; %bb.0:
	v_cmp_gt_u32_e32 vcc, 28, v0
	v_lshlrev_b32_e32 v1, 2, v0
	s_and_saveexec_b64 s[4:5], vcc
; %bb.1:
	v_mov_b32_e32 v2, 0
	ds_write_b32 v1, v2 offset:57344
; %bb.2:
	s_or_b64 exec, exec, s[4:5]
	s_load_dwordx8 s[20:27], s[0:1], 0x20
	s_mov_b32 s56, 0x66666667
	s_waitcnt lgkmcnt(0)
	s_barrier
	s_add_i32 s3, s20, 31
	s_ashr_i32 s5, s3, 31
	s_lshr_b32 s5, s5, 27
	s_add_i32 s4, s21, 0x4f
	s_add_i32 s3, s3, s5
	s_ashr_i32 s33, s3, 5
	s_mul_hi_i32 s3, s4, 0x66666667
	s_lshr_b32 s4, s3, 31
	s_ashr_i32 s54, s3, 5
	s_add_i32 s54, s54, s4
	s_mul_i32 s3, s54, s33
	s_mul_i32 s3, s3, s24
	s_add_i32 s4, s3, 0x12f
	s_mul_hi_i32 s4, s4, 0x6bca1af3
	s_lshr_b32 s5, s4, 31
	s_ashr_i32 s4, s4, 7
	s_add_i32 s4, s4, s5
	s_add_i32 s5, s2, 1
	s_mul_i32 s5, s4, s5
	v_cvt_f64_i32_e32 v[2:3], s3
	v_cvt_f64_u32_e32 v[4:5], s5
	v_min_f64 v[2:3], v[2:3], v[4:5]
	v_cvt_i32_f64_e32 v41, v[2:3]
	s_mul_i32 s55, s4, s2
	v_cmp_ge_i32_e32 vcc, s55, v41
	s_cbranch_vccnz .LBB226_59
; %bb.3:
	v_lshrrev_b32_e32 v2, 6, v0
	s_add_i32 s4, s26, s25
	s_load_dwordx8 s[36:43], s[0:1], 0x0
	v_cmp_le_i32_e64 s[0:1], s4, v2
	v_mov_b32_e32 v3, s25
	v_cmp_le_i32_e64 s[2:3], s25, v2
	v_mov_b32_e32 v4, s26
	v_cndmask_b32_e64 v4, 0, v4, s[0:1]
	v_cndmask_b32_e64 v3, 0, v3, s[2:3]
	s_abs_i32 s5, s24
	v_add_u32_e32 v3, v3, v4
	v_cvt_f32_u32_e32 v4, s5
	v_sub_u32_e32 v52, v2, v3
	s_ashr_i32 s6, s22, 31
	s_lshr_b32 s6, s6, 25
	v_rcp_iflag_f32_e32 v3, v4
	s_sub_i32 s9, 0, s5
	s_add_i32 s6, s22, s6
	s_ashr_i32 s6, s6, 7
	v_mul_f32_e32 v3, 0x4f7ffffe, v3
	v_cvt_u32_f32_e32 v3, v3
	s_abs_i32 s8, s6
	s_xor_b32 s7, s6, s24
	s_ashr_i32 s7, s7, 31
	v_readfirstlane_b32 s10, v3
	s_mul_i32 s9, s9, s10
	s_mul_hi_u32 s9, s10, s9
	s_add_i32 s10, s10, s9
	s_mul_hi_u32 s9, s8, s10
	s_mul_i32 s10, s9, s5
	s_sub_i32 s8, s8, s10
	s_add_i32 s10, s9, 1
	s_sub_i32 s11, s8, s5
	s_cmp_ge_u32 s8, s5
	s_cselect_b32 s9, s10, s9
	s_cselect_b32 s8, s11, s8
	s_add_i32 s10, s9, 1
	s_cmp_ge_u32 s8, s5
	s_cselect_b32 s5, s10, s9
	s_xor_b32 s5, s5, s7
	s_sub_i32 s57, s5, s7
	s_add_i32 s24, s24, -1
	s_mul_i32 s5, s57, s24
	s_add_i32 s4, s4, s27
	s_sub_i32 s58, s6, s5
	v_cmp_gt_i32_e64 s[4:5], s4, v2
	v_lshlrev_b32_e32 v2, 1, v0
	v_lshlrev_b32_e32 v3, 4, v0
	v_and_b32_e32 v1, 60, v1
	v_and_b32_e32 v2, 64, v2
	;; [unrolled: 1-line block ×3, first 2 shown]
	v_or3_b32 v73, v1, v2, v4
	v_and_b32_e32 v1, 1, v0
	v_lshrrev_b32_e32 v4, 2, v0
	s_abs_i32 s59, s33
	v_and_or_b32 v76, v4, 12, v1
	v_cvt_f32_u32_e32 v4, s59
	v_lshlrev_b32_e32 v2, 1, v1
	v_and_b32_e32 v40, 14, v0
	v_sub_u32_e32 v2, v0, v2
	v_bitop3_b32 v74, v0, 1, v0 bitop3:0xc
	v_bitop3_b32 v75, v0, 3, 1 bitop3:0x6c
	v_and_b32_e32 v46, 48, v3
	v_bfe_u32 v78, v0, 2, 4
	v_and_b32_e32 v1, 60, v0
	v_lshlrev_b32_e32 v3, 8, v0
	v_lshlrev_b32_e32 v0, 6, v0
	v_and_b32_e32 v3, 0x200, v3
	v_and_b32_e32 v0, 64, v0
	v_or3_b32 v79, v1, v3, v0
	v_rcp_iflag_f32_e32 v0, v4
	s_abs_i32 s61, s54
	v_cvt_f32_u32_e32 v1, s61
	v_mad_u64_u32 v[42:43], s[6:7], s21, v76, v[40:41]
	v_mul_f32_e32 v0, 0x4f7ffffe, v0
	v_cvt_u32_f32_e32 v0, v0
	v_rcp_iflag_f32_e32 v1, v1
	s_sub_i32 s6, 0, s59
	v_add_u32_e32 v2, 1, v2
	v_readfirstlane_b32 s7, v0
	v_mul_f32_e32 v0, 0x4f7ffffe, v1
	v_cvt_u32_f32_e32 v0, v0
	s_mul_i32 s6, s6, s7
	s_mul_hi_u32 s6, s7, s6
	s_add_i32 s63, s7, s6
	s_sub_i32 s6, 0, s61
	v_readfirstlane_b32 s7, v0
	v_mbcnt_lo_u32_b32 v0, -1, 0
	v_and_b32_e32 v2, 63, v2
	s_mul_i32 s6, s6, s7
	v_mbcnt_hi_u32_b32 v0, -1, v0
	v_lshl_add_u32 v44, s21, 4, v42
	v_mul_lo_u32 v48, s23, v78
	s_mul_hi_u32 s6, s7, s6
	v_and_or_b32 v0, v0, 64, v2
	v_cndmask_b32_e64 v72, 0, 1, s[0:1]
	s_ashr_i32 s29, s21, 31
	s_mov_b32 s28, s21
	v_ashrrev_i32_e32 v43, 31, v42
	v_or_b32_e32 v77, 16, v76
	v_ashrrev_i32_e32 v45, 31, v44
	v_ashrrev_i32_e32 v49, 31, v48
	v_mov_b32_e32 v47, 0
	s_lshl_b32 s60, s23, 4
	v_mul_lo_u32 v80, s22, v78
	v_or_b32_e32 v81, 0xa000, v79
	s_ashr_i32 s62, s33, 31
	s_ashr_i32 s64, s54, 31
	s_add_i32 s65, s7, s6
	s_movk_i32 s66, 0x2800
	s_mov_b64 s[30:31], 0x60
	s_mov_b64 s[34:35], 0x80
	v_lshlrev_b32_e32 v82, 2, v0
	v_not_b32_e32 v83, 19
	v_mov_b32_e32 v84, v52
	s_branch .LBB226_7
.LBB226_4:                              ;   in Loop: Header=BB226_7 Depth=1
	s_or_b64 exec, exec, s[10:11]
.LBB226_5:                              ;   in Loop: Header=BB226_7 Depth=1
	s_or_b64 exec, exec, s[8:9]
	v_subrev_u32_e32 v84, s16, v84
.LBB226_6:                              ;   in Loop: Header=BB226_7 Depth=1
	s_or_b64 exec, exec, s[6:7]
	s_add_i32 s55, s55, 1
	v_cmp_ge_i32_e32 vcc, s55, v41
	s_cbranch_vccnz .LBB226_59
.LBB226_7:                              ; =>This Loop Header: Depth=1
                                        ;     Child Loop BB226_13 Depth 2
                                        ;       Child Loop BB226_15 Depth 3
                                        ;       Child Loop BB226_18 Depth 3
	;; [unrolled: 1-line block ×7, first 2 shown]
                                        ;     Child Loop BB226_46 Depth 2
                                        ;       Child Loop BB226_48 Depth 3
                                        ;     Child Loop BB226_56 Depth 2
                                        ;       Child Loop BB226_58 Depth 3
	s_abs_i32 s7, s55
	s_mul_hi_u32 s8, s7, s63
	s_mul_i32 s9, s8, s59
	s_ashr_i32 s6, s55, 31
	s_sub_i32 s7, s7, s9
	s_xor_b32 s6, s6, s62
	s_add_i32 s9, s8, 1
	s_sub_i32 s10, s7, s59
	s_cmp_ge_u32 s7, s59
	s_cselect_b32 s8, s9, s8
	s_cselect_b32 s7, s10, s7
	s_add_i32 s9, s8, 1
	s_cmp_ge_u32 s7, s59
	s_cselect_b32 s7, s9, s8
	s_xor_b32 s7, s7, s6
	s_sub_i32 s6, s7, s6
	s_abs_i32 s8, s6
	s_mul_i32 s7, s6, s33
	s_mul_hi_u32 s9, s8, s65
	s_sub_i32 s7, s55, s7
	s_mul_i32 s10, s9, s61
	s_lshl_b32 s67, s7, 5
	s_ashr_i32 s7, s6, 31
	s_sub_i32 s8, s8, s10
	s_xor_b32 s7, s7, s64
	s_add_i32 s10, s9, 1
	s_sub_i32 s11, s8, s61
	s_cmp_ge_u32 s8, s61
	s_cselect_b32 s9, s10, s9
	s_cselect_b32 s8, s11, s8
	s_add_i32 s10, s9, 1
	s_cmp_ge_u32 s8, s61
	s_cselect_b32 s8, s10, s9
	s_xor_b32 s8, s8, s7
	s_sub_i32 s7, s8, s7
	s_mul_i32 s8, s7, s57
	s_lshl_b32 s68, s8, 7
	s_cmp_eq_u32 s7, s24
	s_cselect_b32 s70, s58, s57
	s_sub_i32 s8, s67, s20
	s_add_i32 s8, s8, 32
	s_max_i32 s69, s8, 0
	s_and_saveexec_b64 s[8:9], s[2:3]
	s_xor_b64 s[44:45], exec, s[8:9]
	s_cbranch_execz .LBB226_52
; %bb.8:                                ;   in Loop: Header=BB226_7 Depth=1
	s_mul_i32 s7, s7, s54
	s_sub_i32 s6, s6, s7
	s_mulk_i32 s6, 0x50
	s_sub_i32 s47, s6, s21
	s_addk_i32 s47, 0x50
	s_max_i32 s7, s47, 0
	s_sub_i32 s46, s6, s7
	s_and_saveexec_b64 s[6:7], s[0:1]
	s_xor_b64 s[48:49], exec, s[6:7]
	s_cbranch_execz .LBB226_42
; %bb.9:                                ;   in Loop: Header=BB226_7 Depth=1
	s_and_saveexec_b64 s[50:51], s[4:5]
	s_cbranch_execz .LBB226_41
; %bb.10:                               ;   in Loop: Header=BB226_7 Depth=1
	s_waitcnt lgkmcnt(0)
	global_load_dword v85, v47, s[42:43]
	v_mov_b32_e32 v39, 0
	v_cmp_gt_i32_e32 vcc, s70, v84
	v_mov_b32_e32 v38, v39
	v_mov_b32_e32 v37, v39
	;; [unrolled: 1-line block ×39, first 2 shown]
	s_and_saveexec_b64 s[6:7], vcc
	s_cbranch_execz .LBB226_35
; %bb.11:                               ;   in Loop: Header=BB226_7 Depth=1
	v_mov_b32_e32 v4, 0
	s_mov_b64 s[8:9], 0
	v_mov_b32_e32 v5, v4
	v_mov_b32_e32 v6, v4
	;; [unrolled: 1-line block ×39, first 2 shown]
	s_branch .LBB226_13
.LBB226_12:                             ;   in Loop: Header=BB226_13 Depth=2
	s_or_b64 exec, exec, s[10:11]
	v_add_u32_e32 v67, 0x2000, v66
	ds_read2_b32 v[68:69], v67 offset1:32
	v_add_u32_e32 v70, 0x2400, v66
	v_add_u32_e32 v84, s27, v84
	s_waitcnt lgkmcnt(0)
	v_mfma_f32_16x16x32_fp8_fp8 v[20:23], v[50:51], v[68:69], v[20:23]
	ds_read2_b32 v[50:51], v67 offset0:128 offset1:160
	ds_read2_b32 v[66:67], v70 offset1:32
	v_mfma_f32_16x16x32_fp8_fp8 v[4:7], v[60:61], v[68:69], v[4:7]
	s_waitcnt lgkmcnt(1)
	v_mfma_f32_16x16x32_fp8_fp8 v[20:23], v[52:53], v[50:51], v[20:23]
	v_add_u32_e32 v52, s27, v86
	v_cmp_lt_i32_e32 vcc, 3, v52
	v_mfma_f32_16x16x32_fp8_fp8 v[4:7], v[62:63], v[50:51], v[4:7]
	v_add_u32_e32 v50, 2, v72
	v_cndmask_b32_e32 v72, v72, v50, vcc
	v_cmp_le_i32_e32 vcc, s70, v84
	s_waitcnt lgkmcnt(0)
	v_mfma_f32_16x16x32_fp8_fp8 v[20:23], v[54:55], v[66:67], v[20:23]
	ds_read2_b32 v[54:55], v70 offset0:128 offset1:160
	s_or_b64 s[8:9], vcc, s[8:9]
	;;#ASMSTART
	s_waitcnt lgkmcnt(0)
	;;#ASMEND
	v_mfma_f32_16x16x32_fp8_fp8 v[4:7], v[64:65], v[66:67], v[4:7]
	ds_write_b32 v87, v88 offset:57392
	s_waitcnt lgkmcnt(1)
	v_mfma_f32_16x16x32_fp8_fp8 v[20:23], v[56:57], v[54:55], v[20:23]
	v_mfma_f32_16x16x32_fp8_fp8 v[4:7], v[58:59], v[54:55], v[4:7]
	s_andn2_b64 exec, exec, s[8:9]
	s_cbranch_execz .LBB226_34
.LBB226_13:                             ;   Parent Loop BB226_7 Depth=1
                                        ; =>  This Loop Header: Depth=2
                                        ;       Child Loop BB226_15 Depth 3
                                        ;       Child Loop BB226_18 Depth 3
                                        ;       Child Loop BB226_21 Depth 3
                                        ;       Child Loop BB226_24 Depth 3
                                        ;       Child Loop BB226_27 Depth 3
                                        ;       Child Loop BB226_30 Depth 3
                                        ;       Child Loop BB226_33 Depth 3
	v_cmp_gt_i32_e32 vcc, 4, v52
	s_nop 1
	v_cndmask_b32_e64 v50, -4, 0, vcc
	v_add_u32_e32 v86, v50, v52
	v_mul_lo_u32 v87, v86, 20
	ds_read_b32 v50, v87 offset:57376
	s_waitcnt lgkmcnt(0)
	v_cmp_ne_u32_e32 vcc, v50, v72
	s_and_saveexec_b64 s[10:11], vcc
	s_cbranch_execz .LBB226_16
; %bb.14:                               ;   in Loop: Header=BB226_13 Depth=2
	s_mov_b64 s[12:13], 0
.LBB226_15:                             ;   Parent Loop BB226_7 Depth=1
                                        ;     Parent Loop BB226_13 Depth=2
                                        ; =>    This Inner Loop Header: Depth=3
	;;#ASMSTART
	s_sleep 0
	;;#ASMEND
	ds_read_b32 v50, v87 offset:57376
	s_waitcnt lgkmcnt(0)
	v_cmp_eq_u32_e32 vcc, v50, v72
	s_or_b64 s[12:13], vcc, s[12:13]
	s_andn2_b64 exec, exec, s[12:13]
	s_cbranch_execnz .LBB226_15
.LBB226_16:                             ;   in Loop: Header=BB226_13 Depth=2
	s_or_b64 exec, exec, s[10:11]
	v_mul_lo_u32 v89, v86, s66
	v_or_b32_e32 v50, v73, v89
	ds_read2_b32 v[58:59], v50 offset1:32
	ds_read2_b32 v[66:67], v50 offset0:128 offset1:160
	v_add_u32_e32 v50, 0x400, v50
	v_add_u32_e32 v88, 1, v72
	ds_read2_b32 v[70:71], v50 offset1:32
	ds_read2_b32 v[68:69], v50 offset0:128 offset1:160
	;;#ASMSTART
	s_waitcnt lgkmcnt(0)
	;;#ASMEND
	ds_write_b32 v87, v88 offset:57376
	v_lshlrev_b32_e32 v90, 3, v86
	ds_read_b32 v50, v90 offset:57344
	s_waitcnt lgkmcnt(0)
	v_cmp_ne_u32_e32 vcc, v50, v72
	s_and_saveexec_b64 s[10:11], vcc
	s_cbranch_execz .LBB226_19
; %bb.17:                               ;   in Loop: Header=BB226_13 Depth=2
	s_mov_b64 s[12:13], 0
.LBB226_18:                             ;   Parent Loop BB226_7 Depth=1
                                        ;     Parent Loop BB226_13 Depth=2
                                        ; =>    This Inner Loop Header: Depth=3
	;;#ASMSTART
	s_sleep 0
	;;#ASMEND
	ds_read_b32 v50, v90 offset:57344
	s_waitcnt lgkmcnt(0)
	v_cmp_eq_u32_e32 vcc, v50, v72
	s_or_b64 s[12:13], vcc, s[12:13]
	s_andn2_b64 exec, exec, s[12:13]
	s_cbranch_execnz .LBB226_18
.LBB226_19:                             ;   in Loop: Header=BB226_13 Depth=2
	s_or_b64 exec, exec, s[10:11]
	v_lshlrev_b32_e32 v50, 12, v86
	v_or_b32_e32 v51, 0xa000, v73
	v_add_u32_e32 v64, v51, v50
	ds_read2_b32 v[50:51], v64 offset1:32
	ds_read2_b32 v[52:53], v64 offset0:128 offset1:160
	v_add_u32_e32 v56, 0x400, v64
	ds_read2_b32 v[54:55], v56 offset1:32
	ds_read2_b32 v[56:57], v56 offset0:128 offset1:160
	ds_read_b32 v60, v90 offset:57348
	ds_write_b32 v90, v88 offset:57344
	s_waitcnt lgkmcnt(5)
	v_mfma_f32_16x16x32_fp8_fp8 v[36:39], v[50:51], v[58:59], v[36:39]
	s_waitcnt lgkmcnt(1)
	v_cmp_ne_u32_e32 vcc, v60, v72
	v_mfma_f32_16x16x32_fp8_fp8 v[36:39], v[52:53], v[66:67], v[36:39]
	v_mfma_f32_16x16x32_fp8_fp8 v[36:39], v[54:55], v[70:71], v[36:39]
	v_mfma_f32_16x16x32_fp8_fp8 v[36:39], v[56:57], v[68:69], v[36:39]
	s_and_saveexec_b64 s[10:11], vcc
	s_cbranch_execz .LBB226_22
; %bb.20:                               ;   in Loop: Header=BB226_13 Depth=2
	s_mov_b64 s[12:13], 0
.LBB226_21:                             ;   Parent Loop BB226_7 Depth=1
                                        ;     Parent Loop BB226_13 Depth=2
                                        ; =>    This Inner Loop Header: Depth=3
	;;#ASMSTART
	s_sleep 0
	;;#ASMEND
	ds_read_b32 v60, v90 offset:57348
	s_waitcnt lgkmcnt(0)
	v_cmp_eq_u32_e32 vcc, v60, v72
	s_or_b64 s[12:13], vcc, s[12:13]
	s_andn2_b64 exec, exec, s[12:13]
	s_cbranch_execnz .LBB226_21
.LBB226_22:                             ;   in Loop: Header=BB226_13 Depth=2
	s_or_b64 exec, exec, s[10:11]
	v_add_u32_e32 v62, 0x800, v64
	ds_read2_b32 v[60:61], v62 offset1:32
	ds_read2_b32 v[62:63], v62 offset0:128 offset1:160
	v_add_u32_e32 v91, 0xc00, v64
	ds_read2_b32 v[64:65], v91 offset1:32
	ds_write_b32 v90, v88 offset:57348
	s_waitcnt lgkmcnt(3)
	v_mfma_f32_16x16x32_fp8_fp8 v[16:19], v[60:61], v[58:59], v[16:19]
	ds_read2_b32 v[58:59], v91 offset0:128 offset1:160
	s_waitcnt lgkmcnt(3)
	v_mfma_f32_16x16x32_fp8_fp8 v[16:19], v[62:63], v[66:67], v[16:19]
	ds_read_b32 v66, v87 offset:57380
	s_waitcnt lgkmcnt(0)
	v_cmp_ne_u32_e32 vcc, v66, v72
	v_mfma_f32_16x16x32_fp8_fp8 v[16:19], v[64:65], v[70:71], v[16:19]
	v_mfma_f32_16x16x32_fp8_fp8 v[16:19], v[58:59], v[68:69], v[16:19]
	s_and_saveexec_b64 s[10:11], vcc
	s_cbranch_execz .LBB226_25
; %bb.23:                               ;   in Loop: Header=BB226_13 Depth=2
	s_mov_b64 s[12:13], 0
.LBB226_24:                             ;   Parent Loop BB226_7 Depth=1
                                        ;     Parent Loop BB226_13 Depth=2
                                        ; =>    This Inner Loop Header: Depth=3
	;;#ASMSTART
	s_sleep 0
	;;#ASMEND
	ds_read_b32 v66, v87 offset:57380
	s_waitcnt lgkmcnt(0)
	v_cmp_eq_u32_e32 vcc, v66, v72
	s_or_b64 s[12:13], vcc, s[12:13]
	s_andn2_b64 exec, exec, s[12:13]
	s_cbranch_execnz .LBB226_24
.LBB226_25:                             ;   in Loop: Header=BB226_13 Depth=2
	s_or_b64 exec, exec, s[10:11]
	v_add_u32_e32 v66, v73, v89
	v_add_u32_e32 v67, 0x800, v66
	ds_read2_b32 v[68:69], v67 offset1:32
	s_waitcnt lgkmcnt(0)
	v_mfma_f32_16x16x32_fp8_fp8 v[32:35], v[50:51], v[68:69], v[32:35]
	v_mfma_f32_16x16x32_fp8_fp8 v[12:15], v[60:61], v[68:69], v[12:15]
	ds_read2_b32 v[68:69], v67 offset0:128 offset1:160
	v_add_u32_e32 v67, 0xc00, v66
	ds_read2_b32 v[70:71], v67 offset1:32
	s_waitcnt lgkmcnt(1)
	v_mfma_f32_16x16x32_fp8_fp8 v[32:35], v[52:53], v[68:69], v[32:35]
	ds_read2_b32 v[90:91], v67 offset0:128 offset1:160
	;;#ASMSTART
	s_waitcnt lgkmcnt(0)
	;;#ASMEND
	ds_read_b32 v67, v87 offset:57384
	v_mfma_f32_16x16x32_fp8_fp8 v[12:15], v[62:63], v[68:69], v[12:15]
	ds_write_b32 v87, v88 offset:57380
	s_waitcnt lgkmcnt(1)
	v_cmp_ne_u32_e32 vcc, v67, v72
	v_mfma_f32_16x16x32_fp8_fp8 v[32:35], v[54:55], v[70:71], v[32:35]
	v_mfma_f32_16x16x32_fp8_fp8 v[12:15], v[64:65], v[70:71], v[12:15]
	;; [unrolled: 1-line block ×4, first 2 shown]
	s_and_saveexec_b64 s[10:11], vcc
	s_cbranch_execz .LBB226_28
; %bb.26:                               ;   in Loop: Header=BB226_13 Depth=2
	s_mov_b64 s[12:13], 0
.LBB226_27:                             ;   Parent Loop BB226_7 Depth=1
                                        ;     Parent Loop BB226_13 Depth=2
                                        ; =>    This Inner Loop Header: Depth=3
	;;#ASMSTART
	s_sleep 0
	;;#ASMEND
	ds_read_b32 v67, v87 offset:57384
	s_waitcnt lgkmcnt(0)
	v_cmp_eq_u32_e32 vcc, v67, v72
	s_or_b64 s[12:13], vcc, s[12:13]
	s_andn2_b64 exec, exec, s[12:13]
	s_cbranch_execnz .LBB226_27
.LBB226_28:                             ;   in Loop: Header=BB226_13 Depth=2
	s_or_b64 exec, exec, s[10:11]
	v_add_u32_e32 v67, 0x1000, v66
	ds_read2_b32 v[68:69], v67 offset1:32
	ds_read2_b32 v[70:71], v67 offset0:128 offset1:160
	v_add_u32_e32 v67, 0x1400, v66
	ds_read2_b32 v[90:91], v67 offset1:32
	ds_read2_b32 v[92:93], v67 offset0:128 offset1:160
	s_waitcnt lgkmcnt(3)
	v_mfma_f32_16x16x32_fp8_fp8 v[28:31], v[50:51], v[68:69], v[28:31]
	;;#ASMSTART
	s_waitcnt lgkmcnt(0)
	;;#ASMEND
	ds_read_b32 v67, v87 offset:57388
	ds_write_b32 v87, v88 offset:57384
	v_mfma_f32_16x16x32_fp8_fp8 v[8:11], v[60:61], v[68:69], v[8:11]
	s_waitcnt lgkmcnt(1)
	v_cmp_ne_u32_e32 vcc, v67, v72
	v_mfma_f32_16x16x32_fp8_fp8 v[28:31], v[52:53], v[70:71], v[28:31]
	v_mfma_f32_16x16x32_fp8_fp8 v[8:11], v[62:63], v[70:71], v[8:11]
	v_mfma_f32_16x16x32_fp8_fp8 v[28:31], v[54:55], v[90:91], v[28:31]
	v_mfma_f32_16x16x32_fp8_fp8 v[8:11], v[64:65], v[90:91], v[8:11]
	v_mfma_f32_16x16x32_fp8_fp8 v[28:31], v[56:57], v[92:93], v[28:31]
	v_mfma_f32_16x16x32_fp8_fp8 v[8:11], v[58:59], v[92:93], v[8:11]
	s_and_saveexec_b64 s[10:11], vcc
	s_cbranch_execz .LBB226_31
; %bb.29:                               ;   in Loop: Header=BB226_13 Depth=2
	s_mov_b64 s[12:13], 0
.LBB226_30:                             ;   Parent Loop BB226_7 Depth=1
                                        ;     Parent Loop BB226_13 Depth=2
                                        ; =>    This Inner Loop Header: Depth=3
	;;#ASMSTART
	s_sleep 0
	;;#ASMEND
	ds_read_b32 v67, v87 offset:57388
	s_waitcnt lgkmcnt(0)
	v_cmp_eq_u32_e32 vcc, v67, v72
	s_or_b64 s[12:13], vcc, s[12:13]
	s_andn2_b64 exec, exec, s[12:13]
	s_cbranch_execnz .LBB226_30
.LBB226_31:                             ;   in Loop: Header=BB226_13 Depth=2
	s_or_b64 exec, exec, s[10:11]
	v_add_u32_e32 v67, 0x1800, v66
	ds_read2_b32 v[68:69], v67 offset1:32
	ds_read2_b32 v[70:71], v67 offset0:128 offset1:160
	v_add_u32_e32 v67, 0x1c00, v66
	ds_read2_b32 v[90:91], v67 offset1:32
	ds_read2_b32 v[92:93], v67 offset0:128 offset1:160
	s_waitcnt lgkmcnt(3)
	v_mfma_f32_16x16x32_fp8_fp8 v[24:27], v[50:51], v[68:69], v[24:27]
	;;#ASMSTART
	s_waitcnt lgkmcnt(0)
	;;#ASMEND
	ds_read_b32 v67, v87 offset:57392
	ds_write_b32 v87, v88 offset:57388
	v_mfma_f32_16x16x32_fp8_fp8 v[0:3], v[60:61], v[68:69], v[0:3]
	s_waitcnt lgkmcnt(1)
	v_cmp_ne_u32_e32 vcc, v67, v72
	v_mfma_f32_16x16x32_fp8_fp8 v[24:27], v[52:53], v[70:71], v[24:27]
	v_mfma_f32_16x16x32_fp8_fp8 v[0:3], v[62:63], v[70:71], v[0:3]
	;; [unrolled: 1-line block ×6, first 2 shown]
	s_and_saveexec_b64 s[10:11], vcc
	s_cbranch_execz .LBB226_12
; %bb.32:                               ;   in Loop: Header=BB226_13 Depth=2
	s_mov_b64 s[12:13], 0
.LBB226_33:                             ;   Parent Loop BB226_7 Depth=1
                                        ;     Parent Loop BB226_13 Depth=2
                                        ; =>    This Inner Loop Header: Depth=3
	;;#ASMSTART
	s_sleep 0
	;;#ASMEND
	ds_read_b32 v67, v87 offset:57392
	s_waitcnt lgkmcnt(0)
	v_cmp_eq_u32_e32 vcc, v67, v72
	s_or_b64 s[12:13], vcc, s[12:13]
	s_andn2_b64 exec, exec, s[12:13]
	s_cbranch_execnz .LBB226_33
	s_branch .LBB226_12
.LBB226_34:                             ;   in Loop: Header=BB226_7 Depth=1
	s_or_b64 exec, exec, s[8:9]
.LBB226_35:                             ;   in Loop: Header=BB226_7 Depth=1
	s_or_b64 exec, exec, s[6:7]
	v_cmp_le_i32_e32 vcc, s47, v40
	v_cmp_eq_u32_e64 s[12:13], 1, v74
	v_cmp_eq_u32_e64 s[6:7], 3, v74
	s_waitcnt vmcnt(0)
	v_cndmask_b32_e32 v50, 0, v85, vcc
	v_pk_mul_f32 v[36:37], v[50:51], v[36:37] op_sel_hi:[0,1]
	v_pk_mul_f32 v[54:55], v[50:51], v[38:39] op_sel_hi:[0,1]
	v_cndmask_b32_e64 v38, v36, v37, s[12:13]
	v_cmp_eq_u32_e32 vcc, 2, v74
	v_cmp_eq_u32_e64 s[8:9], 0, v74
	v_cmp_eq_u32_e64 s[10:11], 1, v75
	v_cndmask_b32_e32 v38, v38, v54, vcc
	v_cndmask_b32_e64 v38, v38, v55, s[6:7]
	ds_bpermute_b32 v51, v82, v38
	v_cmp_eq_u32_e64 s[16:17], 3, v75
	s_waitcnt lgkmcnt(0)
	v_cndmask_b32_e64 v38, v55, v51, s[6:7]
	v_cndmask_b32_e32 v39, v54, v51, vcc
	v_cndmask_b32_e64 v37, v37, v51, s[12:13]
	v_cndmask_b32_e64 v51, v36, v51, s[8:9]
	v_or_b32_e32 v36, 16, v40
	v_cmp_le_i32_e64 s[14:15], s47, v36
	v_cndmask_b32_e64 v53, v51, v37, s[10:11]
	s_nop 0
	v_cndmask_b32_e64 v36, 0, v85, s[14:15]
	v_pk_mul_f32 v[32:33], v[36:37], v[32:33] op_sel_hi:[0,1]
	v_pk_mul_f32 v[54:55], v[36:37], v[34:35] op_sel_hi:[0,1]
	v_cndmask_b32_e64 v34, v32, v33, s[12:13]
	v_cndmask_b32_e32 v34, v34, v54, vcc
	v_cndmask_b32_e64 v34, v34, v55, s[6:7]
	ds_bpermute_b32 v56, v82, v34
	v_cmp_eq_u32_e64 s[14:15], 2, v75
	s_waitcnt lgkmcnt(0)
	v_cndmask_b32_e64 v57, v32, v56, s[8:9]
	v_or_b32_e32 v32, 32, v40
	v_cmp_le_i32_e64 s[18:19], s47, v32
	v_cndmask_b32_e64 v33, v33, v56, s[12:13]
	v_cndmask_b32_e64 v34, v53, v39, s[14:15]
	;; [unrolled: 1-line block ×3, first 2 shown]
	v_pk_mul_f32 v[28:29], v[32:33], v[28:29] op_sel_hi:[0,1]
	v_cndmask_b32_e64 v35, v55, v56, s[6:7]
	v_cndmask_b32_e32 v53, v54, v56, vcc
	v_pk_mul_f32 v[54:55], v[32:33], v[30:31] op_sel_hi:[0,1]
	v_cndmask_b32_e64 v30, v28, v29, s[12:13]
	v_cndmask_b32_e32 v30, v30, v54, vcc
	v_cndmask_b32_e64 v30, v30, v55, s[6:7]
	ds_bpermute_b32 v56, v82, v30
	v_cndmask_b32_e64 v30, v57, v33, s[10:11]
	v_cndmask_b32_e64 v30, v30, v53, s[14:15]
	;; [unrolled: 1-line block ×4, first 2 shown]
	s_waitcnt lgkmcnt(0)
	v_cndmask_b32_e64 v59, v28, v56, s[8:9]
	v_or_b32_e32 v28, 48, v40
	v_cmp_le_i32_e64 s[18:19], s47, v28
	v_cndmask_b32_e64 v29, v29, v56, s[12:13]
	v_cndmask_b32_e64 v31, v55, v56, s[6:7]
	;; [unrolled: 1-line block ×3, first 2 shown]
	v_pk_mul_f32 v[24:25], v[28:29], v[24:25] op_sel_hi:[0,1]
	v_pk_mul_f32 v[60:61], v[28:29], v[26:27] op_sel_hi:[0,1]
	v_cndmask_b32_e64 v26, v24, v25, s[12:13]
	v_cndmask_b32_e32 v26, v26, v60, vcc
	v_cndmask_b32_e64 v26, v26, v61, s[6:7]
	v_cndmask_b32_e32 v54, v54, v56, vcc
	ds_bpermute_b32 v56, v82, v26
	v_cndmask_b32_e64 v26, v59, v29, s[10:11]
	v_cndmask_b32_e64 v26, v26, v54, s[14:15]
	v_cndmask_b32_e64 v26, v26, v31, s[16:17]
	ds_bpermute_b32 v34, v82, v34
	s_waitcnt lgkmcnt(1)
	v_cndmask_b32_e64 v27, v61, v56, s[6:7]
	v_cndmask_b32_e64 v61, v24, v56, s[8:9]
	v_or_b32_e32 v24, 64, v40
	v_cmp_le_i32_e64 s[18:19], s47, v24
	v_cndmask_b32_e32 v55, v60, v56, vcc
	v_cndmask_b32_e64 v60, v25, v56, s[12:13]
	v_cndmask_b32_e64 v24, 0, v85, s[18:19]
	v_pk_mul_f32 v[64:65], v[24:25], v[20:21] op_sel_hi:[0,1]
	v_pk_mul_f32 v[62:63], v[24:25], v[22:23] op_sel_hi:[0,1]
	v_cndmask_b32_e64 v20, v64, v65, s[12:13]
	v_cndmask_b32_e32 v20, v20, v62, vcc
	v_cndmask_b32_e64 v20, v20, v63, s[6:7]
	ds_bpermute_b32 v21, v82, v20
	v_cndmask_b32_e64 v20, v61, v60, s[10:11]
	v_cndmask_b32_e64 v20, v20, v55, s[14:15]
	v_cndmask_b32_e64 v20, v20, v27, s[16:17]
	ds_bpermute_b32 v22, v82, v20
	s_waitcnt lgkmcnt(1)
	v_cndmask_b32_e32 v56, v62, v21, vcc
	v_cmp_ne_u32_e32 vcc, 0, v74
	v_cndmask_b32_e64 v23, v63, v21, s[6:7]
	ds_bpermute_b32 v30, v82, v30
	v_cndmask_b32_e32 v20, v65, v21, vcc
	v_cndmask_b32_e64 v21, v64, v21, s[8:9]
	v_cndmask_b32_e64 v25, v21, v20, s[10:11]
	v_cndmask_b32_e64 v25, v25, v56, s[14:15]
	v_cndmask_b32_e64 v25, v25, v23, s[16:17]
	ds_bpermute_b32 v26, v82, v26
	ds_bpermute_b32 v58, v82, v25
	v_add_u32_e32 v25, s69, v76
	v_cmp_gt_u32_e32 vcc, 32, v25
	s_and_saveexec_b64 s[18:19], vcc
	s_cbranch_execz .LBB226_40
; %bb.36:                               ;   in Loop: Header=BB226_7 Depth=1
	v_cmp_eq_u32_e64 s[8:9], 1, v75
	v_cmp_eq_u32_e64 s[10:11], 0, v75
	v_cmp_eq_u32_e32 vcc, 3, v75
	v_cndmask_b32_e64 v37, v37, v34, s[8:9]
	s_waitcnt lgkmcnt(2)
	v_cndmask_b32_e64 v33, v33, v30, s[8:9]
	s_waitcnt lgkmcnt(1)
	v_cndmask_b32_e64 v29, v29, v26, s[8:9]
	v_cndmask_b32_e64 v62, v60, v22, s[8:9]
	s_waitcnt lgkmcnt(0)
	v_cndmask_b32_e64 v64, v20, v58, s[8:9]
	s_mul_i32 s8, s67, s21
	s_ashr_i32 s9, s8, 31
	v_cndmask_b32_e64 v51, v51, v34, s[10:11]
	s_lshl_b64 s[8:9], s[8:9], 1
	v_cndmask_b32_e64 v57, v57, v30, s[10:11]
	v_cndmask_b32_e64 v59, v59, v26, s[10:11]
	;; [unrolled: 1-line block ×4, first 2 shown]
	s_add_u32 s10, s40, s8
	v_cvt_f16_f32_e32 v51, v51
	v_cvt_f16_f32_sdwa v37, v37 dst_sel:WORD_1 dst_unused:UNUSED_PAD src0_sel:DWORD
	s_addc_u32 s11, s41, s9
	s_ashr_i32 s47, s46, 31
	s_lshl_b64 s[8:9], s[46:47], 1
	s_add_u32 s52, s10, s8
	s_addc_u32 s53, s11, s9
	v_or_b32_e32 v37, v37, v51
	v_lshl_add_u64 v[20:21], v[42:43], 1, s[52:53]
	;;#ASMSTART
	global_atomic_pk_add_f16 v[20:21], v37, off
	
	;;#ASMEND
	v_cvt_f16_f32_e32 v37, v57
	v_cvt_f16_f32_sdwa v33, v33 dst_sel:WORD_1 dst_unused:UNUSED_PAD src0_sel:DWORD
	v_cvt_f16_f32_e32 v51, v59
	v_cvt_f16_f32_sdwa v29, v29 dst_sel:WORD_1 dst_unused:UNUSED_PAD src0_sel:DWORD
	v_lshl_add_u64 v[60:61], v[20:21], 0, 32
	v_or_b32_e32 v33, v33, v37
	;;#ASMSTART
	global_atomic_pk_add_f16 v[60:61], v33, off
	
	;;#ASMEND
	v_or_b32_e32 v29, v29, v51
	v_lshl_add_u64 v[60:61], v[20:21], 0, 64
	;;#ASMSTART
	global_atomic_pk_add_f16 v[60:61], v29, off
	
	;;#ASMEND
	v_cvt_f16_f32_e32 v29, v63
	v_cvt_f16_f32_sdwa v33, v62 dst_sel:WORD_1 dst_unused:UNUSED_PAD src0_sel:DWORD
	v_cvt_f16_f32_e32 v37, v65
	v_cvt_f16_f32_sdwa v51, v64 dst_sel:WORD_1 dst_unused:UNUSED_PAD src0_sel:DWORD
	v_cmp_eq_u32_e64 s[6:7], 2, v75
	v_lshl_add_u64 v[60:61], v[20:21], 0, s[30:31]
	v_or_b32_e32 v29, v33, v29
	v_cmp_gt_u32_e64 s[8:9], 30, v25
	;;#ASMSTART
	global_atomic_pk_add_f16 v[60:61], v29, off
	
	;;#ASMEND
	v_lshl_add_u64 v[60:61], v[20:21], 0, s[34:35]
	v_or_b32_e32 v29, v51, v37
	;;#ASMSTART
	global_atomic_pk_add_f16 v[60:61], v29, off
	
	;;#ASMEND
	s_and_b64 exec, exec, s[8:9]
	s_cbranch_execz .LBB226_40
; %bb.37:                               ;   in Loop: Header=BB226_7 Depth=1
	v_cndmask_b32_e32 v38, v38, v34, vcc
	v_cndmask_b32_e64 v34, v39, v34, s[6:7]
	v_cndmask_b32_e32 v35, v35, v30, vcc
	v_cndmask_b32_e64 v30, v53, v30, s[6:7]
	;; [unrolled: 2-line block ×3, first 2 shown]
	v_cndmask_b32_e32 v53, v23, v58, vcc
	v_cvt_f16_f32_e32 v22, v34
	v_cvt_f16_f32_sdwa v23, v38 dst_sel:WORD_1 dst_unused:UNUSED_PAD src0_sel:DWORD
	v_cvt_f16_f32_e32 v30, v30
	v_cvt_f16_f32_sdwa v34, v35 dst_sel:WORD_1 dst_unused:UNUSED_PAD src0_sel:DWORD
	v_cndmask_b32_e32 v31, v31, v26, vcc
	v_cndmask_b32_e64 v26, v54, v26, s[6:7]
	v_lshl_add_u64 v[20:21], s[28:29], 2, v[20:21]
	v_or_b32_e32 v22, v23, v22
	v_or_b32_e32 v30, v34, v30
	;;#ASMSTART
	global_atomic_pk_add_f16 v[20:21], v22, off
	
	;;#ASMEND
	v_lshl_add_u64 v[22:23], v[20:21], 0, 32
	;;#ASMSTART
	global_atomic_pk_add_f16 v[22:23], v30, off
	
	;;#ASMEND
	v_cvt_f16_f32_e32 v26, v26
	v_cvt_f16_f32_sdwa v30, v31 dst_sel:WORD_1 dst_unused:UNUSED_PAD src0_sel:DWORD
	v_cvt_f16_f32_e32 v31, v39
	v_cvt_f16_f32_sdwa v27, v27 dst_sel:WORD_1 dst_unused:UNUSED_PAD src0_sel:DWORD
	v_mov_b32_e32 v51, v50
	v_or_b32_e32 v26, v30, v26
	v_lshl_add_u64 v[22:23], v[20:21], 0, 64
	;;#ASMSTART
	global_atomic_pk_add_f16 v[22:23], v26, off
	
	;;#ASMEND
	v_or_b32_e32 v30, v27, v31
	v_mov_b32_e32 v26, v50
	v_mov_b32_e32 v27, v50
	v_pk_mul_f32 v[18:19], v[26:27], v[18:19]
	v_pk_mul_f32 v[26:27], v[50:51], v[16:17]
	v_cmp_eq_u32_e64 s[8:9], 1, v74
	v_mov_b32_e32 v37, v36
	v_lshl_add_u64 v[22:23], v[20:21], 0, s[30:31]
	v_cndmask_b32_e64 v16, v26, v27, s[8:9]
	v_cmp_eq_u32_e32 vcc, 2, v74
	;;#ASMSTART
	global_atomic_pk_add_f16 v[22:23], v30, off
	
	;;#ASMEND
	v_lshl_add_u64 v[30:31], v[20:21], 0, s[34:35]
	v_mov_b32_e32 v20, v36
	v_mov_b32_e32 v21, v36
	v_cndmask_b32_e64 v54, v56, v58, s[6:7]
	v_cndmask_b32_e32 v16, v16, v18, vcc
	v_cmp_eq_u32_e64 s[6:7], 3, v74
	v_pk_mul_f32 v[14:15], v[20:21], v[14:15]
	v_pk_mul_f32 v[20:21], v[36:37], v[12:13]
	v_cndmask_b32_e64 v16, v16, v19, s[6:7]
	v_cndmask_b32_e64 v12, v20, v21, s[8:9]
	ds_bpermute_b32 v34, v82, v16
	v_cndmask_b32_e32 v12, v12, v14, vcc
	v_cndmask_b32_e64 v12, v12, v15, s[6:7]
	ds_bpermute_b32 v23, v82, v12
	v_cmp_eq_u32_e64 s[10:11], 0, v74
	s_waitcnt lgkmcnt(1)
	v_cndmask_b32_e64 v16, v19, v34, s[6:7]
	v_cndmask_b32_e32 v17, v18, v34, vcc
	v_cndmask_b32_e64 v18, v27, v34, s[8:9]
	v_cndmask_b32_e64 v19, v26, v34, s[10:11]
	v_cmp_eq_u32_e64 s[12:13], 1, v75
	v_cmp_eq_u32_e64 s[14:15], 2, v75
	v_mov_b32_e32 v33, v32
	v_cndmask_b32_e64 v22, v19, v18, s[12:13]
	v_cndmask_b32_e64 v12, v22, v17, s[14:15]
	s_waitcnt lgkmcnt(0)
	v_cndmask_b32_e64 v13, v15, v23, s[6:7]
	v_cndmask_b32_e32 v14, v14, v23, vcc
	v_cndmask_b32_e64 v15, v21, v23, s[8:9]
	v_cndmask_b32_e64 v20, v20, v23, s[10:11]
	v_mov_b32_e32 v22, v32
	v_mov_b32_e32 v23, v32
	v_pk_mul_f32 v[10:11], v[22:23], v[10:11]
	v_pk_mul_f32 v[22:23], v[32:33], v[8:9]
	v_mov_b32_e32 v29, v28
	v_cndmask_b32_e64 v8, v22, v23, s[8:9]
	v_cndmask_b32_e32 v8, v8, v10, vcc
	v_cndmask_b32_e64 v8, v8, v11, s[6:7]
	ds_bpermute_b32 v26, v82, v8
	v_mov_b32_e32 v27, v28
	v_cmp_eq_u32_e64 s[16:17], 3, v75
	v_mov_b32_e32 v25, v24
	v_cndmask_b32_e64 v8, v20, v15, s[12:13]
	s_waitcnt lgkmcnt(0)
	v_cndmask_b32_e64 v9, v11, v26, s[6:7]
	v_cndmask_b32_e32 v10, v10, v26, vcc
	v_cndmask_b32_e64 v21, v23, v26, s[8:9]
	v_cndmask_b32_e64 v22, v22, v26, s[10:11]
	v_mov_b32_e32 v26, v28
	v_pk_mul_f32 v[28:29], v[28:29], v[0:1]
	v_pk_mul_f32 v[26:27], v[26:27], v[2:3]
	v_cndmask_b32_e64 v0, v28, v29, s[8:9]
	v_cndmask_b32_e32 v0, v0, v26, vcc
	v_cndmask_b32_e64 v0, v0, v27, s[6:7]
	ds_bpermute_b32 v1, v82, v0
	v_cndmask_b32_e64 v0, v22, v21, s[12:13]
	v_cndmask_b32_e64 v0, v0, v10, s[14:15]
	;; [unrolled: 1-line block ×3, first 2 shown]
	ds_bpermute_b32 v2, v82, v0
	s_waitcnt lgkmcnt(1)
	v_cndmask_b32_e64 v3, v27, v1, s[6:7]
	v_cndmask_b32_e32 v11, v26, v1, vcc
	v_cndmask_b32_e64 v0, v29, v1, s[8:9]
	v_cndmask_b32_e64 v1, v28, v1, s[10:11]
	v_mov_b32_e32 v26, v24
	v_mov_b32_e32 v27, v24
	v_pk_mul_f32 v[28:29], v[24:25], v[4:5]
	v_pk_mul_f32 v[26:27], v[26:27], v[6:7]
	v_cndmask_b32_e64 v4, v28, v29, s[8:9]
	v_cndmask_b32_e32 v4, v4, v26, vcc
	v_cndmask_b32_e64 v4, v4, v27, s[6:7]
	ds_bpermute_b32 v7, v82, v4
	v_cndmask_b32_e64 v4, v1, v0, s[12:13]
	v_cndmask_b32_e64 v4, v4, v11, s[14:15]
	;; [unrolled: 1-line block ×3, first 2 shown]
	ds_bpermute_b32 v6, v82, v4
	s_waitcnt lgkmcnt(1)
	v_cndmask_b32_e32 v5, v26, v7, vcc
	v_cmp_ne_u32_e32 vcc, 0, v74
	v_cndmask_b32_e64 v25, v28, v7, s[10:11]
	v_cndmask_b32_e64 v4, v27, v7, s[6:7]
	v_cndmask_b32_e32 v24, v29, v7, vcc
	v_cndmask_b32_e64 v7, v25, v24, s[12:13]
	v_cvt_f16_f32_e32 v35, v54
	v_cvt_f16_f32_sdwa v38, v53 dst_sel:WORD_1 dst_unused:UNUSED_PAD src0_sel:DWORD
	v_cndmask_b32_e64 v8, v8, v14, s[14:15]
	v_cndmask_b32_e64 v7, v7, v5, s[14:15]
	;; [unrolled: 1-line block ×5, first 2 shown]
	ds_bpermute_b32 v12, v82, v12
	ds_bpermute_b32 v8, v82, v8
	ds_bpermute_b32 v7, v82, v7
	v_or_b32_e32 v23, v38, v35
	;;#ASMSTART
	global_atomic_pk_add_f16 v[30:31], v23, off
	
	;;#ASMEND
	v_add_u32_e32 v23, s69, v77
	v_cmp_gt_u32_e32 vcc, 32, v23
	s_and_b64 exec, exec, vcc
	s_cbranch_execz .LBB226_40
; %bb.38:                               ;   in Loop: Header=BB226_7 Depth=1
	v_cmp_eq_u32_e64 s[8:9], 1, v75
	v_cmp_eq_u32_e64 s[10:11], 0, v75
	v_cmp_eq_u32_e32 vcc, 3, v75
	s_waitcnt lgkmcnt(2)
	v_cndmask_b32_e64 v18, v18, v12, s[8:9]
	v_cndmask_b32_e64 v19, v19, v12, s[10:11]
	s_waitcnt lgkmcnt(1)
	v_cndmask_b32_e64 v15, v15, v8, s[8:9]
	v_cndmask_b32_e64 v20, v20, v8, s[10:11]
	v_cndmask_b32_e64 v21, v21, v2, s[8:9]
	v_cndmask_b32_e64 v22, v22, v2, s[10:11]
	v_cvt_f16_f32_e32 v19, v19
	v_cvt_f16_f32_sdwa v18, v18 dst_sel:WORD_1 dst_unused:UNUSED_PAD src0_sel:DWORD
	v_cvt_f16_f32_e32 v20, v20
	v_cvt_f16_f32_sdwa v15, v15 dst_sel:WORD_1 dst_unused:UNUSED_PAD src0_sel:DWORD
	v_cvt_f16_f32_e32 v22, v22
	v_cvt_f16_f32_sdwa v21, v21 dst_sel:WORD_1 dst_unused:UNUSED_PAD src0_sel:DWORD
	v_cndmask_b32_e64 v26, v0, v6, s[8:9]
	v_cndmask_b32_e64 v27, v1, v6, s[10:11]
	v_lshl_add_u64 v[0:1], v[44:45], 1, s[52:53]
	v_or_b32_e32 v18, v18, v19
	v_or_b32_e32 v15, v15, v20
	;;#ASMSTART
	global_atomic_pk_add_f16 v[0:1], v18, off
	
	;;#ASMEND
	v_lshl_add_u64 v[18:19], v[0:1], 0, 32
	;;#ASMSTART
	global_atomic_pk_add_f16 v[18:19], v15, off
	
	;;#ASMEND
	v_or_b32_e32 v15, v21, v22
	s_waitcnt lgkmcnt(0)
	v_cndmask_b32_e64 v24, v24, v7, s[8:9]
	v_cndmask_b32_e64 v25, v25, v7, s[10:11]
	v_lshl_add_u64 v[18:19], v[0:1], 0, 64
	;;#ASMSTART
	global_atomic_pk_add_f16 v[18:19], v15, off
	
	;;#ASMEND
	v_cvt_f16_f32_e32 v15, v27
	v_cvt_f16_f32_sdwa v20, v26 dst_sel:WORD_1 dst_unused:UNUSED_PAD src0_sel:DWORD
	v_cvt_f16_f32_e32 v21, v25
	v_cvt_f16_f32_sdwa v22, v24 dst_sel:WORD_1 dst_unused:UNUSED_PAD src0_sel:DWORD
	v_cmp_eq_u32_e64 s[6:7], 2, v75
	v_lshl_add_u64 v[18:19], v[0:1], 0, s[30:31]
	v_or_b32_e32 v15, v20, v15
	v_cmp_gt_u32_e64 s[8:9], 30, v23
	;;#ASMSTART
	global_atomic_pk_add_f16 v[18:19], v15, off
	
	;;#ASMEND
	v_lshl_add_u64 v[18:19], v[0:1], 0, s[34:35]
	v_or_b32_e32 v15, v22, v21
	;;#ASMSTART
	global_atomic_pk_add_f16 v[18:19], v15, off
	
	;;#ASMEND
	s_and_b64 exec, exec, s[8:9]
	s_cbranch_execz .LBB226_40
; %bb.39:                               ;   in Loop: Header=BB226_7 Depth=1
	v_cndmask_b32_e32 v15, v16, v12, vcc
	v_cndmask_b32_e64 v12, v17, v12, s[6:7]
	v_cndmask_b32_e32 v13, v13, v8, vcc
	v_cndmask_b32_e64 v8, v14, v8, s[6:7]
	;; [unrolled: 2-line block ×3, first 2 shown]
	v_cndmask_b32_e32 v14, v3, v6, vcc
	v_cvt_f16_f32_e32 v2, v12
	v_cvt_f16_f32_sdwa v3, v15 dst_sel:WORD_1 dst_unused:UNUSED_PAD src0_sel:DWORD
	v_cndmask_b32_e32 v4, v4, v7, vcc
	v_cndmask_b32_e64 v5, v5, v7, s[6:7]
	v_cvt_f16_f32_e32 v7, v8
	v_cvt_f16_f32_sdwa v8, v13 dst_sel:WORD_1 dst_unused:UNUSED_PAD src0_sel:DWORD
	v_cvt_f16_f32_e32 v10, v10
	v_cvt_f16_f32_sdwa v9, v9 dst_sel:WORD_1 dst_unused:UNUSED_PAD src0_sel:DWORD
	v_lshl_add_u64 v[0:1], s[28:29], 2, v[0:1]
	v_or_b32_e32 v2, v3, v2
	v_or_b32_e32 v7, v8, v7
	v_cndmask_b32_e64 v6, v11, v6, s[6:7]
	;;#ASMSTART
	global_atomic_pk_add_f16 v[0:1], v2, off
	
	;;#ASMEND
	v_lshl_add_u64 v[2:3], v[0:1], 0, 32
	;;#ASMSTART
	global_atomic_pk_add_f16 v[2:3], v7, off
	
	;;#ASMEND
	v_or_b32_e32 v7, v9, v10
	v_lshl_add_u64 v[2:3], v[0:1], 0, 64
	;;#ASMSTART
	global_atomic_pk_add_f16 v[2:3], v7, off
	
	;;#ASMEND
	v_cvt_f16_f32_e32 v6, v6
	v_cvt_f16_f32_sdwa v7, v14 dst_sel:WORD_1 dst_unused:UNUSED_PAD src0_sel:DWORD
	v_cvt_f16_f32_e32 v5, v5
	v_cvt_f16_f32_sdwa v4, v4 dst_sel:WORD_1 dst_unused:UNUSED_PAD src0_sel:DWORD
	v_lshl_add_u64 v[2:3], v[0:1], 0, s[30:31]
	v_or_b32_e32 v6, v7, v6
	;;#ASMSTART
	global_atomic_pk_add_f16 v[2:3], v6, off
	
	;;#ASMEND
	v_lshl_add_u64 v[0:1], v[0:1], 0, s[34:35]
	v_or_b32_e32 v2, v4, v5
	;;#ASMSTART
	global_atomic_pk_add_f16 v[0:1], v2, off
	
	;;#ASMEND
.LBB226_40:                             ;   in Loop: Header=BB226_7 Depth=1
	s_or_b64 exec, exec, s[18:19]
	v_subrev_u32_e32 v84, s70, v84
.LBB226_41:                             ;   in Loop: Header=BB226_7 Depth=1
	s_or_b64 exec, exec, s[50:51]
.LBB226_42:                             ;   in Loop: Header=BB226_7 Depth=1
	s_andn2_saveexec_b64 s[6:7], s[48:49]
	s_cbranch_execz .LBB226_51
; %bb.43:                               ;   in Loop: Header=BB226_7 Depth=1
	s_mul_i32 s16, s70, 5
	v_cmp_gt_i32_e32 vcc, s16, v84
	s_and_saveexec_b64 s[8:9], vcc
	s_cbranch_execz .LBB226_50
; %bb.44:                               ;   in Loop: Header=BB226_7 Depth=1
	s_mul_i32 s10, s46, s23
	s_ashr_i32 s11, s10, 31
	s_waitcnt lgkmcnt(0)
	s_add_u32 s10, s38, s10
	s_addc_u32 s11, s39, s11
	s_ashr_i32 s12, s68, 31
	s_add_u32 s10, s10, s68
	s_addc_u32 s11, s11, s12
	v_lshl_add_u64 v[0:1], s[10:11], 0, v[48:49]
	v_lshl_add_u64 v[8:9], v[0:1], 0, v[46:47]
	s_mov_b64 s[10:11], 0
	s_branch .LBB226_46
.LBB226_45:                             ;   in Loop: Header=BB226_46 Depth=2
	s_or_b64 exec, exec, s[12:13]
	v_lshl_or_b32 v12, v10, 11, v79
	;;#ASMSTART
	s_waitcnt vmcnt(1)
	;;#ASMEND
	ds_write2_b32 v12, v4, v5 offset1:32
	ds_write2_b32 v12, v6, v7 offset0:64 offset1:96
	v_add_u32_e32 v4, 0x400, v12
	v_add_u32_e32 v84, s26, v84
	;;#ASMSTART
	s_waitcnt vmcnt(0)
	;;#ASMEND
	ds_write2_b32 v4, v0, v1 offset1:32
	ds_write2_b32 v4, v2, v3 offset0:64 offset1:96
	v_add_u32_e32 v0, 1, v72
	v_add_u32_e32 v52, s26, v10
	v_cmp_le_i32_e32 vcc, s16, v84
	ds_write_b32 v11, v0 offset:32
	v_add_u32_e32 v0, 2, v72
	s_or_b64 s[10:11], vcc, s[10:11]
	v_cmp_lt_i32_e32 vcc, 19, v52
	s_nop 1
	v_cndmask_b32_e32 v72, v72, v0, vcc
	s_andn2_b64 exec, exec, s[10:11]
	s_cbranch_execz .LBB226_49
.LBB226_46:                             ;   Parent Loop BB226_7 Depth=1
                                        ; =>  This Loop Header: Depth=2
                                        ;       Child Loop BB226_48 Depth 3
	v_cmp_gt_i32_e32 vcc, 20, v52
	s_nop 1
	v_cndmask_b32_e64 v0, v83, 0, vcc
	v_add_u32_e32 v10, v0, v52
	v_mul_hi_i32 v0, v84, s56
	v_lshrrev_b32_e32 v1, 31, v0
	v_ashrrev_i32_e32 v0, 1, v0
	v_add_u32_e32 v0, v0, v1
	v_lshl_add_u32 v1, v0, 2, v0
	v_sub_u32_e32 v2, v84, v1
	v_lshlrev_b32_e32 v0, 7, v0
	v_ashrrev_i32_e32 v1, 31, v0
	v_mul_lo_u32 v2, s60, v2
	v_lshl_add_u64 v[0:1], v[8:9], 0, v[0:1]
	v_ashrrev_i32_e32 v3, 31, v2
	v_lshl_add_u64 v[0:1], v[0:1], 0, v[2:3]
	v_lshlrev_b32_e32 v11, 2, v10
	;;#ASMSTART
	global_load_dwordx4 v[4:7], v[0:1], off offset:0   sc0 sc1 nt  
	global_load_dwordx4 v[0:3], v[0:1], off offset:64  sc0 sc1 nt  
	
	;;#ASMEND
	ds_read_b32 v12, v11 offset:57376
	v_add_u32_e32 v11, 0xe000, v11
	s_waitcnt lgkmcnt(0)
	v_cmp_ne_u32_e32 vcc, v12, v72
	s_and_saveexec_b64 s[12:13], vcc
	s_cbranch_execz .LBB226_45
; %bb.47:                               ;   in Loop: Header=BB226_46 Depth=2
	s_mov_b64 s[14:15], 0
.LBB226_48:                             ;   Parent Loop BB226_7 Depth=1
                                        ;     Parent Loop BB226_46 Depth=2
                                        ; =>    This Inner Loop Header: Depth=3
	;;#ASMSTART
	s_sleep 0
	;;#ASMEND
	ds_read_b32 v12, v11 offset:32
	s_waitcnt lgkmcnt(0)
	v_cmp_eq_u32_e32 vcc, v12, v72
	s_or_b64 s[14:15], vcc, s[14:15]
	s_andn2_b64 exec, exec, s[14:15]
	s_cbranch_execnz .LBB226_48
	s_branch .LBB226_45
.LBB226_49:                             ;   in Loop: Header=BB226_7 Depth=1
	s_or_b64 exec, exec, s[10:11]
.LBB226_50:                             ;   in Loop: Header=BB226_7 Depth=1
	s_or_b64 exec, exec, s[8:9]
	v_subrev_u32_e32 v84, s16, v84
.LBB226_51:                             ;   in Loop: Header=BB226_7 Depth=1
	s_or_b64 exec, exec, s[6:7]
.LBB226_52:                             ;   in Loop: Header=BB226_7 Depth=1
	s_andn2_saveexec_b64 s[6:7], s[44:45]
	s_cbranch_execz .LBB226_6
; %bb.53:                               ;   in Loop: Header=BB226_7 Depth=1
	s_lshl_b32 s16, s70, 1
	v_cmp_gt_i32_e32 vcc, s16, v84
	s_and_saveexec_b64 s[8:9], vcc
	s_cbranch_execz .LBB226_5
; %bb.54:                               ;   in Loop: Header=BB226_7 Depth=1
	s_mul_i32 s67, s67, s22
	s_ashr_i32 s10, s67, 31
	s_waitcnt lgkmcnt(0)
	s_add_u32 s11, s36, s67
	v_add_u32_e32 v2, s69, v78
	s_addc_u32 s12, s37, s10
	s_ashr_i32 s13, s68, 31
	v_cmp_gt_u32_e32 vcc, 32, v2
	s_add_u32 s10, s11, s68
	s_addc_u32 s11, s12, s13
	v_cndmask_b32_e32 v0, 0, v80, vcc
	v_ashrrev_i32_e32 v1, 31, v0
	v_lshl_add_u64 v[0:1], s[10:11], 0, v[0:1]
	v_lshl_add_u64 v[8:9], v[0:1], 0, v[46:47]
	v_sub_u32_e32 v10, 31, v2
	s_mov_b64 s[10:11], 0
	s_branch .LBB226_56
.LBB226_55:                             ;   in Loop: Header=BB226_56 Depth=2
	s_or_b64 exec, exec, s[12:13]
	v_lshl_add_u32 v13, v11, 11, v81
	;;#ASMSTART
	s_waitcnt vmcnt(1)
	;;#ASMEND
	ds_write2_b32 v13, v4, v5 offset1:32
	ds_write2_b32 v13, v6, v7 offset0:64 offset1:96
	v_add_u32_e32 v4, 0x400, v13
	v_add_u32_e32 v84, s25, v84
	;;#ASMSTART
	s_waitcnt vmcnt(0)
	;;#ASMEND
	ds_write2_b32 v4, v0, v1 offset1:32
	ds_write2_b32 v4, v2, v3 offset0:64 offset1:96
	v_add_u32_e32 v0, 1, v72
	v_add_u32_e32 v52, s25, v11
	v_cmp_le_i32_e32 vcc, s16, v84
	ds_write_b32 v12, v0
	v_add_u32_e32 v0, 2, v72
	s_or_b64 s[10:11], vcc, s[10:11]
	v_cmp_lt_i32_e32 vcc, 7, v52
	s_nop 1
	v_cndmask_b32_e32 v72, v72, v0, vcc
	s_andn2_b64 exec, exec, s[10:11]
	s_cbranch_execz .LBB226_4
.LBB226_56:                             ;   Parent Loop BB226_7 Depth=1
                                        ; =>  This Loop Header: Depth=2
                                        ;       Child Loop BB226_58 Depth 3
	v_cmp_gt_i32_e32 vcc, 8, v52
	s_nop 1
	v_cndmask_b32_e64 v0, -8, 0, vcc
	v_add_u32_e32 v11, v0, v52
	v_lshrrev_b32_e32 v0, 31, v84
	v_add_u32_e32 v0, v84, v0
	v_and_b32_e32 v1, 0xffffffe, v0
	v_sub_u32_e32 v1, v84, v1
	v_lshlrev_b32_e32 v1, 4, v1
	v_cmp_le_i32_e32 vcc, v1, v10
	v_lshlrev_b32_e32 v0, 6, v0
	v_and_b32_e32 v0, 0xffffff80, v0
	v_cndmask_b32_e32 v2, 0, v1, vcc
	v_ashrrev_i32_e32 v1, 31, v0
	v_mul_lo_u32 v2, v2, s22
	v_lshl_add_u64 v[0:1], v[8:9], 0, v[0:1]
	v_ashrrev_i32_e32 v3, 31, v2
	v_lshl_add_u64 v[0:1], v[0:1], 0, v[2:3]
	v_lshlrev_b32_e32 v12, 2, v11
	;;#ASMSTART
	global_load_dwordx4 v[4:7], v[0:1], off offset:0   
	global_load_dwordx4 v[0:3], v[0:1], off offset:64  
	
	;;#ASMEND
	ds_read_b32 v13, v12 offset:57344
	v_add_u32_e32 v12, 0xe000, v12
	s_waitcnt lgkmcnt(0)
	v_cmp_ne_u32_e32 vcc, v13, v72
	s_and_saveexec_b64 s[12:13], vcc
	s_cbranch_execz .LBB226_55
; %bb.57:                               ;   in Loop: Header=BB226_56 Depth=2
	s_mov_b64 s[14:15], 0
.LBB226_58:                             ;   Parent Loop BB226_7 Depth=1
                                        ;     Parent Loop BB226_56 Depth=2
                                        ; =>    This Inner Loop Header: Depth=3
	;;#ASMSTART
	s_sleep 0
	;;#ASMEND
	ds_read_b32 v13, v12
	s_waitcnt lgkmcnt(0)
	v_cmp_eq_u32_e32 vcc, v13, v72
	s_or_b64 s[14:15], vcc, s[14:15]
	s_andn2_b64 exec, exec, s[14:15]
	s_cbranch_execnz .LBB226_58
	s_branch .LBB226_55
.LBB226_59:
	s_endpgm
	.section	.rodata,"a",@progbits
	.p2align	6, 0x0
	.amdhsa_kernel _Z19_skinny_gemm_kernelILi2ELi5ELi4ELi16ELi4EEvPKhS1_P6__halfPKfiiiiiiii
		.amdhsa_group_segment_fixed_size 57456
		.amdhsa_private_segment_fixed_size 0
		.amdhsa_kernarg_size 64
		.amdhsa_user_sgpr_count 2
		.amdhsa_user_sgpr_dispatch_ptr 0
		.amdhsa_user_sgpr_queue_ptr 0
		.amdhsa_user_sgpr_kernarg_segment_ptr 1
		.amdhsa_user_sgpr_dispatch_id 0
		.amdhsa_user_sgpr_kernarg_preload_length 0
		.amdhsa_user_sgpr_kernarg_preload_offset 0
		.amdhsa_user_sgpr_private_segment_size 0
		.amdhsa_uses_dynamic_stack 0
		.amdhsa_enable_private_segment 0
		.amdhsa_system_sgpr_workgroup_id_x 1
		.amdhsa_system_sgpr_workgroup_id_y 0
		.amdhsa_system_sgpr_workgroup_id_z 0
		.amdhsa_system_sgpr_workgroup_info 0
		.amdhsa_system_vgpr_workitem_id 0
		.amdhsa_next_free_vgpr 94
		.amdhsa_next_free_sgpr 71
		.amdhsa_accum_offset 96
		.amdhsa_reserve_vcc 1
		.amdhsa_float_round_mode_32 0
		.amdhsa_float_round_mode_16_64 0
		.amdhsa_float_denorm_mode_32 3
		.amdhsa_float_denorm_mode_16_64 3
		.amdhsa_dx10_clamp 1
		.amdhsa_ieee_mode 1
		.amdhsa_fp16_overflow 0
		.amdhsa_tg_split 0
		.amdhsa_exception_fp_ieee_invalid_op 0
		.amdhsa_exception_fp_denorm_src 0
		.amdhsa_exception_fp_ieee_div_zero 0
		.amdhsa_exception_fp_ieee_overflow 0
		.amdhsa_exception_fp_ieee_underflow 0
		.amdhsa_exception_fp_ieee_inexact 0
		.amdhsa_exception_int_div_zero 0
	.end_amdhsa_kernel
	.section	.text._Z19_skinny_gemm_kernelILi2ELi5ELi4ELi16ELi4EEvPKhS1_P6__halfPKfiiiiiiii,"axG",@progbits,_Z19_skinny_gemm_kernelILi2ELi5ELi4ELi16ELi4EEvPKhS1_P6__halfPKfiiiiiiii,comdat
.Lfunc_end226:
	.size	_Z19_skinny_gemm_kernelILi2ELi5ELi4ELi16ELi4EEvPKhS1_P6__halfPKfiiiiiiii, .Lfunc_end226-_Z19_skinny_gemm_kernelILi2ELi5ELi4ELi16ELi4EEvPKhS1_P6__halfPKfiiiiiiii
                                        ; -- End function
	.set _Z19_skinny_gemm_kernelILi2ELi5ELi4ELi16ELi4EEvPKhS1_P6__halfPKfiiiiiiii.num_vgpr, 94
	.set _Z19_skinny_gemm_kernelILi2ELi5ELi4ELi16ELi4EEvPKhS1_P6__halfPKfiiiiiiii.num_agpr, 0
	.set _Z19_skinny_gemm_kernelILi2ELi5ELi4ELi16ELi4EEvPKhS1_P6__halfPKfiiiiiiii.numbered_sgpr, 71
	.set _Z19_skinny_gemm_kernelILi2ELi5ELi4ELi16ELi4EEvPKhS1_P6__halfPKfiiiiiiii.num_named_barrier, 0
	.set _Z19_skinny_gemm_kernelILi2ELi5ELi4ELi16ELi4EEvPKhS1_P6__halfPKfiiiiiiii.private_seg_size, 0
	.set _Z19_skinny_gemm_kernelILi2ELi5ELi4ELi16ELi4EEvPKhS1_P6__halfPKfiiiiiiii.uses_vcc, 1
	.set _Z19_skinny_gemm_kernelILi2ELi5ELi4ELi16ELi4EEvPKhS1_P6__halfPKfiiiiiiii.uses_flat_scratch, 0
	.set _Z19_skinny_gemm_kernelILi2ELi5ELi4ELi16ELi4EEvPKhS1_P6__halfPKfiiiiiiii.has_dyn_sized_stack, 0
	.set _Z19_skinny_gemm_kernelILi2ELi5ELi4ELi16ELi4EEvPKhS1_P6__halfPKfiiiiiiii.has_recursion, 0
	.set _Z19_skinny_gemm_kernelILi2ELi5ELi4ELi16ELi4EEvPKhS1_P6__halfPKfiiiiiiii.has_indirect_call, 0
	.section	.AMDGPU.csdata,"",@progbits
; Kernel info:
; codeLenInByte = 6336
; TotalNumSgprs: 77
; NumVgprs: 94
; NumAgprs: 0
; TotalNumVgprs: 94
; ScratchSize: 0
; MemoryBound: 0
; FloatMode: 240
; IeeeMode: 1
; LDSByteSize: 57456 bytes/workgroup (compile time only)
; SGPRBlocks: 9
; VGPRBlocks: 11
; NumSGPRsForWavesPerEU: 77
; NumVGPRsForWavesPerEU: 94
; AccumOffset: 96
; Occupancy: 5
; WaveLimiterHint : 0
; COMPUTE_PGM_RSRC2:SCRATCH_EN: 0
; COMPUTE_PGM_RSRC2:USER_SGPR: 2
; COMPUTE_PGM_RSRC2:TRAP_HANDLER: 0
; COMPUTE_PGM_RSRC2:TGID_X_EN: 1
; COMPUTE_PGM_RSRC2:TGID_Y_EN: 0
; COMPUTE_PGM_RSRC2:TGID_Z_EN: 0
; COMPUTE_PGM_RSRC2:TIDIG_COMP_CNT: 0
; COMPUTE_PGM_RSRC3_GFX90A:ACCUM_OFFSET: 23
; COMPUTE_PGM_RSRC3_GFX90A:TG_SPLIT: 0
	.section	.text._Z19_skinny_gemm_kernelILi2ELi5ELi4ELi32ELi4EEvPKhS1_P6__halfPKfiiiiiiii,"axG",@progbits,_Z19_skinny_gemm_kernelILi2ELi5ELi4ELi32ELi4EEvPKhS1_P6__halfPKfiiiiiiii,comdat
	.protected	_Z19_skinny_gemm_kernelILi2ELi5ELi4ELi32ELi4EEvPKhS1_P6__halfPKfiiiiiiii ; -- Begin function _Z19_skinny_gemm_kernelILi2ELi5ELi4ELi32ELi4EEvPKhS1_P6__halfPKfiiiiiiii
	.globl	_Z19_skinny_gemm_kernelILi2ELi5ELi4ELi32ELi4EEvPKhS1_P6__halfPKfiiiiiiii
	.p2align	8
	.type	_Z19_skinny_gemm_kernelILi2ELi5ELi4ELi32ELi4EEvPKhS1_P6__halfPKfiiiiiiii,@function
_Z19_skinny_gemm_kernelILi2ELi5ELi4ELi32ELi4EEvPKhS1_P6__halfPKfiiiiiiii: ; @_Z19_skinny_gemm_kernelILi2ELi5ELi4ELi32ELi4EEvPKhS1_P6__halfPKfiiiiiiii
; %bb.0:
	v_cmp_gt_u32_e32 vcc, 28, v0
	s_and_saveexec_b64 s[4:5], vcc
; %bb.1:
	v_lshlrev_b32_e32 v1, 2, v0
	v_mov_b32_e32 v2, 0
	ds_write_b32 v1, v2 offset:57344
; %bb.2:
	s_or_b64 exec, exec, s[4:5]
	s_load_dwordx8 s[24:31], s[0:1], 0x20
	s_waitcnt lgkmcnt(0)
	s_barrier
	s_add_i32 s3, s24, 63
	s_ashr_i32 s5, s3, 31
	s_add_i32 s4, s25, 0x9f
	s_lshr_b32 s5, s5, 26
	s_mul_hi_i32 s4, s4, 0x66666667
	s_add_i32 s3, s3, s5
	s_ashr_i32 s14, s3, 6
	s_lshr_b32 s3, s4, 31
	s_ashr_i32 s4, s4, 6
	s_add_i32 s15, s4, s3
	s_mul_i32 s3, s15, s14
	s_mul_i32 s3, s3, s28
	s_add_i32 s4, s3, 0x12f
	s_mul_hi_i32 s4, s4, 0x6bca1af3
	s_lshr_b32 s5, s4, 31
	s_ashr_i32 s4, s4, 7
	s_add_i32 s4, s4, s5
	s_add_i32 s5, s2, 1
	s_mul_i32 s5, s4, s5
	v_cvt_f64_i32_e32 v[2:3], s3
	v_cvt_f64_u32_e32 v[4:5], s5
	v_min_f64 v[2:3], v[2:3], v[4:5]
	v_cvt_i32_f64_e32 v1, v[2:3]
	s_mul_i32 s2, s4, s2
	v_cmp_ge_i32_e32 vcc, s2, v1
	scratch_store_dword off, v1, off offset:4 ; 4-byte Folded Spill
	s_cbranch_vccnz .LBB227_55
; %bb.3:
	s_load_dwordx8 s[16:23], s[0:1], 0x0
	v_lshrrev_b32_e32 v1, 6, v0
	s_add_i32 s0, s30, s29
	v_cmp_le_i32_e64 s[34:35], s0, v1
	v_mov_b32_e32 v2, s29
	v_cmp_le_i32_e64 s[36:37], s29, v1
	v_mov_b32_e32 v3, s30
	v_cndmask_b32_e64 v3, 0, v3, s[34:35]
	v_cndmask_b32_e64 v2, 0, v2, s[36:37]
	s_abs_i32 s1, s28
	v_add_u32_e32 v2, v2, v3
	v_cvt_f32_u32_e32 v3, s1
	v_sub_u32_e32 v88, v1, v2
	s_ashr_i32 s3, s26, 31
	s_lshr_b32 s3, s3, 26
	v_rcp_iflag_f32_e32 v2, v3
	s_sub_i32 s6, 0, s1
	s_add_i32 s3, s26, s3
	s_ashr_i32 s3, s3, 6
	v_mul_f32_e32 v2, 0x4f7ffffe, v2
	v_cvt_u32_f32_e32 v2, v2
	s_abs_i32 s5, s3
	s_xor_b32 s4, s3, s28
	s_ashr_i32 s4, s4, 31
	v_readfirstlane_b32 s7, v2
	s_mul_i32 s6, s6, s7
	s_mul_hi_u32 s6, s7, s6
	s_add_i32 s7, s7, s6
	s_mul_hi_u32 s6, s5, s7
	s_mul_i32 s7, s6, s1
	s_sub_i32 s5, s5, s7
	s_add_i32 s7, s6, 1
	s_sub_i32 s8, s5, s1
	s_cmp_ge_u32 s5, s1
	s_cselect_b32 s6, s7, s6
	s_cselect_b32 s5, s8, s5
	s_add_i32 s7, s6, 1
	s_cmp_ge_u32 s5, s1
	s_cselect_b32 s1, s7, s6
	s_add_i32 s0, s0, s31
	v_and_b32_e32 v85, 31, v0
	v_lshrrev_b32_e32 v2, 3, v0
	v_cmp_gt_i32_e64 s[42:43], s0, v1
	v_lshlrev_b32_e32 v1, 2, v85
	v_and_b32_e32 v3, 4, v2
	v_lshlrev_b32_e32 v2, 6, v3
	v_or_b32_e32 v4, 0xa000, v1
	v_or_b32_e32 v5, v4, v2
	scratch_store_dword off, v5, off        ; 4-byte Folded Spill
	v_and_b32_e32 v5, 1, v0
	v_or_b32_e32 v98, v1, v2
	v_lshlrev_b32_e32 v2, 1, v5
	v_sub_u32_e32 v2, v0, v2
	v_add_u32_e32 v2, 1, v2
	v_and_b32_e32 v6, 63, v2
	v_bitop3_b32 v2, v0, 1, v0 bitop3:0xc
	scratch_store_dword off, v2, off offset:32 ; 4-byte Folded Spill
	v_bitop3_b32 v2, v0, 3, 1 bitop3:0x6c
	scratch_store_dword off, v2, off offset:36 ; 4-byte Folded Spill
	;; [unrolled: 2-line block ×8, first 2 shown]
	v_or_b32_e32 v2, 32, v85
	s_add_i32 s39, s28, -1
	scratch_store_dword off, v2, off offset:64 ; 4-byte Folded Spill
	v_or_b32_e32 v2, 64, v85
	v_lshrrev_b32_e32 v7, 1, v0
	s_abs_i32 s28, s14
	scratch_store_dword off, v2, off offset:68 ; 4-byte Folded Spill
	v_or_b32_e32 v2, 0x60, v85
	v_and_b32_e32 v8, 16, v7
	v_cvt_f32_u32_e32 v7, s28
	scratch_store_dword off, v2, off offset:72 ; 4-byte Folded Spill
	v_or_b32_e32 v2, 0x80, v85
	scratch_store_dword off, v2, off offset:76 ; 4-byte Folded Spill
	v_and_b32_e32 v2, 30, v0
	v_lshlrev_b32_e32 v0, 4, v0
                                        ; implicit-def: $vgpr127 : SGPR spill to VGPR lane
	v_and_b32_e32 v0, 0x200, v0
	v_writelane_b32 v127, s14, 0
	s_xor_b32 s1, s1, s4
	v_or_b32_e32 v111, v1, v0
	v_rcp_iflag_f32_e32 v1, v7
	v_writelane_b32 v127, s15, 1
	s_sub_i32 s38, s1, s4
	s_waitcnt lgkmcnt(0)
	v_writelane_b32 v127, s16, 2
	s_mul_i32 s1, s38, s39
	s_sub_i32 s40, s3, s1
	v_writelane_b32 v127, s17, 3
	s_abs_i32 s3, s15
	v_writelane_b32 v127, s18, 4
	v_or_b32_e32 v113, v4, v0
	v_mul_f32_e32 v0, 0x4f7ffffe, v1
	v_cvt_f32_u32_e32 v1, s3
	v_writelane_b32 v127, s19, 5
	v_writelane_b32 v127, s20, 6
	;; [unrolled: 1-line block ×4, first 2 shown]
	v_cvt_u32_f32_e32 v0, v0
	v_rcp_iflag_f32_e32 v1, v1
	v_writelane_b32 v127, s23, 9
	v_cndmask_b32_e64 v95, 0, 1, s[34:35]
	v_writelane_b32 v127, s34, 10
	v_readfirstlane_b32 s1, v0
	v_mul_f32_e32 v0, 0x4f7ffffe, v1
	v_writelane_b32 v127, s35, 11
	v_writelane_b32 v127, s36, 12
	v_cvt_u32_f32_e32 v0, v0
	s_sub_i32 s0, 0, s28
	v_writelane_b32 v127, s37, 13
	v_writelane_b32 v127, s38, 14
	;; [unrolled: 1-line block ×3, first 2 shown]
	s_mul_i32 s0, s0, s1
	v_writelane_b32 v127, s40, 16
	s_mul_hi_u32 s0, s1, s0
	v_writelane_b32 v127, s42, 17
	s_ashr_i32 s41, s14, 31
	s_add_i32 s44, s1, s0
	s_sub_i32 s0, 0, s3
	v_readfirstlane_b32 s1, v0
	v_writelane_b32 v127, s43, 18
	s_mul_i32 s0, s0, s1
	v_mbcnt_lo_u32_b32 v0, -1, 0
	v_writelane_b32 v127, s41, 19
	s_ashr_i32 s45, s15, 31
	s_mul_hi_u32 s0, s1, s0
	v_mbcnt_hi_u32_b32 v0, -1, v0
	v_writelane_b32 v127, s44, 20
	v_mov_b32_e32 v97, 0
	v_mul_lo_u32 v10, s27, v85
	s_add_i32 s46, s1, s0
	v_and_or_b32 v0, v0, 64, v6
	v_writelane_b32 v127, s45, 21
	v_ashrrev_i32_e32 v11, 31, v10
	v_mov_b32_e32 v9, v97
	s_lshl_b32 s33, s27, 5
	v_mul_lo_u32 v7, s26, v85
	v_or_b32_e32 v114, v5, v3
	v_lshlrev_b32_e32 v96, 1, v2
	v_lshlrev_b32_e32 v115, 2, v0
	v_mov_b32_e32 v117, v88
	v_writelane_b32 v127, s46, 22
	scratch_store_dwordx2 off, v[10:11], off offset:80 ; 8-byte Folded Spill
	scratch_store_dwordx2 off, v[8:9], off offset:8 ; 8-byte Folded Spill
	scratch_store_dword off, v7, off offset:16 ; 4-byte Folded Spill
	scratch_store_dword off, v85, off offset:28 ; 4-byte Folded Spill
	s_branch .LBB227_7
.LBB227_4:                              ;   in Loop: Header=BB227_7 Depth=1
	s_or_b64 exec, exec, s[6:7]
.LBB227_5:                              ;   in Loop: Header=BB227_7 Depth=1
	s_or_b64 exec, exec, s[4:5]
	v_subrev_u32_e32 v117, s12, v117
.LBB227_6:                              ;   in Loop: Header=BB227_7 Depth=1
	s_or_b64 exec, exec, s[0:1]
	scratch_load_dword v0, off, off offset:4 ; 4-byte Folded Reload
	s_add_i32 s2, s2, 1
	s_waitcnt vmcnt(0)
	v_cmp_ge_i32_e32 vcc, s2, v0
	s_cbranch_vccnz .LBB227_55
.LBB227_7:                              ; =>This Loop Header: Depth=1
                                        ;     Child Loop BB227_13 Depth 2
                                        ;       Child Loop BB227_15 Depth 3
                                        ;       Child Loop BB227_18 Depth 3
	;; [unrolled: 1-line block ×6, first 2 shown]
                                        ;     Child Loop BB227_34 Depth 2
                                        ;     Child Loop BB227_42 Depth 2
                                        ;       Child Loop BB227_44 Depth 3
                                        ;     Child Loop BB227_52 Depth 2
                                        ;       Child Loop BB227_54 Depth 3
	s_abs_i32 s1, s2
	s_mul_hi_u32 s4, s1, s44
	s_mul_i32 s5, s4, s28
	s_ashr_i32 s0, s2, 31
	s_sub_i32 s1, s1, s5
	s_xor_b32 s0, s0, s41
	s_add_i32 s5, s4, 1
	s_sub_i32 s6, s1, s28
	s_cmp_ge_u32 s1, s28
	s_cselect_b32 s4, s5, s4
	s_cselect_b32 s1, s6, s1
	s_add_i32 s5, s4, 1
	s_cmp_ge_u32 s1, s28
	s_cselect_b32 s1, s5, s4
	s_xor_b32 s1, s1, s0
	s_sub_i32 s0, s1, s0
	s_abs_i32 s4, s0
	s_mul_i32 s1, s0, s14
	s_mul_hi_u32 s5, s4, s46
	s_sub_i32 s1, s2, s1
	s_mul_i32 s6, s5, s3
	s_lshl_b32 s47, s1, 6
	s_ashr_i32 s1, s0, 31
	s_sub_i32 s4, s4, s6
	s_xor_b32 s1, s1, s45
	s_add_i32 s6, s5, 1
	s_sub_i32 s7, s4, s3
	s_cmp_ge_u32 s4, s3
	s_cselect_b32 s5, s6, s5
	s_cselect_b32 s4, s7, s4
	s_add_i32 s6, s5, 1
	s_cmp_ge_u32 s4, s3
	s_cselect_b32 s4, s6, s5
	s_xor_b32 s4, s4, s1
	s_sub_i32 s1, s4, s1
	s_mul_i32 s4, s1, s38
	s_lshl_b32 s13, s4, 6
	s_cmp_eq_u32 s1, s39
	s_cselect_b32 s98, s40, s38
	s_sub_i32 s4, s47, s24
	s_add_i32 s4, s4, 64
	s_max_i32 s99, s4, 0
	s_and_saveexec_b64 s[4:5], s[36:37]
	s_xor_b64 s[48:49], exec, s[4:5]
	s_cbranch_execz .LBB227_48
; %bb.8:                                ;   in Loop: Header=BB227_7 Depth=1
	s_mul_i32 s1, s1, s15
	s_sub_i32 s0, s0, s1
	s_mulk_i32 s0, 0xa0
	s_sub_i32 s70, s0, s25
	s_addk_i32 s70, 0xa0
	v_writelane_b32 v127, s48, 23
	s_max_i32 s1, s70, 0
	s_mov_b32 s4, s13
	v_writelane_b32 v127, s49, 24
	s_sub_i32 s68, s0, s1
	s_and_saveexec_b64 s[0:1], s[34:35]
	s_xor_b64 s[0:1], exec, s[0:1]
	s_cbranch_execz .LBB227_38
; %bb.9:                                ;   in Loop: Header=BB227_7 Depth=1
	s_mov_b64 s[6:7], exec
	v_writelane_b32 v127, s6, 25
	s_nop 1
	v_writelane_b32 v127, s7, 26
	s_and_b64 s[6:7], s[6:7], s[42:43]
	s_mov_b64 exec, s[6:7]
	s_cbranch_execz .LBB227_37
; %bb.10:                               ;   in Loop: Header=BB227_7 Depth=1
	global_load_dword v118, v97, s[22:23]
	v_mov_b32_e32 v79, 0
	v_cmp_gt_i32_e32 vcc, s98, v117
	v_mov_b32_e32 v78, v79
	v_mov_b32_e32 v77, v79
	;; [unrolled: 1-line block ×79, first 2 shown]
	s_and_saveexec_b64 s[6:7], vcc
	s_cbranch_execz .LBB227_32
; %bb.11:                               ;   in Loop: Header=BB227_7 Depth=1
	v_mov_b32_e32 v0, 0
	s_mov_b64 s[8:9], 0
	v_mov_b32_e32 v1, v0
	v_mov_b32_e32 v2, v0
	;; [unrolled: 1-line block ×79, first 2 shown]
	s_branch .LBB227_13
.LBB227_12:                             ;   in Loop: Header=BB227_13 Depth=2
	s_or_b64 exec, exec, s[10:11]
	v_add_u32_e32 v81, 0x2000, v80
	ds_read2_b32 v[82:83], v81 offset1:32
	v_add_u32_e32 v117, s31, v117
	s_waitcnt lgkmcnt(0)
	v_mfma_f32_32x32x16_fp8_fp8 v[0:15], v[92:93], v[82:83], v[0:15]
	ds_read2_b32 v[82:83], v81 offset0:128 offset1:160
	s_waitcnt lgkmcnt(0)
	v_mfma_f32_32x32x16_fp8_fp8 v[0:15], v[90:91], v[82:83], v[0:15]
	v_add_u32_e32 v82, 0x2400, v80
	ds_read2_b32 v[80:81], v82 offset1:32
	ds_read2_b32 v[82:83], v82 offset0:128 offset1:160
	ds_write_b32 v120, v121 offset:57380
	s_waitcnt lgkmcnt(2)
	v_mfma_f32_32x32x16_fp8_fp8 v[0:15], v[88:89], v[80:81], v[0:15]
	v_add_u32_e32 v88, s31, v119
	v_add_u32_e32 v80, 2, v95
	v_cmp_lt_i32_e32 vcc, 3, v88
	s_nop 1
	v_cndmask_b32_e32 v95, v95, v80, vcc
	v_cmp_le_i32_e32 vcc, s98, v117
	s_waitcnt lgkmcnt(1)
	v_mfma_f32_32x32x16_fp8_fp8 v[0:15], v[86:87], v[82:83], v[0:15]
	s_or_b64 s[8:9], vcc, s[8:9]
	s_andn2_b64 exec, exec, s[8:9]
	s_cbranch_execz .LBB227_31
.LBB227_13:                             ;   Parent Loop BB227_7 Depth=1
                                        ; =>  This Loop Header: Depth=2
                                        ;       Child Loop BB227_15 Depth 3
                                        ;       Child Loop BB227_18 Depth 3
	;; [unrolled: 1-line block ×6, first 2 shown]
	v_cmp_gt_i32_e32 vcc, 4, v88
	s_nop 1
	v_cndmask_b32_e64 v80, -4, 0, vcc
	v_add_u32_e32 v119, v80, v88
	v_mul_lo_u32 v120, v119, 40
	ds_read_b32 v80, v120 offset:57344
	s_waitcnt lgkmcnt(0)
	v_cmp_ne_u32_e32 vcc, v80, v95
	s_and_saveexec_b64 s[10:11], vcc
	s_cbranch_execz .LBB227_16
; %bb.14:                               ;   in Loop: Header=BB227_13 Depth=2
	s_mov_b64 s[12:13], 0
.LBB227_15:                             ;   Parent Loop BB227_7 Depth=1
                                        ;     Parent Loop BB227_13 Depth=2
                                        ; =>    This Inner Loop Header: Depth=3
	;;#ASMSTART
	s_sleep 0
	;;#ASMEND
	ds_read_b32 v80, v120 offset:57344
	s_waitcnt lgkmcnt(0)
	v_cmp_eq_u32_e32 vcc, v80, v95
	s_or_b64 s[12:13], vcc, s[12:13]
	s_andn2_b64 exec, exec, s[12:13]
	s_cbranch_execnz .LBB227_15
.LBB227_16:                             ;   in Loop: Header=BB227_13 Depth=2
	s_or_b64 exec, exec, s[10:11]
	scratch_load_dword v80, off, off        ; 4-byte Folded Reload
	v_add_u32_e32 v121, 1, v95
	s_waitcnt vmcnt(0)
	v_lshl_add_u32 v80, v119, 11, v80
	ds_read2_b32 v[92:93], v80 offset1:32
	ds_read2_b32 v[90:91], v80 offset0:128 offset1:160
	v_add_u32_e32 v80, 0x400, v80
	ds_read2_b32 v[88:89], v80 offset1:32
	ds_read_b32 v81, v120 offset:57348
	ds_read2_b32 v[86:87], v80 offset0:128 offset1:160
	ds_write_b32 v120, v121 offset:57344
	s_waitcnt lgkmcnt(2)
	v_cmp_ne_u32_e32 vcc, v81, v95
	s_and_saveexec_b64 s[10:11], vcc
	s_cbranch_execz .LBB227_19
; %bb.17:                               ;   in Loop: Header=BB227_13 Depth=2
	s_mov_b64 s[12:13], 0
.LBB227_18:                             ;   Parent Loop BB227_7 Depth=1
                                        ;     Parent Loop BB227_13 Depth=2
                                        ; =>    This Inner Loop Header: Depth=3
	;;#ASMSTART
	s_sleep 0
	;;#ASMEND
	ds_read_b32 v80, v120 offset:57348
	s_waitcnt lgkmcnt(0)
	v_cmp_eq_u32_e32 vcc, v80, v95
	s_or_b64 s[12:13], vcc, s[12:13]
	s_andn2_b64 exec, exec, s[12:13]
	s_cbranch_execnz .LBB227_18
.LBB227_19:                             ;   in Loop: Header=BB227_13 Depth=2
	s_or_b64 exec, exec, s[10:11]
	s_movk_i32 s5, 0x2800
	v_mul_lo_u32 v80, v119, s5
	v_or_b32_e32 v81, v98, v80
	ds_read2_b32 v[82:83], v81 offset1:32
	ds_write_b32 v120, v121 offset:57348
	s_waitcnt lgkmcnt(1)
	v_mfma_f32_32x32x16_fp8_fp8 v[64:79], v[92:93], v[82:83], v[64:79]
	ds_read2_b32 v[82:83], v81 offset0:128 offset1:160
	v_add_u32_e32 v81, 0x400, v81
	s_waitcnt lgkmcnt(0)
	v_mfma_f32_32x32x16_fp8_fp8 v[64:79], v[90:91], v[82:83], v[64:79]
	ds_read2_b32 v[82:83], v81 offset1:32
	s_waitcnt lgkmcnt(0)
	v_mfma_f32_32x32x16_fp8_fp8 v[64:79], v[88:89], v[82:83], v[64:79]
	ds_read2_b32 v[82:83], v81 offset0:128 offset1:160
	ds_read_b32 v81, v120 offset:57356
	s_waitcnt lgkmcnt(0)
	v_cmp_ne_u32_e32 vcc, v81, v95
	v_mfma_f32_32x32x16_fp8_fp8 v[64:79], v[86:87], v[82:83], v[64:79]
	s_and_saveexec_b64 s[10:11], vcc
	s_cbranch_execz .LBB227_22
; %bb.20:                               ;   in Loop: Header=BB227_13 Depth=2
	s_mov_b64 s[12:13], 0
.LBB227_21:                             ;   Parent Loop BB227_7 Depth=1
                                        ;     Parent Loop BB227_13 Depth=2
                                        ; =>    This Inner Loop Header: Depth=3
	;;#ASMSTART
	s_sleep 0
	;;#ASMEND
	ds_read_b32 v81, v120 offset:57356
	s_waitcnt lgkmcnt(0)
	v_cmp_eq_u32_e32 vcc, v81, v95
	s_or_b64 s[12:13], vcc, s[12:13]
	s_andn2_b64 exec, exec, s[12:13]
	s_cbranch_execnz .LBB227_21
.LBB227_22:                             ;   in Loop: Header=BB227_13 Depth=2
	s_or_b64 exec, exec, s[10:11]
	v_add_u32_e32 v80, v98, v80
	v_add_u32_e32 v81, 0x800, v80
	ds_read2_b32 v[82:83], v81 offset1:32
	ds_write_b32 v120, v121 offset:57356
	s_waitcnt lgkmcnt(1)
	v_mfma_f32_32x32x16_fp8_fp8 v[48:63], v[92:93], v[82:83], v[48:63]
	ds_read2_b32 v[82:83], v81 offset0:128 offset1:160
	v_add_u32_e32 v81, 0xc00, v80
	s_waitcnt lgkmcnt(0)
	v_mfma_f32_32x32x16_fp8_fp8 v[48:63], v[90:91], v[82:83], v[48:63]
	ds_read2_b32 v[82:83], v81 offset1:32
	s_waitcnt lgkmcnt(0)
	v_mfma_f32_32x32x16_fp8_fp8 v[48:63], v[88:89], v[82:83], v[48:63]
	ds_read2_b32 v[82:83], v81 offset0:128 offset1:160
	ds_read_b32 v81, v120 offset:57364
	s_waitcnt lgkmcnt(0)
	v_cmp_ne_u32_e32 vcc, v81, v95
	v_mfma_f32_32x32x16_fp8_fp8 v[48:63], v[86:87], v[82:83], v[48:63]
	s_and_saveexec_b64 s[10:11], vcc
	s_cbranch_execz .LBB227_25
; %bb.23:                               ;   in Loop: Header=BB227_13 Depth=2
	s_mov_b64 s[12:13], 0
.LBB227_24:                             ;   Parent Loop BB227_7 Depth=1
                                        ;     Parent Loop BB227_13 Depth=2
                                        ; =>    This Inner Loop Header: Depth=3
	;;#ASMSTART
	s_sleep 0
	;;#ASMEND
	ds_read_b32 v81, v120 offset:57364
	s_waitcnt lgkmcnt(0)
	v_cmp_eq_u32_e32 vcc, v81, v95
	s_or_b64 s[12:13], vcc, s[12:13]
	s_andn2_b64 exec, exec, s[12:13]
	s_cbranch_execnz .LBB227_24
.LBB227_25:                             ;   in Loop: Header=BB227_13 Depth=2
	s_or_b64 exec, exec, s[10:11]
	v_add_u32_e32 v81, 0x1000, v80
	ds_read2_b32 v[82:83], v81 offset1:32
	s_waitcnt lgkmcnt(0)
	v_mfma_f32_32x32x16_fp8_fp8 v[32:47], v[92:93], v[82:83], v[32:47]
	ds_read2_b32 v[82:83], v81 offset0:128 offset1:160
	v_add_u32_e32 v81, 0x1400, v80
	s_waitcnt lgkmcnt(0)
	v_mfma_f32_32x32x16_fp8_fp8 v[32:47], v[90:91], v[82:83], v[32:47]
	ds_read2_b32 v[82:83], v81 offset1:32
	s_waitcnt lgkmcnt(0)
	v_mfma_f32_32x32x16_fp8_fp8 v[32:47], v[88:89], v[82:83], v[32:47]
	ds_read_b32 v84, v120 offset:57372
	ds_read2_b32 v[82:83], v81 offset0:128 offset1:160
	ds_write_b32 v120, v121 offset:57364
	s_waitcnt lgkmcnt(2)
	v_cmp_ne_u32_e32 vcc, v84, v95
	s_waitcnt lgkmcnt(1)
	v_mfma_f32_32x32x16_fp8_fp8 v[32:47], v[86:87], v[82:83], v[32:47]
	s_and_saveexec_b64 s[10:11], vcc
	s_cbranch_execz .LBB227_28
; %bb.26:                               ;   in Loop: Header=BB227_13 Depth=2
	s_mov_b64 s[12:13], 0
.LBB227_27:                             ;   Parent Loop BB227_7 Depth=1
                                        ;     Parent Loop BB227_13 Depth=2
                                        ; =>    This Inner Loop Header: Depth=3
	;;#ASMSTART
	s_sleep 0
	;;#ASMEND
	ds_read_b32 v81, v120 offset:57372
	s_waitcnt lgkmcnt(0)
	v_cmp_eq_u32_e32 vcc, v81, v95
	s_or_b64 s[12:13], vcc, s[12:13]
	s_andn2_b64 exec, exec, s[12:13]
	s_cbranch_execnz .LBB227_27
.LBB227_28:                             ;   in Loop: Header=BB227_13 Depth=2
	s_or_b64 exec, exec, s[10:11]
	v_add_u32_e32 v81, 0x1800, v80
	ds_read2_b32 v[82:83], v81 offset1:32
	s_waitcnt lgkmcnt(0)
	v_mfma_f32_32x32x16_fp8_fp8 v[16:31], v[92:93], v[82:83], v[16:31]
	ds_read2_b32 v[82:83], v81 offset0:128 offset1:160
	v_add_u32_e32 v81, 0x1c00, v80
	s_waitcnt lgkmcnt(0)
	v_mfma_f32_32x32x16_fp8_fp8 v[16:31], v[90:91], v[82:83], v[16:31]
	ds_read2_b32 v[82:83], v81 offset1:32
	s_waitcnt lgkmcnt(0)
	v_mfma_f32_32x32x16_fp8_fp8 v[16:31], v[88:89], v[82:83], v[16:31]
	ds_read_b32 v84, v120 offset:57380
	ds_read2_b32 v[82:83], v81 offset0:128 offset1:160
	ds_write_b32 v120, v121 offset:57372
	s_waitcnt lgkmcnt(2)
	v_cmp_ne_u32_e32 vcc, v84, v95
	s_waitcnt lgkmcnt(1)
	v_mfma_f32_32x32x16_fp8_fp8 v[16:31], v[86:87], v[82:83], v[16:31]
	s_and_saveexec_b64 s[10:11], vcc
	s_cbranch_execz .LBB227_12
; %bb.29:                               ;   in Loop: Header=BB227_13 Depth=2
	s_mov_b64 s[12:13], 0
.LBB227_30:                             ;   Parent Loop BB227_7 Depth=1
                                        ;     Parent Loop BB227_13 Depth=2
                                        ; =>    This Inner Loop Header: Depth=3
	;;#ASMSTART
	s_sleep 0
	;;#ASMEND
	ds_read_b32 v81, v120 offset:57380
	s_waitcnt lgkmcnt(0)
	v_cmp_eq_u32_e32 vcc, v81, v95
	s_or_b64 s[12:13], vcc, s[12:13]
	s_andn2_b64 exec, exec, s[12:13]
	s_cbranch_execnz .LBB227_30
	s_branch .LBB227_12
.LBB227_31:                             ;   in Loop: Header=BB227_7 Depth=1
	s_or_b64 exec, exec, s[8:9]
.LBB227_32:                             ;   in Loop: Header=BB227_7 Depth=1
	s_or_b64 exec, exec, s[6:7]
	scratch_load_dword v99, off, off offset:32 ; 4-byte Folded Reload
	scratch_load_dword v116, off, off offset:40 ; 4-byte Folded Reload
	v_cmp_le_i32_e32 vcc, s70, v85
	v_writelane_b32 v127, s47, 27
	s_mul_i32 s6, s47, s25
	s_waitcnt vmcnt(2)
	v_cndmask_b32_e32 v80, 0, v118, vcc
	v_pk_mul_f32 v[64:65], v[80:81], v[64:65] op_sel_hi:[0,1]
	v_pk_mul_f32 v[78:79], v[80:81], v[78:79] op_sel_hi:[0,1]
	;; [unrolled: 1-line block ×8, first 2 shown]
	s_ashr_i32 s7, s6, 31
	s_lshl_b64 s[6:7], s[6:7], 1
	s_add_u32 s71, s20, s6
	s_addc_u32 s72, s21, s7
	s_ashr_i32 s69, s68, 31
	s_mov_b32 s82, s68
	s_lshl_b64 s[68:69], s[68:69], 1
	v_writelane_b32 v127, s82, 28
	s_add_u32 s68, s71, s68
	s_addc_u32 s69, s72, s69
	v_writelane_b32 v127, s83, 29
	v_writelane_b32 v127, s68, 30
	scratch_store_dwordx2 off, v[96:97], off offset:20 ; 8-byte Folded Spill
	v_subrev_u32_e32 v117, s98, v117
	v_writelane_b32 v127, s69, 31
	s_mov_b32 s5, 0
	s_waitcnt vmcnt(2)
	v_cmp_eq_u32_e64 s[64:65], 1, v99
	s_nop 1
	v_cndmask_b32_e64 v80, v64, v65, s[64:65]
	v_cmp_eq_u32_e64 s[38:39], 2, v99
	v_cmp_eq_u32_e64 s[40:41], 3, v99
	v_cmp_eq_u32_e64 s[42:43], 4, v99
	v_cndmask_b32_e64 v80, v80, v66, s[38:39]
	v_cndmask_b32_e64 v80, v80, v67, s[40:41]
	v_cndmask_b32_e64 v80, v80, v68, s[42:43]
	v_cmp_eq_u32_e64 s[44:45], 5, v99
	v_cmp_eq_u32_e64 s[46:47], 6, v99
	v_cmp_eq_u32_e64 s[48:49], 7, v99
	v_cndmask_b32_e64 v80, v80, v69, s[44:45]
	v_cndmask_b32_e64 v80, v80, v70, s[46:47]
	v_cndmask_b32_e64 v80, v80, v71, s[48:49]
	v_cmp_eq_u32_e64 s[50:51], 8, v99
	v_cmp_eq_u32_e64 s[52:53], 9, v99
	v_cmp_eq_u32_e64 s[54:55], 10, v99
	v_cndmask_b32_e64 v80, v80, v72, s[50:51]
	v_cndmask_b32_e64 v80, v80, v73, s[52:53]
	v_cndmask_b32_e64 v80, v80, v74, s[54:55]
	v_cmp_eq_u32_e64 s[56:57], 11, v99
	v_cmp_eq_u32_e64 s[58:59], 12, v99
	v_cmp_eq_u32_e64 s[60:61], 13, v99
	v_cndmask_b32_e64 v80, v80, v75, s[56:57]
	v_cndmask_b32_e64 v80, v80, v76, s[58:59]
	v_cndmask_b32_e64 v80, v80, v77, s[60:61]
	v_cmp_eq_u32_e64 s[62:63], 14, v99
	v_cmp_eq_u32_e64 s[66:67], 15, v99
	v_cmp_eq_u32_e64 s[36:37], 0, v99
	v_cndmask_b32_e64 v80, v80, v78, s[62:63]
	v_cndmask_b32_e64 v80, v80, v79, s[66:67]
	ds_bpermute_b32 v80, v115, v80
	s_waitcnt vmcnt(1)
	v_cmp_eq_u32_e64 s[72:73], 8, v116
	s_waitcnt lgkmcnt(0)
	v_cndmask_b32_e64 v79, v79, v80, s[66:67]
	v_cndmask_b32_e64 v78, v78, v80, s[62:63]
	;; [unrolled: 1-line block ×16, first 2 shown]
	scratch_load_dword v80, off, off offset:36 ; 4-byte Folded Reload
	s_waitcnt vmcnt(0)
	v_cmp_eq_u32_e32 vcc, 1, v80
	s_nop 1
	v_cndmask_b32_e32 v64, v87, v90, vcc
	v_cmp_eq_u32_e64 s[6:7], 2, v80
	v_cmp_eq_u32_e64 s[8:9], 3, v80
	v_cmp_eq_u32_e64 s[10:11], 4, v80
	v_cndmask_b32_e64 v64, v64, v66, s[6:7]
	v_cndmask_b32_e64 v64, v64, v86, s[8:9]
	v_cndmask_b32_e64 v64, v64, v85, s[10:11]
	v_cmp_eq_u32_e64 s[12:13], 5, v80
	v_cmp_eq_u32_e64 s[14:15], 6, v80
	v_cmp_eq_u32_e64 s[16:17], 7, v80
	v_cndmask_b32_e64 v64, v64, v84, s[12:13]
	v_cndmask_b32_e64 v64, v64, v83, s[14:15]
	v_cndmask_b32_e64 v64, v64, v82, s[16:17]
	;; [unrolled: 6-line block ×4, first 2 shown]
	v_cmp_eq_u32_e64 s[80:81], 14, v80
	v_cmp_eq_u32_e64 s[34:35], 15, v80
	s_nop 0
	v_cndmask_b32_e64 v64, v64, v78, s[80:81]
	v_cndmask_b32_e64 v64, v64, v79, s[34:35]
	ds_bpermute_b32 v89, v115, v64
	scratch_load_dword v64, off, off offset:64 ; 4-byte Folded Reload
	s_waitcnt lgkmcnt(0)
	v_cndmask_b32_e64 v65, v79, v89, s[34:35]
	v_cndmask_b32_e64 v79, v66, v89, s[6:7]
	scratch_load_dword v66, off, off offset:72 ; 4-byte Folded Reload
	v_cndmask_b32_e64 v67, v78, v89, s[80:81]
	v_cndmask_b32_e64 v70, v75, v89, s[74:75]
	;; [unrolled: 1-line block ×8, first 2 shown]
	v_cndmask_b32_e32 v86, v90, v89, vcc
	v_cndmask_b32_e64 v68, v77, v89, s[78:79]
	v_cndmask_b32_e64 v77, v85, v89, s[10:11]
	;; [unrolled: 1-line block ×4, first 2 shown]
	s_waitcnt vmcnt(1)
	v_cmp_le_i32_e64 s[68:69], s70, v64
	s_nop 1
	v_cndmask_b32_e64 v64, 0, v118, s[68:69]
	v_pk_mul_f32 v[62:63], v[64:65], v[62:63] op_sel_hi:[0,1]
	v_pk_mul_f32 v[60:61], v[64:65], v[60:61] op_sel_hi:[0,1]
	;; [unrolled: 1-line block ×8, first 2 shown]
	scratch_load_dword v64, off, off offset:68 ; 4-byte Folded Reload
	v_cndmask_b32_e64 v81, v48, v49, s[64:65]
	v_cndmask_b32_e64 v81, v81, v50, s[38:39]
	;; [unrolled: 1-line block ×15, first 2 shown]
	ds_bpermute_b32 v122, v115, v81
	s_waitcnt vmcnt(0)
	v_cmp_le_i32_e64 s[68:69], s70, v64
	s_nop 1
	v_cndmask_b32_e64 v64, 0, v118, s[68:69]
	v_cmp_le_i32_e64 s[68:69], s70, v66
	v_pk_mul_f32 v[32:33], v[64:65], v[32:33] op_sel_hi:[0,1]
	v_pk_mul_f32 v[34:35], v[64:65], v[34:35] op_sel_hi:[0,1]
	v_cndmask_b32_e64 v66, 0, v118, s[68:69]
	v_cmp_eq_u32_e64 s[68:69], 0, v80
	scratch_load_dword v80, off, off offset:76 ; 4-byte Folded Reload
	v_pk_mul_f32 v[82:83], v[66:67], v[28:29] op_sel_hi:[0,1]
	v_cndmask_b32_e64 v28, v32, v33, s[64:65]
	v_cndmask_b32_e64 v28, v28, v34, s[38:39]
	v_pk_mul_f32 v[36:37], v[64:65], v[36:37] op_sel_hi:[0,1]
	v_cndmask_b32_e64 v28, v28, v35, s[40:41]
	v_cndmask_b32_e64 v28, v28, v36, s[42:43]
	;; [unrolled: 3-line block ×7, first 2 shown]
	v_pk_mul_f32 v[16:17], v[66:67], v[16:17] op_sel_hi:[0,1]
	v_cndmask_b32_e64 v28, v28, v47, s[66:67]
	v_pk_mul_f32 v[18:19], v[66:67], v[18:19] op_sel_hi:[0,1]
	ds_bpermute_b32 v123, v115, v28
	v_cndmask_b32_e64 v28, v16, v17, s[64:65]
	v_cndmask_b32_e64 v28, v28, v18, s[38:39]
	v_pk_mul_f32 v[20:21], v[66:67], v[20:21] op_sel_hi:[0,1]
	v_cndmask_b32_e64 v28, v28, v19, s[40:41]
	v_cndmask_b32_e64 v28, v28, v20, s[42:43]
	v_pk_mul_f32 v[22:23], v[66:67], v[22:23] op_sel_hi:[0,1]
	v_cndmask_b32_e64 v28, v28, v21, s[44:45]
	v_cndmask_b32_e64 v28, v28, v22, s[46:47]
	v_pk_mul_f32 v[24:25], v[66:67], v[24:25] op_sel_hi:[0,1]
	v_cndmask_b32_e64 v28, v28, v23, s[48:49]
	v_cndmask_b32_e64 v28, v28, v24, s[50:51]
	v_pk_mul_f32 v[26:27], v[66:67], v[26:27] op_sel_hi:[0,1]
	v_cndmask_b32_e64 v28, v28, v25, s[52:53]
	v_cndmask_b32_e64 v28, v28, v26, s[54:55]
	v_cndmask_b32_e64 v28, v28, v27, s[56:57]
	v_cndmask_b32_e64 v28, v28, v82, s[58:59]
	v_pk_mul_f32 v[30:31], v[66:67], v[30:31] op_sel_hi:[0,1]
	v_cndmask_b32_e64 v28, v28, v83, s[60:61]
	v_cndmask_b32_e64 v28, v28, v30, s[62:63]
	;; [unrolled: 1-line block ×3, first 2 shown]
	ds_bpermute_b32 v124, v115, v28
	v_cndmask_b32_e64 v87, v87, v89, s[68:69]
	s_waitcnt lgkmcnt(2)
	v_cndmask_b32_e64 v28, v63, v122, s[66:67]
	s_waitcnt lgkmcnt(1)
	v_cndmask_b32_e64 v63, v47, v123, s[66:67]
	v_cndmask_b32_e64 v29, v62, v122, s[62:63]
	s_waitcnt lgkmcnt(0)
	v_cndmask_b32_e64 v85, v31, v124, s[66:67]
	v_cndmask_b32_e64 v62, v46, v123, s[62:63]
	v_cndmask_b32_e64 v89, v30, v124, s[62:63]
	v_cndmask_b32_e64 v30, v61, v122, s[60:61]
	v_cndmask_b32_e64 v61, v45, v123, s[60:61]
	v_cndmask_b32_e64 v90, v83, v124, s[60:61]
	v_cndmask_b32_e64 v31, v60, v122, s[58:59]
	v_cndmask_b32_e64 v60, v44, v123, s[58:59]
	v_cndmask_b32_e64 v91, v82, v124, s[58:59]
	v_cndmask_b32_e64 v43, v43, v123, s[56:57]
	v_cndmask_b32_e64 v45, v57, v122, s[52:53]
	v_cndmask_b32_e64 v93, v25, v124, s[52:53]
	v_cndmask_b32_e64 v46, v56, v122, s[50:51]
	v_cndmask_b32_e64 v94, v24, v124, s[50:51]
	v_cndmask_b32_e64 v44, v58, v122, s[54:55]
	v_cndmask_b32_e64 v92, v26, v124, s[54:55]
	v_cndmask_b32_e64 v47, v55, v122, s[48:49]
	v_cndmask_b32_e64 v82, v39, v123, s[48:49]
	v_cndmask_b32_e64 v120, v21, v124, s[44:45]
	v_cndmask_b32_e64 v66, v52, v122, s[42:43]
	v_cndmask_b32_e64 v84, v36, v123, s[42:43]
	v_cndmask_b32_e64 v100, v20, v124, s[42:43]
	v_cndmask_b32_e64 v36, v51, v122, s[40:41]
	v_cndmask_b32_e64 v52, v19, v124, s[40:41]
	v_cndmask_b32_e64 v18, v18, v124, s[38:39]
	v_cndmask_b32_e64 v83, v38, v123, s[46:47]
	v_cndmask_b32_e64 v38, v32, v123, s[36:37]
	s_waitcnt vmcnt(0)
	v_cmp_le_i32_e64 s[70:71], s70, v80
	s_nop 1
	v_cndmask_b32_e64 v80, 0, v118, s[70:71]
	v_pk_mul_f32 v[0:1], v[80:81], v[0:1] op_sel_hi:[0,1]
	v_pk_mul_f32 v[96:97], v[80:81], v[8:9] op_sel_hi:[0,1]
	;; [unrolled: 1-line block ×3, first 2 shown]
	v_cndmask_b32_e64 v9, v0, v1, s[64:65]
	v_cndmask_b32_e64 v9, v9, v2, s[38:39]
	v_pk_mul_f32 v[4:5], v[80:81], v[4:5] op_sel_hi:[0,1]
	v_cndmask_b32_e64 v9, v9, v3, s[40:41]
	v_cndmask_b32_e64 v9, v9, v4, s[42:43]
	v_pk_mul_f32 v[118:119], v[80:81], v[6:7] op_sel_hi:[0,1]
	v_cndmask_b32_e64 v9, v9, v5, s[44:45]
	v_cndmask_b32_e64 v9, v9, v118, s[46:47]
	;; [unrolled: 1-line block ×4, first 2 shown]
	v_pk_mul_f32 v[10:11], v[80:81], v[10:11] op_sel_hi:[0,1]
	v_cndmask_b32_e64 v9, v9, v97, s[52:53]
	v_cndmask_b32_e64 v9, v9, v10, s[54:55]
	v_pk_mul_f32 v[12:13], v[80:81], v[12:13] op_sel_hi:[0,1]
	v_cndmask_b32_e64 v9, v9, v11, s[56:57]
	v_cndmask_b32_e64 v9, v9, v12, s[58:59]
	;; [unrolled: 3-line block ×3, first 2 shown]
	v_cndmask_b32_e64 v9, v9, v15, s[66:67]
	ds_bpermute_b32 v125, v115, v9
	v_cmp_eq_u32_e64 s[70:71], 1, v116
	v_cndmask_b32_e64 v6, v49, v122, s[64:65]
	v_cndmask_b32_e64 v7, v33, v123, s[64:65]
	;; [unrolled: 1-line block ×4, first 2 shown]
	v_cmp_eq_u32_e64 s[64:65], 2, v116
	s_waitcnt lgkmcnt(0)
	v_cndmask_b32_e64 v101, v15, v125, s[66:67]
	v_cmp_eq_u32_e64 s[66:67], 3, v116
	v_cndmask_b32_e64 v9, v64, v79, s[64:65]
	v_cndmask_b32_e64 v102, v14, v125, s[62:63]
	;; [unrolled: 1-line block ×3, first 2 shown]
	v_cmp_eq_u32_e64 s[62:63], 4, v116
	v_cndmask_b32_e64 v103, v13, v125, s[60:61]
	v_cmp_eq_u32_e64 s[60:61], 5, v116
	v_cndmask_b32_e64 v9, v9, v77, s[62:63]
	v_cndmask_b32_e64 v104, v12, v125, s[58:59]
	v_cndmask_b32_e64 v9, v9, v76, s[60:61]
	v_cmp_eq_u32_e64 s[58:59], 6, v116
	v_cndmask_b32_e64 v33, v59, v122, s[56:57]
	v_cndmask_b32_e64 v59, v27, v124, s[56:57]
	v_cndmask_b32_e64 v9, v9, v75, s[58:59]
	v_cndmask_b32_e64 v105, v11, v125, s[56:57]
	v_cmp_eq_u32_e64 s[56:57], 7, v116
	v_cndmask_b32_e64 v80, v41, v123, s[52:53]
	;; [unrolled: 5-line block ×3, first 2 shown]
	v_cndmask_b32_e64 v108, v96, v125, s[50:51]
	v_cndmask_b32_e64 v9, v9, v72, s[52:53]
	v_cmp_eq_u32_e64 s[50:51], 10, v116
	v_cndmask_b32_e64 v64, v42, v123, s[54:55]
	v_cndmask_b32_e64 v106, v10, v125, s[54:55]
	v_cndmask_b32_e64 v9, v9, v71, s[50:51]
	v_cmp_eq_u32_e64 s[54:55], 11, v116
	v_cndmask_b32_e64 v96, v23, v124, s[48:49]
	v_cndmask_b32_e64 v109, v119, v125, s[48:49]
	v_cndmask_b32_e64 v9, v9, v70, s[54:55]
	v_cmp_eq_u32_e64 s[48:49], 12, v116
	v_cndmask_b32_e64 v110, v118, v125, s[46:47]
	v_cndmask_b32_e64 v118, v53, v122, s[44:45]
	v_cndmask_b32_e64 v9, v9, v69, s[48:49]
	;; [unrolled: 1-line block ×4, first 2 shown]
	v_cmp_eq_u32_e64 s[44:45], 13, v116
	v_cndmask_b32_e64 v112, v4, v125, s[42:43]
	v_cmp_eq_u32_e64 s[42:43], 14, v116
	v_cndmask_b32_e64 v5, v9, v68, s[44:45]
	v_cndmask_b32_e64 v37, v35, v123, s[40:41]
	;; [unrolled: 1-line block ×4, first 2 shown]
	v_cmp_eq_u32_e64 s[40:41], 15, v116
	v_cndmask_b32_e64 v2, v2, v125, s[38:39]
	v_cndmask_b32_e64 v97, v22, v124, s[46:47]
	;; [unrolled: 1-line block ×3, first 2 shown]
	ds_bpermute_b32 v23, v115, v3
	v_cndmask_b32_e64 v49, v54, v122, s[46:47]
	v_cndmask_b32_e64 v54, v16, v124, s[36:37]
	s_waitcnt lgkmcnt(0)
	v_cndmask_b32_e64 v5, v68, v23, s[44:45]
	v_cndmask_b32_e64 v9, v69, v23, s[48:49]
	;; [unrolled: 1-line block ×4, first 2 shown]
	v_cmp_ne_u32_e64 s[38:39], 0, v99
	scratch_load_dword v99, off, off offset:44 ; 4-byte Folded Reload
	v_cndmask_b32_e64 v10, v70, v23, s[54:55]
	v_cndmask_b32_e64 v70, v1, v125, s[38:39]
	v_cmp_eq_u32_e64 s[38:39], 0, v116
	v_cndmask_b32_e64 v3, v65, v23, s[40:41]
	v_cndmask_b32_e64 v4, v67, v23, s[42:43]
	;; [unrolled: 1-line block ×15, first 2 shown]
	v_cndmask_b32_e32 v0, v23, v6, vcc
	v_cndmask_b32_e64 v0, v0, v68, s[6:7]
	v_cndmask_b32_e64 v0, v0, v36, s[8:9]
	v_cndmask_b32_e64 v0, v0, v66, s[10:11]
	v_cndmask_b32_e64 v0, v0, v118, s[12:13]
	v_cndmask_b32_e64 v0, v0, v49, s[14:15]
	v_cndmask_b32_e64 v0, v0, v47, s[16:17]
	v_cndmask_b32_e64 v0, v0, v46, s[18:19]
	v_cndmask_b32_e64 v0, v0, v45, s[20:21]
	v_cndmask_b32_e64 v0, v0, v44, s[22:23]
	v_cndmask_b32_e64 v0, v0, v33, s[74:75]
	v_cndmask_b32_e64 v0, v0, v31, s[76:77]
	v_cndmask_b32_e64 v0, v0, v30, s[78:79]
	v_cndmask_b32_e64 v0, v0, v29, s[80:81]
	v_cndmask_b32_e64 v0, v0, v28, s[34:35]
	ds_bpermute_b32 v122, v115, v0
	v_cndmask_b32_e32 v0, v38, v7, vcc
	v_cndmask_b32_e64 v0, v0, v69, s[6:7]
	v_cndmask_b32_e64 v0, v0, v37, s[8:9]
	v_cndmask_b32_e64 v0, v0, v84, s[10:11]
	v_cndmask_b32_e64 v0, v0, v119, s[12:13]
	v_cndmask_b32_e64 v0, v0, v83, s[14:15]
	v_cndmask_b32_e64 v0, v0, v82, s[16:17]
	v_cndmask_b32_e64 v0, v0, v81, s[18:19]
	v_cndmask_b32_e64 v0, v0, v80, s[20:21]
	v_cndmask_b32_e64 v0, v0, v64, s[22:23]
	v_cndmask_b32_e64 v0, v0, v43, s[74:75]
	v_cndmask_b32_e64 v0, v0, v60, s[76:77]
	v_cndmask_b32_e64 v0, v0, v61, s[78:79]
	v_cndmask_b32_e64 v0, v0, v62, s[80:81]
	v_cndmask_b32_e64 v0, v0, v63, s[34:35]
	ds_bpermute_b32 v123, v115, v0
	;; [unrolled: 16-line block ×4, first 2 shown]
	s_waitcnt lgkmcnt(2)
	v_cndmask_b32_e64 v48, v83, v123, s[14:15]
	scratch_load_dword v83, off, off offset:48 ; 4-byte Folded Reload
	s_waitcnt vmcnt(1)
	v_cmp_eq_u32_e64 s[36:37], 1, v99
	v_cndmask_b32_e64 v24, v28, v122, s[34:35]
	v_cndmask_b32_e64 v39, v63, v123, s[34:35]
	;; [unrolled: 1-line block ×3, first 2 shown]
	s_waitcnt lgkmcnt(1)
	v_cndmask_b32_e64 v55, v85, v124, s[34:35]
	s_waitcnt lgkmcnt(0)
	v_cndmask_b32_e64 v72, v101, v125, s[34:35]
	v_cmp_eq_u32_e64 s[34:35], 2, v99
	v_cmp_eq_u32_e64 s[88:89], 3, v99
	;; [unrolled: 1-line block ×3, first 2 shown]
	v_cndmask_b32_e64 v0, v0, v21, s[34:35]
	v_cndmask_b32_e64 v0, v0, v20, s[88:89]
	;; [unrolled: 1-line block ×3, first 2 shown]
	v_cmp_eq_u32_e64 s[94:95], 5, v99
	v_cmp_eq_u32_e64 s[96:97], 6, v99
	v_cndmask_b32_e64 v25, v29, v122, s[80:81]
	v_cndmask_b32_e64 v0, v0, v17, s[94:95]
	;; [unrolled: 1-line block ×8, first 2 shown]
	v_cmp_eq_u32_e64 s[22:23], 7, v99
	v_cndmask_b32_e64 v28, v33, v122, s[74:75]
	v_cndmask_b32_e64 v43, v43, v123, s[74:75]
	;; [unrolled: 1-line block ×5, first 2 shown]
	v_cmp_eq_u32_e64 s[74:75], 8, v99
	v_cndmask_b32_e64 v40, v62, v123, s[80:81]
	v_cndmask_b32_e64 v27, v31, v122, s[76:77]
	;; [unrolled: 1-line block ×7, first 2 shown]
	v_cmp_eq_u32_e64 s[18:19], 9, v99
	v_cndmask_b32_e64 v32, v47, v122, s[16:17]
	v_cndmask_b32_e64 v47, v82, v123, s[16:17]
	;; [unrolled: 1-line block ×5, first 2 shown]
	v_cmp_eq_u32_e64 s[16:17], 10, v99
	v_cndmask_b32_e64 v33, v49, v122, s[14:15]
	v_cndmask_b32_e64 v64, v97, v124, s[14:15]
	;; [unrolled: 1-line block ×4, first 2 shown]
	v_cmp_eq_u32_e64 s[14:15], 11, v99
	v_cndmask_b32_e64 v56, v89, v124, s[80:81]
	v_cndmask_b32_e64 v34, v118, v122, s[12:13]
	;; [unrolled: 1-line block ×6, first 2 shown]
	v_cmp_eq_u32_e64 s[12:13], 12, v99
	v_cmp_eq_u32_e64 s[84:85], 13, v99
	v_cndmask_b32_e64 v57, v90, v124, s[78:79]
	v_cndmask_b32_e64 v0, v0, v9, s[12:13]
	v_cndmask_b32_e64 v35, v66, v122, s[10:11]
	v_cndmask_b32_e64 v50, v84, v123, s[10:11]
	v_cndmask_b32_e64 v66, v100, v124, s[10:11]
	v_cndmask_b32_e64 v90, v112, v125, s[10:11]
	v_cndmask_b32_e64 v0, v0, v5, s[84:85]
	v_cmp_eq_u32_e64 s[10:11], 14, v99
	v_cndmask_b32_e64 v58, v91, v124, s[76:77]
	v_cndmask_b32_e64 v36, v36, v122, s[8:9]
	;; [unrolled: 1-line block ×6, first 2 shown]
	v_cmp_eq_u32_e64 s[8:9], 15, v99
	v_cndmask_b32_e64 v26, v30, v122, s[78:79]
	v_cndmask_b32_e64 v30, v45, v122, s[20:21]
	;; [unrolled: 1-line block ×4, first 2 shown]
	ds_bpermute_b32 v80, v115, v0
	v_cndmask_b32_e64 v92, v2, v125, s[6:7]
	v_cndmask_b32_e64 v37, v68, v122, s[6:7]
	v_cndmask_b32_e32 v53, v7, v123, vcc
	v_cndmask_b32_e64 v38, v38, v123, s[68:69]
	s_waitcnt lgkmcnt(0)
	v_cndmask_b32_e64 v2, v4, v80, s[10:11]
	v_cndmask_b32_e64 v4, v9, v80, s[12:13]
	;; [unrolled: 1-line block ×7, first 2 shown]
	v_cndmask_b32_e32 v19, v6, v122, vcc
	v_cndmask_b32_e64 v20, v23, v122, s[68:69]
	v_cndmask_b32_e64 v6, v20, v19, s[70:71]
	;; [unrolled: 1-line block ×19, first 2 shown]
	v_cndmask_b32_e32 v93, v70, v125, vcc
	v_cndmask_b32_e64 v70, v54, v124, s[68:69]
	ds_bpermute_b32 v54, v115, v6
	v_cndmask_b32_e64 v6, v38, v53, s[70:71]
	v_cndmask_b32_e64 v6, v6, v52, s[64:65]
	;; [unrolled: 1-line block ×15, first 2 shown]
	v_cndmask_b32_e32 v69, v8, v124, vcc
	v_cmp_eq_u32_e64 s[6:7], 0, v99
	v_cndmask_b32_e64 v6, v6, v39, s[40:41]
	v_cndmask_b32_e64 v0, v3, v80, s[8:9]
	;; [unrolled: 1-line block ×10, first 2 shown]
	ds_bpermute_b32 v80, v115, v6
	v_cndmask_b32_e64 v6, v70, v69, s[70:71]
	v_cndmask_b32_e64 v6, v6, v68, s[64:65]
	;; [unrolled: 1-line block ×17, first 2 shown]
	ds_bpermute_b32 v81, v115, v6
	v_cndmask_b32_e64 v6, v107, v93, s[70:71]
	v_cndmask_b32_e64 v6, v6, v92, s[64:65]
	;; [unrolled: 1-line block ×18, first 2 shown]
	ds_bpermute_b32 v82, v115, v6
	s_waitcnt vmcnt(0)
	v_cmp_eq_u32_e64 s[20:21], 1, v83
	v_cmp_eq_u32_e64 s[46:47], 2, v83
	s_waitcnt lgkmcnt(3)
	v_cndmask_b32_e64 v22, v25, v54, s[42:43]
	v_cndmask_b32_e64 v6, v1, v18, s[20:21]
	s_waitcnt lgkmcnt(0)
	v_cndmask_b32_e64 v108, v72, v82, s[40:41]
	v_cndmask_b32_e64 v6, v6, v17, s[46:47]
	;; [unrolled: 1-line block ×5, first 2 shown]
	v_cmp_eq_u32_e64 s[42:43], 3, v83
	v_cndmask_b32_e64 v21, v24, v54, s[40:41]
	v_cndmask_b32_e64 v39, v39, v80, s[40:41]
	;; [unrolled: 1-line block ×4, first 2 shown]
	v_cmp_eq_u32_e64 s[40:41], 4, v83
	v_cndmask_b32_e64 v110, v74, v82, s[44:45]
	v_cndmask_b32_e64 v24, v27, v54, s[48:49]
	;; [unrolled: 1-line block ×6, first 2 shown]
	v_cmp_eq_u32_e64 s[48:49], 5, v83
	v_cndmask_b32_e64 v25, v28, v54, s[54:55]
	v_cndmask_b32_e64 v43, v43, v80, s[54:55]
	;; [unrolled: 1-line block ×5, first 2 shown]
	v_cmp_eq_u32_e64 s[54:55], 6, v83
	scratch_load_dword v99, off, off offset:52 ; 4-byte Folded Reload
	v_cmp_eq_u32_e64 s[68:69], 7, v83
	v_cndmask_b32_e64 v6, v6, v13, s[54:55]
	v_cmp_eq_u32_e64 s[76:77], 8, v83
	v_cndmask_b32_e64 v6, v6, v12, s[68:69]
	v_cndmask_b32_e64 v121, v78, v82, s[52:53]
	;; [unrolled: 1-line block ×7, first 2 shown]
	v_cmp_eq_u32_e64 s[72:73], 9, v83
	v_cmp_eq_u32_e64 s[78:79], 10, v83
	;; [unrolled: 1-line block ×3, first 2 shown]
	v_cndmask_b32_e64 v6, v6, v10, s[72:73]
	v_cndmask_b32_e64 v6, v6, v9, s[78:79]
	;; [unrolled: 1-line block ×3, first 2 shown]
	v_cmp_eq_u32_e64 s[82:83], 12, v83
	v_cndmask_b32_e64 v23, v26, v54, s[44:45]
	v_cndmask_b32_e64 v26, v29, v54, s[50:51]
	;; [unrolled: 1-line block ×8, first 2 shown]
	v_cmp_eq_u32_e64 s[62:63], 13, v83
	v_cmp_eq_u32_e64 s[86:87], 14, v83
	;; [unrolled: 1-line block ×3, first 2 shown]
	v_cndmask_b32_e64 v6, v6, v3, s[62:63]
	v_cndmask_b32_e64 v6, v6, v2, s[86:87]
	;; [unrolled: 1-line block ×6, first 2 shown]
	ds_bpermute_b32 v36, v115, v6
	v_cndmask_b32_e64 v35, v19, v54, s[70:71]
	v_cndmask_b32_e64 v20, v20, v54, s[38:39]
	;; [unrolled: 1-line block ×4, first 2 shown]
	s_waitcnt lgkmcnt(0)
	v_cndmask_b32_e64 v7, v10, v36, s[72:73]
	v_cndmask_b32_e64 v10, v13, v36, s[54:55]
	;; [unrolled: 1-line block ×21, first 2 shown]
	ds_bpermute_b32 v102, v115, v16
	v_cndmask_b32_e64 v16, v54, v53, s[36:37]
	v_cndmask_b32_e64 v51, v51, v80, s[66:67]
	v_cndmask_b32_e64 v16, v16, v52, s[34:35]
	v_cndmask_b32_e64 v16, v16, v51, s[88:89]
	v_cndmask_b32_e64 v49, v49, v80, s[60:61]
	v_cndmask_b32_e64 v16, v16, v50, s[92:93]
	v_cndmask_b32_e64 v48, v48, v80, s[58:59]
	v_cndmask_b32_e64 v16, v16, v49, s[94:95]
	v_cndmask_b32_e64 v47, v47, v80, s[56:57]
	v_cndmask_b32_e64 v16, v16, v48, s[96:97]
	v_cndmask_b32_e64 v16, v16, v47, s[22:23]
	v_cndmask_b32_e64 v45, v45, v80, s[52:53]
	v_cndmask_b32_e64 v16, v16, v46, s[74:75]
	v_cndmask_b32_e64 v44, v44, v80, s[50:51]
	v_cndmask_b32_e64 v16, v16, v45, s[18:19]
	v_cndmask_b32_e64 v16, v16, v44, s[16:17]
	v_cndmask_b32_e64 v16, v16, v43, s[14:15]
	v_cndmask_b32_e64 v41, v41, v80, s[44:45]
	v_cndmask_b32_e64 v16, v16, v42, s[12:13]
	v_cndmask_b32_e64 v16, v16, v41, s[84:85]
	v_cndmask_b32_e64 v16, v16, v40, s[10:11]
	v_cndmask_b32_e64 v69, v69, v81, s[70:71]
	v_cndmask_b32_e64 v70, v70, v81, s[38:39]
	v_cndmask_b32_e64 v16, v16, v39, s[8:9]
	v_cndmask_b32_e64 v68, v68, v81, s[64:65]
	ds_bpermute_b32 v103, v115, v16
	v_cndmask_b32_e64 v16, v70, v69, s[36:37]
	v_cndmask_b32_e64 v67, v67, v81, s[66:67]
	;; [unrolled: 1-line block ×26, first 2 shown]
	ds_bpermute_b32 v104, v115, v16
	v_cndmask_b32_e64 v16, v85, v84, s[36:37]
	v_cndmask_b32_e64 v125, v91, v82, s[66:67]
	;; [unrolled: 1-line block ×19, first 2 shown]
	ds_bpermute_b32 v105, v115, v16
	v_cmp_eq_u32_e64 s[50:51], 0, v83
	v_cndmask_b32_e64 v6, v9, v36, s[78:79]
	v_cndmask_b32_e64 v9, v12, v36, s[68:69]
	;; [unrolled: 1-line block ×5, first 2 shown]
	s_waitcnt vmcnt(0)
	v_cmp_eq_u32_e32 vcc, 1, v99
	v_cndmask_b32_e64 v8, v11, v36, s[76:77]
	v_cndmask_b32_e64 v11, v14, v36, s[48:49]
	;; [unrolled: 1-line block ×3, first 2 shown]
	v_cndmask_b32_e32 v16, v1, v15, vcc
	s_waitcnt lgkmcnt(3)
	v_cndmask_b32_e64 v21, v21, v102, s[8:9]
	s_waitcnt lgkmcnt(2)
	v_cndmask_b32_e64 v55, v39, v103, s[8:9]
	;; [unrolled: 2-line block ×4, first 2 shown]
	v_cmp_eq_u32_e64 s[8:9], 2, v99
	v_cndmask_b32_e64 v0, v0, v36, s[90:91]
	v_cndmask_b32_e64 v2, v2, v36, s[86:87]
	;; [unrolled: 1-line block ×10, first 2 shown]
	v_cmp_eq_u32_e64 s[10:11], 3, v99
	v_cmp_eq_u32_e64 s[44:45], 4, v99
	;; [unrolled: 1-line block ×3, first 2 shown]
	v_cndmask_b32_e64 v16, v16, v13, s[10:11]
	v_cndmask_b32_e64 v16, v16, v12, s[44:45]
	;; [unrolled: 1-line block ×3, first 2 shown]
	v_cmp_eq_u32_e64 s[56:57], 6, v99
	v_cmp_eq_u32_e64 s[58:59], 7, v99
	;; [unrolled: 1-line block ×3, first 2 shown]
	v_cndmask_b32_e64 v16, v16, v10, s[56:57]
	v_cndmask_b32_e64 v16, v16, v9, s[58:59]
	;; [unrolled: 1-line block ×3, first 2 shown]
	v_cmp_eq_u32_e64 s[64:65], 9, v99
	v_cmp_eq_u32_e64 s[70:71], 10, v99
	v_cndmask_b32_e64 v28, v28, v102, s[74:75]
	v_cndmask_b32_e64 v16, v16, v7, s[64:65]
	;; [unrolled: 1-line block ×6, first 2 shown]
	v_cmp_eq_u32_e64 s[74:75], 11, v99
	v_cmp_eq_u32_e64 s[66:67], 12, v99
	v_cndmask_b32_e64 v37, v23, v102, s[84:85]
	v_cndmask_b32_e64 v16, v16, v5, s[74:75]
	;; [unrolled: 1-line block ×6, first 2 shown]
	v_cmp_eq_u32_e64 s[84:85], 13, v99
	v_cndmask_b32_e64 v33, v33, v102, s[88:89]
	v_cndmask_b32_e64 v51, v51, v103, s[88:89]
	;; [unrolled: 1-line block ×5, first 2 shown]
	v_cmp_eq_u32_e64 s[88:89], 14, v99
	v_cndmask_b32_e64 v32, v32, v102, s[92:93]
	v_cndmask_b32_e64 v50, v50, v103, s[92:93]
	;; [unrolled: 1-line block ×5, first 2 shown]
	v_cmp_eq_u32_e64 s[92:93], 15, v99
	v_cndmask_b32_e64 v41, v27, v102, s[18:19]
	v_cndmask_b32_e64 v58, v42, v103, s[12:13]
	;; [unrolled: 1-line block ×3, first 2 shown]
	ds_bpermute_b32 v27, v115, v16
	v_cndmask_b32_e64 v31, v31, v102, s[94:95]
	v_cndmask_b32_e64 v49, v49, v103, s[94:95]
	;; [unrolled: 1-line block ×4, first 2 shown]
	s_waitcnt lgkmcnt(0)
	v_cndmask_b32_e64 v18, v5, v27, s[74:75]
	scratch_load_dword v5, off, off offset:56 ; 4-byte Folded Reload
	v_cndmask_b32_e64 v35, v35, v102, s[36:37]
	v_cmp_eq_u32_e64 s[94:95], 0, v99
	v_cndmask_b32_e64 v42, v20, v102, s[6:7]
	v_cndmask_b32_e64 v38, v24, v102, s[12:13]
	;; [unrolled: 1-line block ×18, first 2 shown]
	v_cndmask_b32_e32 v15, v15, v27, vcc
	v_cndmask_b32_e64 v27, v1, v27, s[94:95]
	v_cndmask_b32_e64 v1, v42, v35, s[20:21]
	;; [unrolled: 1-line block ×22, first 2 shown]
	ds_bpermute_b32 v116, v115, v1
	v_cndmask_b32_e64 v1, v65, v64, s[20:21]
	v_cndmask_b32_e64 v1, v1, v52, s[46:47]
	;; [unrolled: 1-line block ×29, first 2 shown]
	ds_bpermute_b32 v99, v115, v1
	v_cndmask_b32_e64 v1, v120, v119, s[20:21]
	v_cndmask_b32_e64 v3, v85, v84, s[20:21]
	;; [unrolled: 1-line block ×36, first 2 shown]
	s_waitcnt vmcnt(0)
	v_cmp_eq_u32_e64 s[6:7], 1, v5
	v_cndmask_b32_e64 v1, v1, v71, s[90:91]
	v_cndmask_b32_e64 v3, v3, v107, s[90:91]
	ds_bpermute_b32 v1, v115, v1
	ds_bpermute_b32 v3, v115, v3
	v_cndmask_b32_e64 v4, v27, v15, s[6:7]
	v_cmp_eq_u32_e64 s[12:13], 2, v5
	v_cmp_eq_u32_e64 s[14:15], 3, v5
	;; [unrolled: 1-line block ×3, first 2 shown]
	v_cndmask_b32_e64 v4, v4, v14, s[12:13]
	v_cndmask_b32_e64 v4, v4, v13, s[14:15]
	;; [unrolled: 1-line block ×3, first 2 shown]
	v_cmp_eq_u32_e64 s[18:19], 5, v5
	v_cmp_eq_u32_e64 s[22:23], 6, v5
	s_waitcnt lgkmcnt(3)
	v_cndmask_b32_e64 v53, v40, v116, s[78:79]
	v_cndmask_b32_e64 v4, v4, v26, s[18:19]
	;; [unrolled: 1-line block ×3, first 2 shown]
	s_waitcnt lgkmcnt(2)
	v_cndmask_b32_e64 v78, v60, v99, s[78:79]
	s_waitcnt lgkmcnt(1)
	v_cndmask_b32_e64 v126, v76, v1, s[78:79]
	;; [unrolled: 2-line block ×3, first 2 shown]
	v_cmp_eq_u32_e64 s[78:79], 7, v5
	v_cndmask_b32_e64 v102, v107, v3, s[90:91]
	v_cndmask_b32_e64 v54, v41, v116, s[72:73]
	;; [unrolled: 1-line block ×6, first 2 shown]
	v_cmp_eq_u32_e64 s[72:73], 8, v5
	v_cndmask_b32_e64 v66, v55, v99, s[90:91]
	v_cndmask_b32_e64 v103, v108, v3, s[86:87]
	;; [unrolled: 1-line block ×7, first 2 shown]
	v_cmp_eq_u32_e64 s[76:77], 9, v5
	v_cmp_eq_u32_e64 s[34:35], 10, v5
	;; [unrolled: 1-line block ×3, first 2 shown]
	v_cndmask_b32_e64 v4, v4, v22, s[76:77]
	v_cndmask_b32_e64 v4, v4, v19, s[34:35]
	v_cndmask_b32_e64 v4, v4, v18, s[36:37]
	v_cmp_eq_u32_e64 s[38:39], 12, v5
	v_cndmask_b32_e64 v121, v71, v1, s[90:91]
	v_cndmask_b32_e64 v122, v72, v1, s[86:87]
	v_cndmask_b32_e64 v87, v63, v99, s[68:69]
	v_cndmask_b32_e64 v4, v4, v17, s[38:39]
	v_cndmask_b32_e64 v106, v32, v116, s[40:41]
	v_cndmask_b32_e64 v63, v50, v99, s[40:41]
	v_cndmask_b32_e64 v71, v92, v1, s[40:41]
	v_cndmask_b32_e64 v72, v97, v3, s[40:41]
	v_cmp_eq_u32_e64 s[40:41], 13, v5
	v_cndmask_b32_e64 v68, v57, v99, s[62:63]
	v_cndmask_b32_e64 v124, v74, v1, s[82:83]
	v_cndmask_b32_e64 v57, v30, v116, s[54:55]
	v_cndmask_b32_e64 v4, v4, v16, s[40:41]
	v_cndmask_b32_e64 v74, v33, v116, s[42:43]
	;; [unrolled: 9-line block ×3, first 2 shown]
	v_cmp_eq_u32_e64 s[46:47], 15, v5
	v_cndmask_b32_e64 v67, v56, v99, s[86:87]
	v_cndmask_b32_e64 v69, v58, v99, s[82:83]
	;; [unrolled: 1-line block ×3, first 2 shown]
	ds_bpermute_b32 v28, v115, v8
	v_cndmask_b32_e64 v105, v110, v3, s[82:83]
	v_cndmask_b32_e64 v70, v59, v99, s[80:81]
	;; [unrolled: 1-line block ×5, first 2 shown]
	s_waitcnt lgkmcnt(0)
	v_cndmask_b32_e64 v9, v2, v28, s[42:43]
	v_cndmask_b32_e64 v10, v16, v28, s[40:41]
	;; [unrolled: 1-line block ×5, first 2 shown]
	scratch_load_dword v99, off, off offset:60 ; 4-byte Folded Reload
	v_cndmask_b32_e64 v11, v17, v28, s[38:39]
	v_cndmask_b32_e64 v20, v18, v28, s[36:37]
	;; [unrolled: 1-line block ×8, first 2 shown]
	v_cmp_eq_u32_e64 s[20:21], 0, v5
	v_cndmask_b32_e64 v43, v21, v116, s[90:91]
	v_cndmask_b32_e64 v8, v0, v28, s[46:47]
	;; [unrolled: 1-line block ×16, first 2 shown]
	v_cndmask_b32_e32 v1, v28, v12, vcc
	v_cndmask_b32_e64 v1, v1, v93, s[8:9]
	v_cndmask_b32_e64 v1, v1, v74, s[10:11]
	;; [unrolled: 1-line block ×20, first 2 shown]
	ds_bpermute_b32 v42, v115, v1
	v_cndmask_b32_e32 v1, v16, v13, vcc
	v_cndmask_b32_e64 v1, v1, v4, s[8:9]
	v_cndmask_b32_e64 v1, v1, v60, s[10:11]
	;; [unrolled: 1-line block ×14, first 2 shown]
	ds_bpermute_b32 v29, v115, v1
	v_cndmask_b32_e32 v1, v19, v14, vcc
	v_cndmask_b32_e64 v1, v1, v97, s[8:9]
	v_cndmask_b32_e64 v1, v1, v30, s[10:11]
	;; [unrolled: 1-line block ×15, first 2 shown]
	ds_bpermute_b32 v31, v115, v1
	v_cndmask_b32_e32 v1, v27, v15, vcc
	v_cndmask_b32_e64 v1, v1, v7, s[8:9]
	v_cndmask_b32_e64 v1, v1, v6, s[10:11]
	;; [unrolled: 1-line block ×18, first 2 shown]
	ds_bpermute_b32 v40, v115, v1
	s_waitcnt vmcnt(0)
	v_cmp_eq_u32_e64 s[48:49], 1, v99
	v_cmp_eq_u32_e64 s[50:51], 2, v99
	;; [unrolled: 1-line block ×3, first 2 shown]
	v_cndmask_b32_e64 v1, v0, v18, s[48:49]
	v_cndmask_b32_e64 v1, v1, v17, s[50:51]
	;; [unrolled: 1-line block ×3, first 2 shown]
	v_cmp_eq_u32_e64 s[62:63], 4, v99
	s_waitcnt lgkmcnt(3)
	v_cndmask_b32_e64 v75, v46, v42, s[66:67]
	s_waitcnt lgkmcnt(2)
	v_cndmask_b32_e64 v39, v69, v29, s[66:67]
	v_cndmask_b32_e64 v1, v1, v92, s[62:63]
	s_waitcnt lgkmcnt(1)
	v_cndmask_b32_e64 v35, v124, v31, s[66:67]
	s_waitcnt lgkmcnt(0)
	v_cndmask_b32_e64 v51, v105, v40, s[66:67]
	v_cmp_eq_u32_e64 s[66:67], 5, v99
	v_cmp_eq_u32_e64 s[68:69], 6, v99
	v_cndmask_b32_e64 v59, v43, v42, s[92:93]
	v_cndmask_b32_e64 v1, v1, v26, s[66:67]
	v_cndmask_b32_e64 v1, v1, v25, s[68:69]
	v_cndmask_b32_e64 v77, v53, v42, s[70:71]
	v_cndmask_b32_e64 v43, v78, v29, s[70:71]
	v_cndmask_b32_e64 v53, v126, v31, s[70:71]
	v_cndmask_b32_e64 v65, v80, v40, s[70:71]
	v_cmp_eq_u32_e64 s[70:71], 7, v99
	v_cndmask_b32_e64 v36, v66, v29, s[92:93]
	v_cndmask_b32_e64 v62, v44, v42, s[88:89]
	v_cndmask_b32_e64 v1, v1, v24, s[70:71]
	v_cndmask_b32_e64 v78, v54, v42, s[64:65]
	v_cndmask_b32_e64 v44, v61, v29, s[64:65]
	v_cndmask_b32_e64 v54, v107, v31, s[64:65]
	v_cndmask_b32_e64 v66, v81, v40, s[64:65]
	;; [unrolled: 8-line block ×3, first 2 shown]
	v_cmp_eq_u32_e64 s[60:61], 9, v99
	v_cndmask_b32_e64 v38, v68, v29, s[84:85]
	v_cndmask_b32_e64 v86, v56, v42, s[58:59]
	v_cndmask_b32_e64 v1, v1, v22, s[60:61]
	v_cndmask_b32_e64 v46, v87, v29, s[58:59]
	v_cndmask_b32_e64 v56, v109, v31, s[58:59]
	v_cndmask_b32_e64 v68, v83, v40, s[58:59]
	v_cmp_eq_u32_e64 s[58:59], 10, v99
	v_cndmask_b32_e64 v76, v47, v42, s[74:75]
	v_cndmask_b32_e64 v87, v57, v42, s[56:57]
	v_cndmask_b32_e64 v1, v1, v21, s[58:59]
	v_cndmask_b32_e64 v47, v89, v29, s[56:57]
	v_cndmask_b32_e64 v57, v110, v31, s[56:57]
	v_cndmask_b32_e64 v69, v96, v40, s[56:57]
	;; [unrolled: 7-line block ×3, first 2 shown]
	v_cmp_eq_u32_e64 s[52:53], 12, v99
	v_cndmask_b32_e64 v82, v106, v42, s[44:45]
	v_cndmask_b32_e64 v81, v63, v29, s[44:45]
	v_cndmask_b32_e64 v1, v1, v11, s[52:53]
	v_cndmask_b32_e64 v63, v71, v31, s[44:45]
	v_cndmask_b32_e64 v71, v72, v40, s[44:45]
	v_cmp_eq_u32_e64 s[44:45], 13, v99
	v_cndmask_b32_e64 v74, v74, v42, s[10:11]
	v_cndmask_b32_e64 v60, v60, v29, s[10:11]
	v_cndmask_b32_e64 v1, v1, v10, s[44:45]
	v_cndmask_b32_e64 v72, v30, v31, s[10:11]
	v_cndmask_b32_e64 v83, v6, v40, s[10:11]
	v_cmp_eq_u32_e64 s[10:11], 14, v99
	v_cndmask_b32_e64 v30, v93, v42, s[8:9]
	v_cndmask_b32_e64 v84, v4, v29, s[8:9]
	v_cndmask_b32_e64 v1, v1, v9, s[10:11]
	v_cndmask_b32_e64 v85, v97, v31, s[8:9]
	v_cndmask_b32_e64 v89, v7, v40, s[8:9]
	v_cmp_eq_u32_e64 s[8:9], 15, v99
	v_cndmask_b32_e32 v91, v12, v42, vcc
	v_cndmask_b32_e32 v93, v13, v29, vcc
	v_cndmask_b32_e64 v1, v1, v8, s[8:9]
	ds_bpermute_b32 v90, v115, v1
	v_cndmask_b32_e32 v96, v15, v40, vcc
	v_cndmask_b32_e32 v94, v14, v31, vcc
	v_cndmask_b32_e64 v16, v16, v29, s[94:95]
	v_cndmask_b32_e64 v32, v121, v31, s[92:93]
	s_waitcnt lgkmcnt(0)
	v_cndmask_b32_e64 v12, v11, v90, s[52:53]
	v_cndmask_b32_e64 v11, v20, v90, s[56:57]
	;; [unrolled: 1-line block ×20, first 2 shown]
	ds_bpermute_b32 v21, v115, v1
	v_cndmask_b32_e64 v3, v2, v90, s[54:55]
	v_cndmask_b32_e64 v2, v17, v90, s[50:51]
	;; [unrolled: 1-line block ×4, first 2 shown]
	s_waitcnt lgkmcnt(0)
	v_cndmask_b32_e64 v17, v59, v21, s[46:47]
	v_cndmask_b32_e64 v42, v78, v21, s[76:77]
	;; [unrolled: 1-line block ×36, first 2 shown]
	ds_bpermute_b32 v80, v115, v20
	v_cndmask_b32_e64 v33, v122, v31, s[88:89]
	v_cndmask_b32_e64 v34, v123, v31, s[84:85]
	;; [unrolled: 1-line block ×4, first 2 shown]
	s_waitcnt lgkmcnt(0)
	v_cndmask_b32_e64 v31, v17, v80, s[8:9]
	v_cndmask_b32_e64 v17, v16, v93, s[6:7]
	;; [unrolled: 1-line block ×16, first 2 shown]
	ds_bpermute_b32 v17, v115, v17
	v_cndmask_b32_e64 v20, v76, v80, s[62:63]
	v_cndmask_b32_e64 v21, v75, v80, s[66:67]
	;; [unrolled: 1-line block ×4, first 2 shown]
	s_waitcnt lgkmcnt(0)
	v_cndmask_b32_e64 v76, v81, v17, s[16:17]
	v_cndmask_b32_e64 v81, v84, v17, s[12:13]
	;; [unrolled: 1-line block ×39, first 2 shown]
	v_cmp_eq_u32_e32 vcc, 0, v99
	v_cndmask_b32_e64 v16, v16, v36, s[8:9]
	v_cndmask_b32_e64 v5, v26, v90, s[66:67]
	;; [unrolled: 1-line block ×3, first 2 shown]
	v_cndmask_b32_e32 v0, v0, v90, vcc
	ds_bpermute_b32 v90, v115, v16
	v_cndmask_b32_e64 v26, v25, v80, s[58:59]
	v_cndmask_b32_e64 v25, v42, v80, s[60:61]
	v_cndmask_b32_e64 v30, v18, v80, s[10:11]
	v_cndmask_b32_e64 v19, v74, v80, s[54:55]
	s_waitcnt lgkmcnt(0)
	v_cndmask_b32_e64 v47, v36, v90, s[8:9]
	v_cndmask_b32_e64 v36, v82, v94, s[6:7]
	v_cndmask_b32_e64 v36, v36, v85, s[12:13]
	v_cndmask_b32_e64 v36, v36, v72, s[14:15]
	v_cndmask_b32_e64 v36, v36, v63, s[16:17]
	v_cndmask_b32_e64 v36, v36, v58, s[18:19]
	v_cndmask_b32_e64 v36, v36, v57, s[22:23]
	v_cndmask_b32_e64 v36, v36, v56, s[78:79]
	v_cndmask_b32_e64 v36, v36, v55, s[72:73]
	v_cndmask_b32_e64 v36, v36, v54, s[76:77]
	v_cndmask_b32_e64 v36, v36, v53, s[34:35]
	v_cndmask_b32_e64 v36, v36, v52, s[36:37]
	v_cndmask_b32_e64 v36, v36, v35, s[38:39]
	v_cndmask_b32_e64 v36, v36, v34, s[40:41]
	v_cndmask_b32_e64 v36, v36, v33, s[42:43]
	v_cndmask_b32_e64 v36, v36, v32, s[46:47]
	v_cndmask_b32_e64 v42, v41, v90, s[58:59]
	v_cndmask_b32_e64 v41, v59, v90, s[60:61]
	ds_bpermute_b32 v59, v115, v36
	v_cndmask_b32_e64 v18, v77, v80, s[50:51]
	v_cndmask_b32_e64 v17, v78, v80, s[48:49]
	v_cndmask_b32_e32 v16, v79, v80, vcc
	v_cndmask_b32_e64 v46, v37, v90, s[10:11]
	s_waitcnt lgkmcnt(0)
	v_cndmask_b32_e64 v80, v94, v59, s[6:7]
	v_cndmask_b32_e64 v82, v82, v59, s[20:21]
	;; [unrolled: 1-line block ×39, first 2 shown]
	ds_bpermute_b32 v85, v115, v32
	v_cndmask_b32_e64 v35, v60, v90, s[54:55]
	v_cndmask_b32_e64 v34, v81, v90, s[50:51]
	v_cndmask_b32_e64 v33, v84, v90, s[48:49]
	v_cndmask_b32_e32 v32, v87, v90, vcc
	s_waitcnt lgkmcnt(0)
	v_cndmask_b32_e64 v59, v52, v85, s[56:57]
	v_cndmask_b32_e64 v52, v86, v96, s[6:7]
	;; [unrolled: 1-line block ×18, first 2 shown]
	ds_bpermute_b32 v73, v115, v52
	v_cndmask_b32_e64 v60, v74, v85, s[52:53]
	v_cndmask_b32_e64 v57, v54, v85, s[60:61]
	;; [unrolled: 1-line block ×4, first 2 shown]
	s_waitcnt lgkmcnt(0)
	v_cndmask_b32_e64 v90, v96, v73, s[6:7]
	scratch_load_dwordx2 v[96:97], off, off offset:20 ; 8-byte Folded Reload
	v_cndmask_b32_e64 v86, v86, v73, s[20:21]
	v_cndmask_b32_e64 v74, v48, v73, s[46:47]
	;; [unrolled: 1-line block ×31, first 2 shown]
	ds_bpermute_b32 v91, v115, v48
	v_readlane_b32 s6, v127, 30
	v_readlane_b32 s7, v127, 31
	;; [unrolled: 1-line block ×5, first 2 shown]
	v_cndmask_b32_e64 v62, v62, v85, s[10:11]
	v_cndmask_b32_e64 v58, v53, v85, s[58:59]
	;; [unrolled: 1-line block ×7, first 2 shown]
	v_cndmask_b32_e32 v48, v82, v85, vcc
	s_waitcnt lgkmcnt(0)
	v_cndmask_b32_e64 v79, v74, v91, s[8:9]
	v_cndmask_b32_e64 v78, v75, v91, s[10:11]
	;; [unrolled: 1-line block ×15, first 2 shown]
	v_cndmask_b32_e32 v64, v86, v91, vcc
	s_mov_b32 s12, 0
	v_readlane_b32 s35, v127, 11
	v_readlane_b32 s37, v127, 13
	v_readlane_b32 s38, v127, 14
	v_readlane_b32 s39, v127, 15
	v_readlane_b32 s40, v127, 16
	v_readlane_b32 s43, v127, 18
	v_readlane_b32 s41, v127, 19
	v_readlane_b32 s44, v127, 20
	v_readlane_b32 s45, v127, 21
	v_readlane_b32 s46, v127, 22
                                        ; implicit-def: $sgpr8_sgpr9
	s_waitcnt vmcnt(0)
	v_lshl_add_u64 v[86:87], s[6:7], 0, v[96:97]
	s_mov_b64 s[6:7], 0
	s_branch .LBB227_34
.LBB227_33:                             ;   in Loop: Header=BB227_34 Depth=2
	s_or_b64 exec, exec, s[10:11]
	s_and_b64 s[10:11], exec, s[8:9]
	s_or_b64 s[6:7], s[10:11], s[6:7]
	s_andn2_b64 exec, exec, s[6:7]
	s_cbranch_execz .LBB227_36
.LBB227_34:                             ;   Parent Loop BB227_7 Depth=1
                                        ; =>  This Inner Loop Header: Depth=2
	s_and_b32 s10, s12, 2
	s_and_b32 s11, s5, 24
	s_or_b32 s10, s11, s10
	v_or_b32_e32 v80, s10, v114
	v_add_u32_e32 v81, s99, v80
	v_cmp_gt_u32_e32 vcc, 32, v81
	s_or_b64 s[8:9], s[8:9], exec
	s_and_saveexec_b64 s[10:11], vcc
	s_cbranch_execz .LBB227_33
; %bb.35:                               ;   in Loop: Header=BB227_34 Depth=2
	s_add_i32 s13, s12, 1
	s_set_gpr_idx_on s12, gpr_idx(SRC0)
	v_mov_b32_e32 v81, v0
	s_set_gpr_idx_off
	v_cvt_f16_f32_e32 v82, v81
	s_set_gpr_idx_on s13, gpr_idx(SRC0)
	v_mov_b32_e32 v81, v0
	s_set_gpr_idx_off
	v_cvt_f16_f32_sdwa v83, v81 dst_sel:WORD_1 dst_unused:UNUSED_PAD src0_sel:DWORD
	v_mul_lo_u32 v80, v80, s25
	v_ashrrev_i32_e32 v81, 31, v80
	v_lshl_add_u64 v[80:81], v[80:81], 1, v[86:87]
	v_or_b32_e32 v82, v83, v82
	;;#ASMSTART
	global_atomic_pk_add_f16 v[80:81], v82, off
	
	;;#ASMEND
	s_set_gpr_idx_on s12, gpr_idx(SRC0)
	v_mov_b32_e32 v82, v16
	s_set_gpr_idx_off
	v_cvt_f16_f32_e32 v84, v82
	s_set_gpr_idx_on s13, gpr_idx(SRC0)
	v_mov_b32_e32 v82, v16
	s_set_gpr_idx_off
	v_cvt_f16_f32_sdwa v85, v82 dst_sel:WORD_1 dst_unused:UNUSED_PAD src0_sel:DWORD
	v_lshl_add_u64 v[82:83], v[80:81], 0, 64
	s_mov_b64 s[14:15], 0x80
	s_add_i32 s5, s5, 4
	v_or_b32_e32 v84, v85, v84
	;;#ASMSTART
	global_atomic_pk_add_f16 v[82:83], v84, off
	
	;;#ASMEND
	s_set_gpr_idx_on s12, gpr_idx(SRC0)
	v_mov_b32_e32 v82, v32
	s_set_gpr_idx_off
	v_cvt_f16_f32_e32 v84, v82
	s_set_gpr_idx_on s13, gpr_idx(SRC0)
	v_mov_b32_e32 v82, v32
	s_set_gpr_idx_off
	v_cvt_f16_f32_sdwa v85, v82 dst_sel:WORD_1 dst_unused:UNUSED_PAD src0_sel:DWORD
	v_lshl_add_u64 v[82:83], v[80:81], 0, s[14:15]
	s_mov_b64 s[14:15], 0xc0
	v_or_b32_e32 v84, v85, v84
	;;#ASMSTART
	global_atomic_pk_add_f16 v[82:83], v84, off
	
	;;#ASMEND
	s_set_gpr_idx_on s12, gpr_idx(SRC0)
	v_mov_b32_e32 v82, v48
	s_set_gpr_idx_off
	v_cvt_f16_f32_e32 v84, v82
	s_set_gpr_idx_on s13, gpr_idx(SRC0)
	v_mov_b32_e32 v82, v48
	s_set_gpr_idx_off
	v_cvt_f16_f32_sdwa v85, v82 dst_sel:WORD_1 dst_unused:UNUSED_PAD src0_sel:DWORD
	v_lshl_add_u64 v[82:83], v[80:81], 0, s[14:15]
	s_mov_b64 s[14:15], 0x100
	v_lshl_add_u64 v[80:81], v[80:81], 0, s[14:15]
	v_or_b32_e32 v84, v85, v84
	;;#ASMSTART
	global_atomic_pk_add_f16 v[82:83], v84, off
	
	;;#ASMEND
	s_set_gpr_idx_on s12, gpr_idx(SRC0)
	v_mov_b32_e32 v82, v64
	s_set_gpr_idx_off
	v_cvt_f16_f32_e32 v82, v82
	s_set_gpr_idx_on s13, gpr_idx(SRC0)
	v_mov_b32_e32 v83, v64
	s_set_gpr_idx_off
	s_add_i32 s12, s12, 2
	v_cvt_f16_f32_sdwa v83, v83 dst_sel:WORD_1 dst_unused:UNUSED_PAD src0_sel:DWORD
	s_cmp_eq_u32 s12, 16
	s_cselect_b64 s[14:15], -1, 0
	s_andn2_b64 s[8:9], s[8:9], exec
	s_and_b64 s[14:15], s[14:15], exec
	s_or_b64 s[8:9], s[8:9], s[14:15]
	v_or_b32_e32 v82, v83, v82
	;;#ASMSTART
	global_atomic_pk_add_f16 v[80:81], v82, off
	
	;;#ASMEND
	s_branch .LBB227_33
.LBB227_36:                             ;   in Loop: Header=BB227_7 Depth=1
	s_or_b64 exec, exec, s[6:7]
	scratch_load_dword v85, off, off offset:28 ; 4-byte Folded Reload
	v_readlane_b32 s16, v127, 2
	v_readlane_b32 s14, v127, 0
	;; [unrolled: 1-line block ×13, first 2 shown]
.LBB227_37:                             ;   in Loop: Header=BB227_7 Depth=1
	v_readlane_b32 s6, v127, 25
	v_readlane_b32 s7, v127, 26
	s_or_b64 exec, exec, s[6:7]
.LBB227_38:                             ;   in Loop: Header=BB227_7 Depth=1
	s_or_saveexec_b64 s[0:1], s[0:1]
	v_readlane_b32 s48, v127, 23
	s_mov_b32 s13, s4
	v_readlane_b32 s49, v127, 24
	s_xor_b64 exec, exec, s[0:1]
	s_cbranch_execz .LBB227_47
; %bb.39:                               ;   in Loop: Header=BB227_7 Depth=1
	s_mul_i32 s12, s98, 5
	v_cmp_gt_i32_e32 vcc, s12, v117
	s_and_saveexec_b64 s[6:7], vcc
	s_cbranch_execz .LBB227_46
; %bb.40:                               ;   in Loop: Header=BB227_7 Depth=1
	scratch_load_dwordx2 v[0:1], off, off offset:80 ; 8-byte Folded Reload
	scratch_load_dwordx2 v[2:3], off, off offset:8 ; 8-byte Folded Reload
	s_mul_i32 s4, s68, s27
	s_ashr_i32 s5, s4, 31
	s_add_u32 s4, s18, s4
	s_addc_u32 s5, s19, s5
	s_ashr_i32 s8, s13, 31
	s_add_u32 s4, s4, s13
	s_addc_u32 s5, s5, s8
	s_waitcnt vmcnt(1)
	v_lshl_add_u64 v[0:1], s[4:5], 0, v[0:1]
	s_waitcnt vmcnt(0)
	v_lshl_add_u64 v[8:9], v[0:1], 0, v[2:3]
	s_mov_b64 s[4:5], 0
	s_branch .LBB227_42
.LBB227_41:                             ;   in Loop: Header=BB227_42 Depth=2
	s_or_b64 exec, exec, s[8:9]
	v_lshl_or_b32 v12, v10, 11, v111
	;;#ASMSTART
	s_waitcnt vmcnt(1)
	;;#ASMEND
	ds_write2_b32 v12, v4, v5 offset1:32
	ds_write2_b32 v12, v6, v7 offset0:64 offset1:96
	v_add_u32_e32 v4, 0x400, v12
	v_add_u32_e32 v117, s30, v117
	;;#ASMSTART
	s_waitcnt vmcnt(0)
	;;#ASMEND
	ds_write2_b32 v4, v0, v1 offset1:32
	ds_write2_b32 v4, v2, v3 offset0:64 offset1:96
	v_add_u32_e32 v0, 1, v95
	v_add_u32_e32 v88, s30, v10
	v_cmp_le_i32_e32 vcc, s12, v117
	ds_write_b32 v11, v0 offset:32
	v_add_u32_e32 v0, 2, v95
	s_or_b64 s[4:5], vcc, s[4:5]
	v_cmp_lt_i32_e32 vcc, 19, v88
	s_nop 1
	v_cndmask_b32_e32 v95, v95, v0, vcc
	s_andn2_b64 exec, exec, s[4:5]
	s_cbranch_execz .LBB227_45
.LBB227_42:                             ;   Parent Loop BB227_7 Depth=1
                                        ; =>  This Loop Header: Depth=2
                                        ;       Child Loop BB227_44 Depth 3
	v_cmp_gt_i32_e32 vcc, 20, v88
	v_not_b32_e32 v0, 19
	s_mov_b32 s8, 0x66666667
	v_cndmask_b32_e64 v0, v0, 0, vcc
	v_add_u32_e32 v10, v0, v88
	v_mul_hi_i32 v0, v117, s8
	v_lshrrev_b32_e32 v1, 31, v0
	v_ashrrev_i32_e32 v0, 1, v0
	v_add_u32_e32 v0, v0, v1
	v_lshl_add_u32 v1, v0, 2, v0
	v_sub_u32_e32 v2, v117, v1
	v_lshlrev_b32_e32 v0, 6, v0
	v_ashrrev_i32_e32 v1, 31, v0
	v_mul_lo_u32 v2, s33, v2
	v_lshl_add_u64 v[0:1], v[8:9], 0, v[0:1]
	v_ashrrev_i32_e32 v3, 31, v2
	v_lshl_add_u64 v[0:1], v[0:1], 0, v[2:3]
	v_lshlrev_b32_e32 v11, 2, v10
	;;#ASMSTART
	global_load_dwordx4 v[4:7], v[0:1], off offset:0   sc0 sc1 nt  
	global_load_dwordx4 v[0:3], v[0:1], off offset:32  sc0 sc1 nt  
	
	;;#ASMEND
	ds_read_b32 v12, v11 offset:57376
	v_add_u32_e32 v11, 0xe000, v11
	s_waitcnt lgkmcnt(0)
	v_cmp_ne_u32_e32 vcc, v12, v95
	s_and_saveexec_b64 s[8:9], vcc
	s_cbranch_execz .LBB227_41
; %bb.43:                               ;   in Loop: Header=BB227_42 Depth=2
	s_mov_b64 s[10:11], 0
.LBB227_44:                             ;   Parent Loop BB227_7 Depth=1
                                        ;     Parent Loop BB227_42 Depth=2
                                        ; =>    This Inner Loop Header: Depth=3
	;;#ASMSTART
	s_sleep 0
	;;#ASMEND
	ds_read_b32 v12, v11 offset:32
	s_waitcnt lgkmcnt(0)
	v_cmp_eq_u32_e32 vcc, v12, v95
	s_or_b64 s[10:11], vcc, s[10:11]
	s_andn2_b64 exec, exec, s[10:11]
	s_cbranch_execnz .LBB227_44
	s_branch .LBB227_41
.LBB227_45:                             ;   in Loop: Header=BB227_7 Depth=1
	s_or_b64 exec, exec, s[4:5]
.LBB227_46:                             ;   in Loop: Header=BB227_7 Depth=1
	s_or_b64 exec, exec, s[6:7]
	v_subrev_u32_e32 v117, s12, v117
.LBB227_47:                             ;   in Loop: Header=BB227_7 Depth=1
	s_or_b64 exec, exec, s[0:1]
.LBB227_48:                             ;   in Loop: Header=BB227_7 Depth=1
	s_andn2_saveexec_b64 s[0:1], s[48:49]
	s_cbranch_execz .LBB227_6
; %bb.49:                               ;   in Loop: Header=BB227_7 Depth=1
	s_lshl_b32 s12, s98, 1
	v_cmp_gt_i32_e32 vcc, s12, v117
	s_and_saveexec_b64 s[4:5], vcc
	s_cbranch_execz .LBB227_5
; %bb.50:                               ;   in Loop: Header=BB227_7 Depth=1
	scratch_load_dword v0, off, off offset:16 ; 4-byte Folded Reload
	scratch_load_dwordx2 v[4:5], off, off offset:8 ; 8-byte Folded Reload
	s_mul_i32 s6, s47, s26
	s_ashr_i32 s7, s6, 31
	s_add_u32 s6, s16, s6
	s_waitcnt vmcnt(2)
	v_add_u32_e32 v2, s99, v85
	s_addc_u32 s7, s17, s7
	s_ashr_i32 s8, s13, 31
	v_cmp_gt_u32_e32 vcc, 64, v2
	s_add_u32 s6, s6, s13
	s_addc_u32 s7, s7, s8
	v_sub_u32_e32 v10, 63, v2
	s_waitcnt vmcnt(1)
	v_cndmask_b32_e32 v0, 0, v0, vcc
	v_ashrrev_i32_e32 v1, 31, v0
	v_lshl_add_u64 v[0:1], s[6:7], 0, v[0:1]
	s_waitcnt vmcnt(0)
	v_lshl_add_u64 v[8:9], v[0:1], 0, v[4:5]
	s_mov_b64 s[6:7], 0
	s_branch .LBB227_52
.LBB227_51:                             ;   in Loop: Header=BB227_52 Depth=2
	s_or_b64 exec, exec, s[8:9]
	v_lshl_add_u32 v13, v11, 11, v113
	;;#ASMSTART
	s_waitcnt vmcnt(1)
	;;#ASMEND
	ds_write2_b32 v13, v4, v5 offset1:32
	ds_write2_b32 v13, v6, v7 offset0:64 offset1:96
	v_add_u32_e32 v4, 0x400, v13
	v_add_u32_e32 v117, s29, v117
	;;#ASMSTART
	s_waitcnt vmcnt(0)
	;;#ASMEND
	ds_write2_b32 v4, v0, v1 offset1:32
	ds_write2_b32 v4, v2, v3 offset0:64 offset1:96
	v_add_u32_e32 v0, 1, v95
	v_add_u32_e32 v88, s29, v11
	v_cmp_le_i32_e32 vcc, s12, v117
	ds_write_b32 v12, v0
	v_add_u32_e32 v0, 2, v95
	s_or_b64 s[6:7], vcc, s[6:7]
	v_cmp_lt_i32_e32 vcc, 7, v88
	s_nop 1
	v_cndmask_b32_e32 v95, v95, v0, vcc
	s_andn2_b64 exec, exec, s[6:7]
	s_cbranch_execz .LBB227_4
.LBB227_52:                             ;   Parent Loop BB227_7 Depth=1
                                        ; =>  This Loop Header: Depth=2
                                        ;       Child Loop BB227_54 Depth 3
	v_cmp_gt_i32_e32 vcc, 8, v88
	s_nop 1
	v_cndmask_b32_e64 v0, -8, 0, vcc
	v_add_u32_e32 v11, v0, v88
	v_lshrrev_b32_e32 v0, 31, v117
	v_add_u32_e32 v0, v117, v0
	v_and_b32_e32 v1, 0x7fffffe, v0
	v_sub_u32_e32 v1, v117, v1
	v_lshlrev_b32_e32 v1, 5, v1
	v_cmp_le_i32_e32 vcc, v1, v10
	v_lshlrev_b32_e32 v0, 5, v0
	v_and_b32_e32 v0, 0xffffffc0, v0
	v_cndmask_b32_e32 v2, 0, v1, vcc
	v_ashrrev_i32_e32 v1, 31, v0
	v_mul_lo_u32 v2, v2, s26
	v_lshl_add_u64 v[0:1], v[8:9], 0, v[0:1]
	v_ashrrev_i32_e32 v3, 31, v2
	v_lshl_add_u64 v[0:1], v[0:1], 0, v[2:3]
	v_lshlrev_b32_e32 v12, 2, v11
	;;#ASMSTART
	global_load_dwordx4 v[4:7], v[0:1], off offset:0   
	global_load_dwordx4 v[0:3], v[0:1], off offset:32  
	
	;;#ASMEND
	ds_read_b32 v13, v12 offset:57344
	v_add_u32_e32 v12, 0xe000, v12
	s_waitcnt lgkmcnt(0)
	v_cmp_ne_u32_e32 vcc, v13, v95
	s_and_saveexec_b64 s[8:9], vcc
	s_cbranch_execz .LBB227_51
; %bb.53:                               ;   in Loop: Header=BB227_52 Depth=2
	s_mov_b64 s[10:11], 0
.LBB227_54:                             ;   Parent Loop BB227_7 Depth=1
                                        ;     Parent Loop BB227_52 Depth=2
                                        ; =>    This Inner Loop Header: Depth=3
	;;#ASMSTART
	s_sleep 0
	;;#ASMEND
	ds_read_b32 v13, v12
	s_waitcnt lgkmcnt(0)
	v_cmp_eq_u32_e32 vcc, v13, v95
	s_or_b64 s[10:11], vcc, s[10:11]
	s_andn2_b64 exec, exec, s[10:11]
	s_cbranch_execnz .LBB227_54
	s_branch .LBB227_51
.LBB227_55:
	s_endpgm
	.section	.rodata,"a",@progbits
	.p2align	6, 0x0
	.amdhsa_kernel _Z19_skinny_gemm_kernelILi2ELi5ELi4ELi32ELi4EEvPKhS1_P6__halfPKfiiiiiiii
		.amdhsa_group_segment_fixed_size 57456
		.amdhsa_private_segment_fixed_size 92
		.amdhsa_kernarg_size 64
		.amdhsa_user_sgpr_count 2
		.amdhsa_user_sgpr_dispatch_ptr 0
		.amdhsa_user_sgpr_queue_ptr 0
		.amdhsa_user_sgpr_kernarg_segment_ptr 1
		.amdhsa_user_sgpr_dispatch_id 0
		.amdhsa_user_sgpr_kernarg_preload_length 0
		.amdhsa_user_sgpr_kernarg_preload_offset 0
		.amdhsa_user_sgpr_private_segment_size 0
		.amdhsa_uses_dynamic_stack 0
		.amdhsa_enable_private_segment 1
		.amdhsa_system_sgpr_workgroup_id_x 1
		.amdhsa_system_sgpr_workgroup_id_y 0
		.amdhsa_system_sgpr_workgroup_id_z 0
		.amdhsa_system_sgpr_workgroup_info 0
		.amdhsa_system_vgpr_workitem_id 0
		.amdhsa_next_free_vgpr 128
		.amdhsa_next_free_sgpr 100
		.amdhsa_accum_offset 128
		.amdhsa_reserve_vcc 1
		.amdhsa_float_round_mode_32 0
		.amdhsa_float_round_mode_16_64 0
		.amdhsa_float_denorm_mode_32 3
		.amdhsa_float_denorm_mode_16_64 3
		.amdhsa_dx10_clamp 1
		.amdhsa_ieee_mode 1
		.amdhsa_fp16_overflow 0
		.amdhsa_tg_split 0
		.amdhsa_exception_fp_ieee_invalid_op 0
		.amdhsa_exception_fp_denorm_src 0
		.amdhsa_exception_fp_ieee_div_zero 0
		.amdhsa_exception_fp_ieee_overflow 0
		.amdhsa_exception_fp_ieee_underflow 0
		.amdhsa_exception_fp_ieee_inexact 0
		.amdhsa_exception_int_div_zero 0
	.end_amdhsa_kernel
	.section	.text._Z19_skinny_gemm_kernelILi2ELi5ELi4ELi32ELi4EEvPKhS1_P6__halfPKfiiiiiiii,"axG",@progbits,_Z19_skinny_gemm_kernelILi2ELi5ELi4ELi32ELi4EEvPKhS1_P6__halfPKfiiiiiiii,comdat
.Lfunc_end227:
	.size	_Z19_skinny_gemm_kernelILi2ELi5ELi4ELi32ELi4EEvPKhS1_P6__halfPKfiiiiiiii, .Lfunc_end227-_Z19_skinny_gemm_kernelILi2ELi5ELi4ELi32ELi4EEvPKhS1_P6__halfPKfiiiiiiii
                                        ; -- End function
	.set _Z19_skinny_gemm_kernelILi2ELi5ELi4ELi32ELi4EEvPKhS1_P6__halfPKfiiiiiiii.num_vgpr, 128
	.set _Z19_skinny_gemm_kernelILi2ELi5ELi4ELi32ELi4EEvPKhS1_P6__halfPKfiiiiiiii.num_agpr, 0
	.set _Z19_skinny_gemm_kernelILi2ELi5ELi4ELi32ELi4EEvPKhS1_P6__halfPKfiiiiiiii.numbered_sgpr, 100
	.set _Z19_skinny_gemm_kernelILi2ELi5ELi4ELi32ELi4EEvPKhS1_P6__halfPKfiiiiiiii.num_named_barrier, 0
	.set _Z19_skinny_gemm_kernelILi2ELi5ELi4ELi32ELi4EEvPKhS1_P6__halfPKfiiiiiiii.private_seg_size, 92
	.set _Z19_skinny_gemm_kernelILi2ELi5ELi4ELi32ELi4EEvPKhS1_P6__halfPKfiiiiiiii.uses_vcc, 1
	.set _Z19_skinny_gemm_kernelILi2ELi5ELi4ELi32ELi4EEvPKhS1_P6__halfPKfiiiiiiii.uses_flat_scratch, 0
	.set _Z19_skinny_gemm_kernelILi2ELi5ELi4ELi32ELi4EEvPKhS1_P6__halfPKfiiiiiiii.has_dyn_sized_stack, 0
	.set _Z19_skinny_gemm_kernelILi2ELi5ELi4ELi32ELi4EEvPKhS1_P6__halfPKfiiiiiiii.has_recursion, 0
	.set _Z19_skinny_gemm_kernelILi2ELi5ELi4ELi32ELi4EEvPKhS1_P6__halfPKfiiiiiiii.has_indirect_call, 0
	.section	.AMDGPU.csdata,"",@progbits
; Kernel info:
; codeLenInByte = 16856
; TotalNumSgprs: 106
; NumVgprs: 128
; NumAgprs: 0
; TotalNumVgprs: 128
; ScratchSize: 92
; MemoryBound: 0
; FloatMode: 240
; IeeeMode: 1
; LDSByteSize: 57456 bytes/workgroup (compile time only)
; SGPRBlocks: 13
; VGPRBlocks: 15
; NumSGPRsForWavesPerEU: 106
; NumVGPRsForWavesPerEU: 128
; AccumOffset: 128
; Occupancy: 4
; WaveLimiterHint : 0
; COMPUTE_PGM_RSRC2:SCRATCH_EN: 1
; COMPUTE_PGM_RSRC2:USER_SGPR: 2
; COMPUTE_PGM_RSRC2:TRAP_HANDLER: 0
; COMPUTE_PGM_RSRC2:TGID_X_EN: 1
; COMPUTE_PGM_RSRC2:TGID_Y_EN: 0
; COMPUTE_PGM_RSRC2:TGID_Z_EN: 0
; COMPUTE_PGM_RSRC2:TIDIG_COMP_CNT: 0
; COMPUTE_PGM_RSRC3_GFX90A:ACCUM_OFFSET: 31
; COMPUTE_PGM_RSRC3_GFX90A:TG_SPLIT: 0
	.section	.text._Z19_skinny_gemm_kernelILi2ELi6ELi1ELi16ELi4EEvPKhS1_P6__halfPKfiiiiiiii,"axG",@progbits,_Z19_skinny_gemm_kernelILi2ELi6ELi1ELi16ELi4EEvPKhS1_P6__halfPKfiiiiiiii,comdat
	.protected	_Z19_skinny_gemm_kernelILi2ELi6ELi1ELi16ELi4EEvPKhS1_P6__halfPKfiiiiiiii ; -- Begin function _Z19_skinny_gemm_kernelILi2ELi6ELi1ELi16ELi4EEvPKhS1_P6__halfPKfiiiiiiii
	.globl	_Z19_skinny_gemm_kernelILi2ELi6ELi1ELi16ELi4EEvPKhS1_P6__halfPKfiiiiiiii
	.p2align	8
	.type	_Z19_skinny_gemm_kernelILi2ELi6ELi1ELi16ELi4EEvPKhS1_P6__halfPKfiiiiiiii,@function
_Z19_skinny_gemm_kernelILi2ELi6ELi1ELi16ELi4EEvPKhS1_P6__halfPKfiiiiiiii: ; @_Z19_skinny_gemm_kernelILi2ELi6ELi1ELi16ELi4EEvPKhS1_P6__halfPKfiiiiiiii
; %bb.0:
	v_cmp_gt_u32_e32 vcc, 8, v0
	v_lshlrev_b32_e32 v1, 2, v0
	s_and_saveexec_b64 s[4:5], vcc
; %bb.1:
	v_mov_b32_e32 v2, 0
	ds_write_b32 v1, v2 offset:16384
; %bb.2:
	s_or_b64 exec, exec, s[4:5]
	s_load_dwordx8 s[20:27], s[0:1], 0x20
	s_mov_b32 s58, 0x2aaaaaab
	s_waitcnt lgkmcnt(0)
	s_barrier
	s_add_i32 s3, s20, 31
	s_ashr_i32 s5, s3, 31
	s_lshr_b32 s5, s5, 27
	s_add_i32 s4, s21, 0x5f
	s_add_i32 s3, s3, s5
	s_ashr_i32 s33, s3, 5
	s_mul_hi_i32 s3, s4, 0x2aaaaaab
	s_lshr_b32 s4, s3, 31
	s_ashr_i32 s56, s3, 4
	s_add_i32 s56, s56, s4
	s_mul_i32 s3, s56, s33
	s_mul_i32 s3, s3, s24
	s_add_i32 s4, s3, 0x12f
	s_mul_hi_i32 s4, s4, 0x6bca1af3
	s_lshr_b32 s5, s4, 31
	s_ashr_i32 s4, s4, 7
	s_add_i32 s4, s4, s5
	s_add_i32 s5, s2, 1
	s_mul_i32 s5, s4, s5
	v_cvt_f64_i32_e32 v[2:3], s3
	v_cvt_f64_u32_e32 v[4:5], s5
	v_min_f64 v[2:3], v[2:3], v[4:5]
	v_cvt_i32_f64_e32 v49, v[2:3]
	s_mul_i32 s57, s4, s2
	v_cmp_ge_i32_e32 vcc, s57, v49
	s_cbranch_vccnz .LBB228_62
; %bb.3:
	v_lshrrev_b32_e32 v2, 6, v0
	s_add_i32 s4, s26, s25
	s_load_dwordx8 s[36:43], s[0:1], 0x0
	v_cmp_le_i32_e64 s[0:1], s4, v2
	v_mov_b32_e32 v3, s25
	v_cmp_le_i32_e64 s[2:3], s25, v2
	v_mov_b32_e32 v4, s26
	v_cndmask_b32_e64 v4, 0, v4, s[0:1]
	v_cndmask_b32_e64 v3, 0, v3, s[2:3]
	s_abs_i32 s5, s24
	v_add_u32_e32 v3, v3, v4
	v_cvt_f32_u32_e32 v4, s5
	v_sub_u32_e32 v62, v2, v3
	s_ashr_i32 s6, s22, 31
	s_lshr_b32 s6, s6, 25
	v_rcp_iflag_f32_e32 v3, v4
	s_sub_i32 s9, 0, s5
	s_add_i32 s6, s22, s6
	s_ashr_i32 s6, s6, 7
	v_mul_f32_e32 v3, 0x4f7ffffe, v3
	v_cvt_u32_f32_e32 v3, v3
	s_abs_i32 s8, s6
	s_xor_b32 s7, s6, s24
	s_ashr_i32 s7, s7, 31
	v_readfirstlane_b32 s10, v3
	s_mul_i32 s9, s9, s10
	s_mul_hi_u32 s9, s10, s9
	s_add_i32 s10, s10, s9
	s_mul_hi_u32 s9, s8, s10
	s_mul_i32 s10, s9, s5
	s_sub_i32 s8, s8, s10
	s_add_i32 s10, s9, 1
	s_sub_i32 s11, s8, s5
	s_cmp_ge_u32 s8, s5
	s_cselect_b32 s9, s10, s9
	s_cselect_b32 s8, s11, s8
	s_add_i32 s10, s9, 1
	s_cmp_ge_u32 s8, s5
	s_cselect_b32 s5, s10, s9
	s_xor_b32 s5, s5, s7
	s_sub_i32 s59, s5, s7
	s_add_i32 s24, s24, -1
	s_mul_i32 s5, s59, s24
	s_add_i32 s4, s4, s27
	s_sub_i32 s60, s6, s5
	v_cmp_gt_i32_e64 s[4:5], s4, v2
	v_lshlrev_b32_e32 v2, 1, v0
	v_lshlrev_b32_e32 v3, 4, v0
	v_and_b32_e32 v1, 60, v1
	v_and_b32_e32 v2, 64, v2
	;; [unrolled: 1-line block ×3, first 2 shown]
	v_or3_b32 v79, v1, v2, v4
	v_and_b32_e32 v1, 1, v0
	v_lshrrev_b32_e32 v4, 2, v0
	s_abs_i32 s62, s33
	v_and_or_b32 v88, v4, 12, v1
	v_cvt_f32_u32_e32 v4, s62
	v_lshlrev_b32_e32 v2, 1, v1
	v_and_b32_e32 v48, 14, v0
	v_sub_u32_e32 v2, v0, v2
	v_bitop3_b32 v81, v0, 1, v0 bitop3:0xc
	v_bitop3_b32 v82, v0, 3, 1 bitop3:0x6c
	v_and_b32_e32 v54, 48, v3
	v_bfe_u32 v90, v0, 2, 4
	v_and_b32_e32 v1, 60, v0
	v_lshlrev_b32_e32 v3, 8, v0
	v_lshlrev_b32_e32 v0, 6, v0
	v_and_b32_e32 v3, 0x200, v3
	v_and_b32_e32 v0, 64, v0
	v_or3_b32 v91, v1, v3, v0
	v_rcp_iflag_f32_e32 v0, v4
	s_abs_i32 s64, s56
	v_cvt_f32_u32_e32 v1, s64
	v_mad_u64_u32 v[50:51], s[6:7], s21, v88, v[48:49]
	v_mul_f32_e32 v0, 0x4f7ffffe, v0
	v_cvt_u32_f32_e32 v0, v0
	v_rcp_iflag_f32_e32 v1, v1
	s_sub_i32 s6, 0, s62
	v_add_u32_e32 v2, 1, v2
	v_readfirstlane_b32 s7, v0
	v_mul_f32_e32 v0, 0x4f7ffffe, v1
	v_cvt_u32_f32_e32 v0, v0
	s_mul_i32 s6, s6, s7
	s_mul_hi_u32 s6, s7, s6
	s_add_i32 s66, s7, s6
	s_sub_i32 s6, 0, s64
	v_readfirstlane_b32 s7, v0
	v_mbcnt_lo_u32_b32 v0, -1, 0
	v_and_b32_e32 v2, 63, v2
	s_mul_i32 s6, s6, s7
	v_mbcnt_hi_u32_b32 v0, -1, v0
	v_lshl_add_u32 v52, s21, 4, v50
	v_mul_lo_u32 v56, s23, v90
	s_mul_hi_u32 s6, s7, s6
	v_and_or_b32 v0, v0, 64, v2
	v_cndmask_b32_e64 v78, 0, 1, s[0:1]
	s_movk_i32 s61, 0x3000
	v_or_b32_e32 v80, 0x3000, v79
	s_ashr_i32 s29, s21, 31
	s_mov_b32 s28, s21
	v_or_b32_e32 v83, 16, v48
	v_or_b32_e32 v84, 32, v48
	;; [unrolled: 1-line block ×5, first 2 shown]
	v_ashrrev_i32_e32 v51, 31, v50
	v_or_b32_e32 v89, 16, v88
	v_ashrrev_i32_e32 v53, 31, v52
	v_ashrrev_i32_e32 v57, 31, v56
	v_mov_b32_e32 v55, 0
	s_lshl_b32 s63, s23, 4
	v_mul_lo_u32 v92, s22, v90
	v_or_b32_e32 v93, 0x3000, v91
	s_ashr_i32 s65, s33, 31
	s_ashr_i32 s67, s56, 31
	s_add_i32 s68, s7, s6
	s_mov_b64 s[30:31], 0x60
	s_mov_b64 s[34:35], 0x80
	;; [unrolled: 1-line block ×3, first 2 shown]
	v_lshlrev_b32_e32 v94, 2, v0
	v_mov_b32_e32 v95, v62
	s_branch .LBB228_7
.LBB228_4:                              ;   in Loop: Header=BB228_7 Depth=1
	s_or_b64 exec, exec, s[10:11]
.LBB228_5:                              ;   in Loop: Header=BB228_7 Depth=1
	s_or_b64 exec, exec, s[8:9]
	v_subrev_u32_e32 v95, s16, v95
.LBB228_6:                              ;   in Loop: Header=BB228_7 Depth=1
	s_or_b64 exec, exec, s[6:7]
	s_add_i32 s57, s57, 1
	v_cmp_ge_i32_e32 vcc, s57, v49
	s_cbranch_vccnz .LBB228_62
.LBB228_7:                              ; =>This Loop Header: Depth=1
                                        ;     Child Loop BB228_13 Depth 2
                                        ;       Child Loop BB228_15 Depth 3
                                        ;       Child Loop BB228_18 Depth 3
	;; [unrolled: 1-line block ×8, first 2 shown]
                                        ;     Child Loop BB228_49 Depth 2
                                        ;       Child Loop BB228_51 Depth 3
                                        ;     Child Loop BB228_59 Depth 2
                                        ;       Child Loop BB228_61 Depth 3
	s_abs_i32 s7, s57
	s_mul_hi_u32 s8, s7, s66
	s_mul_i32 s9, s8, s62
	s_ashr_i32 s6, s57, 31
	s_sub_i32 s7, s7, s9
	s_xor_b32 s6, s6, s65
	s_add_i32 s9, s8, 1
	s_sub_i32 s10, s7, s62
	s_cmp_ge_u32 s7, s62
	s_cselect_b32 s8, s9, s8
	s_cselect_b32 s7, s10, s7
	s_add_i32 s9, s8, 1
	s_cmp_ge_u32 s7, s62
	s_cselect_b32 s7, s9, s8
	s_xor_b32 s7, s7, s6
	s_sub_i32 s6, s7, s6
	s_abs_i32 s8, s6
	s_mul_i32 s7, s6, s33
	s_mul_hi_u32 s9, s8, s68
	s_sub_i32 s7, s57, s7
	s_mul_i32 s10, s9, s64
	s_lshl_b32 s69, s7, 5
	s_ashr_i32 s7, s6, 31
	s_sub_i32 s8, s8, s10
	s_xor_b32 s7, s7, s67
	s_add_i32 s10, s9, 1
	s_sub_i32 s11, s8, s64
	s_cmp_ge_u32 s8, s64
	s_cselect_b32 s9, s10, s9
	s_cselect_b32 s8, s11, s8
	s_add_i32 s10, s9, 1
	s_cmp_ge_u32 s8, s64
	s_cselect_b32 s8, s10, s9
	s_xor_b32 s8, s8, s7
	s_sub_i32 s7, s8, s7
	s_mul_i32 s8, s7, s59
	s_lshl_b32 s70, s8, 7
	s_cmp_eq_u32 s7, s24
	s_cselect_b32 s72, s60, s59
	s_sub_i32 s8, s69, s20
	s_add_i32 s8, s8, 32
	s_max_i32 s71, s8, 0
	s_and_saveexec_b64 s[8:9], s[2:3]
	s_xor_b64 s[46:47], exec, s[8:9]
	s_cbranch_execz .LBB228_55
; %bb.8:                                ;   in Loop: Header=BB228_7 Depth=1
	s_mul_i32 s7, s7, s56
	s_sub_i32 s6, s6, s7
	s_mulk_i32 s6, 0x60
	s_sub_i32 s49, s6, s21
	s_addk_i32 s49, 0x60
	s_max_i32 s7, s49, 0
	s_sub_i32 s48, s6, s7
	s_and_saveexec_b64 s[6:7], s[0:1]
	s_xor_b64 s[50:51], exec, s[6:7]
	s_cbranch_execz .LBB228_45
; %bb.9:                                ;   in Loop: Header=BB228_7 Depth=1
	s_and_saveexec_b64 s[52:53], s[4:5]
	s_cbranch_execz .LBB228_44
; %bb.10:                               ;   in Loop: Header=BB228_7 Depth=1
	s_waitcnt lgkmcnt(0)
	global_load_dword v96, v55, s[42:43]
	v_mov_b32_e32 v47, 0
	v_cmp_gt_i32_e32 vcc, s72, v95
	v_mov_b32_e32 v46, v47
	v_mov_b32_e32 v45, v47
	;; [unrolled: 1-line block ×47, first 2 shown]
	s_and_saveexec_b64 s[6:7], vcc
	s_cbranch_execz .LBB228_38
; %bb.11:                               ;   in Loop: Header=BB228_7 Depth=1
	v_mov_b32_e32 v8, 0
	s_mov_b64 s[8:9], 0
	v_mov_b32_e32 v9, v8
	v_mov_b32_e32 v10, v8
	;; [unrolled: 1-line block ×47, first 2 shown]
	s_branch .LBB228_13
.LBB228_12:                             ;   in Loop: Header=BB228_13 Depth=2
	s_or_b64 exec, exec, s[10:11]
	v_add_u32_e32 v75, 0x2800, v74
	ds_read2_b32 v[76:77], v75 offset1:32
	v_add_u32_e32 v100, 0x2c00, v74
	v_add_u32_e32 v95, s27, v95
	s_waitcnt lgkmcnt(0)
	v_mfma_f32_16x16x32_fp8_fp8 v[24:27], v[58:59], v[76:77], v[24:27]
	ds_read2_b32 v[58:59], v75 offset0:128 offset1:160
	ds_read2_b32 v[74:75], v100 offset1:32
	v_mfma_f32_16x16x32_fp8_fp8 v[8:11], v[68:69], v[76:77], v[8:11]
	s_waitcnt lgkmcnt(1)
	v_mfma_f32_16x16x32_fp8_fp8 v[24:27], v[62:63], v[58:59], v[24:27]
	v_add_u32_e32 v62, s27, v97
	v_cmp_lt_i32_e32 vcc, 0, v62
	v_mfma_f32_16x16x32_fp8_fp8 v[8:11], v[72:73], v[58:59], v[8:11]
	v_add_u32_e32 v58, 2, v78
	v_cndmask_b32_e32 v78, v78, v58, vcc
	v_cmp_le_i32_e32 vcc, s72, v95
	s_waitcnt lgkmcnt(0)
	v_mfma_f32_16x16x32_fp8_fp8 v[24:27], v[64:65], v[74:75], v[24:27]
	ds_read2_b32 v[64:65], v100 offset0:128 offset1:160
	s_or_b64 s[8:9], vcc, s[8:9]
	;;#ASMSTART
	s_waitcnt lgkmcnt(0)
	;;#ASMEND
	v_mfma_f32_16x16x32_fp8_fp8 v[8:11], v[70:71], v[74:75], v[8:11]
	ds_write_b32 v98, v99 offset:16412
	s_waitcnt lgkmcnt(1)
	v_mfma_f32_16x16x32_fp8_fp8 v[24:27], v[66:67], v[64:65], v[24:27]
	v_mfma_f32_16x16x32_fp8_fp8 v[8:11], v[60:61], v[64:65], v[8:11]
	s_andn2_b64 exec, exec, s[8:9]
	s_cbranch_execz .LBB228_37
.LBB228_13:                             ;   Parent Loop BB228_7 Depth=1
                                        ; =>  This Loop Header: Depth=2
                                        ;       Child Loop BB228_15 Depth 3
                                        ;       Child Loop BB228_18 Depth 3
	;; [unrolled: 1-line block ×8, first 2 shown]
	v_cmp_lt_i32_e32 vcc, 0, v62
	s_nop 1
	v_subbrev_co_u32_e32 v97, vcc, 0, v62, vcc
	v_mul_lo_u32 v98, v97, 24
	ds_read_b32 v58, v98 offset:16392
	s_waitcnt lgkmcnt(0)
	v_cmp_ne_u32_e32 vcc, v58, v78
	s_and_saveexec_b64 s[10:11], vcc
	s_cbranch_execz .LBB228_16
; %bb.14:                               ;   in Loop: Header=BB228_13 Depth=2
	s_mov_b64 s[12:13], 0
.LBB228_15:                             ;   Parent Loop BB228_7 Depth=1
                                        ;     Parent Loop BB228_13 Depth=2
                                        ; =>    This Inner Loop Header: Depth=3
	;;#ASMSTART
	s_sleep 0
	;;#ASMEND
	ds_read_b32 v58, v98 offset:16392
	s_waitcnt lgkmcnt(0)
	v_cmp_eq_u32_e32 vcc, v58, v78
	s_or_b64 s[12:13], vcc, s[12:13]
	s_andn2_b64 exec, exec, s[12:13]
	s_cbranch_execnz .LBB228_15
.LBB228_16:                             ;   in Loop: Header=BB228_13 Depth=2
	s_or_b64 exec, exec, s[10:11]
	v_mul_lo_u32 v100, v97, s61
	v_or_b32_e32 v58, v79, v100
	ds_read2_b32 v[70:71], v58 offset1:32
	ds_read2_b32 v[60:61], v58 offset0:128 offset1:160
	v_add_u32_e32 v58, 0x400, v58
	v_lshlrev_b32_e32 v101, 3, v97
	ds_read2_b32 v[76:77], v58 offset1:32
	ds_read2_b32 v[74:75], v58 offset0:128 offset1:160
	;;#ASMSTART
	s_waitcnt lgkmcnt(0)
	;;#ASMEND
	ds_read_b32 v58, v101 offset:16384
	v_add_u32_e32 v99, 1, v78
	ds_write_b32 v98, v99 offset:16392
	s_waitcnt lgkmcnt(1)
	v_cmp_ne_u32_e32 vcc, v58, v78
	s_and_saveexec_b64 s[10:11], vcc
	s_cbranch_execz .LBB228_19
; %bb.17:                               ;   in Loop: Header=BB228_13 Depth=2
	s_mov_b64 s[12:13], 0
.LBB228_18:                             ;   Parent Loop BB228_7 Depth=1
                                        ;     Parent Loop BB228_13 Depth=2
                                        ; =>    This Inner Loop Header: Depth=3
	;;#ASMSTART
	s_sleep 0
	;;#ASMEND
	ds_read_b32 v58, v101 offset:16384
	s_waitcnt lgkmcnt(0)
	v_cmp_eq_u32_e32 vcc, v58, v78
	s_or_b64 s[12:13], vcc, s[12:13]
	s_andn2_b64 exec, exec, s[12:13]
	s_cbranch_execnz .LBB228_18
.LBB228_19:                             ;   in Loop: Header=BB228_13 Depth=2
	s_or_b64 exec, exec, s[10:11]
	v_lshlrev_b32_e32 v58, 12, v97
	v_add_u32_e32 v102, v80, v58
	ds_read2_b32 v[58:59], v102 offset1:32
	ds_read2_b32 v[62:63], v102 offset0:128 offset1:160
	v_add_u32_e32 v66, 0x400, v102
	ds_read2_b32 v[64:65], v66 offset1:32
	ds_read2_b32 v[66:67], v66 offset0:128 offset1:160
	ds_read_b32 v68, v101 offset:16388
	ds_write_b32 v101, v99 offset:16384
	s_waitcnt lgkmcnt(5)
	v_mfma_f32_16x16x32_fp8_fp8 v[44:47], v[58:59], v[70:71], v[44:47]
	s_waitcnt lgkmcnt(1)
	v_cmp_ne_u32_e32 vcc, v68, v78
	v_mfma_f32_16x16x32_fp8_fp8 v[44:47], v[62:63], v[60:61], v[44:47]
	v_mfma_f32_16x16x32_fp8_fp8 v[44:47], v[64:65], v[76:77], v[44:47]
	;; [unrolled: 1-line block ×3, first 2 shown]
	s_and_saveexec_b64 s[10:11], vcc
	s_cbranch_execz .LBB228_22
; %bb.20:                               ;   in Loop: Header=BB228_13 Depth=2
	s_mov_b64 s[12:13], 0
.LBB228_21:                             ;   Parent Loop BB228_7 Depth=1
                                        ;     Parent Loop BB228_13 Depth=2
                                        ; =>    This Inner Loop Header: Depth=3
	;;#ASMSTART
	s_sleep 0
	;;#ASMEND
	ds_read_b32 v68, v101 offset:16388
	s_waitcnt lgkmcnt(0)
	v_cmp_eq_u32_e32 vcc, v68, v78
	s_or_b64 s[12:13], vcc, s[12:13]
	s_andn2_b64 exec, exec, s[12:13]
	s_cbranch_execnz .LBB228_21
.LBB228_22:                             ;   in Loop: Header=BB228_13 Depth=2
	s_or_b64 exec, exec, s[10:11]
	v_add_u32_e32 v72, 0x800, v102
	ds_read2_b32 v[68:69], v72 offset1:32
	ds_read2_b32 v[72:73], v72 offset0:128 offset1:160
	v_add_u32_e32 v102, 0xc00, v102
	s_waitcnt lgkmcnt(1)
	v_mfma_f32_16x16x32_fp8_fp8 v[20:23], v[68:69], v[70:71], v[20:23]
	ds_read2_b32 v[70:71], v102 offset1:32
	s_waitcnt lgkmcnt(1)
	v_mfma_f32_16x16x32_fp8_fp8 v[20:23], v[72:73], v[60:61], v[20:23]
	s_waitcnt lgkmcnt(0)
	v_mfma_f32_16x16x32_fp8_fp8 v[20:23], v[70:71], v[76:77], v[20:23]
	ds_read2_b32 v[60:61], v102 offset0:128 offset1:160
	ds_read_b32 v76, v98 offset:16396
	ds_write_b32 v101, v99 offset:16388
	s_waitcnt lgkmcnt(1)
	v_cmp_ne_u32_e32 vcc, v76, v78
	v_mfma_f32_16x16x32_fp8_fp8 v[20:23], v[60:61], v[74:75], v[20:23]
	s_and_saveexec_b64 s[10:11], vcc
	s_cbranch_execz .LBB228_25
; %bb.23:                               ;   in Loop: Header=BB228_13 Depth=2
	s_mov_b64 s[12:13], 0
.LBB228_24:                             ;   Parent Loop BB228_7 Depth=1
                                        ;     Parent Loop BB228_13 Depth=2
                                        ; =>    This Inner Loop Header: Depth=3
	;;#ASMSTART
	s_sleep 0
	;;#ASMEND
	ds_read_b32 v74, v98 offset:16396
	s_waitcnt lgkmcnt(0)
	v_cmp_eq_u32_e32 vcc, v74, v78
	s_or_b64 s[12:13], vcc, s[12:13]
	s_andn2_b64 exec, exec, s[12:13]
	s_cbranch_execnz .LBB228_24
.LBB228_25:                             ;   in Loop: Header=BB228_13 Depth=2
	s_or_b64 exec, exec, s[10:11]
	v_add_u32_e32 v74, v79, v100
	v_add_u32_e32 v75, 0x800, v74
	ds_read2_b32 v[76:77], v75 offset1:32
	s_waitcnt lgkmcnt(0)
	v_mfma_f32_16x16x32_fp8_fp8 v[40:43], v[58:59], v[76:77], v[40:43]
	v_mfma_f32_16x16x32_fp8_fp8 v[16:19], v[68:69], v[76:77], v[16:19]
	ds_read2_b32 v[76:77], v75 offset0:128 offset1:160
	v_add_u32_e32 v75, 0xc00, v74
	ds_read2_b32 v[100:101], v75 offset1:32
	s_waitcnt lgkmcnt(1)
	v_mfma_f32_16x16x32_fp8_fp8 v[40:43], v[62:63], v[76:77], v[40:43]
	ds_read2_b32 v[102:103], v75 offset0:128 offset1:160
	;;#ASMSTART
	s_waitcnt lgkmcnt(0)
	;;#ASMEND
	ds_read_b32 v75, v98 offset:16400
	v_mfma_f32_16x16x32_fp8_fp8 v[16:19], v[72:73], v[76:77], v[16:19]
	ds_write_b32 v98, v99 offset:16396
	s_waitcnt lgkmcnt(1)
	v_cmp_ne_u32_e32 vcc, v75, v78
	v_mfma_f32_16x16x32_fp8_fp8 v[40:43], v[64:65], v[100:101], v[40:43]
	v_mfma_f32_16x16x32_fp8_fp8 v[16:19], v[70:71], v[100:101], v[16:19]
	v_mfma_f32_16x16x32_fp8_fp8 v[40:43], v[66:67], v[102:103], v[40:43]
	v_mfma_f32_16x16x32_fp8_fp8 v[16:19], v[60:61], v[102:103], v[16:19]
	s_and_saveexec_b64 s[10:11], vcc
	s_cbranch_execz .LBB228_28
; %bb.26:                               ;   in Loop: Header=BB228_13 Depth=2
	s_mov_b64 s[12:13], 0
.LBB228_27:                             ;   Parent Loop BB228_7 Depth=1
                                        ;     Parent Loop BB228_13 Depth=2
                                        ; =>    This Inner Loop Header: Depth=3
	;;#ASMSTART
	s_sleep 0
	;;#ASMEND
	ds_read_b32 v75, v98 offset:16400
	s_waitcnt lgkmcnt(0)
	v_cmp_eq_u32_e32 vcc, v75, v78
	s_or_b64 s[12:13], vcc, s[12:13]
	s_andn2_b64 exec, exec, s[12:13]
	s_cbranch_execnz .LBB228_27
.LBB228_28:                             ;   in Loop: Header=BB228_13 Depth=2
	s_or_b64 exec, exec, s[10:11]
	v_add_u32_e32 v75, 0x1000, v74
	ds_read2_b32 v[76:77], v75 offset1:32
	ds_read2_b32 v[100:101], v75 offset0:128 offset1:160
	v_add_u32_e32 v75, 0x1400, v74
	ds_read2_b32 v[102:103], v75 offset1:32
	ds_read2_b32 v[104:105], v75 offset0:128 offset1:160
	s_waitcnt lgkmcnt(3)
	v_mfma_f32_16x16x32_fp8_fp8 v[36:39], v[58:59], v[76:77], v[36:39]
	;;#ASMSTART
	s_waitcnt lgkmcnt(0)
	;;#ASMEND
	ds_read_b32 v75, v98 offset:16404
	ds_write_b32 v98, v99 offset:16400
	v_mfma_f32_16x16x32_fp8_fp8 v[12:15], v[68:69], v[76:77], v[12:15]
	s_waitcnt lgkmcnt(1)
	v_cmp_ne_u32_e32 vcc, v75, v78
	v_mfma_f32_16x16x32_fp8_fp8 v[36:39], v[62:63], v[100:101], v[36:39]
	v_mfma_f32_16x16x32_fp8_fp8 v[12:15], v[72:73], v[100:101], v[12:15]
	v_mfma_f32_16x16x32_fp8_fp8 v[36:39], v[64:65], v[102:103], v[36:39]
	v_mfma_f32_16x16x32_fp8_fp8 v[12:15], v[70:71], v[102:103], v[12:15]
	v_mfma_f32_16x16x32_fp8_fp8 v[36:39], v[66:67], v[104:105], v[36:39]
	v_mfma_f32_16x16x32_fp8_fp8 v[12:15], v[60:61], v[104:105], v[12:15]
	s_and_saveexec_b64 s[10:11], vcc
	s_cbranch_execz .LBB228_31
; %bb.29:                               ;   in Loop: Header=BB228_13 Depth=2
	s_mov_b64 s[12:13], 0
.LBB228_30:                             ;   Parent Loop BB228_7 Depth=1
                                        ;     Parent Loop BB228_13 Depth=2
                                        ; =>    This Inner Loop Header: Depth=3
	;;#ASMSTART
	s_sleep 0
	;;#ASMEND
	ds_read_b32 v75, v98 offset:16404
	s_waitcnt lgkmcnt(0)
	v_cmp_eq_u32_e32 vcc, v75, v78
	s_or_b64 s[12:13], vcc, s[12:13]
	s_andn2_b64 exec, exec, s[12:13]
	s_cbranch_execnz .LBB228_30
.LBB228_31:                             ;   in Loop: Header=BB228_13 Depth=2
	s_or_b64 exec, exec, s[10:11]
	v_add_u32_e32 v75, 0x1800, v74
	ds_read2_b32 v[76:77], v75 offset1:32
	ds_read2_b32 v[100:101], v75 offset0:128 offset1:160
	v_add_u32_e32 v75, 0x1c00, v74
	ds_read2_b32 v[102:103], v75 offset1:32
	ds_read2_b32 v[104:105], v75 offset0:128 offset1:160
	s_waitcnt lgkmcnt(3)
	v_mfma_f32_16x16x32_fp8_fp8 v[32:35], v[58:59], v[76:77], v[32:35]
	;;#ASMSTART
	s_waitcnt lgkmcnt(0)
	;;#ASMEND
	ds_read_b32 v75, v98 offset:16408
	ds_write_b32 v98, v99 offset:16404
	v_mfma_f32_16x16x32_fp8_fp8 v[4:7], v[68:69], v[76:77], v[4:7]
	s_waitcnt lgkmcnt(1)
	v_cmp_ne_u32_e32 vcc, v75, v78
	v_mfma_f32_16x16x32_fp8_fp8 v[32:35], v[62:63], v[100:101], v[32:35]
	v_mfma_f32_16x16x32_fp8_fp8 v[4:7], v[72:73], v[100:101], v[4:7]
	;; [unrolled: 40-line block ×3, first 2 shown]
	v_mfma_f32_16x16x32_fp8_fp8 v[28:31], v[64:65], v[102:103], v[28:31]
	v_mfma_f32_16x16x32_fp8_fp8 v[0:3], v[70:71], v[102:103], v[0:3]
	;; [unrolled: 1-line block ×4, first 2 shown]
	s_and_saveexec_b64 s[10:11], vcc
	s_cbranch_execz .LBB228_12
; %bb.35:                               ;   in Loop: Header=BB228_13 Depth=2
	s_mov_b64 s[12:13], 0
.LBB228_36:                             ;   Parent Loop BB228_7 Depth=1
                                        ;     Parent Loop BB228_13 Depth=2
                                        ; =>    This Inner Loop Header: Depth=3
	;;#ASMSTART
	s_sleep 0
	;;#ASMEND
	ds_read_b32 v75, v98 offset:16412
	s_waitcnt lgkmcnt(0)
	v_cmp_eq_u32_e32 vcc, v75, v78
	s_or_b64 s[12:13], vcc, s[12:13]
	s_andn2_b64 exec, exec, s[12:13]
	s_cbranch_execnz .LBB228_36
	s_branch .LBB228_12
.LBB228_37:                             ;   in Loop: Header=BB228_7 Depth=1
	s_or_b64 exec, exec, s[8:9]
.LBB228_38:                             ;   in Loop: Header=BB228_7 Depth=1
	s_or_b64 exec, exec, s[6:7]
	v_cmp_le_i32_e32 vcc, s49, v48
	v_cmp_eq_u32_e64 s[12:13], 1, v81
	v_cmp_eq_u32_e64 s[6:7], 3, v81
	s_waitcnt vmcnt(0)
	v_cndmask_b32_e32 v58, 0, v96, vcc
	v_pk_mul_f32 v[44:45], v[58:59], v[44:45] op_sel_hi:[0,1]
	v_pk_mul_f32 v[60:61], v[58:59], v[46:47] op_sel_hi:[0,1]
	v_cndmask_b32_e64 v46, v44, v45, s[12:13]
	v_cmp_eq_u32_e32 vcc, 2, v81
	v_cmp_eq_u32_e64 s[8:9], 0, v81
	v_cmp_le_i32_e64 s[14:15], s49, v83
	v_cndmask_b32_e32 v46, v46, v60, vcc
	v_cndmask_b32_e64 v46, v46, v61, s[6:7]
	ds_bpermute_b32 v59, v94, v46
	v_cmp_le_i32_e64 s[18:19], s49, v84
	v_cmp_eq_u32_e64 s[10:11], 1, v82
	v_cmp_eq_u32_e64 s[16:17], 3, v82
	s_waitcnt lgkmcnt(0)
	v_cndmask_b32_e64 v46, v61, v59, s[6:7]
	v_cndmask_b32_e32 v47, v60, v59, vcc
	v_cndmask_b32_e64 v45, v45, v59, s[12:13]
	v_cndmask_b32_e64 v59, v44, v59, s[8:9]
	;; [unrolled: 1-line block ×3, first 2 shown]
	v_pk_mul_f32 v[40:41], v[44:45], v[40:41] op_sel_hi:[0,1]
	v_pk_mul_f32 v[60:61], v[44:45], v[42:43] op_sel_hi:[0,1]
	v_cndmask_b32_e64 v42, v40, v41, s[12:13]
	v_cndmask_b32_e32 v42, v42, v60, vcc
	v_cndmask_b32_e64 v42, v42, v61, s[6:7]
	ds_bpermute_b32 v64, v94, v42
	v_cndmask_b32_e64 v63, v59, v45, s[10:11]
	v_cmp_eq_u32_e64 s[14:15], 2, v82
	s_waitcnt lgkmcnt(0)
	v_cndmask_b32_e64 v41, v41, v64, s[12:13]
	v_cndmask_b32_e64 v65, v40, v64, s[8:9]
	;; [unrolled: 1-line block ×3, first 2 shown]
	v_pk_mul_f32 v[36:37], v[40:41], v[36:37] op_sel_hi:[0,1]
	v_pk_mul_f32 v[66:67], v[40:41], v[38:39] op_sel_hi:[0,1]
	v_cndmask_b32_e64 v38, v36, v37, s[12:13]
	v_cndmask_b32_e32 v38, v38, v66, vcc
	v_cndmask_b32_e64 v38, v38, v67, s[6:7]
	v_cndmask_b32_e64 v42, v63, v47, s[14:15]
	ds_bpermute_b32 v63, v94, v38
	v_cmp_le_i32_e64 s[18:19], s49, v85
	v_cndmask_b32_e64 v43, v61, v64, s[6:7]
	v_cndmask_b32_e32 v60, v60, v64, vcc
	v_cndmask_b32_e64 v38, v65, v41, s[10:11]
	s_waitcnt lgkmcnt(0)
	v_cndmask_b32_e64 v37, v37, v63, s[12:13]
	v_cndmask_b32_e64 v68, v36, v63, s[8:9]
	;; [unrolled: 1-line block ×3, first 2 shown]
	v_pk_mul_f32 v[32:33], v[36:37], v[32:33] op_sel_hi:[0,1]
	v_cndmask_b32_e64 v39, v67, v63, s[6:7]
	v_cndmask_b32_e32 v61, v66, v63, vcc
	v_pk_mul_f32 v[66:67], v[36:37], v[34:35] op_sel_hi:[0,1]
	v_cndmask_b32_e64 v34, v32, v33, s[12:13]
	v_cndmask_b32_e32 v34, v34, v66, vcc
	v_cndmask_b32_e64 v34, v34, v67, s[6:7]
	ds_bpermute_b32 v64, v94, v34
	v_cmp_le_i32_e64 s[18:19], s49, v86
	v_cndmask_b32_e64 v34, v68, v37, s[10:11]
	v_cndmask_b32_e64 v38, v38, v60, s[14:15]
	;; [unrolled: 1-line block ×3, first 2 shown]
	s_waitcnt lgkmcnt(0)
	v_cndmask_b32_e64 v33, v33, v64, s[12:13]
	v_cndmask_b32_e64 v69, v32, v64, s[8:9]
	;; [unrolled: 1-line block ×3, first 2 shown]
	v_pk_mul_f32 v[28:29], v[32:33], v[28:29] op_sel_hi:[0,1]
	v_cndmask_b32_e64 v35, v67, v64, s[6:7]
	v_cndmask_b32_e32 v63, v66, v64, vcc
	v_pk_mul_f32 v[66:67], v[32:33], v[30:31] op_sel_hi:[0,1]
	v_cndmask_b32_e64 v30, v28, v29, s[12:13]
	v_cndmask_b32_e32 v30, v30, v66, vcc
	v_cndmask_b32_e64 v30, v30, v67, s[6:7]
	ds_bpermute_b32 v71, v94, v30
	v_cmp_le_i32_e64 s[18:19], s49, v87
	v_cndmask_b32_e64 v30, v69, v33, s[10:11]
	v_cndmask_b32_e64 v30, v30, v63, s[14:15]
	;; [unrolled: 1-line block ×3, first 2 shown]
	s_waitcnt lgkmcnt(0)
	v_cndmask_b32_e64 v31, v67, v71, s[6:7]
	v_cndmask_b32_e32 v64, v66, v71, vcc
	v_cndmask_b32_e64 v70, v29, v71, s[12:13]
	v_cndmask_b32_e64 v71, v28, v71, s[8:9]
	;; [unrolled: 1-line block ×3, first 2 shown]
	v_pk_mul_f32 v[74:75], v[28:29], v[24:25] op_sel_hi:[0,1]
	v_pk_mul_f32 v[72:73], v[28:29], v[26:27] op_sel_hi:[0,1]
	v_cndmask_b32_e64 v24, v74, v75, s[12:13]
	v_cndmask_b32_e32 v24, v24, v72, vcc
	v_cndmask_b32_e64 v24, v24, v73, s[6:7]
	ds_bpermute_b32 v25, v94, v24
	v_cndmask_b32_e64 v24, v71, v70, s[10:11]
	v_cndmask_b32_e64 v24, v24, v64, s[14:15]
	;; [unrolled: 1-line block ×3, first 2 shown]
	ds_bpermute_b32 v66, v94, v24
	s_waitcnt lgkmcnt(1)
	v_cndmask_b32_e32 v27, v72, v25, vcc
	v_cmp_ne_u32_e32 vcc, 0, v81
	v_cndmask_b32_e64 v26, v73, v25, s[6:7]
	v_cndmask_b32_e64 v38, v38, v43, s[16:17]
	v_cndmask_b32_e32 v24, v75, v25, vcc
	v_cndmask_b32_e64 v25, v74, v25, s[8:9]
	v_cndmask_b32_e64 v29, v25, v24, s[10:11]
	;; [unrolled: 1-line block ×6, first 2 shown]
	ds_bpermute_b32 v42, v94, v42
	ds_bpermute_b32 v38, v94, v38
	;; [unrolled: 1-line block ×5, first 2 shown]
	v_add_u32_e32 v29, s71, v88
	v_cmp_gt_u32_e32 vcc, 32, v29
	s_and_saveexec_b64 s[18:19], vcc
	s_cbranch_execz .LBB228_43
; %bb.39:                               ;   in Loop: Header=BB228_7 Depth=1
	v_cmp_eq_u32_e64 s[8:9], 1, v82
	v_cmp_eq_u32_e64 s[10:11], 0, v82
	v_cmp_eq_u32_e32 vcc, 3, v82
	s_waitcnt lgkmcnt(4)
	v_cndmask_b32_e64 v45, v45, v42, s[8:9]
	s_waitcnt lgkmcnt(3)
	v_cndmask_b32_e64 v41, v41, v38, s[8:9]
	;; [unrolled: 2-line block ×4, first 2 shown]
	v_cndmask_b32_e64 v70, v70, v66, s[8:9]
	s_waitcnt lgkmcnt(0)
	v_cndmask_b32_e64 v74, v24, v67, s[8:9]
	s_mul_i32 s8, s69, s21
	s_ashr_i32 s9, s8, 31
	s_lshl_b64 s[8:9], s[8:9], 1
	v_cndmask_b32_e64 v59, v59, v42, s[10:11]
	v_cndmask_b32_e64 v65, v65, v38, s[10:11]
	;; [unrolled: 1-line block ×6, first 2 shown]
	s_add_u32 s10, s40, s8
	s_addc_u32 s11, s41, s9
	s_ashr_i32 s49, s48, 31
	v_cvt_f16_f32_e32 v59, v59
	v_cvt_f16_f32_sdwa v45, v45 dst_sel:WORD_1 dst_unused:UNUSED_PAD src0_sel:DWORD
	v_cvt_f16_f32_e32 v65, v65
	v_cvt_f16_f32_sdwa v41, v41 dst_sel:WORD_1 dst_unused:UNUSED_PAD src0_sel:DWORD
	s_lshl_b64 s[8:9], s[48:49], 1
	s_add_u32 s54, s10, s8
	s_addc_u32 s55, s11, s9
	v_lshl_add_u64 v[24:25], v[50:51], 1, s[54:55]
	v_or_b32_e32 v45, v45, v59
	v_or_b32_e32 v41, v41, v65
	;;#ASMSTART
	global_atomic_pk_add_f16 v[24:25], v45, off
	
	;;#ASMEND
	v_lshl_add_u64 v[68:69], v[24:25], 0, 32
	;;#ASMSTART
	global_atomic_pk_add_f16 v[68:69], v41, off
	
	;;#ASMEND
	v_cvt_f16_f32_e32 v41, v72
	v_cvt_f16_f32_sdwa v37, v37 dst_sel:WORD_1 dst_unused:UNUSED_PAD src0_sel:DWORD
	v_cvt_f16_f32_e32 v45, v73
	v_cvt_f16_f32_sdwa v33, v33 dst_sel:WORD_1 dst_unused:UNUSED_PAD src0_sel:DWORD
	v_lshl_add_u64 v[68:69], v[24:25], 0, 64
	v_or_b32_e32 v37, v37, v41
	;;#ASMSTART
	global_atomic_pk_add_f16 v[68:69], v37, off
	
	;;#ASMEND
	v_or_b32_e32 v33, v33, v45
	v_lshl_add_u64 v[68:69], v[24:25], 0, s[30:31]
	;;#ASMSTART
	global_atomic_pk_add_f16 v[68:69], v33, off
	
	;;#ASMEND
	v_cvt_f16_f32_e32 v33, v71
	v_cvt_f16_f32_sdwa v37, v70 dst_sel:WORD_1 dst_unused:UNUSED_PAD src0_sel:DWORD
	v_cvt_f16_f32_e32 v41, v75
	v_cvt_f16_f32_sdwa v45, v74 dst_sel:WORD_1 dst_unused:UNUSED_PAD src0_sel:DWORD
	v_cmp_eq_u32_e64 s[6:7], 2, v82
	v_lshl_add_u64 v[68:69], v[24:25], 0, s[34:35]
	v_or_b32_e32 v33, v37, v33
	v_cmp_gt_u32_e64 s[8:9], 30, v29
	;;#ASMSTART
	global_atomic_pk_add_f16 v[68:69], v33, off
	
	;;#ASMEND
	v_lshl_add_u64 v[68:69], v[24:25], 0, s[44:45]
	v_or_b32_e32 v33, v45, v41
	;;#ASMSTART
	global_atomic_pk_add_f16 v[68:69], v33, off
	
	;;#ASMEND
	s_and_b64 exec, exec, s[8:9]
	s_cbranch_execz .LBB228_43
; %bb.40:                               ;   in Loop: Header=BB228_7 Depth=1
	v_cndmask_b32_e32 v46, v46, v42, vcc
	v_cndmask_b32_e64 v42, v47, v42, s[6:7]
	v_cvt_f16_f32_e32 v42, v42
	v_cvt_f16_f32_sdwa v46, v46 dst_sel:WORD_1 dst_unused:UNUSED_PAD src0_sel:DWORD
	v_cndmask_b32_e32 v39, v39, v34, vcc
	v_cndmask_b32_e64 v34, v61, v34, s[6:7]
	v_cndmask_b32_e32 v43, v43, v38, vcc
	v_cndmask_b32_e64 v38, v60, v38, s[6:7]
	v_cvt_f16_f32_e32 v34, v34
	v_cvt_f16_f32_sdwa v39, v39 dst_sel:WORD_1 dst_unused:UNUSED_PAD src0_sel:DWORD
	v_cndmask_b32_e32 v60, v26, v67, vcc
	v_or_b32_e32 v26, v46, v42
	v_cvt_f16_f32_e32 v38, v38
	v_cvt_f16_f32_sdwa v42, v43 dst_sel:WORD_1 dst_unused:UNUSED_PAD src0_sel:DWORD
	v_lshl_add_u64 v[24:25], s[28:29], 2, v[24:25]
	v_cndmask_b32_e32 v35, v35, v30, vcc
	v_cndmask_b32_e64 v30, v63, v30, s[6:7]
	v_cndmask_b32_e64 v61, v27, v67, s[6:7]
	;;#ASMSTART
	global_atomic_pk_add_f16 v[24:25], v26, off
	
	;;#ASMEND
	v_lshl_add_u64 v[26:27], v[24:25], 0, 32
	v_or_b32_e32 v34, v39, v34
	v_cndmask_b32_e32 v31, v31, v66, vcc
	v_cndmask_b32_e64 v47, v64, v66, s[6:7]
	v_or_b32_e32 v38, v42, v38
	;;#ASMSTART
	global_atomic_pk_add_f16 v[26:27], v38, off
	
	;;#ASMEND
	v_lshl_add_u64 v[26:27], v[24:25], 0, 64
	;;#ASMSTART
	global_atomic_pk_add_f16 v[26:27], v34, off
	
	;;#ASMEND
	v_cvt_f16_f32_e32 v30, v30
	v_cvt_f16_f32_sdwa v34, v35 dst_sel:WORD_1 dst_unused:UNUSED_PAD src0_sel:DWORD
	v_cvt_f16_f32_e32 v35, v47
	v_cvt_f16_f32_sdwa v31, v31 dst_sel:WORD_1 dst_unused:UNUSED_PAD src0_sel:DWORD
	v_mov_b32_e32 v59, v58
	v_or_b32_e32 v30, v34, v30
	v_lshl_add_u64 v[26:27], v[24:25], 0, s[30:31]
	;;#ASMSTART
	global_atomic_pk_add_f16 v[26:27], v30, off
	
	;;#ASMEND
	v_or_b32_e32 v38, v31, v35
	v_mov_b32_e32 v30, v58
	v_mov_b32_e32 v31, v58
	v_pk_mul_f32 v[34:35], v[58:59], v[20:21]
	v_cmp_eq_u32_e64 s[8:9], 1, v81
	v_pk_mul_f32 v[30:31], v[30:31], v[22:23]
	v_cmp_eq_u32_e32 vcc, 2, v81
	v_cndmask_b32_e64 v20, v34, v35, s[8:9]
	v_cmp_eq_u32_e64 s[6:7], 3, v81
	v_cndmask_b32_e32 v20, v20, v30, vcc
	v_lshl_add_u64 v[26:27], v[24:25], 0, s[34:35]
	v_cndmask_b32_e64 v20, v20, v31, s[6:7]
	v_mov_b32_e32 v45, v44
	ds_bpermute_b32 v39, v94, v20
	;;#ASMSTART
	global_atomic_pk_add_f16 v[26:27], v38, off
	
	;;#ASMEND
	v_mov_b32_e32 v26, v44
	v_mov_b32_e32 v27, v44
	v_pk_mul_f32 v[18:19], v[26:27], v[18:19]
	v_pk_mul_f32 v[26:27], v[44:45], v[16:17]
	s_waitcnt lgkmcnt(0)
	v_cndmask_b32_e64 v22, v31, v39, s[6:7]
	v_cndmask_b32_e64 v16, v26, v27, s[8:9]
	v_cndmask_b32_e32 v16, v16, v18, vcc
	v_cndmask_b32_e64 v16, v16, v19, s[6:7]
	ds_bpermute_b32 v31, v94, v16
	v_cmp_eq_u32_e64 s[10:11], 0, v81
	v_lshl_add_u64 v[20:21], v[24:25], 0, s[44:45]
	v_cndmask_b32_e64 v24, v35, v39, s[8:9]
	v_cndmask_b32_e64 v25, v34, v39, s[10:11]
	v_cmp_eq_u32_e64 s[12:13], 1, v82
	v_cndmask_b32_e32 v23, v30, v39, vcc
	v_cmp_eq_u32_e64 s[14:15], 2, v82
	v_cndmask_b32_e64 v30, v25, v24, s[12:13]
	v_mov_b32_e32 v41, v40
	v_cndmask_b32_e64 v16, v30, v23, s[14:15]
	s_waitcnt lgkmcnt(0)
	v_cndmask_b32_e64 v17, v19, v31, s[6:7]
	v_cndmask_b32_e32 v18, v18, v31, vcc
	v_cndmask_b32_e64 v19, v27, v31, s[8:9]
	v_cndmask_b32_e64 v26, v26, v31, s[10:11]
	v_mov_b32_e32 v30, v40
	v_mov_b32_e32 v31, v40
	v_pk_mul_f32 v[14:15], v[30:31], v[14:15]
	v_pk_mul_f32 v[30:31], v[40:41], v[12:13]
	v_mov_b32_e32 v37, v36
	v_cndmask_b32_e64 v12, v30, v31, s[8:9]
	v_cndmask_b32_e32 v12, v12, v14, vcc
	v_cndmask_b32_e64 v12, v12, v15, s[6:7]
	ds_bpermute_b32 v27, v94, v12
	v_pk_mul_f32 v[34:35], v[36:37], v[4:5]
	v_mov_b32_e32 v33, v32
	v_cndmask_b32_e64 v4, v34, v35, s[8:9]
	v_cmp_eq_u32_e64 s[16:17], 3, v82
	s_waitcnt lgkmcnt(0)
	v_cndmask_b32_e64 v13, v15, v27, s[6:7]
	v_cndmask_b32_e32 v14, v14, v27, vcc
	v_cndmask_b32_e64 v15, v31, v27, s[8:9]
	v_cndmask_b32_e64 v27, v30, v27, s[10:11]
	v_mov_b32_e32 v30, v36
	v_mov_b32_e32 v31, v36
	v_pk_mul_f32 v[6:7], v[30:31], v[6:7]
	v_mov_b32_e32 v29, v28
	v_cndmask_b32_e32 v4, v4, v6, vcc
	v_cndmask_b32_e64 v4, v4, v7, s[6:7]
	ds_bpermute_b32 v31, v94, v4
	v_cndmask_b32_e64 v12, v26, v19, s[12:13]
	v_cndmask_b32_e64 v4, v27, v15, s[12:13]
	;; [unrolled: 1-line block ×4, first 2 shown]
	s_waitcnt lgkmcnt(0)
	v_cndmask_b32_e64 v5, v7, v31, s[6:7]
	v_cndmask_b32_e32 v6, v6, v31, vcc
	v_cndmask_b32_e64 v30, v35, v31, s[8:9]
	v_cndmask_b32_e64 v31, v34, v31, s[10:11]
	v_mov_b32_e32 v34, v32
	v_mov_b32_e32 v35, v32
	v_pk_mul_f32 v[32:33], v[32:33], v[0:1]
	v_pk_mul_f32 v[34:35], v[34:35], v[2:3]
	v_cndmask_b32_e64 v0, v32, v33, s[8:9]
	v_cndmask_b32_e32 v0, v0, v34, vcc
	v_cndmask_b32_e64 v0, v0, v35, s[6:7]
	ds_bpermute_b32 v1, v94, v0
	v_cndmask_b32_e64 v0, v31, v30, s[12:13]
	v_cndmask_b32_e64 v0, v0, v6, s[14:15]
	;; [unrolled: 1-line block ×3, first 2 shown]
	ds_bpermute_b32 v2, v94, v0
	s_waitcnt lgkmcnt(1)
	v_cndmask_b32_e64 v3, v35, v1, s[6:7]
	v_cndmask_b32_e32 v7, v34, v1, vcc
	v_cndmask_b32_e64 v0, v33, v1, s[8:9]
	v_cndmask_b32_e64 v1, v32, v1, s[10:11]
	v_mov_b32_e32 v32, v28
	v_mov_b32_e32 v33, v28
	v_pk_mul_f32 v[10:11], v[32:33], v[10:11]
	v_pk_mul_f32 v[32:33], v[28:29], v[8:9]
	v_cvt_f16_f32_e32 v38, v61
	v_cndmask_b32_e64 v8, v32, v33, s[8:9]
	v_cndmask_b32_e32 v8, v8, v10, vcc
	v_cndmask_b32_e64 v8, v8, v11, s[6:7]
	ds_bpermute_b32 v29, v94, v8
	v_cndmask_b32_e64 v8, v1, v0, s[12:13]
	v_cndmask_b32_e64 v8, v8, v7, s[14:15]
	v_cvt_f16_f32_sdwa v42, v60 dst_sel:WORD_1 dst_unused:UNUSED_PAD src0_sel:DWORD
	v_cndmask_b32_e64 v16, v16, v22, s[16:17]
	s_waitcnt lgkmcnt(0)
	v_cndmask_b32_e32 v10, v10, v29, vcc
	v_cmp_ne_u32_e32 vcc, 0, v81
	v_cndmask_b32_e64 v9, v11, v29, s[6:7]
	v_cndmask_b32_e64 v12, v12, v17, s[16:17]
	v_cndmask_b32_e32 v28, v33, v29, vcc
	v_cndmask_b32_e64 v29, v32, v29, s[10:11]
	v_cndmask_b32_e64 v11, v29, v28, s[12:13]
	;; [unrolled: 1-line block ×6, first 2 shown]
	ds_bpermute_b32 v16, v94, v16
	ds_bpermute_b32 v12, v94, v12
	;; [unrolled: 1-line block ×5, first 2 shown]
	v_or_b32_e32 v32, v42, v38
	;;#ASMSTART
	global_atomic_pk_add_f16 v[20:21], v32, off
	
	;;#ASMEND
	v_add_u32_e32 v20, s71, v89
	v_cmp_gt_u32_e32 vcc, 32, v20
	s_and_b64 exec, exec, vcc
	s_cbranch_execz .LBB228_43
; %bb.41:                               ;   in Loop: Header=BB228_7 Depth=1
	v_cmp_eq_u32_e64 s[8:9], 1, v82
	v_cmp_eq_u32_e64 s[10:11], 0, v82
	v_cmp_eq_u32_e32 vcc, 3, v82
	s_waitcnt lgkmcnt(4)
	v_cndmask_b32_e64 v21, v24, v16, s[8:9]
	v_cndmask_b32_e64 v24, v25, v16, s[10:11]
	s_waitcnt lgkmcnt(3)
	v_cndmask_b32_e64 v19, v19, v12, s[8:9]
	v_cndmask_b32_e64 v25, v26, v12, s[10:11]
	v_cvt_f16_f32_e32 v33, v25
	v_cvt_f16_f32_sdwa v19, v19 dst_sel:WORD_1 dst_unused:UNUSED_PAD src0_sel:DWORD
	v_cvt_f16_f32_e32 v24, v24
	v_cvt_f16_f32_sdwa v21, v21 dst_sel:WORD_1 dst_unused:UNUSED_PAD src0_sel:DWORD
	s_waitcnt lgkmcnt(2)
	v_cndmask_b32_e64 v15, v15, v4, s[8:9]
	v_cndmask_b32_e64 v26, v27, v4, s[10:11]
	;; [unrolled: 1-line block ×4, first 2 shown]
	s_waitcnt lgkmcnt(1)
	v_cndmask_b32_e64 v31, v0, v8, s[8:9]
	v_cndmask_b32_e64 v32, v1, v8, s[10:11]
	v_lshl_add_u64 v[0:1], v[52:53], 1, s[54:55]
	v_or_b32_e32 v19, v19, v33
	v_or_b32_e32 v21, v21, v24
	;;#ASMSTART
	global_atomic_pk_add_f16 v[0:1], v21, off
	
	;;#ASMEND
	v_lshl_add_u64 v[24:25], v[0:1], 0, 32
	;;#ASMSTART
	global_atomic_pk_add_f16 v[24:25], v19, off
	
	;;#ASMEND
	v_cvt_f16_f32_e32 v19, v26
	v_cvt_f16_f32_sdwa v15, v15 dst_sel:WORD_1 dst_unused:UNUSED_PAD src0_sel:DWORD
	v_cvt_f16_f32_e32 v21, v30
	v_cvt_f16_f32_sdwa v26, v27 dst_sel:WORD_1 dst_unused:UNUSED_PAD src0_sel:DWORD
	v_lshl_add_u64 v[24:25], v[0:1], 0, 64
	v_or_b32_e32 v15, v15, v19
	;;#ASMSTART
	global_atomic_pk_add_f16 v[24:25], v15, off
	
	;;#ASMEND
	v_or_b32_e32 v15, v26, v21
	s_waitcnt lgkmcnt(0)
	v_cndmask_b32_e64 v28, v28, v11, s[8:9]
	v_cndmask_b32_e64 v29, v29, v11, s[10:11]
	v_lshl_add_u64 v[24:25], v[0:1], 0, s[30:31]
	;;#ASMSTART
	global_atomic_pk_add_f16 v[24:25], v15, off
	
	;;#ASMEND
	v_cvt_f16_f32_e32 v15, v32
	v_cvt_f16_f32_sdwa v19, v31 dst_sel:WORD_1 dst_unused:UNUSED_PAD src0_sel:DWORD
	v_cvt_f16_f32_e32 v21, v29
	v_cvt_f16_f32_sdwa v26, v28 dst_sel:WORD_1 dst_unused:UNUSED_PAD src0_sel:DWORD
	v_cmp_eq_u32_e64 s[6:7], 2, v82
	v_lshl_add_u64 v[24:25], v[0:1], 0, s[34:35]
	v_or_b32_e32 v15, v19, v15
	v_cmp_gt_u32_e64 s[8:9], 30, v20
	;;#ASMSTART
	global_atomic_pk_add_f16 v[24:25], v15, off
	
	;;#ASMEND
	v_lshl_add_u64 v[24:25], v[0:1], 0, s[44:45]
	v_or_b32_e32 v15, v26, v21
	;;#ASMSTART
	global_atomic_pk_add_f16 v[24:25], v15, off
	
	;;#ASMEND
	s_and_b64 exec, exec, s[8:9]
	s_cbranch_execz .LBB228_43
; %bb.42:                               ;   in Loop: Header=BB228_7 Depth=1
	v_cndmask_b32_e32 v15, v22, v16, vcc
	v_cndmask_b32_e64 v16, v23, v16, s[6:7]
	v_cndmask_b32_e32 v17, v17, v12, vcc
	v_cndmask_b32_e64 v12, v18, v12, s[6:7]
	;; [unrolled: 2-line block ×6, first 2 shown]
	v_cvt_f16_f32_e32 v2, v16
	v_cvt_f16_f32_sdwa v3, v15 dst_sel:WORD_1 dst_unused:UNUSED_PAD src0_sel:DWORD
	v_cvt_f16_f32_e32 v10, v12
	v_cvt_f16_f32_sdwa v11, v17 dst_sel:WORD_1 dst_unused:UNUSED_PAD src0_sel:DWORD
	v_lshl_add_u64 v[0:1], s[28:29], 2, v[0:1]
	v_or_b32_e32 v2, v3, v2
	;;#ASMSTART
	global_atomic_pk_add_f16 v[0:1], v2, off
	
	;;#ASMEND
	v_or_b32_e32 v10, v11, v10
	v_lshl_add_u64 v[2:3], v[0:1], 0, 32
	;;#ASMSTART
	global_atomic_pk_add_f16 v[2:3], v10, off
	
	;;#ASMEND
	v_cvt_f16_f32_e32 v4, v4
	v_cvt_f16_f32_sdwa v10, v13 dst_sel:WORD_1 dst_unused:UNUSED_PAD src0_sel:DWORD
	v_cvt_f16_f32_e32 v6, v6
	v_cvt_f16_f32_sdwa v5, v5 dst_sel:WORD_1 dst_unused:UNUSED_PAD src0_sel:DWORD
	v_lshl_add_u64 v[2:3], v[0:1], 0, 64
	v_or_b32_e32 v4, v10, v4
	;;#ASMSTART
	global_atomic_pk_add_f16 v[2:3], v4, off
	
	;;#ASMEND
	v_or_b32_e32 v4, v5, v6
	v_lshl_add_u64 v[2:3], v[0:1], 0, s[30:31]
	;;#ASMSTART
	global_atomic_pk_add_f16 v[2:3], v4, off
	
	;;#ASMEND
	v_cvt_f16_f32_e32 v4, v7
	v_cvt_f16_f32_sdwa v5, v14 dst_sel:WORD_1 dst_unused:UNUSED_PAD src0_sel:DWORD
	v_cvt_f16_f32_e32 v6, v9
	v_cvt_f16_f32_sdwa v7, v8 dst_sel:WORD_1 dst_unused:UNUSED_PAD src0_sel:DWORD
	v_lshl_add_u64 v[2:3], v[0:1], 0, s[34:35]
	v_or_b32_e32 v4, v5, v4
	;;#ASMSTART
	global_atomic_pk_add_f16 v[2:3], v4, off
	
	;;#ASMEND
	v_lshl_add_u64 v[0:1], v[0:1], 0, s[44:45]
	v_or_b32_e32 v2, v7, v6
	;;#ASMSTART
	global_atomic_pk_add_f16 v[0:1], v2, off
	
	;;#ASMEND
.LBB228_43:                             ;   in Loop: Header=BB228_7 Depth=1
	s_or_b64 exec, exec, s[18:19]
	v_subrev_u32_e32 v95, s72, v95
.LBB228_44:                             ;   in Loop: Header=BB228_7 Depth=1
	s_or_b64 exec, exec, s[52:53]
.LBB228_45:                             ;   in Loop: Header=BB228_7 Depth=1
	s_andn2_saveexec_b64 s[6:7], s[50:51]
	s_cbranch_execz .LBB228_54
; %bb.46:                               ;   in Loop: Header=BB228_7 Depth=1
	s_mul_i32 s16, s72, 6
	v_cmp_gt_i32_e32 vcc, s16, v95
	s_and_saveexec_b64 s[8:9], vcc
	s_cbranch_execz .LBB228_53
; %bb.47:                               ;   in Loop: Header=BB228_7 Depth=1
	s_mul_i32 s10, s48, s23
	s_ashr_i32 s11, s10, 31
	s_waitcnt lgkmcnt(0)
	s_add_u32 s10, s38, s10
	s_addc_u32 s11, s39, s11
	s_ashr_i32 s12, s70, 31
	s_add_u32 s10, s10, s70
	s_addc_u32 s11, s11, s12
	v_lshl_add_u64 v[0:1], s[10:11], 0, v[56:57]
	v_lshl_add_u64 v[8:9], v[0:1], 0, v[54:55]
	s_mov_b64 s[10:11], 0
	s_branch .LBB228_49
.LBB228_48:                             ;   in Loop: Header=BB228_49 Depth=2
	s_or_b64 exec, exec, s[12:13]
	v_lshl_or_b32 v12, v10, 11, v91
	;;#ASMSTART
	s_waitcnt vmcnt(1)
	;;#ASMEND
	ds_write2_b32 v12, v4, v5 offset1:32
	ds_write2_b32 v12, v6, v7 offset0:64 offset1:96
	v_add_u32_e32 v4, 0x400, v12
	v_add_u32_e32 v95, s26, v95
	;;#ASMSTART
	s_waitcnt vmcnt(0)
	;;#ASMEND
	ds_write2_b32 v4, v0, v1 offset1:32
	ds_write2_b32 v4, v2, v3 offset0:64 offset1:96
	v_add_u32_e32 v0, 1, v78
	v_add_u32_e32 v62, s26, v10
	v_cmp_le_i32_e32 vcc, s16, v95
	ds_write_b32 v11, v0 offset:8
	v_add_u32_e32 v0, 2, v78
	s_or_b64 s[10:11], vcc, s[10:11]
	v_cmp_lt_i32_e32 vcc, 5, v62
	s_nop 1
	v_cndmask_b32_e32 v78, v78, v0, vcc
	s_andn2_b64 exec, exec, s[10:11]
	s_cbranch_execz .LBB228_52
.LBB228_49:                             ;   Parent Loop BB228_7 Depth=1
                                        ; =>  This Loop Header: Depth=2
                                        ;       Child Loop BB228_51 Depth 3
	v_cmp_gt_i32_e32 vcc, 6, v62
	s_nop 1
	v_cndmask_b32_e64 v0, -6, 0, vcc
	v_add_u32_e32 v10, v0, v62
	v_mul_hi_i32 v0, v95, s58
	v_lshrrev_b32_e32 v1, 31, v0
	v_add_u32_e32 v0, v0, v1
	v_mul_lo_u32 v1, v0, 6
	v_sub_u32_e32 v2, v95, v1
	v_lshlrev_b32_e32 v0, 7, v0
	v_ashrrev_i32_e32 v1, 31, v0
	v_mul_lo_u32 v2, s63, v2
	v_lshl_add_u64 v[0:1], v[8:9], 0, v[0:1]
	v_ashrrev_i32_e32 v3, 31, v2
	v_lshl_add_u64 v[0:1], v[0:1], 0, v[2:3]
	v_lshlrev_b32_e32 v11, 2, v10
	;;#ASMSTART
	global_load_dwordx4 v[4:7], v[0:1], off offset:0   sc0 sc1 nt  
	global_load_dwordx4 v[0:3], v[0:1], off offset:64  sc0 sc1 nt  
	
	;;#ASMEND
	ds_read_b32 v12, v11 offset:16392
	v_add_u32_e32 v11, 0x4000, v11
	s_waitcnt lgkmcnt(0)
	v_cmp_ne_u32_e32 vcc, v12, v78
	s_and_saveexec_b64 s[12:13], vcc
	s_cbranch_execz .LBB228_48
; %bb.50:                               ;   in Loop: Header=BB228_49 Depth=2
	s_mov_b64 s[14:15], 0
.LBB228_51:                             ;   Parent Loop BB228_7 Depth=1
                                        ;     Parent Loop BB228_49 Depth=2
                                        ; =>    This Inner Loop Header: Depth=3
	;;#ASMSTART
	s_sleep 0
	;;#ASMEND
	ds_read_b32 v12, v11 offset:8
	s_waitcnt lgkmcnt(0)
	v_cmp_eq_u32_e32 vcc, v12, v78
	s_or_b64 s[14:15], vcc, s[14:15]
	s_andn2_b64 exec, exec, s[14:15]
	s_cbranch_execnz .LBB228_51
	s_branch .LBB228_48
.LBB228_52:                             ;   in Loop: Header=BB228_7 Depth=1
	s_or_b64 exec, exec, s[10:11]
.LBB228_53:                             ;   in Loop: Header=BB228_7 Depth=1
	s_or_b64 exec, exec, s[8:9]
	v_subrev_u32_e32 v95, s16, v95
.LBB228_54:                             ;   in Loop: Header=BB228_7 Depth=1
	s_or_b64 exec, exec, s[6:7]
.LBB228_55:                             ;   in Loop: Header=BB228_7 Depth=1
	s_andn2_saveexec_b64 s[6:7], s[46:47]
	s_cbranch_execz .LBB228_6
; %bb.56:                               ;   in Loop: Header=BB228_7 Depth=1
	s_lshl_b32 s16, s72, 1
	v_cmp_gt_i32_e32 vcc, s16, v95
	s_and_saveexec_b64 s[8:9], vcc
	s_cbranch_execz .LBB228_5
; %bb.57:                               ;   in Loop: Header=BB228_7 Depth=1
	s_mul_i32 s69, s69, s22
	s_ashr_i32 s10, s69, 31
	s_waitcnt lgkmcnt(0)
	s_add_u32 s11, s36, s69
	v_add_u32_e32 v2, s71, v90
	s_addc_u32 s12, s37, s10
	s_ashr_i32 s13, s70, 31
	v_cmp_gt_u32_e32 vcc, 32, v2
	s_add_u32 s10, s11, s70
	s_addc_u32 s11, s12, s13
	v_cndmask_b32_e32 v0, 0, v92, vcc
	v_ashrrev_i32_e32 v1, 31, v0
	v_lshl_add_u64 v[0:1], s[10:11], 0, v[0:1]
	v_lshl_add_u64 v[8:9], v[0:1], 0, v[54:55]
	v_sub_u32_e32 v10, 31, v2
	s_mov_b64 s[10:11], 0
	s_branch .LBB228_59
.LBB228_58:                             ;   in Loop: Header=BB228_59 Depth=2
	s_or_b64 exec, exec, s[12:13]
	v_lshl_add_u32 v13, v11, 11, v93
	;;#ASMSTART
	s_waitcnt vmcnt(1)
	;;#ASMEND
	ds_write2_b32 v13, v4, v5 offset1:32
	ds_write2_b32 v13, v6, v7 offset0:64 offset1:96
	v_add_u32_e32 v4, 0x400, v13
	v_add_u32_e32 v95, s25, v95
	;;#ASMSTART
	s_waitcnt vmcnt(0)
	;;#ASMEND
	ds_write2_b32 v4, v0, v1 offset1:32
	ds_write2_b32 v4, v2, v3 offset0:64 offset1:96
	v_add_u32_e32 v0, 1, v78
	v_add_u32_e32 v62, s25, v11
	v_cmp_le_i32_e32 vcc, s16, v95
	ds_write_b32 v12, v0
	v_add_u32_e32 v0, 2, v78
	s_or_b64 s[10:11], vcc, s[10:11]
	v_cmp_lt_i32_e32 vcc, 1, v62
	s_nop 1
	v_cndmask_b32_e32 v78, v78, v0, vcc
	s_andn2_b64 exec, exec, s[10:11]
	s_cbranch_execz .LBB228_4
.LBB228_59:                             ;   Parent Loop BB228_7 Depth=1
                                        ; =>  This Loop Header: Depth=2
                                        ;       Child Loop BB228_61 Depth 3
	v_cmp_gt_i32_e32 vcc, 2, v62
	s_nop 1
	v_cndmask_b32_e64 v0, -2, 0, vcc
	v_add_u32_e32 v11, v0, v62
	v_lshrrev_b32_e32 v0, 31, v95
	v_add_u32_e32 v0, v95, v0
	v_and_b32_e32 v1, 0xffffffe, v0
	v_sub_u32_e32 v1, v95, v1
	v_lshlrev_b32_e32 v1, 4, v1
	v_cmp_le_i32_e32 vcc, v1, v10
	v_lshlrev_b32_e32 v0, 6, v0
	v_and_b32_e32 v0, 0xffffff80, v0
	v_cndmask_b32_e32 v2, 0, v1, vcc
	v_ashrrev_i32_e32 v1, 31, v0
	v_mul_lo_u32 v2, v2, s22
	v_lshl_add_u64 v[0:1], v[8:9], 0, v[0:1]
	v_ashrrev_i32_e32 v3, 31, v2
	v_lshl_add_u64 v[0:1], v[0:1], 0, v[2:3]
	v_lshlrev_b32_e32 v12, 2, v11
	;;#ASMSTART
	global_load_dwordx4 v[4:7], v[0:1], off offset:0   
	global_load_dwordx4 v[0:3], v[0:1], off offset:64  
	
	;;#ASMEND
	ds_read_b32 v13, v12 offset:16384
	v_add_u32_e32 v12, 0x4000, v12
	s_waitcnt lgkmcnt(0)
	v_cmp_ne_u32_e32 vcc, v13, v78
	s_and_saveexec_b64 s[12:13], vcc
	s_cbranch_execz .LBB228_58
; %bb.60:                               ;   in Loop: Header=BB228_59 Depth=2
	s_mov_b64 s[14:15], 0
.LBB228_61:                             ;   Parent Loop BB228_7 Depth=1
                                        ;     Parent Loop BB228_59 Depth=2
                                        ; =>    This Inner Loop Header: Depth=3
	;;#ASMSTART
	s_sleep 0
	;;#ASMEND
	ds_read_b32 v13, v12
	s_waitcnt lgkmcnt(0)
	v_cmp_eq_u32_e32 vcc, v13, v78
	s_or_b64 s[14:15], vcc, s[14:15]
	s_andn2_b64 exec, exec, s[14:15]
	s_cbranch_execnz .LBB228_61
	s_branch .LBB228_58
.LBB228_62:
	s_endpgm
	.section	.rodata,"a",@progbits
	.p2align	6, 0x0
	.amdhsa_kernel _Z19_skinny_gemm_kernelILi2ELi6ELi1ELi16ELi4EEvPKhS1_P6__halfPKfiiiiiiii
		.amdhsa_group_segment_fixed_size 16416
		.amdhsa_private_segment_fixed_size 0
		.amdhsa_kernarg_size 64
		.amdhsa_user_sgpr_count 2
		.amdhsa_user_sgpr_dispatch_ptr 0
		.amdhsa_user_sgpr_queue_ptr 0
		.amdhsa_user_sgpr_kernarg_segment_ptr 1
		.amdhsa_user_sgpr_dispatch_id 0
		.amdhsa_user_sgpr_kernarg_preload_length 0
		.amdhsa_user_sgpr_kernarg_preload_offset 0
		.amdhsa_user_sgpr_private_segment_size 0
		.amdhsa_uses_dynamic_stack 0
		.amdhsa_enable_private_segment 0
		.amdhsa_system_sgpr_workgroup_id_x 1
		.amdhsa_system_sgpr_workgroup_id_y 0
		.amdhsa_system_sgpr_workgroup_id_z 0
		.amdhsa_system_sgpr_workgroup_info 0
		.amdhsa_system_vgpr_workitem_id 0
		.amdhsa_next_free_vgpr 106
		.amdhsa_next_free_sgpr 73
		.amdhsa_accum_offset 108
		.amdhsa_reserve_vcc 1
		.amdhsa_float_round_mode_32 0
		.amdhsa_float_round_mode_16_64 0
		.amdhsa_float_denorm_mode_32 3
		.amdhsa_float_denorm_mode_16_64 3
		.amdhsa_dx10_clamp 1
		.amdhsa_ieee_mode 1
		.amdhsa_fp16_overflow 0
		.amdhsa_tg_split 0
		.amdhsa_exception_fp_ieee_invalid_op 0
		.amdhsa_exception_fp_denorm_src 0
		.amdhsa_exception_fp_ieee_div_zero 0
		.amdhsa_exception_fp_ieee_overflow 0
		.amdhsa_exception_fp_ieee_underflow 0
		.amdhsa_exception_fp_ieee_inexact 0
		.amdhsa_exception_int_div_zero 0
	.end_amdhsa_kernel
	.section	.text._Z19_skinny_gemm_kernelILi2ELi6ELi1ELi16ELi4EEvPKhS1_P6__halfPKfiiiiiiii,"axG",@progbits,_Z19_skinny_gemm_kernelILi2ELi6ELi1ELi16ELi4EEvPKhS1_P6__halfPKfiiiiiiii,comdat
.Lfunc_end228:
	.size	_Z19_skinny_gemm_kernelILi2ELi6ELi1ELi16ELi4EEvPKhS1_P6__halfPKfiiiiiiii, .Lfunc_end228-_Z19_skinny_gemm_kernelILi2ELi6ELi1ELi16ELi4EEvPKhS1_P6__halfPKfiiiiiiii
                                        ; -- End function
	.set _Z19_skinny_gemm_kernelILi2ELi6ELi1ELi16ELi4EEvPKhS1_P6__halfPKfiiiiiiii.num_vgpr, 106
	.set _Z19_skinny_gemm_kernelILi2ELi6ELi1ELi16ELi4EEvPKhS1_P6__halfPKfiiiiiiii.num_agpr, 0
	.set _Z19_skinny_gemm_kernelILi2ELi6ELi1ELi16ELi4EEvPKhS1_P6__halfPKfiiiiiiii.numbered_sgpr, 73
	.set _Z19_skinny_gemm_kernelILi2ELi6ELi1ELi16ELi4EEvPKhS1_P6__halfPKfiiiiiiii.num_named_barrier, 0
	.set _Z19_skinny_gemm_kernelILi2ELi6ELi1ELi16ELi4EEvPKhS1_P6__halfPKfiiiiiiii.private_seg_size, 0
	.set _Z19_skinny_gemm_kernelILi2ELi6ELi1ELi16ELi4EEvPKhS1_P6__halfPKfiiiiiiii.uses_vcc, 1
	.set _Z19_skinny_gemm_kernelILi2ELi6ELi1ELi16ELi4EEvPKhS1_P6__halfPKfiiiiiiii.uses_flat_scratch, 0
	.set _Z19_skinny_gemm_kernelILi2ELi6ELi1ELi16ELi4EEvPKhS1_P6__halfPKfiiiiiiii.has_dyn_sized_stack, 0
	.set _Z19_skinny_gemm_kernelILi2ELi6ELi1ELi16ELi4EEvPKhS1_P6__halfPKfiiiiiiii.has_recursion, 0
	.set _Z19_skinny_gemm_kernelILi2ELi6ELi1ELi16ELi4EEvPKhS1_P6__halfPKfiiiiiiii.has_indirect_call, 0
	.section	.AMDGPU.csdata,"",@progbits
; Kernel info:
; codeLenInByte = 7092
; TotalNumSgprs: 79
; NumVgprs: 106
; NumAgprs: 0
; TotalNumVgprs: 106
; ScratchSize: 0
; MemoryBound: 0
; FloatMode: 240
; IeeeMode: 1
; LDSByteSize: 16416 bytes/workgroup (compile time only)
; SGPRBlocks: 9
; VGPRBlocks: 13
; NumSGPRsForWavesPerEU: 79
; NumVGPRsForWavesPerEU: 106
; AccumOffset: 108
; Occupancy: 4
; WaveLimiterHint : 0
; COMPUTE_PGM_RSRC2:SCRATCH_EN: 0
; COMPUTE_PGM_RSRC2:USER_SGPR: 2
; COMPUTE_PGM_RSRC2:TRAP_HANDLER: 0
; COMPUTE_PGM_RSRC2:TGID_X_EN: 1
; COMPUTE_PGM_RSRC2:TGID_Y_EN: 0
; COMPUTE_PGM_RSRC2:TGID_Z_EN: 0
; COMPUTE_PGM_RSRC2:TIDIG_COMP_CNT: 0
; COMPUTE_PGM_RSRC3_GFX90A:ACCUM_OFFSET: 26
; COMPUTE_PGM_RSRC3_GFX90A:TG_SPLIT: 0
	.section	.text._Z19_skinny_gemm_kernelILi2ELi6ELi1ELi16ELi8EEvPKhS1_P6__halfPKfiiiiiiii,"axG",@progbits,_Z19_skinny_gemm_kernelILi2ELi6ELi1ELi16ELi8EEvPKhS1_P6__halfPKfiiiiiiii,comdat
	.protected	_Z19_skinny_gemm_kernelILi2ELi6ELi1ELi16ELi8EEvPKhS1_P6__halfPKfiiiiiiii ; -- Begin function _Z19_skinny_gemm_kernelILi2ELi6ELi1ELi16ELi8EEvPKhS1_P6__halfPKfiiiiiiii
	.globl	_Z19_skinny_gemm_kernelILi2ELi6ELi1ELi16ELi8EEvPKhS1_P6__halfPKfiiiiiiii
	.p2align	8
	.type	_Z19_skinny_gemm_kernelILi2ELi6ELi1ELi16ELi8EEvPKhS1_P6__halfPKfiiiiiiii,@function
_Z19_skinny_gemm_kernelILi2ELi6ELi1ELi16ELi8EEvPKhS1_P6__halfPKfiiiiiiii: ; @_Z19_skinny_gemm_kernelILi2ELi6ELi1ELi16ELi8EEvPKhS1_P6__halfPKfiiiiiiii
; %bb.0:
	v_cmp_gt_u32_e32 vcc, 8, v0
	v_lshlrev_b32_e32 v1, 2, v0
	s_and_saveexec_b64 s[4:5], vcc
; %bb.1:
	v_mov_b32_e32 v2, 0
	ds_write_b32 v1, v2 offset:32768
; %bb.2:
	s_or_b64 exec, exec, s[4:5]
	s_load_dwordx8 s[20:27], s[0:1], 0x20
	s_mov_b32 s58, 0x2aaaaaab
	s_waitcnt lgkmcnt(0)
	s_barrier
	s_add_i32 s3, s20, 31
	s_ashr_i32 s5, s3, 31
	s_lshr_b32 s5, s5, 27
	s_add_i32 s4, s21, 0x5f
	s_add_i32 s3, s3, s5
	s_ashr_i32 s33, s3, 5
	s_mul_hi_i32 s3, s4, 0x2aaaaaab
	s_lshr_b32 s4, s3, 31
	s_ashr_i32 s56, s3, 4
	s_add_i32 s56, s56, s4
	s_mul_i32 s3, s56, s33
	s_mul_i32 s3, s3, s24
	s_add_i32 s4, s3, 0x12f
	s_mul_hi_i32 s4, s4, 0x6bca1af3
	s_lshr_b32 s5, s4, 31
	s_ashr_i32 s4, s4, 7
	s_add_i32 s4, s4, s5
	s_add_i32 s5, s2, 1
	s_mul_i32 s5, s4, s5
	v_cvt_f64_i32_e32 v[2:3], s3
	v_cvt_f64_u32_e32 v[4:5], s5
	v_min_f64 v[2:3], v[2:3], v[4:5]
	v_cvt_i32_f64_e32 v49, v[2:3]
	s_mul_i32 s57, s4, s2
	v_cmp_ge_i32_e32 vcc, s57, v49
	s_cbranch_vccnz .LBB229_62
; %bb.3:
	v_lshrrev_b32_e32 v2, 6, v0
	s_add_i32 s4, s26, s25
	s_load_dwordx8 s[36:43], s[0:1], 0x0
	v_cmp_le_i32_e64 s[0:1], s4, v2
	v_mov_b32_e32 v3, s25
	v_cmp_le_i32_e64 s[2:3], s25, v2
	v_mov_b32_e32 v4, s26
	v_cndmask_b32_e64 v4, 0, v4, s[0:1]
	v_cndmask_b32_e64 v3, 0, v3, s[2:3]
	s_abs_i32 s5, s24
	v_add_u32_e32 v3, v3, v4
	v_cvt_f32_u32_e32 v4, s5
	v_sub_u32_e32 v60, v2, v3
	s_ashr_i32 s6, s22, 31
	s_lshr_b32 s6, s6, 24
	v_rcp_iflag_f32_e32 v3, v4
	s_sub_i32 s9, 0, s5
	s_add_i32 s6, s22, s6
	s_ashr_i32 s6, s6, 8
	v_mul_f32_e32 v3, 0x4f7ffffe, v3
	v_cvt_u32_f32_e32 v3, v3
	s_abs_i32 s8, s6
	s_xor_b32 s7, s6, s24
	s_ashr_i32 s7, s7, 31
	v_readfirstlane_b32 s10, v3
	s_mul_i32 s9, s9, s10
	s_mul_hi_u32 s9, s10, s9
	s_add_i32 s10, s10, s9
	s_mul_hi_u32 s9, s8, s10
	s_mul_i32 s10, s9, s5
	s_sub_i32 s8, s8, s10
	s_add_i32 s10, s9, 1
	s_sub_i32 s11, s8, s5
	s_cmp_ge_u32 s8, s5
	s_cselect_b32 s9, s10, s9
	s_cselect_b32 s8, s11, s8
	s_add_i32 s10, s9, 1
	s_cmp_ge_u32 s8, s5
	s_cselect_b32 s5, s10, s9
	s_xor_b32 s5, s5, s7
	s_sub_i32 s59, s5, s7
	s_add_i32 s24, s24, -1
	s_mul_i32 s5, s59, s24
	s_add_i32 s4, s4, s27
	s_sub_i32 s60, s6, s5
	v_cmp_gt_i32_e64 s[4:5], s4, v2
	v_lshlrev_b32_e32 v2, 1, v0
	v_lshlrev_b32_e32 v3, 4, v0
	v_and_b32_e32 v1, 60, v1
	v_and_b32_e32 v2, 64, v2
	;; [unrolled: 1-line block ×3, first 2 shown]
	v_or3_b32 v97, v1, v2, v4
	v_and_b32_e32 v1, 1, v0
	v_lshrrev_b32_e32 v4, 2, v0
	s_abs_i32 s62, s33
	v_and_or_b32 v101, v4, 12, v1
	v_cvt_f32_u32_e32 v4, s62
	v_lshlrev_b32_e32 v2, 1, v1
	v_and_b32_e32 v48, 14, v0
	v_sub_u32_e32 v2, v0, v2
	v_bitop3_b32 v98, v0, 1, v0 bitop3:0xc
	v_bitop3_b32 v99, v0, 3, 1 bitop3:0x6c
	v_and_b32_e32 v54, 48, v3
	v_bfe_u32 v103, v0, 2, 4
	v_and_b32_e32 v1, 60, v0
	v_lshlrev_b32_e32 v3, 8, v0
	v_lshlrev_b32_e32 v0, 6, v0
	v_and_b32_e32 v3, 0x200, v3
	v_and_b32_e32 v0, 64, v0
	v_or3_b32 v104, v1, v3, v0
	v_rcp_iflag_f32_e32 v0, v4
	s_abs_i32 s64, s56
	v_cvt_f32_u32_e32 v1, s64
	v_mad_u64_u32 v[50:51], s[6:7], s21, v101, v[48:49]
	v_mul_f32_e32 v0, 0x4f7ffffe, v0
	v_cvt_u32_f32_e32 v0, v0
	v_rcp_iflag_f32_e32 v1, v1
	s_sub_i32 s6, 0, s62
	v_add_u32_e32 v2, 1, v2
	v_readfirstlane_b32 s7, v0
	v_mul_f32_e32 v0, 0x4f7ffffe, v1
	v_cvt_u32_f32_e32 v0, v0
	s_mul_i32 s6, s6, s7
	s_mul_hi_u32 s6, s7, s6
	s_add_i32 s66, s7, s6
	s_sub_i32 s6, 0, s64
	v_readfirstlane_b32 s7, v0
	v_mbcnt_lo_u32_b32 v0, -1, 0
	v_and_b32_e32 v2, 63, v2
	s_mul_i32 s6, s6, s7
	v_mbcnt_hi_u32_b32 v0, -1, v0
	v_lshl_add_u32 v52, s21, 4, v50
	v_mul_lo_u32 v56, s23, v103
	s_mul_hi_u32 s6, s7, s6
	v_and_or_b32 v0, v0, 64, v2
	v_cndmask_b32_e64 v96, 0, 1, s[0:1]
	s_movk_i32 s61, 0x6000
	s_ashr_i32 s29, s21, 31
	s_mov_b32 s28, s21
	v_or_b32_e32 v100, 0x50, v48
	v_ashrrev_i32_e32 v51, 31, v50
	v_or_b32_e32 v102, 16, v101
	v_ashrrev_i32_e32 v53, 31, v52
	v_ashrrev_i32_e32 v57, 31, v56
	v_mov_b32_e32 v55, 0
	s_lshl_b32 s63, s23, 4
	v_mul_lo_u32 v105, s22, v103
	v_or_b32_e32 v106, 0x6000, v104
	s_ashr_i32 s65, s33, 31
	s_ashr_i32 s67, s56, 31
	s_add_i32 s68, s7, s6
	s_mov_b64 s[30:31], 0x60
	s_mov_b64 s[34:35], 0x80
	;; [unrolled: 1-line block ×3, first 2 shown]
	v_lshlrev_b32_e32 v107, 2, v0
	v_mov_b32_e32 v108, v60
	s_branch .LBB229_7
.LBB229_4:                              ;   in Loop: Header=BB229_7 Depth=1
	s_or_b64 exec, exec, s[10:11]
.LBB229_5:                              ;   in Loop: Header=BB229_7 Depth=1
	s_or_b64 exec, exec, s[8:9]
	v_subrev_u32_e32 v108, s16, v108
.LBB229_6:                              ;   in Loop: Header=BB229_7 Depth=1
	s_or_b64 exec, exec, s[6:7]
	s_add_i32 s57, s57, 1
	v_cmp_ge_i32_e32 vcc, s57, v49
	s_cbranch_vccnz .LBB229_62
.LBB229_7:                              ; =>This Loop Header: Depth=1
                                        ;     Child Loop BB229_13 Depth 2
                                        ;       Child Loop BB229_15 Depth 3
                                        ;       Child Loop BB229_18 Depth 3
	;; [unrolled: 1-line block ×8, first 2 shown]
                                        ;     Child Loop BB229_49 Depth 2
                                        ;       Child Loop BB229_51 Depth 3
                                        ;     Child Loop BB229_59 Depth 2
                                        ;       Child Loop BB229_61 Depth 3
	s_abs_i32 s7, s57
	s_mul_hi_u32 s8, s7, s66
	s_mul_i32 s9, s8, s62
	s_ashr_i32 s6, s57, 31
	s_sub_i32 s7, s7, s9
	s_xor_b32 s6, s6, s65
	s_add_i32 s9, s8, 1
	s_sub_i32 s10, s7, s62
	s_cmp_ge_u32 s7, s62
	s_cselect_b32 s8, s9, s8
	s_cselect_b32 s7, s10, s7
	s_add_i32 s9, s8, 1
	s_cmp_ge_u32 s7, s62
	s_cselect_b32 s7, s9, s8
	s_xor_b32 s7, s7, s6
	s_sub_i32 s6, s7, s6
	s_abs_i32 s8, s6
	s_mul_i32 s7, s6, s33
	s_mul_hi_u32 s9, s8, s68
	s_sub_i32 s7, s57, s7
	s_mul_i32 s10, s9, s64
	s_lshl_b32 s69, s7, 5
	s_ashr_i32 s7, s6, 31
	s_sub_i32 s8, s8, s10
	s_xor_b32 s7, s7, s67
	s_add_i32 s10, s9, 1
	s_sub_i32 s11, s8, s64
	s_cmp_ge_u32 s8, s64
	s_cselect_b32 s9, s10, s9
	s_cselect_b32 s8, s11, s8
	s_add_i32 s10, s9, 1
	s_cmp_ge_u32 s8, s64
	s_cselect_b32 s8, s10, s9
	s_xor_b32 s8, s8, s7
	s_sub_i32 s7, s8, s7
	s_mul_i32 s8, s7, s59
	s_lshl_b32 s70, s8, 8
	s_cmp_eq_u32 s7, s24
	s_cselect_b32 s72, s60, s59
	s_sub_i32 s8, s69, s20
	s_add_i32 s8, s8, 32
	s_max_i32 s71, s8, 0
	s_and_saveexec_b64 s[8:9], s[2:3]
	s_xor_b64 s[46:47], exec, s[8:9]
	s_cbranch_execz .LBB229_55
; %bb.8:                                ;   in Loop: Header=BB229_7 Depth=1
	s_mul_i32 s7, s7, s56
	s_sub_i32 s6, s6, s7
	s_mulk_i32 s6, 0x60
	s_sub_i32 s49, s6, s21
	s_addk_i32 s49, 0x60
	s_max_i32 s7, s49, 0
	s_sub_i32 s48, s6, s7
	s_and_saveexec_b64 s[6:7], s[0:1]
	s_xor_b64 s[50:51], exec, s[6:7]
	s_cbranch_execz .LBB229_45
; %bb.9:                                ;   in Loop: Header=BB229_7 Depth=1
	s_and_saveexec_b64 s[52:53], s[4:5]
	s_cbranch_execz .LBB229_44
; %bb.10:                               ;   in Loop: Header=BB229_7 Depth=1
	s_waitcnt lgkmcnt(0)
	global_load_dword v109, v55, s[42:43]
	v_mov_b32_e32 v47, 0
	v_cmp_gt_i32_e32 vcc, s72, v108
	v_mov_b32_e32 v46, v47
	v_mov_b32_e32 v45, v47
	;; [unrolled: 1-line block ×47, first 2 shown]
	s_and_saveexec_b64 s[6:7], vcc
	s_cbranch_execz .LBB229_38
; %bb.11:                               ;   in Loop: Header=BB229_7 Depth=1
	v_mov_b32_e32 v8, 0
	s_mov_b64 s[8:9], 0
	v_mov_b32_e32 v9, v8
	v_mov_b32_e32 v10, v8
	;; [unrolled: 1-line block ×47, first 2 shown]
	s_branch .LBB229_13
.LBB229_12:                             ;   in Loop: Header=BB229_13 Depth=2
	s_or_b64 exec, exec, s[10:11]
	v_add_u32_e32 v92, 0x5000, v112
	ds_read2_b32 v[90:91], v92 offset1:32
	v_add_u32_e32 v108, s27, v108
	s_waitcnt lgkmcnt(0)
	v_mfma_f32_16x16x32_fp8_fp8 v[24:27], v[58:59], v[90:91], v[24:27]
	ds_read2_b32 v[58:59], v92 offset0:128 offset1:160
	v_add_u32_e32 v92, 0x5400, v112
	v_mfma_f32_16x16x32_fp8_fp8 v[8:11], v[76:77], v[90:91], v[8:11]
	s_waitcnt lgkmcnt(0)
	v_mfma_f32_16x16x32_fp8_fp8 v[24:27], v[60:61], v[58:59], v[24:27]
	ds_read2_b32 v[60:61], v92 offset1:32
	s_waitcnt lgkmcnt(0)
	v_mfma_f32_16x16x32_fp8_fp8 v[24:27], v[66:67], v[60:61], v[24:27]
	ds_read2_b32 v[66:67], v92 offset0:128 offset1:160
	v_add_u32_e32 v92, 0x5800, v112
	v_mfma_f32_16x16x32_fp8_fp8 v[8:11], v[78:79], v[58:59], v[8:11]
	v_add_u32_e32 v58, 2, v96
	s_waitcnt lgkmcnt(0)
	v_mfma_f32_16x16x32_fp8_fp8 v[24:27], v[62:63], v[66:67], v[24:27]
	ds_read2_b32 v[62:63], v92 offset1:32
	v_mfma_f32_16x16x32_fp8_fp8 v[8:11], v[82:83], v[60:61], v[8:11]
	v_add_u32_e32 v60, s27, v110
	v_cmp_lt_i32_e32 vcc, 0, v60
	v_mfma_f32_16x16x32_fp8_fp8 v[8:11], v[84:85], v[66:67], v[8:11]
	s_nop 0
	v_cndmask_b32_e32 v96, v96, v58, vcc
	v_cmp_le_i32_e32 vcc, s72, v108
	s_or_b64 s[8:9], vcc, s[8:9]
	s_waitcnt lgkmcnt(0)
	v_mfma_f32_16x16x32_fp8_fp8 v[24:27], v[68:69], v[62:63], v[24:27]
	ds_read2_b32 v[68:69], v92 offset0:128 offset1:160
	v_add_u32_e32 v92, 0x5c00, v112
	v_mfma_f32_16x16x32_fp8_fp8 v[8:11], v[86:87], v[62:63], v[8:11]
	s_waitcnt lgkmcnt(0)
	v_mfma_f32_16x16x32_fp8_fp8 v[24:27], v[64:65], v[68:69], v[24:27]
	ds_read2_b32 v[64:65], v92 offset1:32
	v_mfma_f32_16x16x32_fp8_fp8 v[8:11], v[88:89], v[68:69], v[8:11]
	s_waitcnt lgkmcnt(0)
	v_mfma_f32_16x16x32_fp8_fp8 v[24:27], v[70:71], v[64:65], v[24:27]
	ds_read2_b32 v[70:71], v92 offset0:128 offset1:160
	;;#ASMSTART
	s_waitcnt lgkmcnt(0)
	;;#ASMEND
	ds_write_b32 v111, v113 offset:32796
	v_mfma_f32_16x16x32_fp8_fp8 v[8:11], v[80:81], v[64:65], v[8:11]
	s_waitcnt lgkmcnt(1)
	v_mfma_f32_16x16x32_fp8_fp8 v[24:27], v[72:73], v[70:71], v[24:27]
	v_mfma_f32_16x16x32_fp8_fp8 v[8:11], v[74:75], v[70:71], v[8:11]
	s_andn2_b64 exec, exec, s[8:9]
	s_cbranch_execz .LBB229_37
.LBB229_13:                             ;   Parent Loop BB229_7 Depth=1
                                        ; =>  This Loop Header: Depth=2
                                        ;       Child Loop BB229_15 Depth 3
                                        ;       Child Loop BB229_18 Depth 3
                                        ;       Child Loop BB229_21 Depth 3
                                        ;       Child Loop BB229_24 Depth 3
                                        ;       Child Loop BB229_27 Depth 3
                                        ;       Child Loop BB229_30 Depth 3
                                        ;       Child Loop BB229_33 Depth 3
                                        ;       Child Loop BB229_36 Depth 3
	v_cmp_lt_i32_e32 vcc, 0, v60
	s_nop 1
	v_subbrev_co_u32_e32 v110, vcc, 0, v60, vcc
	v_mul_lo_u32 v111, v110, 24
	ds_read_b32 v58, v111 offset:32776
	s_waitcnt lgkmcnt(0)
	v_cmp_ne_u32_e32 vcc, v58, v96
	s_and_saveexec_b64 s[10:11], vcc
	s_cbranch_execz .LBB229_16
; %bb.14:                               ;   in Loop: Header=BB229_13 Depth=2
	s_mov_b64 s[12:13], 0
.LBB229_15:                             ;   Parent Loop BB229_7 Depth=1
                                        ;     Parent Loop BB229_13 Depth=2
                                        ; =>    This Inner Loop Header: Depth=3
	;;#ASMSTART
	s_sleep 0
	;;#ASMEND
	ds_read_b32 v58, v111 offset:32776
	s_waitcnt lgkmcnt(0)
	v_cmp_eq_u32_e32 vcc, v58, v96
	s_or_b64 s[12:13], vcc, s[12:13]
	s_andn2_b64 exec, exec, s[12:13]
	s_cbranch_execnz .LBB229_15
.LBB229_16:                             ;   in Loop: Header=BB229_13 Depth=2
	s_or_b64 exec, exec, s[10:11]
	v_mul_lo_u32 v58, v110, s61
	v_or_b32_e32 v112, v97, v58
	v_add_u32_e32 v58, 0x400, v112
	ds_read2_b32 v[78:79], v112 offset1:32
	ds_read2_b32 v[74:75], v112 offset0:128 offset1:160
	ds_read2_b32 v[84:85], v58 offset1:32
	ds_read2_b32 v[80:81], v58 offset0:128 offset1:160
	v_add_u32_e32 v58, 0x800, v112
	ds_read2_b32 v[88:89], v58 offset1:32
	ds_read2_b32 v[92:93], v58 offset0:128 offset1:160
	v_add_u32_e32 v58, 0xc00, v112
	v_lshlrev_b32_e32 v114, 3, v110
	ds_read2_b32 v[94:95], v58 offset1:32
	ds_read2_b32 v[90:91], v58 offset0:128 offset1:160
	;;#ASMSTART
	s_waitcnt lgkmcnt(0)
	;;#ASMEND
	ds_read_b32 v58, v114 offset:32768
	v_add_u32_e32 v113, 1, v96
	ds_write_b32 v111, v113 offset:32776
	s_waitcnt lgkmcnt(1)
	v_cmp_ne_u32_e32 vcc, v58, v96
	s_and_saveexec_b64 s[10:11], vcc
	s_cbranch_execz .LBB229_19
; %bb.17:                               ;   in Loop: Header=BB229_13 Depth=2
	s_mov_b64 s[12:13], 0
.LBB229_18:                             ;   Parent Loop BB229_7 Depth=1
                                        ;     Parent Loop BB229_13 Depth=2
                                        ; =>    This Inner Loop Header: Depth=3
	;;#ASMSTART
	s_sleep 0
	;;#ASMEND
	ds_read_b32 v58, v114 offset:32768
	s_waitcnt lgkmcnt(0)
	v_cmp_eq_u32_e32 vcc, v58, v96
	s_or_b64 s[12:13], vcc, s[12:13]
	s_andn2_b64 exec, exec, s[12:13]
	s_cbranch_execnz .LBB229_18
.LBB229_19:                             ;   in Loop: Header=BB229_13 Depth=2
	s_or_b64 exec, exec, s[10:11]
	v_lshlrev_b32_e32 v58, 13, v110
	v_or_b32_e32 v59, 0x6000, v97
	v_add_u32_e32 v115, v59, v58
	ds_read2_b32 v[58:59], v115 offset1:32
	ds_read2_b32 v[60:61], v115 offset0:128 offset1:160
	v_add_u32_e32 v62, 0x400, v115
	ds_read2_b32 v[66:67], v62 offset1:32
	ds_read2_b32 v[62:63], v62 offset0:128 offset1:160
	v_add_u32_e32 v64, 0x800, v115
	ds_read2_b32 v[68:69], v64 offset1:32
	ds_read2_b32 v[64:65], v64 offset0:128 offset1:160
	s_waitcnt lgkmcnt(5)
	v_mfma_f32_16x16x32_fp8_fp8 v[44:47], v[58:59], v[78:79], v[44:47]
	v_add_u32_e32 v72, 0xc00, v115
	ds_read2_b32 v[70:71], v72 offset1:32
	ds_read2_b32 v[72:73], v72 offset0:128 offset1:160
	ds_read_b32 v76, v114 offset:32772
	s_waitcnt lgkmcnt(7)
	v_mfma_f32_16x16x32_fp8_fp8 v[44:47], v[60:61], v[74:75], v[44:47]
	ds_write_b32 v114, v113 offset:32768
	s_waitcnt lgkmcnt(1)
	v_cmp_ne_u32_e32 vcc, v76, v96
	v_mfma_f32_16x16x32_fp8_fp8 v[44:47], v[66:67], v[84:85], v[44:47]
	v_mfma_f32_16x16x32_fp8_fp8 v[44:47], v[62:63], v[80:81], v[44:47]
	;; [unrolled: 1-line block ×6, first 2 shown]
	s_and_saveexec_b64 s[10:11], vcc
	s_cbranch_execz .LBB229_22
; %bb.20:                               ;   in Loop: Header=BB229_13 Depth=2
	s_mov_b64 s[12:13], 0
.LBB229_21:                             ;   Parent Loop BB229_7 Depth=1
                                        ;     Parent Loop BB229_13 Depth=2
                                        ; =>    This Inner Loop Header: Depth=3
	;;#ASMSTART
	s_sleep 0
	;;#ASMEND
	ds_read_b32 v76, v114 offset:32772
	s_waitcnt lgkmcnt(0)
	v_cmp_eq_u32_e32 vcc, v76, v96
	s_or_b64 s[12:13], vcc, s[12:13]
	s_andn2_b64 exec, exec, s[12:13]
	s_cbranch_execnz .LBB229_21
.LBB229_22:                             ;   in Loop: Header=BB229_13 Depth=2
	s_or_b64 exec, exec, s[10:11]
	v_add_u32_e32 v82, 0x1000, v115
	ds_read2_b32 v[76:77], v82 offset1:32
	v_add_u32_e32 v86, 0x1400, v115
	s_waitcnt lgkmcnt(0)
	v_mfma_f32_16x16x32_fp8_fp8 v[20:23], v[76:77], v[78:79], v[20:23]
	ds_read2_b32 v[78:79], v82 offset0:128 offset1:160
	ds_read2_b32 v[82:83], v86 offset1:32
	s_waitcnt lgkmcnt(1)
	v_mfma_f32_16x16x32_fp8_fp8 v[20:23], v[78:79], v[74:75], v[20:23]
	v_add_u32_e32 v74, 0x1800, v115
	s_waitcnt lgkmcnt(0)
	v_mfma_f32_16x16x32_fp8_fp8 v[20:23], v[82:83], v[84:85], v[20:23]
	ds_read2_b32 v[84:85], v86 offset0:128 offset1:160
	ds_read2_b32 v[86:87], v74 offset1:32
	s_waitcnt lgkmcnt(1)
	v_mfma_f32_16x16x32_fp8_fp8 v[20:23], v[84:85], v[80:81], v[20:23]
	s_waitcnt lgkmcnt(0)
	v_mfma_f32_16x16x32_fp8_fp8 v[20:23], v[86:87], v[88:89], v[20:23]
	ds_read2_b32 v[88:89], v74 offset0:128 offset1:160
	v_add_u32_e32 v74, 0x1c00, v115
	ds_read2_b32 v[80:81], v74 offset1:32
	s_waitcnt lgkmcnt(1)
	v_mfma_f32_16x16x32_fp8_fp8 v[20:23], v[88:89], v[92:93], v[20:23]
	ds_read2_b32 v[74:75], v74 offset0:128 offset1:160
	ds_read_b32 v92, v111 offset:32780
	ds_write_b32 v114, v113 offset:32772
	s_waitcnt lgkmcnt(1)
	v_cmp_ne_u32_e32 vcc, v92, v96
	v_mfma_f32_16x16x32_fp8_fp8 v[20:23], v[80:81], v[94:95], v[20:23]
	v_mfma_f32_16x16x32_fp8_fp8 v[20:23], v[74:75], v[90:91], v[20:23]
	s_and_saveexec_b64 s[10:11], vcc
	s_cbranch_execz .LBB229_25
; %bb.23:                               ;   in Loop: Header=BB229_13 Depth=2
	s_mov_b64 s[12:13], 0
.LBB229_24:                             ;   Parent Loop BB229_7 Depth=1
                                        ;     Parent Loop BB229_13 Depth=2
                                        ; =>    This Inner Loop Header: Depth=3
	;;#ASMSTART
	s_sleep 0
	;;#ASMEND
	ds_read_b32 v90, v111 offset:32780
	s_waitcnt lgkmcnt(0)
	v_cmp_eq_u32_e32 vcc, v90, v96
	s_or_b64 s[12:13], vcc, s[12:13]
	s_andn2_b64 exec, exec, s[12:13]
	s_cbranch_execnz .LBB229_24
.LBB229_25:                             ;   in Loop: Header=BB229_13 Depth=2
	s_or_b64 exec, exec, s[10:11]
	v_add_u32_e32 v92, 0x1000, v112
	ds_read2_b32 v[90:91], v92 offset1:32
	ds_read2_b32 v[92:93], v92 offset0:128 offset1:160
	v_add_u32_e32 v114, 0x1400, v112
	ds_read2_b32 v[94:95], v114 offset1:32
	ds_read2_b32 v[114:115], v114 offset0:128 offset1:160
	s_waitcnt lgkmcnt(3)
	v_mfma_f32_16x16x32_fp8_fp8 v[40:43], v[58:59], v[90:91], v[40:43]
	v_add_u32_e32 v118, 0x1800, v112
	ds_read2_b32 v[116:117], v118 offset1:32
	ds_read2_b32 v[118:119], v118 offset0:128 offset1:160
	v_mfma_f32_16x16x32_fp8_fp8 v[16:19], v[76:77], v[90:91], v[16:19]
	v_add_u32_e32 v122, 0x1c00, v112
	ds_read2_b32 v[120:121], v122 offset1:32
	ds_read2_b32 v[122:123], v122 offset0:128 offset1:160
	s_waitcnt lgkmcnt(6)
	v_mfma_f32_16x16x32_fp8_fp8 v[40:43], v[60:61], v[92:93], v[40:43]
	;;#ASMSTART
	s_waitcnt lgkmcnt(0)
	;;#ASMEND
	ds_read_b32 v90, v111 offset:32784
	ds_write_b32 v111, v113 offset:32780
	v_mfma_f32_16x16x32_fp8_fp8 v[16:19], v[78:79], v[92:93], v[16:19]
	s_waitcnt lgkmcnt(1)
	v_cmp_ne_u32_e32 vcc, v90, v96
	v_mfma_f32_16x16x32_fp8_fp8 v[40:43], v[66:67], v[94:95], v[40:43]
	v_mfma_f32_16x16x32_fp8_fp8 v[16:19], v[82:83], v[94:95], v[16:19]
	v_mfma_f32_16x16x32_fp8_fp8 v[40:43], v[62:63], v[114:115], v[40:43]
	v_mfma_f32_16x16x32_fp8_fp8 v[16:19], v[84:85], v[114:115], v[16:19]
	v_mfma_f32_16x16x32_fp8_fp8 v[40:43], v[68:69], v[116:117], v[40:43]
	v_mfma_f32_16x16x32_fp8_fp8 v[16:19], v[86:87], v[116:117], v[16:19]
	v_mfma_f32_16x16x32_fp8_fp8 v[40:43], v[64:65], v[118:119], v[40:43]
	v_mfma_f32_16x16x32_fp8_fp8 v[16:19], v[88:89], v[118:119], v[16:19]
	v_mfma_f32_16x16x32_fp8_fp8 v[40:43], v[70:71], v[120:121], v[40:43]
	v_mfma_f32_16x16x32_fp8_fp8 v[16:19], v[80:81], v[120:121], v[16:19]
	v_mfma_f32_16x16x32_fp8_fp8 v[40:43], v[72:73], v[122:123], v[40:43]
	v_mfma_f32_16x16x32_fp8_fp8 v[16:19], v[74:75], v[122:123], v[16:19]
	s_and_saveexec_b64 s[10:11], vcc
	s_cbranch_execz .LBB229_28
; %bb.26:                               ;   in Loop: Header=BB229_13 Depth=2
	s_mov_b64 s[12:13], 0
.LBB229_27:                             ;   Parent Loop BB229_7 Depth=1
                                        ;     Parent Loop BB229_13 Depth=2
                                        ; =>    This Inner Loop Header: Depth=3
	;;#ASMSTART
	s_sleep 0
	;;#ASMEND
	ds_read_b32 v90, v111 offset:32784
	s_waitcnt lgkmcnt(0)
	v_cmp_eq_u32_e32 vcc, v90, v96
	s_or_b64 s[12:13], vcc, s[12:13]
	s_andn2_b64 exec, exec, s[12:13]
	s_cbranch_execnz .LBB229_27
.LBB229_28:                             ;   in Loop: Header=BB229_13 Depth=2
	s_or_b64 exec, exec, s[10:11]
	v_add_u32_e32 v92, 0x2000, v112
	ds_read2_b32 v[90:91], v92 offset1:32
	ds_read2_b32 v[92:93], v92 offset0:128 offset1:160
	v_add_u32_e32 v114, 0x2400, v112
	ds_read2_b32 v[94:95], v114 offset1:32
	ds_read2_b32 v[114:115], v114 offset0:128 offset1:160
	s_waitcnt lgkmcnt(3)
	v_mfma_f32_16x16x32_fp8_fp8 v[36:39], v[58:59], v[90:91], v[36:39]
	v_add_u32_e32 v118, 0x2800, v112
	ds_read2_b32 v[116:117], v118 offset1:32
	ds_read2_b32 v[118:119], v118 offset0:128 offset1:160
	v_mfma_f32_16x16x32_fp8_fp8 v[12:15], v[76:77], v[90:91], v[12:15]
	v_add_u32_e32 v122, 0x2c00, v112
	ds_read2_b32 v[120:121], v122 offset1:32
	ds_read2_b32 v[122:123], v122 offset0:128 offset1:160
	s_waitcnt lgkmcnt(6)
	v_mfma_f32_16x16x32_fp8_fp8 v[36:39], v[60:61], v[92:93], v[36:39]
	;;#ASMSTART
	s_waitcnt lgkmcnt(0)
	;;#ASMEND
	ds_read_b32 v90, v111 offset:32788
	ds_write_b32 v111, v113 offset:32784
	v_mfma_f32_16x16x32_fp8_fp8 v[12:15], v[78:79], v[92:93], v[12:15]
	s_waitcnt lgkmcnt(1)
	v_cmp_ne_u32_e32 vcc, v90, v96
	v_mfma_f32_16x16x32_fp8_fp8 v[36:39], v[66:67], v[94:95], v[36:39]
	v_mfma_f32_16x16x32_fp8_fp8 v[12:15], v[82:83], v[94:95], v[12:15]
	v_mfma_f32_16x16x32_fp8_fp8 v[36:39], v[62:63], v[114:115], v[36:39]
	v_mfma_f32_16x16x32_fp8_fp8 v[12:15], v[84:85], v[114:115], v[12:15]
	v_mfma_f32_16x16x32_fp8_fp8 v[36:39], v[68:69], v[116:117], v[36:39]
	v_mfma_f32_16x16x32_fp8_fp8 v[12:15], v[86:87], v[116:117], v[12:15]
	v_mfma_f32_16x16x32_fp8_fp8 v[36:39], v[64:65], v[118:119], v[36:39]
	v_mfma_f32_16x16x32_fp8_fp8 v[12:15], v[88:89], v[118:119], v[12:15]
	v_mfma_f32_16x16x32_fp8_fp8 v[36:39], v[70:71], v[120:121], v[36:39]
	v_mfma_f32_16x16x32_fp8_fp8 v[12:15], v[80:81], v[120:121], v[12:15]
	;; [unrolled: 55-line block ×4, first 2 shown]
	v_mfma_f32_16x16x32_fp8_fp8 v[28:31], v[72:73], v[122:123], v[28:31]
	v_mfma_f32_16x16x32_fp8_fp8 v[0:3], v[74:75], v[122:123], v[0:3]
	s_and_saveexec_b64 s[10:11], vcc
	s_cbranch_execz .LBB229_12
; %bb.35:                               ;   in Loop: Header=BB229_13 Depth=2
	s_mov_b64 s[12:13], 0
.LBB229_36:                             ;   Parent Loop BB229_7 Depth=1
                                        ;     Parent Loop BB229_13 Depth=2
                                        ; =>    This Inner Loop Header: Depth=3
	;;#ASMSTART
	s_sleep 0
	;;#ASMEND
	ds_read_b32 v90, v111 offset:32796
	s_waitcnt lgkmcnt(0)
	v_cmp_eq_u32_e32 vcc, v90, v96
	s_or_b64 s[12:13], vcc, s[12:13]
	s_andn2_b64 exec, exec, s[12:13]
	s_cbranch_execnz .LBB229_36
	s_branch .LBB229_12
.LBB229_37:                             ;   in Loop: Header=BB229_7 Depth=1
	s_or_b64 exec, exec, s[8:9]
.LBB229_38:                             ;   in Loop: Header=BB229_7 Depth=1
	s_or_b64 exec, exec, s[6:7]
	v_cmp_le_i32_e32 vcc, s49, v48
	v_cmp_eq_u32_e64 s[12:13], 1, v98
	v_cmp_eq_u32_e64 s[6:7], 3, v98
	s_waitcnt vmcnt(0)
	v_cndmask_b32_e32 v58, 0, v109, vcc
	v_pk_mul_f32 v[44:45], v[58:59], v[44:45] op_sel_hi:[0,1]
	v_pk_mul_f32 v[62:63], v[58:59], v[46:47] op_sel_hi:[0,1]
	v_cndmask_b32_e64 v46, v44, v45, s[12:13]
	v_cmp_eq_u32_e32 vcc, 2, v98
	v_cmp_eq_u32_e64 s[8:9], 0, v98
	v_cmp_eq_u32_e64 s[10:11], 1, v99
	v_cndmask_b32_e32 v46, v46, v62, vcc
	v_cndmask_b32_e64 v46, v46, v63, s[6:7]
	ds_bpermute_b32 v59, v107, v46
	v_cmp_eq_u32_e64 s[16:17], 3, v99
	s_waitcnt lgkmcnt(0)
	v_cndmask_b32_e64 v46, v63, v59, s[6:7]
	v_cndmask_b32_e32 v47, v62, v59, vcc
	v_cndmask_b32_e64 v45, v45, v59, s[12:13]
	v_cndmask_b32_e64 v59, v44, v59, s[8:9]
	v_or_b32_e32 v44, 16, v48
	v_cmp_le_i32_e64 s[14:15], s49, v44
	v_cndmask_b32_e64 v61, v59, v45, s[10:11]
	s_nop 0
	v_cndmask_b32_e64 v44, 0, v109, s[14:15]
	v_pk_mul_f32 v[40:41], v[44:45], v[40:41] op_sel_hi:[0,1]
	v_pk_mul_f32 v[62:63], v[44:45], v[42:43] op_sel_hi:[0,1]
	v_cndmask_b32_e64 v42, v40, v41, s[12:13]
	v_cndmask_b32_e32 v42, v42, v62, vcc
	v_cndmask_b32_e64 v42, v42, v63, s[6:7]
	ds_bpermute_b32 v64, v107, v42
	v_cmp_eq_u32_e64 s[14:15], 2, v99
	s_waitcnt lgkmcnt(0)
	v_cndmask_b32_e64 v65, v40, v64, s[8:9]
	v_or_b32_e32 v40, 32, v48
	v_cmp_le_i32_e64 s[18:19], s49, v40
	v_cndmask_b32_e64 v41, v41, v64, s[12:13]
	v_cndmask_b32_e64 v42, v61, v47, s[14:15]
	;; [unrolled: 1-line block ×3, first 2 shown]
	v_pk_mul_f32 v[36:37], v[40:41], v[36:37] op_sel_hi:[0,1]
	v_cndmask_b32_e64 v43, v63, v64, s[6:7]
	v_cndmask_b32_e32 v61, v62, v64, vcc
	v_pk_mul_f32 v[62:63], v[40:41], v[38:39] op_sel_hi:[0,1]
	v_cndmask_b32_e64 v38, v36, v37, s[12:13]
	v_cndmask_b32_e32 v38, v38, v62, vcc
	v_cndmask_b32_e64 v38, v38, v63, s[6:7]
	ds_bpermute_b32 v64, v107, v38
	v_cndmask_b32_e64 v38, v65, v41, s[10:11]
	v_cndmask_b32_e64 v38, v38, v61, s[14:15]
	;; [unrolled: 1-line block ×4, first 2 shown]
	s_waitcnt lgkmcnt(0)
	v_cndmask_b32_e64 v68, v36, v64, s[8:9]
	v_or_b32_e32 v36, 48, v48
	v_cmp_le_i32_e64 s[18:19], s49, v36
	v_cndmask_b32_e64 v37, v37, v64, s[12:13]
	v_cndmask_b32_e64 v39, v63, v64, s[6:7]
	;; [unrolled: 1-line block ×3, first 2 shown]
	v_pk_mul_f32 v[32:33], v[36:37], v[32:33] op_sel_hi:[0,1]
	v_pk_mul_f32 v[66:67], v[36:37], v[34:35] op_sel_hi:[0,1]
	v_cndmask_b32_e64 v34, v32, v33, s[12:13]
	v_cndmask_b32_e32 v34, v34, v66, vcc
	v_cndmask_b32_e64 v34, v34, v67, s[6:7]
	v_cndmask_b32_e32 v62, v62, v64, vcc
	ds_bpermute_b32 v64, v107, v34
	v_cndmask_b32_e64 v34, v68, v37, s[10:11]
	v_cndmask_b32_e64 v34, v34, v62, s[14:15]
	v_cndmask_b32_e64 v34, v34, v39, s[16:17]
	ds_bpermute_b32 v42, v107, v42
	s_waitcnt lgkmcnt(1)
	v_cndmask_b32_e64 v69, v32, v64, s[8:9]
	v_or_b32_e32 v32, 64, v48
	v_cmp_le_i32_e64 s[18:19], s49, v32
	v_cndmask_b32_e64 v33, v33, v64, s[12:13]
	v_cndmask_b32_e64 v35, v67, v64, s[6:7]
	;; [unrolled: 1-line block ×3, first 2 shown]
	v_pk_mul_f32 v[28:29], v[32:33], v[28:29] op_sel_hi:[0,1]
	v_cndmask_b32_e32 v63, v66, v64, vcc
	v_pk_mul_f32 v[66:67], v[32:33], v[30:31] op_sel_hi:[0,1]
	v_cndmask_b32_e64 v30, v28, v29, s[12:13]
	v_cndmask_b32_e32 v30, v30, v66, vcc
	v_cndmask_b32_e64 v30, v30, v67, s[6:7]
	ds_bpermute_b32 v71, v107, v30
	v_cmp_le_i32_e64 s[18:19], s49, v100
	v_cndmask_b32_e64 v30, v69, v33, s[10:11]
	v_cndmask_b32_e64 v30, v30, v63, s[14:15]
	;; [unrolled: 1-line block ×3, first 2 shown]
	s_waitcnt lgkmcnt(0)
	v_cndmask_b32_e64 v31, v67, v71, s[6:7]
	v_cndmask_b32_e32 v64, v66, v71, vcc
	v_cndmask_b32_e64 v70, v29, v71, s[12:13]
	v_cndmask_b32_e64 v71, v28, v71, s[8:9]
	;; [unrolled: 1-line block ×3, first 2 shown]
	v_pk_mul_f32 v[74:75], v[28:29], v[24:25] op_sel_hi:[0,1]
	v_pk_mul_f32 v[72:73], v[28:29], v[26:27] op_sel_hi:[0,1]
	v_cndmask_b32_e64 v24, v74, v75, s[12:13]
	v_cndmask_b32_e32 v24, v24, v72, vcc
	v_cndmask_b32_e64 v24, v24, v73, s[6:7]
	ds_bpermute_b32 v25, v107, v24
	v_cndmask_b32_e64 v24, v71, v70, s[10:11]
	v_cndmask_b32_e64 v24, v24, v64, s[14:15]
	;; [unrolled: 1-line block ×3, first 2 shown]
	ds_bpermute_b32 v66, v107, v24
	s_waitcnt lgkmcnt(1)
	v_cndmask_b32_e32 v27, v72, v25, vcc
	v_cmp_ne_u32_e32 vcc, 0, v98
	v_cndmask_b32_e64 v26, v73, v25, s[6:7]
	ds_bpermute_b32 v38, v107, v38
	v_cndmask_b32_e32 v24, v75, v25, vcc
	v_cndmask_b32_e64 v25, v74, v25, s[8:9]
	v_cndmask_b32_e64 v29, v25, v24, s[10:11]
	;; [unrolled: 1-line block ×4, first 2 shown]
	ds_bpermute_b32 v34, v107, v34
	ds_bpermute_b32 v30, v107, v30
	;; [unrolled: 1-line block ×3, first 2 shown]
	v_add_u32_e32 v29, s71, v101
	v_cmp_gt_u32_e32 vcc, 32, v29
	s_and_saveexec_b64 s[18:19], vcc
	s_cbranch_execz .LBB229_43
; %bb.39:                               ;   in Loop: Header=BB229_7 Depth=1
	v_cmp_eq_u32_e64 s[8:9], 1, v99
	v_cmp_eq_u32_e64 s[10:11], 0, v99
	v_cmp_eq_u32_e32 vcc, 3, v99
	v_cndmask_b32_e64 v45, v45, v42, s[8:9]
	s_waitcnt lgkmcnt(3)
	v_cndmask_b32_e64 v41, v41, v38, s[8:9]
	s_waitcnt lgkmcnt(2)
	;; [unrolled: 2-line block ×3, first 2 shown]
	v_cndmask_b32_e64 v33, v33, v30, s[8:9]
	v_cndmask_b32_e64 v70, v70, v66, s[8:9]
	s_waitcnt lgkmcnt(0)
	v_cndmask_b32_e64 v74, v24, v67, s[8:9]
	s_mul_i32 s8, s69, s21
	s_ashr_i32 s9, s8, 31
	s_lshl_b64 s[8:9], s[8:9], 1
	v_cndmask_b32_e64 v59, v59, v42, s[10:11]
	v_cndmask_b32_e64 v65, v65, v38, s[10:11]
	v_cndmask_b32_e64 v72, v68, v34, s[10:11]
	v_cndmask_b32_e64 v73, v69, v30, s[10:11]
	v_cndmask_b32_e64 v71, v71, v66, s[10:11]
	v_cndmask_b32_e64 v75, v25, v67, s[10:11]
	s_add_u32 s10, s40, s8
	s_addc_u32 s11, s41, s9
	s_ashr_i32 s49, s48, 31
	v_cvt_f16_f32_e32 v59, v59
	v_cvt_f16_f32_sdwa v45, v45 dst_sel:WORD_1 dst_unused:UNUSED_PAD src0_sel:DWORD
	v_cvt_f16_f32_e32 v65, v65
	v_cvt_f16_f32_sdwa v41, v41 dst_sel:WORD_1 dst_unused:UNUSED_PAD src0_sel:DWORD
	s_lshl_b64 s[8:9], s[48:49], 1
	s_add_u32 s54, s10, s8
	s_addc_u32 s55, s11, s9
	v_lshl_add_u64 v[24:25], v[50:51], 1, s[54:55]
	v_or_b32_e32 v45, v45, v59
	v_or_b32_e32 v41, v41, v65
	;;#ASMSTART
	global_atomic_pk_add_f16 v[24:25], v45, off
	
	;;#ASMEND
	v_lshl_add_u64 v[68:69], v[24:25], 0, 32
	;;#ASMSTART
	global_atomic_pk_add_f16 v[68:69], v41, off
	
	;;#ASMEND
	v_cvt_f16_f32_e32 v41, v72
	v_cvt_f16_f32_sdwa v37, v37 dst_sel:WORD_1 dst_unused:UNUSED_PAD src0_sel:DWORD
	v_cvt_f16_f32_e32 v45, v73
	v_cvt_f16_f32_sdwa v33, v33 dst_sel:WORD_1 dst_unused:UNUSED_PAD src0_sel:DWORD
	v_lshl_add_u64 v[68:69], v[24:25], 0, 64
	v_or_b32_e32 v37, v37, v41
	;;#ASMSTART
	global_atomic_pk_add_f16 v[68:69], v37, off
	
	;;#ASMEND
	v_or_b32_e32 v33, v33, v45
	v_lshl_add_u64 v[68:69], v[24:25], 0, s[30:31]
	;;#ASMSTART
	global_atomic_pk_add_f16 v[68:69], v33, off
	
	;;#ASMEND
	v_cvt_f16_f32_e32 v33, v71
	v_cvt_f16_f32_sdwa v37, v70 dst_sel:WORD_1 dst_unused:UNUSED_PAD src0_sel:DWORD
	v_cvt_f16_f32_e32 v41, v75
	v_cvt_f16_f32_sdwa v45, v74 dst_sel:WORD_1 dst_unused:UNUSED_PAD src0_sel:DWORD
	v_cmp_eq_u32_e64 s[6:7], 2, v99
	v_lshl_add_u64 v[68:69], v[24:25], 0, s[34:35]
	v_or_b32_e32 v33, v37, v33
	v_cmp_gt_u32_e64 s[8:9], 30, v29
	;;#ASMSTART
	global_atomic_pk_add_f16 v[68:69], v33, off
	
	;;#ASMEND
	v_lshl_add_u64 v[68:69], v[24:25], 0, s[44:45]
	v_or_b32_e32 v33, v45, v41
	;;#ASMSTART
	global_atomic_pk_add_f16 v[68:69], v33, off
	
	;;#ASMEND
	s_and_b64 exec, exec, s[8:9]
	s_cbranch_execz .LBB229_43
; %bb.40:                               ;   in Loop: Header=BB229_7 Depth=1
	v_cndmask_b32_e32 v46, v46, v42, vcc
	v_cndmask_b32_e64 v42, v47, v42, s[6:7]
	v_cvt_f16_f32_e32 v42, v42
	v_cvt_f16_f32_sdwa v46, v46 dst_sel:WORD_1 dst_unused:UNUSED_PAD src0_sel:DWORD
	v_cndmask_b32_e32 v39, v39, v34, vcc
	v_cndmask_b32_e64 v34, v62, v34, s[6:7]
	v_cndmask_b32_e32 v43, v43, v38, vcc
	v_cndmask_b32_e64 v38, v61, v38, s[6:7]
	v_cvt_f16_f32_e32 v34, v34
	v_cvt_f16_f32_sdwa v39, v39 dst_sel:WORD_1 dst_unused:UNUSED_PAD src0_sel:DWORD
	v_cndmask_b32_e32 v61, v26, v67, vcc
	v_or_b32_e32 v26, v46, v42
	v_cvt_f16_f32_e32 v38, v38
	v_cvt_f16_f32_sdwa v42, v43 dst_sel:WORD_1 dst_unused:UNUSED_PAD src0_sel:DWORD
	v_lshl_add_u64 v[24:25], s[28:29], 2, v[24:25]
	v_cndmask_b32_e32 v35, v35, v30, vcc
	v_cndmask_b32_e64 v30, v63, v30, s[6:7]
	v_cndmask_b32_e64 v62, v27, v67, s[6:7]
	;;#ASMSTART
	global_atomic_pk_add_f16 v[24:25], v26, off
	
	;;#ASMEND
	v_lshl_add_u64 v[26:27], v[24:25], 0, 32
	v_or_b32_e32 v34, v39, v34
	v_cndmask_b32_e32 v31, v31, v66, vcc
	v_cndmask_b32_e64 v47, v64, v66, s[6:7]
	v_or_b32_e32 v38, v42, v38
	;;#ASMSTART
	global_atomic_pk_add_f16 v[26:27], v38, off
	
	;;#ASMEND
	v_lshl_add_u64 v[26:27], v[24:25], 0, 64
	;;#ASMSTART
	global_atomic_pk_add_f16 v[26:27], v34, off
	
	;;#ASMEND
	v_cvt_f16_f32_e32 v30, v30
	v_cvt_f16_f32_sdwa v34, v35 dst_sel:WORD_1 dst_unused:UNUSED_PAD src0_sel:DWORD
	v_cvt_f16_f32_e32 v35, v47
	v_cvt_f16_f32_sdwa v31, v31 dst_sel:WORD_1 dst_unused:UNUSED_PAD src0_sel:DWORD
	v_mov_b32_e32 v59, v58
	v_or_b32_e32 v30, v34, v30
	v_lshl_add_u64 v[26:27], v[24:25], 0, s[30:31]
	;;#ASMSTART
	global_atomic_pk_add_f16 v[26:27], v30, off
	
	;;#ASMEND
	v_or_b32_e32 v38, v31, v35
	v_mov_b32_e32 v30, v58
	v_mov_b32_e32 v31, v58
	v_pk_mul_f32 v[34:35], v[58:59], v[20:21]
	v_cmp_eq_u32_e64 s[8:9], 1, v98
	v_pk_mul_f32 v[30:31], v[30:31], v[22:23]
	v_cmp_eq_u32_e32 vcc, 2, v98
	v_cndmask_b32_e64 v20, v34, v35, s[8:9]
	v_cmp_eq_u32_e64 s[6:7], 3, v98
	v_cndmask_b32_e32 v20, v20, v30, vcc
	v_lshl_add_u64 v[26:27], v[24:25], 0, s[34:35]
	v_cndmask_b32_e64 v20, v20, v31, s[6:7]
	v_mov_b32_e32 v45, v44
	ds_bpermute_b32 v39, v107, v20
	;;#ASMSTART
	global_atomic_pk_add_f16 v[26:27], v38, off
	
	;;#ASMEND
	v_mov_b32_e32 v26, v44
	v_mov_b32_e32 v27, v44
	v_pk_mul_f32 v[18:19], v[26:27], v[18:19]
	v_pk_mul_f32 v[26:27], v[44:45], v[16:17]
	s_waitcnt lgkmcnt(0)
	v_cndmask_b32_e64 v22, v31, v39, s[6:7]
	v_cndmask_b32_e64 v16, v26, v27, s[8:9]
	v_cndmask_b32_e32 v16, v16, v18, vcc
	v_cndmask_b32_e64 v16, v16, v19, s[6:7]
	ds_bpermute_b32 v31, v107, v16
	v_cmp_eq_u32_e64 s[10:11], 0, v98
	v_lshl_add_u64 v[20:21], v[24:25], 0, s[44:45]
	v_cndmask_b32_e64 v24, v35, v39, s[8:9]
	v_cndmask_b32_e64 v25, v34, v39, s[10:11]
	v_cmp_eq_u32_e64 s[12:13], 1, v99
	v_cndmask_b32_e32 v23, v30, v39, vcc
	v_cmp_eq_u32_e64 s[14:15], 2, v99
	v_cndmask_b32_e64 v30, v25, v24, s[12:13]
	v_mov_b32_e32 v41, v40
	v_cndmask_b32_e64 v16, v30, v23, s[14:15]
	s_waitcnt lgkmcnt(0)
	v_cndmask_b32_e64 v17, v19, v31, s[6:7]
	v_cndmask_b32_e32 v18, v18, v31, vcc
	v_cndmask_b32_e64 v19, v27, v31, s[8:9]
	v_cndmask_b32_e64 v26, v26, v31, s[10:11]
	v_mov_b32_e32 v30, v40
	v_mov_b32_e32 v31, v40
	v_pk_mul_f32 v[14:15], v[30:31], v[14:15]
	v_pk_mul_f32 v[30:31], v[40:41], v[12:13]
	v_mov_b32_e32 v37, v36
	v_cndmask_b32_e64 v12, v30, v31, s[8:9]
	v_cndmask_b32_e32 v12, v12, v14, vcc
	v_cndmask_b32_e64 v12, v12, v15, s[6:7]
	ds_bpermute_b32 v27, v107, v12
	v_pk_mul_f32 v[34:35], v[36:37], v[4:5]
	v_mov_b32_e32 v33, v32
	v_cndmask_b32_e64 v4, v34, v35, s[8:9]
	v_cmp_eq_u32_e64 s[16:17], 3, v99
	s_waitcnt lgkmcnt(0)
	v_cndmask_b32_e64 v13, v15, v27, s[6:7]
	v_cndmask_b32_e32 v14, v14, v27, vcc
	v_cndmask_b32_e64 v15, v31, v27, s[8:9]
	v_cndmask_b32_e64 v27, v30, v27, s[10:11]
	v_mov_b32_e32 v30, v36
	v_mov_b32_e32 v31, v36
	v_pk_mul_f32 v[6:7], v[30:31], v[6:7]
	v_mov_b32_e32 v29, v28
	v_cndmask_b32_e32 v4, v4, v6, vcc
	v_cndmask_b32_e64 v4, v4, v7, s[6:7]
	ds_bpermute_b32 v31, v107, v4
	v_cndmask_b32_e64 v12, v26, v19, s[12:13]
	v_cndmask_b32_e64 v4, v27, v15, s[12:13]
	;; [unrolled: 1-line block ×4, first 2 shown]
	s_waitcnt lgkmcnt(0)
	v_cndmask_b32_e64 v5, v7, v31, s[6:7]
	v_cndmask_b32_e32 v6, v6, v31, vcc
	v_cndmask_b32_e64 v30, v35, v31, s[8:9]
	v_cndmask_b32_e64 v31, v34, v31, s[10:11]
	v_mov_b32_e32 v34, v32
	v_mov_b32_e32 v35, v32
	v_pk_mul_f32 v[32:33], v[32:33], v[0:1]
	v_pk_mul_f32 v[34:35], v[34:35], v[2:3]
	v_cndmask_b32_e64 v0, v32, v33, s[8:9]
	v_cndmask_b32_e32 v0, v0, v34, vcc
	v_cndmask_b32_e64 v0, v0, v35, s[6:7]
	ds_bpermute_b32 v1, v107, v0
	v_cndmask_b32_e64 v0, v31, v30, s[12:13]
	v_cndmask_b32_e64 v0, v0, v6, s[14:15]
	;; [unrolled: 1-line block ×3, first 2 shown]
	ds_bpermute_b32 v2, v107, v0
	s_waitcnt lgkmcnt(1)
	v_cndmask_b32_e64 v3, v35, v1, s[6:7]
	v_cndmask_b32_e32 v7, v34, v1, vcc
	v_cndmask_b32_e64 v0, v33, v1, s[8:9]
	v_cndmask_b32_e64 v1, v32, v1, s[10:11]
	v_mov_b32_e32 v32, v28
	v_mov_b32_e32 v33, v28
	v_pk_mul_f32 v[10:11], v[32:33], v[10:11]
	v_pk_mul_f32 v[32:33], v[28:29], v[8:9]
	v_cvt_f16_f32_e32 v38, v62
	v_cndmask_b32_e64 v8, v32, v33, s[8:9]
	v_cndmask_b32_e32 v8, v8, v10, vcc
	v_cndmask_b32_e64 v8, v8, v11, s[6:7]
	ds_bpermute_b32 v29, v107, v8
	v_cndmask_b32_e64 v8, v1, v0, s[12:13]
	v_cndmask_b32_e64 v8, v8, v7, s[14:15]
	v_cvt_f16_f32_sdwa v42, v61 dst_sel:WORD_1 dst_unused:UNUSED_PAD src0_sel:DWORD
	v_cndmask_b32_e64 v16, v16, v22, s[16:17]
	s_waitcnt lgkmcnt(0)
	v_cndmask_b32_e32 v10, v10, v29, vcc
	v_cmp_ne_u32_e32 vcc, 0, v98
	v_cndmask_b32_e64 v9, v11, v29, s[6:7]
	v_cndmask_b32_e64 v12, v12, v17, s[16:17]
	v_cndmask_b32_e32 v28, v33, v29, vcc
	v_cndmask_b32_e64 v29, v32, v29, s[10:11]
	v_cndmask_b32_e64 v11, v29, v28, s[12:13]
	;; [unrolled: 1-line block ×6, first 2 shown]
	ds_bpermute_b32 v16, v107, v16
	ds_bpermute_b32 v12, v107, v12
	;; [unrolled: 1-line block ×5, first 2 shown]
	v_or_b32_e32 v32, v42, v38
	;;#ASMSTART
	global_atomic_pk_add_f16 v[20:21], v32, off
	
	;;#ASMEND
	v_add_u32_e32 v20, s71, v102
	v_cmp_gt_u32_e32 vcc, 32, v20
	s_and_b64 exec, exec, vcc
	s_cbranch_execz .LBB229_43
; %bb.41:                               ;   in Loop: Header=BB229_7 Depth=1
	v_cmp_eq_u32_e64 s[8:9], 1, v99
	v_cmp_eq_u32_e64 s[10:11], 0, v99
	v_cmp_eq_u32_e32 vcc, 3, v99
	s_waitcnt lgkmcnt(4)
	v_cndmask_b32_e64 v21, v24, v16, s[8:9]
	v_cndmask_b32_e64 v24, v25, v16, s[10:11]
	s_waitcnt lgkmcnt(3)
	v_cndmask_b32_e64 v19, v19, v12, s[8:9]
	v_cndmask_b32_e64 v25, v26, v12, s[10:11]
	v_cvt_f16_f32_e32 v33, v25
	v_cvt_f16_f32_sdwa v19, v19 dst_sel:WORD_1 dst_unused:UNUSED_PAD src0_sel:DWORD
	v_cvt_f16_f32_e32 v24, v24
	v_cvt_f16_f32_sdwa v21, v21 dst_sel:WORD_1 dst_unused:UNUSED_PAD src0_sel:DWORD
	s_waitcnt lgkmcnt(2)
	v_cndmask_b32_e64 v15, v15, v4, s[8:9]
	v_cndmask_b32_e64 v26, v27, v4, s[10:11]
	;; [unrolled: 1-line block ×4, first 2 shown]
	s_waitcnt lgkmcnt(1)
	v_cndmask_b32_e64 v31, v0, v8, s[8:9]
	v_cndmask_b32_e64 v32, v1, v8, s[10:11]
	v_lshl_add_u64 v[0:1], v[52:53], 1, s[54:55]
	v_or_b32_e32 v19, v19, v33
	v_or_b32_e32 v21, v21, v24
	;;#ASMSTART
	global_atomic_pk_add_f16 v[0:1], v21, off
	
	;;#ASMEND
	v_lshl_add_u64 v[24:25], v[0:1], 0, 32
	;;#ASMSTART
	global_atomic_pk_add_f16 v[24:25], v19, off
	
	;;#ASMEND
	v_cvt_f16_f32_e32 v19, v26
	v_cvt_f16_f32_sdwa v15, v15 dst_sel:WORD_1 dst_unused:UNUSED_PAD src0_sel:DWORD
	v_cvt_f16_f32_e32 v21, v30
	v_cvt_f16_f32_sdwa v26, v27 dst_sel:WORD_1 dst_unused:UNUSED_PAD src0_sel:DWORD
	v_lshl_add_u64 v[24:25], v[0:1], 0, 64
	v_or_b32_e32 v15, v15, v19
	;;#ASMSTART
	global_atomic_pk_add_f16 v[24:25], v15, off
	
	;;#ASMEND
	v_or_b32_e32 v15, v26, v21
	s_waitcnt lgkmcnt(0)
	v_cndmask_b32_e64 v28, v28, v11, s[8:9]
	v_cndmask_b32_e64 v29, v29, v11, s[10:11]
	v_lshl_add_u64 v[24:25], v[0:1], 0, s[30:31]
	;;#ASMSTART
	global_atomic_pk_add_f16 v[24:25], v15, off
	
	;;#ASMEND
	v_cvt_f16_f32_e32 v15, v32
	v_cvt_f16_f32_sdwa v19, v31 dst_sel:WORD_1 dst_unused:UNUSED_PAD src0_sel:DWORD
	v_cvt_f16_f32_e32 v21, v29
	v_cvt_f16_f32_sdwa v26, v28 dst_sel:WORD_1 dst_unused:UNUSED_PAD src0_sel:DWORD
	v_cmp_eq_u32_e64 s[6:7], 2, v99
	v_lshl_add_u64 v[24:25], v[0:1], 0, s[34:35]
	v_or_b32_e32 v15, v19, v15
	v_cmp_gt_u32_e64 s[8:9], 30, v20
	;;#ASMSTART
	global_atomic_pk_add_f16 v[24:25], v15, off
	
	;;#ASMEND
	v_lshl_add_u64 v[24:25], v[0:1], 0, s[44:45]
	v_or_b32_e32 v15, v26, v21
	;;#ASMSTART
	global_atomic_pk_add_f16 v[24:25], v15, off
	
	;;#ASMEND
	s_and_b64 exec, exec, s[8:9]
	s_cbranch_execz .LBB229_43
; %bb.42:                               ;   in Loop: Header=BB229_7 Depth=1
	v_cndmask_b32_e32 v15, v22, v16, vcc
	v_cndmask_b32_e64 v16, v23, v16, s[6:7]
	v_cndmask_b32_e32 v17, v17, v12, vcc
	v_cndmask_b32_e64 v12, v18, v12, s[6:7]
	;; [unrolled: 2-line block ×6, first 2 shown]
	v_cvt_f16_f32_e32 v2, v16
	v_cvt_f16_f32_sdwa v3, v15 dst_sel:WORD_1 dst_unused:UNUSED_PAD src0_sel:DWORD
	v_cvt_f16_f32_e32 v10, v12
	v_cvt_f16_f32_sdwa v11, v17 dst_sel:WORD_1 dst_unused:UNUSED_PAD src0_sel:DWORD
	v_lshl_add_u64 v[0:1], s[28:29], 2, v[0:1]
	v_or_b32_e32 v2, v3, v2
	;;#ASMSTART
	global_atomic_pk_add_f16 v[0:1], v2, off
	
	;;#ASMEND
	v_or_b32_e32 v10, v11, v10
	v_lshl_add_u64 v[2:3], v[0:1], 0, 32
	;;#ASMSTART
	global_atomic_pk_add_f16 v[2:3], v10, off
	
	;;#ASMEND
	v_cvt_f16_f32_e32 v4, v4
	v_cvt_f16_f32_sdwa v10, v13 dst_sel:WORD_1 dst_unused:UNUSED_PAD src0_sel:DWORD
	v_cvt_f16_f32_e32 v6, v6
	v_cvt_f16_f32_sdwa v5, v5 dst_sel:WORD_1 dst_unused:UNUSED_PAD src0_sel:DWORD
	v_lshl_add_u64 v[2:3], v[0:1], 0, 64
	v_or_b32_e32 v4, v10, v4
	;;#ASMSTART
	global_atomic_pk_add_f16 v[2:3], v4, off
	
	;;#ASMEND
	v_or_b32_e32 v4, v5, v6
	v_lshl_add_u64 v[2:3], v[0:1], 0, s[30:31]
	;;#ASMSTART
	global_atomic_pk_add_f16 v[2:3], v4, off
	
	;;#ASMEND
	v_cvt_f16_f32_e32 v4, v7
	v_cvt_f16_f32_sdwa v5, v14 dst_sel:WORD_1 dst_unused:UNUSED_PAD src0_sel:DWORD
	v_cvt_f16_f32_e32 v6, v9
	v_cvt_f16_f32_sdwa v7, v8 dst_sel:WORD_1 dst_unused:UNUSED_PAD src0_sel:DWORD
	v_lshl_add_u64 v[2:3], v[0:1], 0, s[34:35]
	v_or_b32_e32 v4, v5, v4
	;;#ASMSTART
	global_atomic_pk_add_f16 v[2:3], v4, off
	
	;;#ASMEND
	v_lshl_add_u64 v[0:1], v[0:1], 0, s[44:45]
	v_or_b32_e32 v2, v7, v6
	;;#ASMSTART
	global_atomic_pk_add_f16 v[0:1], v2, off
	
	;;#ASMEND
.LBB229_43:                             ;   in Loop: Header=BB229_7 Depth=1
	s_or_b64 exec, exec, s[18:19]
	v_subrev_u32_e32 v108, s72, v108
.LBB229_44:                             ;   in Loop: Header=BB229_7 Depth=1
	s_or_b64 exec, exec, s[52:53]
.LBB229_45:                             ;   in Loop: Header=BB229_7 Depth=1
	s_andn2_saveexec_b64 s[6:7], s[50:51]
	s_cbranch_execz .LBB229_54
; %bb.46:                               ;   in Loop: Header=BB229_7 Depth=1
	s_mul_i32 s16, s72, 6
	v_cmp_gt_i32_e32 vcc, s16, v108
	s_and_saveexec_b64 s[8:9], vcc
	s_cbranch_execz .LBB229_53
; %bb.47:                               ;   in Loop: Header=BB229_7 Depth=1
	s_mul_i32 s10, s48, s23
	s_ashr_i32 s11, s10, 31
	s_waitcnt lgkmcnt(0)
	s_add_u32 s10, s38, s10
	s_addc_u32 s11, s39, s11
	s_ashr_i32 s12, s70, 31
	s_add_u32 s10, s10, s70
	s_addc_u32 s11, s11, s12
	v_lshl_add_u64 v[0:1], s[10:11], 0, v[56:57]
	v_lshl_add_u64 v[16:17], v[0:1], 0, v[54:55]
	s_mov_b64 s[10:11], 0
	s_branch .LBB229_49
.LBB229_48:                             ;   in Loop: Header=BB229_49 Depth=2
	s_or_b64 exec, exec, s[12:13]
	v_lshl_or_b32 v20, v18, 12, v104
	;;#ASMSTART
	s_waitcnt vmcnt(3)
	;;#ASMEND
	ds_write2_b32 v20, v12, v13 offset1:32
	ds_write2_b32 v20, v14, v15 offset0:64 offset1:96
	v_add_u32_e32 v12, 0x400, v20
	;;#ASMSTART
	s_waitcnt vmcnt(2)
	;;#ASMEND
	ds_write2_b32 v12, v8, v9 offset1:32
	ds_write2_b32 v12, v10, v11 offset0:64 offset1:96
	v_add_u32_e32 v8, 0x800, v20
	;; [unrolled: 6-line block ×3, first 2 shown]
	v_add_u32_e32 v108, s26, v108
	;;#ASMSTART
	s_waitcnt vmcnt(0)
	;;#ASMEND
	ds_write2_b32 v4, v0, v1 offset1:32
	ds_write2_b32 v4, v2, v3 offset0:64 offset1:96
	v_add_u32_e32 v0, 1, v96
	v_add_u32_e32 v60, s26, v18
	v_cmp_le_i32_e32 vcc, s16, v108
	ds_write_b32 v19, v0 offset:8
	v_add_u32_e32 v0, 2, v96
	s_or_b64 s[10:11], vcc, s[10:11]
	v_cmp_lt_i32_e32 vcc, 5, v60
	s_nop 1
	v_cndmask_b32_e32 v96, v96, v0, vcc
	s_andn2_b64 exec, exec, s[10:11]
	s_cbranch_execz .LBB229_52
.LBB229_49:                             ;   Parent Loop BB229_7 Depth=1
                                        ; =>  This Loop Header: Depth=2
                                        ;       Child Loop BB229_51 Depth 3
	v_cmp_gt_i32_e32 vcc, 6, v60
	s_nop 1
	v_cndmask_b32_e64 v0, -6, 0, vcc
	v_add_u32_e32 v18, v0, v60
	v_mul_hi_i32 v0, v108, s58
	v_lshrrev_b32_e32 v1, 31, v0
	v_add_u32_e32 v0, v0, v1
	v_mul_lo_u32 v1, v0, 6
	v_sub_u32_e32 v2, v108, v1
	v_lshlrev_b32_e32 v0, 8, v0
	v_ashrrev_i32_e32 v1, 31, v0
	v_mul_lo_u32 v2, s63, v2
	v_lshl_add_u64 v[0:1], v[16:17], 0, v[0:1]
	v_ashrrev_i32_e32 v3, 31, v2
	v_lshl_add_u64 v[0:1], v[0:1], 0, v[2:3]
	v_lshlrev_b32_e32 v19, 2, v18
	;;#ASMSTART
	global_load_dwordx4 v[12:15], v[0:1], off offset:0    sc0 sc1 nt  
	global_load_dwordx4 v[8:11], v[0:1], off offset:64   sc0 sc1 nt  
	global_load_dwordx4 v[4:7], v[0:1], off offset:128  sc0 sc1 nt  
	global_load_dwordx4 v[0:3], v[0:1], off offset:192  sc0 sc1 nt  
	
	;;#ASMEND
	ds_read_b32 v20, v19 offset:32776
	v_add_u32_e32 v19, 0x8000, v19
	s_waitcnt lgkmcnt(0)
	v_cmp_ne_u32_e32 vcc, v20, v96
	s_and_saveexec_b64 s[12:13], vcc
	s_cbranch_execz .LBB229_48
; %bb.50:                               ;   in Loop: Header=BB229_49 Depth=2
	s_mov_b64 s[14:15], 0
.LBB229_51:                             ;   Parent Loop BB229_7 Depth=1
                                        ;     Parent Loop BB229_49 Depth=2
                                        ; =>    This Inner Loop Header: Depth=3
	;;#ASMSTART
	s_sleep 0
	;;#ASMEND
	ds_read_b32 v20, v19 offset:8
	s_waitcnt lgkmcnt(0)
	v_cmp_eq_u32_e32 vcc, v20, v96
	s_or_b64 s[14:15], vcc, s[14:15]
	s_andn2_b64 exec, exec, s[14:15]
	s_cbranch_execnz .LBB229_51
	s_branch .LBB229_48
.LBB229_52:                             ;   in Loop: Header=BB229_7 Depth=1
	s_or_b64 exec, exec, s[10:11]
.LBB229_53:                             ;   in Loop: Header=BB229_7 Depth=1
	s_or_b64 exec, exec, s[8:9]
	v_subrev_u32_e32 v108, s16, v108
.LBB229_54:                             ;   in Loop: Header=BB229_7 Depth=1
	s_or_b64 exec, exec, s[6:7]
.LBB229_55:                             ;   in Loop: Header=BB229_7 Depth=1
	s_andn2_saveexec_b64 s[6:7], s[46:47]
	s_cbranch_execz .LBB229_6
; %bb.56:                               ;   in Loop: Header=BB229_7 Depth=1
	s_lshl_b32 s16, s72, 1
	v_cmp_gt_i32_e32 vcc, s16, v108
	s_and_saveexec_b64 s[8:9], vcc
	s_cbranch_execz .LBB229_5
; %bb.57:                               ;   in Loop: Header=BB229_7 Depth=1
	s_mul_i32 s69, s69, s22
	s_ashr_i32 s10, s69, 31
	s_waitcnt lgkmcnt(0)
	s_add_u32 s11, s36, s69
	v_add_u32_e32 v2, s71, v103
	s_addc_u32 s12, s37, s10
	s_ashr_i32 s13, s70, 31
	v_cmp_gt_u32_e32 vcc, 32, v2
	s_add_u32 s10, s11, s70
	s_addc_u32 s11, s12, s13
	v_cndmask_b32_e32 v0, 0, v105, vcc
	v_ashrrev_i32_e32 v1, 31, v0
	v_lshl_add_u64 v[0:1], s[10:11], 0, v[0:1]
	v_lshl_add_u64 v[16:17], v[0:1], 0, v[54:55]
	v_sub_u32_e32 v18, 31, v2
	s_mov_b64 s[10:11], 0
	s_branch .LBB229_59
.LBB229_58:                             ;   in Loop: Header=BB229_59 Depth=2
	s_or_b64 exec, exec, s[12:13]
	v_lshl_add_u32 v21, v19, 12, v106
	;;#ASMSTART
	s_waitcnt vmcnt(3)
	;;#ASMEND
	ds_write2_b32 v21, v12, v13 offset1:32
	ds_write2_b32 v21, v14, v15 offset0:64 offset1:96
	v_add_u32_e32 v12, 0x400, v21
	;;#ASMSTART
	s_waitcnt vmcnt(2)
	;;#ASMEND
	ds_write2_b32 v12, v8, v9 offset1:32
	ds_write2_b32 v12, v10, v11 offset0:64 offset1:96
	v_add_u32_e32 v8, 0x800, v21
	;;#ASMSTART
	s_waitcnt vmcnt(1)
	;;#ASMEND
	ds_write2_b32 v8, v4, v5 offset1:32
	ds_write2_b32 v8, v6, v7 offset0:64 offset1:96
	v_add_u32_e32 v4, 0xc00, v21
	v_add_u32_e32 v108, s25, v108
	;;#ASMSTART
	s_waitcnt vmcnt(0)
	;;#ASMEND
	ds_write2_b32 v4, v0, v1 offset1:32
	ds_write2_b32 v4, v2, v3 offset0:64 offset1:96
	v_add_u32_e32 v0, 1, v96
	v_add_u32_e32 v60, s25, v19
	v_cmp_le_i32_e32 vcc, s16, v108
	ds_write_b32 v20, v0
	v_add_u32_e32 v0, 2, v96
	s_or_b64 s[10:11], vcc, s[10:11]
	v_cmp_lt_i32_e32 vcc, 1, v60
	s_nop 1
	v_cndmask_b32_e32 v96, v96, v0, vcc
	s_andn2_b64 exec, exec, s[10:11]
	s_cbranch_execz .LBB229_4
.LBB229_59:                             ;   Parent Loop BB229_7 Depth=1
                                        ; =>  This Loop Header: Depth=2
                                        ;       Child Loop BB229_61 Depth 3
	v_cmp_gt_i32_e32 vcc, 2, v60
	s_nop 1
	v_cndmask_b32_e64 v0, -2, 0, vcc
	v_add_u32_e32 v19, v0, v60
	v_lshrrev_b32_e32 v0, 31, v108
	v_add_u32_e32 v0, v108, v0
	v_and_b32_e32 v1, 0xffffffe, v0
	v_sub_u32_e32 v1, v108, v1
	v_lshlrev_b32_e32 v1, 4, v1
	v_cmp_le_i32_e32 vcc, v1, v18
	v_lshlrev_b32_e32 v0, 7, v0
	v_and_b32_e32 v0, 0xffffff00, v0
	v_cndmask_b32_e32 v2, 0, v1, vcc
	v_ashrrev_i32_e32 v1, 31, v0
	v_mul_lo_u32 v2, v2, s22
	v_lshl_add_u64 v[0:1], v[16:17], 0, v[0:1]
	v_ashrrev_i32_e32 v3, 31, v2
	v_lshl_add_u64 v[0:1], v[0:1], 0, v[2:3]
	v_lshlrev_b32_e32 v20, 2, v19
	;;#ASMSTART
	global_load_dwordx4 v[12:15], v[0:1], off offset:0    
	global_load_dwordx4 v[8:11], v[0:1], off offset:64   
	;; [unrolled: 1-line block ×4, first 2 shown]
	
	;;#ASMEND
	ds_read_b32 v21, v20 offset:32768
	v_add_u32_e32 v20, 0x8000, v20
	s_waitcnt lgkmcnt(0)
	v_cmp_ne_u32_e32 vcc, v21, v96
	s_and_saveexec_b64 s[12:13], vcc
	s_cbranch_execz .LBB229_58
; %bb.60:                               ;   in Loop: Header=BB229_59 Depth=2
	s_mov_b64 s[14:15], 0
.LBB229_61:                             ;   Parent Loop BB229_7 Depth=1
                                        ;     Parent Loop BB229_59 Depth=2
                                        ; =>    This Inner Loop Header: Depth=3
	;;#ASMSTART
	s_sleep 0
	;;#ASMEND
	ds_read_b32 v21, v20
	s_waitcnt lgkmcnt(0)
	v_cmp_eq_u32_e32 vcc, v21, v96
	s_or_b64 s[14:15], vcc, s[14:15]
	s_andn2_b64 exec, exec, s[14:15]
	s_cbranch_execnz .LBB229_61
	s_branch .LBB229_58
.LBB229_62:
	s_endpgm
	.section	.rodata,"a",@progbits
	.p2align	6, 0x0
	.amdhsa_kernel _Z19_skinny_gemm_kernelILi2ELi6ELi1ELi16ELi8EEvPKhS1_P6__halfPKfiiiiiiii
		.amdhsa_group_segment_fixed_size 32800
		.amdhsa_private_segment_fixed_size 0
		.amdhsa_kernarg_size 64
		.amdhsa_user_sgpr_count 2
		.amdhsa_user_sgpr_dispatch_ptr 0
		.amdhsa_user_sgpr_queue_ptr 0
		.amdhsa_user_sgpr_kernarg_segment_ptr 1
		.amdhsa_user_sgpr_dispatch_id 0
		.amdhsa_user_sgpr_kernarg_preload_length 0
		.amdhsa_user_sgpr_kernarg_preload_offset 0
		.amdhsa_user_sgpr_private_segment_size 0
		.amdhsa_uses_dynamic_stack 0
		.amdhsa_enable_private_segment 0
		.amdhsa_system_sgpr_workgroup_id_x 1
		.amdhsa_system_sgpr_workgroup_id_y 0
		.amdhsa_system_sgpr_workgroup_id_z 0
		.amdhsa_system_sgpr_workgroup_info 0
		.amdhsa_system_vgpr_workitem_id 0
		.amdhsa_next_free_vgpr 124
		.amdhsa_next_free_sgpr 73
		.amdhsa_accum_offset 124
		.amdhsa_reserve_vcc 1
		.amdhsa_float_round_mode_32 0
		.amdhsa_float_round_mode_16_64 0
		.amdhsa_float_denorm_mode_32 3
		.amdhsa_float_denorm_mode_16_64 3
		.amdhsa_dx10_clamp 1
		.amdhsa_ieee_mode 1
		.amdhsa_fp16_overflow 0
		.amdhsa_tg_split 0
		.amdhsa_exception_fp_ieee_invalid_op 0
		.amdhsa_exception_fp_denorm_src 0
		.amdhsa_exception_fp_ieee_div_zero 0
		.amdhsa_exception_fp_ieee_overflow 0
		.amdhsa_exception_fp_ieee_underflow 0
		.amdhsa_exception_fp_ieee_inexact 0
		.amdhsa_exception_int_div_zero 0
	.end_amdhsa_kernel
	.section	.text._Z19_skinny_gemm_kernelILi2ELi6ELi1ELi16ELi8EEvPKhS1_P6__halfPKfiiiiiiii,"axG",@progbits,_Z19_skinny_gemm_kernelILi2ELi6ELi1ELi16ELi8EEvPKhS1_P6__halfPKfiiiiiiii,comdat
.Lfunc_end229:
	.size	_Z19_skinny_gemm_kernelILi2ELi6ELi1ELi16ELi8EEvPKhS1_P6__halfPKfiiiiiiii, .Lfunc_end229-_Z19_skinny_gemm_kernelILi2ELi6ELi1ELi16ELi8EEvPKhS1_P6__halfPKfiiiiiiii
                                        ; -- End function
	.set _Z19_skinny_gemm_kernelILi2ELi6ELi1ELi16ELi8EEvPKhS1_P6__halfPKfiiiiiiii.num_vgpr, 124
	.set _Z19_skinny_gemm_kernelILi2ELi6ELi1ELi16ELi8EEvPKhS1_P6__halfPKfiiiiiiii.num_agpr, 0
	.set _Z19_skinny_gemm_kernelILi2ELi6ELi1ELi16ELi8EEvPKhS1_P6__halfPKfiiiiiiii.numbered_sgpr, 73
	.set _Z19_skinny_gemm_kernelILi2ELi6ELi1ELi16ELi8EEvPKhS1_P6__halfPKfiiiiiiii.num_named_barrier, 0
	.set _Z19_skinny_gemm_kernelILi2ELi6ELi1ELi16ELi8EEvPKhS1_P6__halfPKfiiiiiiii.private_seg_size, 0
	.set _Z19_skinny_gemm_kernelILi2ELi6ELi1ELi16ELi8EEvPKhS1_P6__halfPKfiiiiiiii.uses_vcc, 1
	.set _Z19_skinny_gemm_kernelILi2ELi6ELi1ELi16ELi8EEvPKhS1_P6__halfPKfiiiiiiii.uses_flat_scratch, 0
	.set _Z19_skinny_gemm_kernelILi2ELi6ELi1ELi16ELi8EEvPKhS1_P6__halfPKfiiiiiiii.has_dyn_sized_stack, 0
	.set _Z19_skinny_gemm_kernelILi2ELi6ELi1ELi16ELi8EEvPKhS1_P6__halfPKfiiiiiiii.has_recursion, 0
	.set _Z19_skinny_gemm_kernelILi2ELi6ELi1ELi16ELi8EEvPKhS1_P6__halfPKfiiiiiiii.has_indirect_call, 0
	.section	.AMDGPU.csdata,"",@progbits
; Kernel info:
; codeLenInByte = 8128
; TotalNumSgprs: 79
; NumVgprs: 124
; NumAgprs: 0
; TotalNumVgprs: 124
; ScratchSize: 0
; MemoryBound: 0
; FloatMode: 240
; IeeeMode: 1
; LDSByteSize: 32800 bytes/workgroup (compile time only)
; SGPRBlocks: 9
; VGPRBlocks: 15
; NumSGPRsForWavesPerEU: 79
; NumVGPRsForWavesPerEU: 124
; AccumOffset: 124
; Occupancy: 4
; WaveLimiterHint : 0
; COMPUTE_PGM_RSRC2:SCRATCH_EN: 0
; COMPUTE_PGM_RSRC2:USER_SGPR: 2
; COMPUTE_PGM_RSRC2:TRAP_HANDLER: 0
; COMPUTE_PGM_RSRC2:TGID_X_EN: 1
; COMPUTE_PGM_RSRC2:TGID_Y_EN: 0
; COMPUTE_PGM_RSRC2:TGID_Z_EN: 0
; COMPUTE_PGM_RSRC2:TIDIG_COMP_CNT: 0
; COMPUTE_PGM_RSRC3_GFX90A:ACCUM_OFFSET: 30
; COMPUTE_PGM_RSRC3_GFX90A:TG_SPLIT: 0
	.section	.text._Z19_skinny_gemm_kernelILi2ELi6ELi1ELi32ELi4EEvPKhS1_P6__halfPKfiiiiiiii,"axG",@progbits,_Z19_skinny_gemm_kernelILi2ELi6ELi1ELi32ELi4EEvPKhS1_P6__halfPKfiiiiiiii,comdat
	.protected	_Z19_skinny_gemm_kernelILi2ELi6ELi1ELi32ELi4EEvPKhS1_P6__halfPKfiiiiiiii ; -- Begin function _Z19_skinny_gemm_kernelILi2ELi6ELi1ELi32ELi4EEvPKhS1_P6__halfPKfiiiiiiii
	.globl	_Z19_skinny_gemm_kernelILi2ELi6ELi1ELi32ELi4EEvPKhS1_P6__halfPKfiiiiiiii
	.p2align	8
	.type	_Z19_skinny_gemm_kernelILi2ELi6ELi1ELi32ELi4EEvPKhS1_P6__halfPKfiiiiiiii,@function
_Z19_skinny_gemm_kernelILi2ELi6ELi1ELi32ELi4EEvPKhS1_P6__halfPKfiiiiiiii: ; @_Z19_skinny_gemm_kernelILi2ELi6ELi1ELi32ELi4EEvPKhS1_P6__halfPKfiiiiiiii
; %bb.0:
	v_cmp_gt_u32_e32 vcc, 8, v0
	s_and_saveexec_b64 s[4:5], vcc
; %bb.1:
	v_lshlrev_b32_e32 v1, 2, v0
	v_mov_b32_e32 v2, 0
	ds_write_b32 v1, v2 offset:16384
; %bb.2:
	s_or_b64 exec, exec, s[4:5]
	s_load_dwordx8 s[52:59], s[0:1], 0x20
	s_waitcnt lgkmcnt(0)
	s_barrier
	s_add_i32 s3, s52, 63
	s_ashr_i32 s5, s3, 31
	s_add_i32 s4, s53, 0xbf
	s_lshr_b32 s5, s5, 26
	s_mul_hi_i32 s4, s4, 0x2aaaaaab
	s_add_i32 s3, s3, s5
	s_ashr_i32 s11, s3, 6
	s_lshr_b32 s3, s4, 31
	s_ashr_i32 s4, s4, 5
	s_add_i32 s12, s4, s3
	s_mul_i32 s3, s12, s11
	s_mul_i32 s3, s3, s56
	s_add_i32 s4, s3, 0x12f
	s_mul_hi_i32 s4, s4, 0x6bca1af3
	s_lshr_b32 s5, s4, 31
	s_ashr_i32 s4, s4, 7
	s_add_i32 s4, s4, s5
	s_add_i32 s5, s2, 1
	s_mul_i32 s5, s4, s5
	v_cvt_f64_i32_e32 v[2:3], s3
	v_cvt_f64_u32_e32 v[4:5], s5
	v_min_f64 v[2:3], v[2:3], v[4:5]
	v_cvt_i32_f64_e32 v14, v[2:3]
	s_mul_i32 s33, s4, s2
	v_cmp_ge_i32_e32 vcc, s33, v14
	s_cbranch_vccnz .LBB230_58
; %bb.3:
	s_load_dwordx8 s[16:23], s[0:1], 0x0
	v_lshrrev_b32_e32 v1, 6, v0
	s_add_i32 s0, s58, s57
	v_cmp_le_i32_e64 s[14:15], s0, v1
	v_mov_b32_e32 v2, s57
	v_cmp_le_i32_e64 s[24:25], s57, v1
	v_mov_b32_e32 v3, s58
	v_cndmask_b32_e64 v3, 0, v3, s[14:15]
	v_cndmask_b32_e64 v2, 0, v2, s[24:25]
	s_abs_i32 s1, s56
	v_add_u32_e32 v2, v2, v3
	v_cvt_f32_u32_e32 v3, s1
	v_sub_u32_e32 v104, v1, v2
	s_ashr_i32 s2, s54, 31
	s_lshr_b32 s2, s2, 26
	v_rcp_iflag_f32_e32 v2, v3
	s_sub_i32 s5, 0, s1
	s_add_i32 s2, s54, s2
	s_ashr_i32 s2, s2, 6
	v_mul_f32_e32 v2, 0x4f7ffffe, v2
	v_cvt_u32_f32_e32 v2, v2
	s_abs_i32 s4, s2
	s_xor_b32 s3, s2, s56
	s_ashr_i32 s3, s3, 31
	v_readfirstlane_b32 s6, v2
	s_mul_i32 s5, s5, s6
	s_mul_hi_u32 s5, s6, s5
	s_add_i32 s6, s6, s5
	s_mul_hi_u32 s5, s4, s6
	s_mul_i32 s6, s5, s1
	s_sub_i32 s4, s4, s6
	s_add_i32 s6, s5, 1
	s_sub_i32 s7, s4, s1
	s_cmp_ge_u32 s4, s1
	s_cselect_b32 s5, s6, s5
	s_cselect_b32 s4, s7, s4
	s_add_i32 s6, s5, 1
	s_cmp_ge_u32 s4, s1
	s_cselect_b32 s1, s6, s5
	s_add_i32 s0, s0, s59
	v_and_b32_e32 v100, 31, v0
	v_lshrrev_b32_e32 v2, 3, v0
	v_cmp_gt_i32_e64 s[28:29], s0, v1
	v_lshlrev_b32_e32 v1, 2, v100
	v_and_b32_e32 v3, 4, v2
	v_lshlrev_b32_e32 v2, 6, v3
	v_or_b32_e32 v4, 0x3000, v1
	v_and_b32_e32 v5, 1, v0
	v_or_b32_e32 v116, v4, v2
	v_or_b32_e32 v117, v1, v2
	v_lshlrev_b32_e32 v2, 1, v5
	v_sub_u32_e32 v2, v0, v2
	v_add_u32_e32 v2, 1, v2
	v_and_b32_e32 v6, 63, v2
	v_bitop3_b32 v2, v0, 1, v0 bitop3:0xc
	scratch_store_dword off, v2, off offset:48 ; 4-byte Folded Spill
	v_bitop3_b32 v2, v0, 3, 1 bitop3:0x6c
	scratch_store_dword off, v2, off offset:52 ; 4-byte Folded Spill
	;; [unrolled: 2-line block ×5, first 2 shown]
	v_bitop3_b32 v2, v0, 11, 1 bitop3:0x6c
	v_lshrrev_b32_e32 v7, 1, v0
	s_abs_i32 s30, s11
                                        ; implicit-def: $vgpr126 : SGPR spill to VGPR lane
	scratch_store_dword off, v2, off offset:68 ; 4-byte Folded Spill
	v_bitop3_b32 v2, v0, 13, 1 bitop3:0x6c
	v_and_b32_e32 v16, 16, v7
	v_cvt_f32_u32_e32 v7, s30
	v_writelane_b32 v126, s11, 0
	scratch_store_dword off, v2, off offset:72 ; 4-byte Folded Spill
	v_bitop3_b32 v2, v0, 15, 1 bitop3:0x6c
	v_writelane_b32 v126, s12, 1
	scratch_store_dword off, v2, off offset:76 ; 4-byte Folded Spill
	v_and_b32_e32 v2, 30, v0
	v_lshlrev_b32_e32 v0, 4, v0
	s_waitcnt lgkmcnt(0)
	v_writelane_b32 v126, s16, 2
	v_and_b32_e32 v0, 0x200, v0
	v_or_b32_e32 v15, v1, v0
	v_writelane_b32 v126, s17, 3
	v_rcp_iflag_f32_e32 v1, v7
	v_writelane_b32 v126, s18, 4
	v_writelane_b32 v126, s19, 5
	;; [unrolled: 1-line block ×3, first 2 shown]
	s_abs_i32 s34, s12
	v_writelane_b32 v126, s21, 7
	v_or_b32_e32 v124, v4, v0
	v_mul_f32_e32 v0, 0x4f7ffffe, v1
	v_cvt_f32_u32_e32 v1, s34
	v_writelane_b32 v126, s22, 8
	v_writelane_b32 v126, s23, 9
	v_cndmask_b32_e64 v111, 0, 1, s[14:15]
	v_writelane_b32 v126, s14, 10
	s_xor_b32 s1, s1, s3
	v_cvt_u32_f32_e32 v0, v0
	v_writelane_b32 v126, s15, 11
	v_rcp_iflag_f32_e32 v1, v1
	v_writelane_b32 v126, s24, 12
	s_sub_i32 s13, s1, s3
	s_add_i32 s26, s56, -1
	v_writelane_b32 v126, s25, 13
	s_mul_i32 s1, s13, s26
	v_writelane_b32 v126, s13, 14
	s_sub_i32 s27, s2, s1
	v_writelane_b32 v126, s26, 15
	v_readfirstlane_b32 s1, v0
	v_mul_f32_e32 v0, 0x4f7ffffe, v1
	v_writelane_b32 v126, s27, 16
	v_cvt_u32_f32_e32 v0, v0
	v_writelane_b32 v126, s28, 17
	s_sub_i32 s0, 0, s30
	s_lshl_b32 s31, s55, 5
	v_writelane_b32 v126, s29, 18
	s_mul_i32 s0, s0, s1
	v_writelane_b32 v126, s30, 19
	s_mul_hi_u32 s0, s1, s0
	v_writelane_b32 v126, s31, 20
	s_ashr_i32 s35, s11, 31
	s_add_i32 s36, s1, s0
	s_sub_i32 s0, 0, s34
	v_readfirstlane_b32 s1, v0
	v_writelane_b32 v126, s34, 21
	s_mul_i32 s0, s0, s1
	v_writelane_b32 v126, s35, 22
	s_ashr_i32 s37, s12, 31
	s_mul_hi_u32 s0, s1, s0
	v_writelane_b32 v126, s36, 23
	s_add_i32 s38, s1, s0
	v_writelane_b32 v126, s37, 24
	v_writelane_b32 v126, s38, 25
	v_mul_lo_u32 v8, s55, v100
	v_writelane_b32 v126, s52, 26
	v_mbcnt_lo_u32_b32 v0, -1, 0
	v_mbcnt_hi_u32_b32 v0, -1, v0
	v_writelane_b32 v126, s53, 27
	v_writelane_b32 v126, s54, 28
	;; [unrolled: 1-line block ×5, first 2 shown]
	v_mov_b32_e32 v119, 0
	v_and_or_b32 v0, v0, 64, v6
	v_writelane_b32 v126, s58, 32
	v_ashrrev_i32_e32 v9, 31, v8
	v_mov_b32_e32 v17, v119
	v_lshlrev_b32_e32 v118, 1, v2
	v_lshlrev_b32_e32 v120, 2, v0
	v_mov_b32_e32 v101, v104
	v_writelane_b32 v126, s59, 33
	scratch_store_dwordx2 off, v[8:9], off offset:88 ; 8-byte Folded Spill
	v_or_b32_e32 v121, v5, v3
	scratch_store_dword off, v14, off offset:32 ; 4-byte Folded Spill
	scratch_store_dword off, v100, off offset:36 ; 4-byte Folded Spill
	;; [unrolled: 1-line block ×4, first 2 shown]
	scratch_store_dwordx2 off, v[16:17], off offset:80 ; 8-byte Folded Spill
	scratch_store_dword off, v15, off offset:96 ; 4-byte Folded Spill
	scratch_store_dword off, v121, off offset:100 ; 4-byte Folded Spill
	s_branch .LBB230_7
.LBB230_4:                              ;   in Loop: Header=BB230_7 Depth=1
	s_or_b64 exec, exec, s[4:5]
.LBB230_5:                              ;   in Loop: Header=BB230_7 Depth=1
	s_or_b64 exec, exec, s[2:3]
	v_subrev_u32_e32 v101, s10, v101
.LBB230_6:                              ;   in Loop: Header=BB230_7 Depth=1
	s_or_b64 exec, exec, s[0:1]
	s_add_i32 s33, s33, 1
	s_waitcnt vmcnt(3)
	v_cmp_ge_i32_e32 vcc, s33, v14
	s_cbranch_vccnz .LBB230_58
.LBB230_7:                              ; =>This Loop Header: Depth=1
                                        ;     Child Loop BB230_13 Depth 2
                                        ;       Child Loop BB230_15 Depth 3
                                        ;       Child Loop BB230_18 Depth 3
	;; [unrolled: 1-line block ×7, first 2 shown]
                                        ;     Child Loop BB230_37 Depth 2
                                        ;     Child Loop BB230_45 Depth 2
                                        ;       Child Loop BB230_47 Depth 3
                                        ;     Child Loop BB230_55 Depth 2
                                        ;       Child Loop BB230_57 Depth 3
	s_abs_i32 s1, s33
	s_mul_hi_u32 s2, s1, s36
	s_mul_i32 s3, s2, s30
	s_ashr_i32 s0, s33, 31
	s_sub_i32 s1, s1, s3
	s_xor_b32 s0, s0, s35
	s_add_i32 s3, s2, 1
	s_sub_i32 s4, s1, s30
	s_cmp_ge_u32 s1, s30
	s_cselect_b32 s2, s3, s2
	s_cselect_b32 s1, s4, s1
	s_add_i32 s3, s2, 1
	s_cmp_ge_u32 s1, s30
	s_cselect_b32 s1, s3, s2
	s_xor_b32 s1, s1, s0
	s_sub_i32 s0, s1, s0
	s_abs_i32 s2, s0
	s_mul_i32 s1, s0, s11
	s_mul_hi_u32 s3, s2, s38
	s_sub_i32 s1, s33, s1
	s_mul_i32 s4, s3, s34
	s_lshl_b32 s39, s1, 6
	s_ashr_i32 s1, s0, 31
	s_sub_i32 s2, s2, s4
	s_xor_b32 s1, s1, s37
	s_add_i32 s4, s3, 1
	s_sub_i32 s5, s2, s34
	s_cmp_ge_u32 s2, s34
	s_cselect_b32 s3, s4, s3
	s_cselect_b32 s2, s5, s2
	s_add_i32 s4, s3, 1
	s_cmp_ge_u32 s2, s34
	s_cselect_b32 s2, s4, s3
	s_xor_b32 s2, s2, s1
	s_sub_i32 s1, s2, s1
	s_mul_i32 s2, s1, s13
	s_lshl_b32 s40, s2, 6
	s_cmp_eq_u32 s1, s26
	s_cselect_b32 s41, s27, s13
	s_sub_i32 s2, s39, s52
	s_add_i32 s2, s2, 64
	s_max_i32 s92, s2, 0
	s_and_saveexec_b64 s[2:3], s[24:25]
	s_xor_b64 s[42:43], exec, s[2:3]
	s_cbranch_execz .LBB230_51
; %bb.8:                                ;   in Loop: Header=BB230_7 Depth=1
	s_mul_i32 s1, s1, s12
	s_sub_i32 s0, s0, s1
	s_mulk_i32 s0, 0xc0
	s_sub_i32 s8, s0, s53
	s_addk_i32 s8, 0xc0
	s_max_i32 s1, s8, 0
	s_sub_i32 s44, s0, s1
	s_and_saveexec_b64 s[0:1], s[14:15]
	s_xor_b64 s[46:47], exec, s[0:1]
	s_cbranch_execz .LBB230_41
; %bb.9:                                ;   in Loop: Header=BB230_7 Depth=1
	s_and_saveexec_b64 s[48:49], s[28:29]
	s_cbranch_execz .LBB230_40
; %bb.10:                               ;   in Loop: Header=BB230_7 Depth=1
	global_load_dword v96, v119, s[22:23]
	v_mov_b32_e32 v95, 0
	v_cmp_gt_i32_e32 vcc, s41, v101
	v_mov_b32_e32 v94, v95
	v_mov_b32_e32 v93, v95
	;; [unrolled: 1-line block ×77, first 2 shown]
	s_waitcnt vmcnt(2)
	v_mov_b32_e32 v17, v95
	v_mov_b32_e32 v16, v95
	s_waitcnt vmcnt(1)
	v_mov_b32_e32 v15, v95
	v_mov_b32_e32 v14, v95
	;; [unrolled: 1-line block ×16, first 2 shown]
	s_and_saveexec_b64 s[0:1], vcc
	s_cbranch_execz .LBB230_35
; %bb.11:                               ;   in Loop: Header=BB230_7 Depth=1
	v_mov_b32_e32 v0, 0
	s_mov_b64 s[2:3], 0
	v_mov_b32_e32 v1, v0
	v_mov_b32_e32 v2, v0
	;; [unrolled: 1-line block ×95, first 2 shown]
	s_branch .LBB230_13
.LBB230_12:                             ;   in Loop: Header=BB230_13 Depth=2
	s_or_b64 exec, exec, s[4:5]
	v_add_u32_e32 v114, 0x2800, v110
	ds_read2_b32 v[112:113], v114 offset1:32
	v_add_u32_e32 v101, s59, v101
	s_waitcnt lgkmcnt(0)
	v_mfma_f32_32x32x16_fp8_fp8 v[0:15], v[108:109], v[112:113], v[0:15]
	ds_read2_b32 v[108:109], v114 offset0:128 offset1:160
	s_waitcnt lgkmcnt(0)
	v_mfma_f32_32x32x16_fp8_fp8 v[0:15], v[106:107], v[108:109], v[0:15]
	v_add_u32_e32 v108, 0x2c00, v110
	ds_read2_b32 v[106:107], v108 offset1:32
	ds_read2_b32 v[108:109], v108 offset0:128 offset1:160
	ds_write_b32 v98, v99 offset:16428
	s_waitcnt lgkmcnt(2)
	v_mfma_f32_32x32x16_fp8_fp8 v[0:15], v[104:105], v[106:107], v[0:15]
	v_add_u32_e32 v104, s59, v97
	v_add_u32_e32 v97, 2, v111
	v_cmp_lt_i32_e32 vcc, 0, v104
	s_nop 1
	v_cndmask_b32_e32 v111, v111, v97, vcc
	v_cmp_le_i32_e32 vcc, s41, v101
	s_waitcnt lgkmcnt(1)
	v_mfma_f32_32x32x16_fp8_fp8 v[0:15], v[102:103], v[108:109], v[0:15]
	s_or_b64 s[2:3], vcc, s[2:3]
	s_andn2_b64 exec, exec, s[2:3]
	s_cbranch_execz .LBB230_34
.LBB230_13:                             ;   Parent Loop BB230_7 Depth=1
                                        ; =>  This Loop Header: Depth=2
                                        ;       Child Loop BB230_15 Depth 3
                                        ;       Child Loop BB230_18 Depth 3
	;; [unrolled: 1-line block ×7, first 2 shown]
	v_cmp_lt_i32_e32 vcc, 0, v104
	s_nop 1
	v_subbrev_co_u32_e32 v97, vcc, 0, v104, vcc
	v_mul_lo_u32 v98, v97, 48
	ds_read_b32 v99, v98 offset:16384
	s_waitcnt lgkmcnt(0)
	v_cmp_ne_u32_e32 vcc, v99, v111
	s_and_saveexec_b64 s[4:5], vcc
	s_cbranch_execz .LBB230_16
; %bb.14:                               ;   in Loop: Header=BB230_13 Depth=2
	s_mov_b64 s[6:7], 0
.LBB230_15:                             ;   Parent Loop BB230_7 Depth=1
                                        ;     Parent Loop BB230_13 Depth=2
                                        ; =>    This Inner Loop Header: Depth=3
	;;#ASMSTART
	s_sleep 0
	;;#ASMEND
	ds_read_b32 v99, v98 offset:16384
	s_waitcnt lgkmcnt(0)
	v_cmp_eq_u32_e32 vcc, v99, v111
	s_or_b64 s[6:7], vcc, s[6:7]
	s_andn2_b64 exec, exec, s[6:7]
	s_cbranch_execnz .LBB230_15
.LBB230_16:                             ;   in Loop: Header=BB230_13 Depth=2
	s_or_b64 exec, exec, s[4:5]
	v_lshl_add_u32 v99, v97, 11, v116
	ds_read2_b32 v[108:109], v99 offset1:32
	ds_read2_b32 v[106:107], v99 offset0:128 offset1:160
	v_add_u32_e32 v99, 0x400, v99
	ds_read2_b32 v[104:105], v99 offset1:32
	ds_read_b32 v110, v98 offset:16388
	ds_read2_b32 v[102:103], v99 offset0:128 offset1:160
	v_add_u32_e32 v99, 1, v111
	ds_write_b32 v98, v99 offset:16384
	s_waitcnt lgkmcnt(2)
	v_cmp_ne_u32_e32 vcc, v110, v111
	s_and_saveexec_b64 s[4:5], vcc
	s_cbranch_execz .LBB230_19
; %bb.17:                               ;   in Loop: Header=BB230_13 Depth=2
	s_mov_b64 s[6:7], 0
.LBB230_18:                             ;   Parent Loop BB230_7 Depth=1
                                        ;     Parent Loop BB230_13 Depth=2
                                        ; =>    This Inner Loop Header: Depth=3
	;;#ASMSTART
	s_sleep 0
	;;#ASMEND
	ds_read_b32 v110, v98 offset:16388
	s_waitcnt lgkmcnt(0)
	v_cmp_eq_u32_e32 vcc, v110, v111
	s_or_b64 s[6:7], vcc, s[6:7]
	s_andn2_b64 exec, exec, s[6:7]
	s_cbranch_execnz .LBB230_18
.LBB230_19:                             ;   in Loop: Header=BB230_13 Depth=2
	s_or_b64 exec, exec, s[4:5]
	s_movk_i32 s4, 0x3000
	v_mul_lo_u32 v110, v97, s4
	v_or_b32_e32 v114, v117, v110
	ds_read2_b32 v[112:113], v114 offset1:32
	ds_write_b32 v98, v99 offset:16388
	s_waitcnt lgkmcnt(1)
	v_mfma_f32_32x32x16_fp8_fp8 v[80:95], v[108:109], v[112:113], v[80:95]
	ds_read2_b32 v[112:113], v114 offset0:128 offset1:160
	v_add_u32_e32 v114, 0x400, v114
	s_waitcnt lgkmcnt(0)
	v_mfma_f32_32x32x16_fp8_fp8 v[80:95], v[106:107], v[112:113], v[80:95]
	ds_read2_b32 v[112:113], v114 offset1:32
	s_waitcnt lgkmcnt(0)
	v_mfma_f32_32x32x16_fp8_fp8 v[80:95], v[104:105], v[112:113], v[80:95]
	ds_read2_b32 v[112:113], v114 offset0:128 offset1:160
	ds_read_b32 v114, v98 offset:16396
	s_waitcnt lgkmcnt(0)
	v_cmp_ne_u32_e32 vcc, v114, v111
	v_mfma_f32_32x32x16_fp8_fp8 v[80:95], v[102:103], v[112:113], v[80:95]
	s_and_saveexec_b64 s[4:5], vcc
	s_cbranch_execz .LBB230_22
; %bb.20:                               ;   in Loop: Header=BB230_13 Depth=2
	s_mov_b64 s[6:7], 0
.LBB230_21:                             ;   Parent Loop BB230_7 Depth=1
                                        ;     Parent Loop BB230_13 Depth=2
                                        ; =>    This Inner Loop Header: Depth=3
	;;#ASMSTART
	s_sleep 0
	;;#ASMEND
	ds_read_b32 v112, v98 offset:16396
	s_waitcnt lgkmcnt(0)
	v_cmp_eq_u32_e32 vcc, v112, v111
	s_or_b64 s[6:7], vcc, s[6:7]
	s_andn2_b64 exec, exec, s[6:7]
	s_cbranch_execnz .LBB230_21
.LBB230_22:                             ;   in Loop: Header=BB230_13 Depth=2
	s_or_b64 exec, exec, s[4:5]
	v_add_u32_e32 v110, v117, v110
	v_add_u32_e32 v114, 0x800, v110
	ds_read2_b32 v[112:113], v114 offset1:32
	ds_write_b32 v98, v99 offset:16396
	s_waitcnt lgkmcnt(1)
	v_mfma_f32_32x32x16_fp8_fp8 v[64:79], v[108:109], v[112:113], v[64:79]
	ds_read2_b32 v[112:113], v114 offset0:128 offset1:160
	v_add_u32_e32 v114, 0xc00, v110
	s_waitcnt lgkmcnt(0)
	v_mfma_f32_32x32x16_fp8_fp8 v[64:79], v[106:107], v[112:113], v[64:79]
	ds_read2_b32 v[112:113], v114 offset1:32
	s_waitcnt lgkmcnt(0)
	v_mfma_f32_32x32x16_fp8_fp8 v[64:79], v[104:105], v[112:113], v[64:79]
	ds_read2_b32 v[112:113], v114 offset0:128 offset1:160
	ds_read_b32 v114, v98 offset:16404
	s_waitcnt lgkmcnt(0)
	v_cmp_ne_u32_e32 vcc, v114, v111
	v_mfma_f32_32x32x16_fp8_fp8 v[64:79], v[102:103], v[112:113], v[64:79]
	s_and_saveexec_b64 s[4:5], vcc
	s_cbranch_execz .LBB230_25
; %bb.23:                               ;   in Loop: Header=BB230_13 Depth=2
	s_mov_b64 s[6:7], 0
.LBB230_24:                             ;   Parent Loop BB230_7 Depth=1
                                        ;     Parent Loop BB230_13 Depth=2
                                        ; =>    This Inner Loop Header: Depth=3
	;;#ASMSTART
	s_sleep 0
	;;#ASMEND
	ds_read_b32 v112, v98 offset:16404
	s_waitcnt lgkmcnt(0)
	v_cmp_eq_u32_e32 vcc, v112, v111
	s_or_b64 s[6:7], vcc, s[6:7]
	s_andn2_b64 exec, exec, s[6:7]
	s_cbranch_execnz .LBB230_24
.LBB230_25:                             ;   in Loop: Header=BB230_13 Depth=2
	s_or_b64 exec, exec, s[4:5]
	v_add_u32_e32 v114, 0x1000, v110
	ds_read2_b32 v[112:113], v114 offset1:32
	s_waitcnt lgkmcnt(0)
	v_mfma_f32_32x32x16_fp8_fp8 v[48:63], v[108:109], v[112:113], v[48:63]
	ds_read2_b32 v[112:113], v114 offset0:128 offset1:160
	v_add_u32_e32 v114, 0x1400, v110
	s_waitcnt lgkmcnt(0)
	v_mfma_f32_32x32x16_fp8_fp8 v[48:63], v[106:107], v[112:113], v[48:63]
	ds_read2_b32 v[112:113], v114 offset1:32
	s_waitcnt lgkmcnt(0)
	v_mfma_f32_32x32x16_fp8_fp8 v[48:63], v[104:105], v[112:113], v[48:63]
	ds_read_b32 v115, v98 offset:16412
	ds_read2_b32 v[112:113], v114 offset0:128 offset1:160
	ds_write_b32 v98, v99 offset:16404
	s_waitcnt lgkmcnt(2)
	v_cmp_ne_u32_e32 vcc, v115, v111
	s_waitcnt lgkmcnt(1)
	v_mfma_f32_32x32x16_fp8_fp8 v[48:63], v[102:103], v[112:113], v[48:63]
	s_and_saveexec_b64 s[4:5], vcc
	s_cbranch_execz .LBB230_28
; %bb.26:                               ;   in Loop: Header=BB230_13 Depth=2
	s_mov_b64 s[6:7], 0
.LBB230_27:                             ;   Parent Loop BB230_7 Depth=1
                                        ;     Parent Loop BB230_13 Depth=2
                                        ; =>    This Inner Loop Header: Depth=3
	;;#ASMSTART
	s_sleep 0
	;;#ASMEND
	ds_read_b32 v112, v98 offset:16412
	s_waitcnt lgkmcnt(0)
	v_cmp_eq_u32_e32 vcc, v112, v111
	s_or_b64 s[6:7], vcc, s[6:7]
	s_andn2_b64 exec, exec, s[6:7]
	s_cbranch_execnz .LBB230_27
.LBB230_28:                             ;   in Loop: Header=BB230_13 Depth=2
	s_or_b64 exec, exec, s[4:5]
	v_add_u32_e32 v114, 0x1800, v110
	ds_read2_b32 v[112:113], v114 offset1:32
	s_waitcnt lgkmcnt(0)
	v_mfma_f32_32x32x16_fp8_fp8 v[32:47], v[108:109], v[112:113], v[32:47]
	ds_read2_b32 v[112:113], v114 offset0:128 offset1:160
	v_add_u32_e32 v114, 0x1c00, v110
	s_waitcnt lgkmcnt(0)
	v_mfma_f32_32x32x16_fp8_fp8 v[32:47], v[106:107], v[112:113], v[32:47]
	ds_read2_b32 v[112:113], v114 offset1:32
	s_waitcnt lgkmcnt(0)
	v_mfma_f32_32x32x16_fp8_fp8 v[32:47], v[104:105], v[112:113], v[32:47]
	ds_read_b32 v115, v98 offset:16420
	ds_read2_b32 v[112:113], v114 offset0:128 offset1:160
	ds_write_b32 v98, v99 offset:16412
	s_waitcnt lgkmcnt(2)
	v_cmp_ne_u32_e32 vcc, v115, v111
	s_waitcnt lgkmcnt(1)
	;; [unrolled: 36-line block ×3, first 2 shown]
	v_mfma_f32_32x32x16_fp8_fp8 v[16:31], v[102:103], v[112:113], v[16:31]
	s_and_saveexec_b64 s[4:5], vcc
	s_cbranch_execz .LBB230_12
; %bb.32:                               ;   in Loop: Header=BB230_13 Depth=2
	s_mov_b64 s[6:7], 0
.LBB230_33:                             ;   Parent Loop BB230_7 Depth=1
                                        ;     Parent Loop BB230_13 Depth=2
                                        ; =>    This Inner Loop Header: Depth=3
	;;#ASMSTART
	s_sleep 0
	;;#ASMEND
	ds_read_b32 v112, v98 offset:16428
	s_waitcnt lgkmcnt(0)
	v_cmp_eq_u32_e32 vcc, v112, v111
	s_or_b64 s[6:7], vcc, s[6:7]
	s_andn2_b64 exec, exec, s[6:7]
	s_cbranch_execnz .LBB230_33
	s_branch .LBB230_12
.LBB230_34:                             ;   in Loop: Header=BB230_7 Depth=1
	s_or_b64 exec, exec, s[2:3]
.LBB230_35:                             ;   in Loop: Header=BB230_7 Depth=1
	v_writelane_b32 v126, s48, 34
	s_nop 1
	v_writelane_b32 v126, s49, 35
	v_writelane_b32 v126, s46, 36
	s_nop 1
	v_writelane_b32 v126, s47, 37
	;; [unrolled: 3-line block ×4, first 2 shown]
	v_writelane_b32 v126, s41, 42
	v_writelane_b32 v126, s40, 43
	;; [unrolled: 1-line block ×3, first 2 shown]
	s_or_b64 exec, exec, s[0:1]
	v_cmp_le_i32_e32 vcc, s8, v100
	v_or_b32_e32 v97, 32, v100
	scratch_store_dwordx2 off, v[118:119], off ; 8-byte Folded Spill
	s_waitcnt vmcnt(1)
	v_cndmask_b32_e32 v98, 0, v96, vcc
	v_cmp_le_i32_e32 vcc, s8, v97
	v_or_b32_e32 v97, 64, v100
	v_pk_mul_f32 v[112:113], v[98:99], v[94:95] op_sel_hi:[0,1]
	v_pk_mul_f32 v[92:93], v[98:99], v[92:93] op_sel_hi:[0,1]
	;; [unrolled: 1-line block ×8, first 2 shown]
	v_cndmask_b32_e32 v98, 0, v96, vcc
	v_cmp_le_i32_e32 vcc, s8, v97
	v_or_b32_e32 v97, 0x60, v100
	v_pk_mul_f32 v[102:103], v[98:99], v[66:67] op_sel_hi:[0,1]
	v_cndmask_b32_e32 v66, 0, v96, vcc
	v_cmp_le_i32_e32 vcc, s8, v97
	v_or_b32_e32 v97, 0x80, v100
	v_pk_mul_f32 v[116:117], v[66:67], v[48:49] op_sel_hi:[0,1]
	v_cndmask_b32_e32 v48, 0, v96, vcc
	v_cmp_le_i32_e32 vcc, s8, v97
	v_or_b32_e32 v97, 0xa0, v100
	scratch_load_dword v100, off, off offset:48 ; 4-byte Folded Reload
	scratch_load_dword v118, off, off offset:56 ; 4-byte Folded Reload
	v_pk_mul_f32 v[46:47], v[48:49], v[46:47] op_sel_hi:[0,1]
	v_pk_mul_f32 v[44:45], v[48:49], v[44:45] op_sel_hi:[0,1]
	v_pk_mul_f32 v[42:43], v[48:49], v[42:43] op_sel_hi:[0,1]
	v_pk_mul_f32 v[40:41], v[48:49], v[40:41] op_sel_hi:[0,1]
	v_pk_mul_f32 v[38:39], v[48:49], v[38:39] op_sel_hi:[0,1]
	v_pk_mul_f32 v[36:37], v[48:49], v[36:37] op_sel_hi:[0,1]
	v_pk_mul_f32 v[34:35], v[48:49], v[34:35] op_sel_hi:[0,1]
	v_pk_mul_f32 v[32:33], v[48:49], v[32:33] op_sel_hi:[0,1]
	v_cndmask_b32_e32 v48, 0, v96, vcc
	v_cmp_le_i32_e32 vcc, s8, v97
	v_pk_mul_f32 v[30:31], v[48:49], v[30:31] op_sel_hi:[0,1]
	v_pk_mul_f32 v[28:29], v[48:49], v[28:29] op_sel_hi:[0,1]
	;; [unrolled: 1-line block ×8, first 2 shown]
	v_cndmask_b32_e32 v48, 0, v96, vcc
	v_pk_mul_f32 v[14:15], v[48:49], v[14:15] op_sel_hi:[0,1]
	v_pk_mul_f32 v[12:13], v[48:49], v[12:13] op_sel_hi:[0,1]
	;; [unrolled: 1-line block ×22, first 2 shown]
                                        ; implicit-def: $vgpr127 : SGPR spill to VGPR lane
	s_waitcnt vmcnt(1)
	v_cmp_eq_u32_e64 s[6:7], 1, v100
	s_nop 1
	v_cndmask_b32_e64 v48, v80, v81, s[6:7]
	v_cmp_eq_u32_e64 s[40:41], 2, v100
	v_cmp_eq_u32_e64 s[42:43], 3, v100
	v_cmp_eq_u32_e32 vcc, 4, v100
	v_cndmask_b32_e64 v48, v48, v82, s[40:41]
	v_cndmask_b32_e64 v48, v48, v83, s[42:43]
	v_cndmask_b32_e32 v48, v48, v84, vcc
	v_cmp_eq_u32_e64 s[0:1], 5, v100
	v_cmp_eq_u32_e64 s[2:3], 6, v100
	v_cmp_eq_u32_e64 s[30:31], 7, v100
	v_cndmask_b32_e64 v48, v48, v85, s[0:1]
	v_cndmask_b32_e64 v48, v48, v86, s[2:3]
	v_cndmask_b32_e64 v48, v48, v87, s[30:31]
	v_cmp_eq_u32_e64 s[26:27], 8, v100
	v_cmp_eq_u32_e64 s[24:25], 9, v100
	v_cmp_eq_u32_e64 s[22:23], 10, v100
	v_cndmask_b32_e64 v48, v48, v88, s[26:27]
	v_cndmask_b32_e64 v48, v48, v89, s[24:25]
	v_cndmask_b32_e64 v48, v48, v90, s[22:23]
	;; [unrolled: 6-line block ×3, first 2 shown]
	v_cmp_eq_u32_e64 s[12:13], 14, v100
	v_cmp_eq_u32_e64 s[10:11], 15, v100
	;; [unrolled: 1-line block ×3, first 2 shown]
	v_cndmask_b32_e64 v48, v48, v112, s[12:13]
	v_cndmask_b32_e64 v48, v48, v113, s[10:11]
	ds_bpermute_b32 v48, v120, v48
	s_waitcnt vmcnt(0)
	v_cmp_eq_u32_e64 s[44:45], 1, v118
	v_cmp_eq_u32_e64 s[8:9], 3, v118
	s_waitcnt lgkmcnt(0)
	v_cndmask_b32_e64 v75, v87, v48, s[30:31]
	scratch_load_dword v87, off, off offset:52 ; 4-byte Folded Reload
	v_cndmask_b32_e64 v81, v81, v48, s[6:7]
	v_cndmask_b32_e64 v80, v80, v48, s[46:47]
	;; [unrolled: 1-line block ×12, first 2 shown]
	v_cndmask_b32_e32 v84, v84, v48, vcc
	v_cndmask_b32_e64 v83, v83, v48, s[42:43]
	v_cndmask_b32_e64 v82, v82, v48, s[40:41]
	s_waitcnt vmcnt(0)
	v_cmp_eq_u32_e64 s[4:5], 1, v87
	s_nop 1
	v_cndmask_b32_e64 v48, v80, v81, s[4:5]
	v_cmp_eq_u32_e64 s[28:29], 2, v87
	v_cmp_eq_u32_e64 s[34:35], 3, v87
	v_cmp_eq_u32_e64 s[36:37], 4, v87
	v_cndmask_b32_e64 v48, v48, v82, s[28:29]
	v_cndmask_b32_e64 v48, v48, v83, s[34:35]
	v_cndmask_b32_e64 v48, v48, v84, s[36:37]
	v_cmp_eq_u32_e64 s[38:39], 5, v87
	v_cmp_eq_u32_e64 s[48:49], 6, v87
	v_cmp_eq_u32_e64 s[52:53], 7, v87
	v_cndmask_b32_e64 v48, v48, v85, s[38:39]
	v_cndmask_b32_e64 v48, v48, v77, s[48:49]
	;; [unrolled: 6-line block ×5, first 2 shown]
	ds_bpermute_b32 v86, v120, v48
	s_waitcnt lgkmcnt(0)
	v_cndmask_b32_e64 v121, v50, v86, s[80:81]
	v_cndmask_b32_e64 v50, v94, v95, s[6:7]
	;; [unrolled: 1-line block ×4, first 2 shown]
	v_cndmask_b32_e32 v50, v50, v114, vcc
	v_cndmask_b32_e64 v50, v50, v115, s[0:1]
	v_cndmask_b32_e64 v50, v50, v70, s[2:3]
	;; [unrolled: 1-line block ×13, first 2 shown]
	ds_bpermute_b32 v82, v120, v50
	v_cndmask_b32_e64 v76, v74, v86, s[56:57]
	v_cndmask_b32_e64 v74, v75, v86, s[52:53]
	v_cndmask_b32_e64 v75, v77, v86, s[48:49]
	v_cndmask_b32_e64 v122, v51, v86, s[76:77]
	s_waitcnt lgkmcnt(0)
	v_cndmask_b32_e64 v112, v70, v82, s[2:3]
	v_cndmask_b32_e64 v70, v116, v117, s[6:7]
	;; [unrolled: 1-line block ×4, first 2 shown]
	v_cndmask_b32_e32 v70, v70, v52, vcc
	v_cndmask_b32_e64 v70, v70, v53, s[0:1]
	v_cndmask_b32_e64 v70, v70, v54, s[2:3]
	;; [unrolled: 1-line block ×11, first 2 shown]
	ds_bpermute_b32 v70, v120, v70
	v_cndmask_b32_e64 v77, v107, v82, s[14:15]
	v_cndmask_b32_e64 v107, v108, v82, s[22:23]
	v_cndmask_b32_e64 v108, v73, v82, s[24:25]
	v_cndmask_b32_e64 v123, v66, v86, s[72:73]
	s_waitcnt lgkmcnt(0)
	v_cndmask_b32_e32 v96, v52, v70, vcc
	v_cndmask_b32_e64 v52, v32, v33, s[6:7]
	v_cndmask_b32_e64 v52, v52, v34, s[40:41]
	;; [unrolled: 1-line block ×3, first 2 shown]
	v_cndmask_b32_e32 v52, v52, v36, vcc
	v_cndmask_b32_e64 v52, v52, v37, s[0:1]
	v_cndmask_b32_e64 v52, v52, v38, s[2:3]
	;; [unrolled: 1-line block ×12, first 2 shown]
	ds_bpermute_b32 v59, v120, v52
	v_cndmask_b32_e64 v125, v67, v86, s[68:69]
	v_cndmask_b32_e64 v66, v68, v86, s[64:65]
	;; [unrolled: 1-line block ×4, first 2 shown]
	s_waitcnt lgkmcnt(0)
	v_cndmask_b32_e64 v73, v33, v59, s[6:7]
	scratch_load_dword v33, off, off offset:60 ; 4-byte Folded Reload
	v_cndmask_b32_e64 v69, v84, v86, s[36:37]
	v_cndmask_b32_e64 v48, v83, v86, s[34:35]
	;; [unrolled: 1-line block ×11, first 2 shown]
	v_cndmask_b32_e32 v114, v114, v82, vcc
	v_cndmask_b32_e64 v85, v103, v82, s[42:43]
	v_cndmask_b32_e64 v86, v102, v82, s[40:41]
	;; [unrolled: 1-line block ×8, first 2 shown]
	v_cndmask_b32_e32 v35, v35, v20, vcc
	v_cndmask_b32_e64 v35, v35, v21, s[0:1]
	v_cndmask_b32_e64 v35, v35, v22, s[2:3]
	;; [unrolled: 1-line block ×11, first 2 shown]
	ds_bpermute_b32 v35, v120, v35
	v_cndmask_b32_e64 v102, v117, v70, s[6:7]
	v_cndmask_b32_e64 v72, v32, v59, s[46:47]
	;; [unrolled: 1-line block ×4, first 2 shown]
	s_waitcnt lgkmcnt(0)
	v_cndmask_b32_e64 v80, v16, v35, s[46:47]
	v_cndmask_b32_e64 v16, v0, v1, s[6:7]
	;; [unrolled: 1-line block ×4, first 2 shown]
	v_cndmask_b32_e32 v16, v16, v4, vcc
	v_cndmask_b32_e64 v16, v16, v5, s[0:1]
	v_cndmask_b32_e64 v16, v16, v6, s[2:3]
	;; [unrolled: 1-line block ×11, first 2 shown]
	ds_bpermute_b32 v16, v120, v16
	v_cndmask_b32_e64 v17, v17, v35, s[6:7]
	v_cmp_eq_u32_e64 s[6:7], 2, v118
	scratch_store_dword off, v17, off offset:28 ; 4-byte Folded Spill
	v_cndmask_b32_e64 v47, v47, v59, s[10:11]
	v_cndmask_b32_e64 v17, v32, v49, s[6:7]
	;; [unrolled: 1-line block ×4, first 2 shown]
	s_waitcnt lgkmcnt(0)
	v_cndmask_b32_e64 v15, v15, v16, s[10:11]
	v_cmp_eq_u32_e64 s[10:11], 4, v118
	v_cndmask_b32_e64 v90, v62, v70, s[12:13]
	v_cndmask_b32_e64 v46, v46, v59, s[12:13]
	v_cndmask_b32_e64 v37, v37, v59, s[0:1]
	v_cndmask_b32_e64 v30, v30, v35, s[12:13]
	v_cndmask_b32_e64 v17, v17, v69, s[10:11]
	v_cndmask_b32_e64 v14, v14, v16, s[12:13]
	v_cmp_eq_u32_e64 s[12:13], 5, v118
	v_cndmask_b32_e64 v91, v61, v70, s[14:15]
	v_cndmask_b32_e64 v45, v45, v59, s[14:15]
	scratch_store_dword off, v37, off offset:8 ; 4-byte Folded Spill
	v_cndmask_b32_e64 v37, v29, v35, s[14:15]
	v_cndmask_b32_e64 v17, v17, v68, s[12:13]
	;; [unrolled: 1-line block ×3, first 2 shown]
	v_cmp_eq_u32_e64 s[14:15], 6, v118
	v_cndmask_b32_e64 v92, v60, v70, s[18:19]
	v_cndmask_b32_e64 v99, v64, v70, s[40:41]
	;; [unrolled: 1-line block ×7, first 2 shown]
	v_cmp_eq_u32_e64 s[18:19], 7, v118
	v_cndmask_b32_e64 v95, v57, v70, s[24:25]
	v_cndmask_b32_e64 v57, v43, v59, s[20:21]
	;; [unrolled: 1-line block ×5, first 2 shown]
	v_cmp_eq_u32_e64 s[20:21], 8, v118
	v_cndmask_b32_e64 v94, v58, v70, s[22:23]
	v_cndmask_b32_e64 v58, v42, v59, s[22:23]
	;; [unrolled: 1-line block ×5, first 2 shown]
	v_cmp_eq_u32_e64 s[22:23], 9, v118
	v_cndmask_b32_e64 v52, v41, v59, s[24:25]
	v_cndmask_b32_e64 v60, v40, v59, s[26:27]
	;; [unrolled: 1-line block ×3, first 2 shown]
	v_cndmask_b32_e32 v36, v36, v59, vcc
	v_cndmask_b32_e64 v81, v34, v59, s[40:41]
	v_cndmask_b32_e64 v59, v25, v35, s[24:25]
	;; [unrolled: 1-line block ×4, first 2 shown]
	v_cmp_eq_u32_e64 s[24:25], 10, v118
	v_cndmask_b32_e64 v56, v56, v70, s[26:27]
	v_cndmask_b32_e64 v61, v24, v35, s[26:27]
	;; [unrolled: 1-line block ×4, first 2 shown]
	v_cmp_eq_u32_e64 s[26:27], 11, v118
	v_cndmask_b32_e64 v55, v55, v70, s[30:31]
	v_cndmask_b32_e64 v103, v116, v70, s[46:47]
	;; [unrolled: 1-line block ×5, first 2 shown]
	v_cmp_eq_u32_e64 s[30:31], 12, v118
	v_cndmask_b32_e64 v54, v54, v70, s[2:3]
	v_cndmask_b32_e64 v63, v22, v35, s[2:3]
	;; [unrolled: 1-line block ×4, first 2 shown]
	v_cmp_eq_u32_e64 s[2:3], 13, v118
	v_cndmask_b32_e64 v53, v53, v70, s[0:1]
	v_cndmask_b32_e64 v97, v65, v70, s[42:43]
	;; [unrolled: 1-line block ×5, first 2 shown]
	v_cmp_eq_u32_e64 s[0:1], 14, v118
	v_cndmask_b32_e32 v20, v20, v35, vcc
	v_cndmask_b32_e32 v4, v4, v16, vcc
	v_cndmask_b32_e64 v6, v6, v121, s[0:1]
	v_cmp_eq_u32_e32 vcc, 15, v118
	v_cndmask_b32_e64 v19, v19, v35, s[42:43]
	v_cndmask_b32_e64 v18, v18, v35, s[40:41]
	v_cndmask_b32_e32 v6, v6, v98, vcc
	ds_bpermute_b32 v7, v120, v6
	v_cndmask_b32_e64 v6, v3, v16, s[42:43]
	v_cmp_eq_u32_e64 s[42:43], 0, v118
	s_waitcnt vmcnt(2)
	v_cmp_eq_u32_e64 s[58:59], 1, v33
	v_cndmask_b32_e64 v71, v0, v16, s[46:47]
	s_waitcnt lgkmcnt(0)
	v_cndmask_b32_e32 v8, v98, v7, vcc
	v_cndmask_b32_e64 v27, v51, v7, s[44:45]
	v_writelane_b32 v126, s42, 45
	v_cndmask_b32_e64 v98, v2, v16, s[40:41]
	v_cmp_ne_u32_e64 s[40:41], 0, v100
	v_cndmask_b32_e64 v32, v50, v7, s[42:43]
	v_cndmask_b32_e64 v26, v49, v7, s[6:7]
	v_cndmask_b32_e64 v3, v1, v16, s[40:41]
	v_cndmask_b32_e64 v1, v32, v27, s[58:59]
	v_cmp_eq_u32_e64 s[40:41], 2, v33
	v_cndmask_b32_e64 v25, v48, v7, s[8:9]
	v_cmp_eq_u32_e64 s[46:47], 3, v33
	v_cndmask_b32_e64 v0, v1, v26, s[40:41]
	v_cndmask_b32_e64 v24, v69, v7, s[10:11]
	;; [unrolled: 1-line block ×3, first 2 shown]
	v_cmp_eq_u32_e64 s[50:51], 4, v33
	v_cndmask_b32_e64 v23, v68, v7, s[12:13]
	v_cmp_eq_u32_e64 s[54:55], 5, v33
	v_cndmask_b32_e64 v0, v0, v24, s[50:51]
	v_cndmask_b32_e64 v22, v75, v7, s[14:15]
	;; [unrolled: 1-line block ×3, first 2 shown]
	v_cmp_eq_u32_e64 s[62:63], 6, v33
	v_cndmask_b32_e64 v21, v74, v7, s[18:19]
	v_cmp_eq_u32_e64 s[66:67], 7, v33
	v_cndmask_b32_e64 v0, v0, v22, s[62:63]
	scratch_store_dword off, v20, off offset:16 ; 4-byte Folded Spill
	v_cndmask_b32_e64 v20, v76, v7, s[20:21]
	v_cndmask_b32_e64 v0, v0, v21, s[66:67]
	v_cmp_eq_u32_e64 s[70:71], 8, v33
	scratch_store_dword off, v19, off offset:20 ; 4-byte Folded Spill
	v_cndmask_b32_e64 v19, v67, v7, s[22:23]
	v_cndmask_b32_e64 v0, v0, v20, s[70:71]
	v_cmp_eq_u32_e64 s[74:75], 9, v33
	;; [unrolled: 4-line block ×3, first 2 shown]
	v_cndmask_b32_e64 v17, v125, v7, s[26:27]
	v_cmp_eq_u32_e64 s[82:83], 11, v33
	v_cndmask_b32_e64 v0, v0, v18, s[78:79]
	v_cndmask_b32_e64 v11, v123, v7, s[30:31]
	;; [unrolled: 1-line block ×3, first 2 shown]
	v_cmp_eq_u32_e64 s[86:87], 12, v33
	v_cndmask_b32_e64 v10, v122, v7, s[2:3]
	s_mov_b64 s[96:97], s[40:41]
	v_cndmask_b32_e64 v0, v0, v11, s[86:87]
	v_cmp_eq_u32_e64 s[40:41], 13, v33
	v_cndmask_b32_e64 v9, v121, v7, s[0:1]
	v_writelane_b32 v126, s43, 46
	v_cndmask_b32_e64 v0, v0, v10, s[40:41]
	v_cmp_eq_u32_e64 s[42:43], 14, v33
	v_cmp_eq_u32_e64 s[98:99], 15, v33
	v_writelane_b32 v126, s96, 47
	v_cndmask_b32_e64 v0, v0, v9, s[42:43]
	v_cndmask_b32_e64 v0, v0, v8, s[98:99]
	ds_bpermute_b32 v16, v120, v0
	v_writelane_b32 v126, s97, 48
	scratch_store_dword off, v36, off offset:12 ; 4-byte Folded Spill
	s_waitcnt lgkmcnt(0)
	v_cndmask_b32_e64 v2, v9, v16, s[42:43]
	v_cndmask_b32_e64 v9, v17, v16, s[82:83]
	;; [unrolled: 1-line block ×4, first 2 shown]
	v_cmp_eq_u32_e64 s[96:97], 0, v33
	v_cndmask_b32_e64 v1, v8, v16, s[98:99]
	v_cndmask_b32_e64 v7, v10, v16, s[40:41]
	;; [unrolled: 1-line block ×13, first 2 shown]
	v_writelane_b32 v126, s96, 49
	v_cndmask_b32_e64 v17, v17, v85, s[34:35]
	v_cndmask_b32_e64 v17, v17, v114, s[36:37]
	;; [unrolled: 1-line block ×28, first 2 shown]
	ds_bpermute_b32 v18, v120, v17
	v_cndmask_b32_e64 v16, v16, v89, s[84:85]
	ds_bpermute_b32 v42, v120, v16
	v_writelane_b32 v126, s97, 50
	s_waitcnt lgkmcnt(1)
	v_cndmask_b32_e64 v121, v88, v18, s[16:17]
	scratch_load_dword v88, off, off offset:12 ; 4-byte Folded Reload
	s_waitcnt lgkmcnt(0)
	v_cndmask_b32_e64 v122, v89, v42, s[84:85]
	v_cndmask_b32_e64 v32, v90, v42, s[80:81]
	v_cndmask_b32_e64 v33, v91, v42, s[76:77]
	v_cndmask_b32_e64 v35, v92, v42, s[72:73]
	v_cndmask_b32_e64 v16, v93, v42, s[68:69]
	scratch_load_dword v89, off, off offset:28 ; 4-byte Folded Reload
	scratch_load_dword v90, off, off offset:24 ; 4-byte Folded Reload
	;; [unrolled: 1-line block ×5, first 2 shown]
	v_cndmask_b32_e64 v21, v53, v42, s[38:39]
	v_cndmask_b32_e64 v53, v72, v73, s[4:5]
	;; [unrolled: 1-line block ×29, first 2 shown]
	s_waitcnt vmcnt(5)
	v_cndmask_b32_e64 v53, v53, v88, s[36:37]
	s_waitcnt vmcnt(0)
	v_cndmask_b32_e64 v53, v53, v93, s[38:39]
	v_cndmask_b32_e64 v53, v53, v64, s[48:49]
	;; [unrolled: 1-line block ×11, first 2 shown]
	ds_bpermute_b32 v85, v120, v53
	v_cndmask_b32_e64 v53, v80, v89, s[4:5]
	v_cndmask_b32_e64 v53, v53, v90, s[28:29]
	;; [unrolled: 1-line block ×15, first 2 shown]
	ds_bpermute_b32 v86, v120, v53
	v_cndmask_b32_e64 v53, v71, v3, s[4:5]
	v_cndmask_b32_e64 v53, v53, v98, s[28:29]
	;; [unrolled: 1-line block ×15, first 2 shown]
	ds_bpermute_b32 v87, v120, v53
	s_waitcnt lgkmcnt(1)
	v_cndmask_b32_e64 v55, v37, v86, s[76:77]
	v_cndmask_b32_e64 v56, v38, v86, s[72:73]
	;; [unrolled: 1-line block ×4, first 2 shown]
	s_waitcnt lgkmcnt(0)
	v_cndmask_b32_e64 v107, v13, v87, s[76:77]
	scratch_load_dword v13, off, off offset:64 ; 4-byte Folded Reload
	v_cndmask_b32_e64 v114, v116, v87, s[52:53]
	v_cndmask_b32_e64 v64, v65, v86, s[38:39]
	;; [unrolled: 1-line block ×40, first 2 shown]
	v_readlane_b32 s84, v126, 45
	v_cndmask_b32_e64 v52, v52, v85, s[60:61]
	v_cndmask_b32_e64 v59, v59, v86, s[60:61]
	;; [unrolled: 1-line block ×3, first 2 shown]
	v_readlane_b32 s85, v126, 46
	s_waitcnt vmcnt(0)
	v_cmp_eq_u32_e64 s[38:39], 1, v13
	s_nop 1
	v_cndmask_b32_e64 v12, v74, v51, s[38:39]
	v_cmp_eq_u32_e64 s[28:29], 2, v13
	v_cmp_eq_u32_e64 s[48:49], 3, v13
	v_cmp_eq_u32_e64 s[52:53], 4, v13
	v_cndmask_b32_e64 v12, v12, v50, s[28:29]
	v_cndmask_b32_e64 v12, v12, v49, s[48:49]
	v_cndmask_b32_e64 v12, v12, v48, s[52:53]
	v_cmp_eq_u32_e64 s[56:57], 5, v13
	v_cmp_eq_u32_e64 s[64:65], 6, v13
	v_cmp_eq_u32_e64 s[68:69], 7, v13
	v_cndmask_b32_e64 v12, v12, v68, s[56:57]
	v_cndmask_b32_e64 v12, v12, v70, s[64:65]
	;; [unrolled: 6-line block ×5, first 2 shown]
	ds_bpermute_b32 v12, v120, v12
	s_waitcnt lgkmcnt(0)
	v_cndmask_b32_e64 v81, v1, v12, s[4:5]
	v_cndmask_b32_e64 v1, v42, v41, s[44:45]
	;; [unrolled: 1-line block ×15, first 2 shown]
	v_cndmask_b32_e32 v1, v1, v122, vcc
	ds_bpermute_b32 v1, v120, v1
	v_cndmask_b32_e64 v90, v0, v12, s[72:73]
	v_cndmask_b32_e64 v0, v121, v27, s[44:45]
	v_cndmask_b32_e64 v0, v0, v26, s[6:7]
	v_cndmask_b32_e64 v0, v0, v25, s[8:9]
	s_waitcnt lgkmcnt(0)
	v_cndmask_b32_e64 v14, v35, v1, s[30:31]
	scratch_load_dword v35, off, off offset:68 ; 4-byte Folded Reload
	v_cndmask_b32_e64 v0, v0, v43, s[10:11]
	v_cndmask_b32_e64 v0, v0, v24, s[12:13]
	;; [unrolled: 1-line block ×11, first 2 shown]
	v_cndmask_b32_e32 v0, v0, v75, vcc
	ds_bpermute_b32 v0, v120, v0
	v_cndmask_b32_e64 v87, v9, v12, s[36:37]
	v_cndmask_b32_e64 v88, v10, v12, s[80:81]
	;; [unrolled: 1-line block ×6, first 2 shown]
	s_waitcnt lgkmcnt(0)
	v_cndmask_b32_e32 v68, v75, v0, vcc
	v_cndmask_b32_e64 v69, v76, v0, s[0:1]
	v_cndmask_b32_e64 v70, v77, v0, s[2:3]
	;; [unrolled: 1-line block ×29, first 2 shown]
	v_cndmask_b32_e32 v0, v0, v47, vcc
	v_cndmask_b32_e64 v82, v2, v12, s[96:97]
	v_cndmask_b32_e64 v83, v7, v12, s[34:35]
	;; [unrolled: 1-line block ×8, first 2 shown]
	v_cndmask_b32_e32 v11, v122, v1, vcc
	v_cndmask_b32_e64 v12, v32, v1, s[0:1]
	v_cndmask_b32_e64 v13, v33, v1, s[2:3]
	;; [unrolled: 1-line block ×14, first 2 shown]
	ds_bpermute_b32 v1, v120, v0
	v_cndmask_b32_e64 v0, v3, v103, s[44:45]
	v_cndmask_b32_e64 v0, v0, v102, s[6:7]
	v_cndmask_b32_e64 v0, v0, v99, s[8:9]
	v_cndmask_b32_e64 v0, v0, v65, s[10:11]
	v_cndmask_b32_e64 v0, v0, v64, s[12:13]
	v_cndmask_b32_e64 v0, v0, v63, s[14:15]
	v_cndmask_b32_e64 v0, v0, v62, s[18:19]
	v_cndmask_b32_e64 v0, v0, v61, s[20:21]
	v_cndmask_b32_e64 v0, v0, v59, s[22:23]
	v_cndmask_b32_e64 v0, v0, v58, s[24:25]
	v_cndmask_b32_e64 v0, v0, v57, s[26:27]
	v_cndmask_b32_e64 v0, v0, v56, s[30:31]
	v_cndmask_b32_e64 v0, v0, v55, s[2:3]
	v_cndmask_b32_e64 v0, v0, v54, s[0:1]
	v_cndmask_b32_e32 v0, v0, v53, vcc
	ds_bpermute_b32 v32, v120, v0
	v_cndmask_b32_e64 v0, v6, v119, s[44:45]
	v_cndmask_b32_e64 v0, v0, v118, s[6:7]
	;; [unrolled: 1-line block ×14, first 2 shown]
	v_cndmask_b32_e32 v0, v0, v105, vcc
	ds_bpermute_b32 v33, v120, v0
	s_waitcnt lgkmcnt(2)
	v_cndmask_b32_e64 v28, v31, v1, s[0:1]
	s_waitcnt lgkmcnt(1)
	v_cndmask_b32_e64 v41, v54, v32, s[0:1]
	v_cndmask_b32_e32 v27, v47, v1, vcc
	v_cndmask_b32_e64 v29, v30, v1, s[2:3]
	s_waitcnt lgkmcnt(0)
	v_cndmask_b32_e64 v54, v106, v33, s[0:1]
	s_waitcnt vmcnt(0)
	v_cmp_eq_u32_e64 s[0:1], 1, v35
	v_cndmask_b32_e64 v42, v55, v32, s[2:3]
	v_cndmask_b32_e64 v55, v107, v33, s[2:3]
	;; [unrolled: 1-line block ×9, first 2 shown]
	s_mov_b64 s[2:3], s[84:85]
	v_cndmask_b32_e64 v34, v80, v86, s[0:1]
	s_mov_b64 s[10:11], s[0:1]
	v_cmp_eq_u32_e64 s[0:1], 2, v35
	v_cndmask_b32_e32 v40, v53, v32, vcc
	v_cndmask_b32_e64 v30, v44, v1, s[30:31]
	v_cndmask_b32_e64 v43, v56, v32, s[30:31]
	;; [unrolled: 1-line block ×20, first 2 shown]
	s_mov_b64 s[6:7], s[0:1]
	v_cmp_eq_u32_e64 s[0:1], 3, v35
	v_cndmask_b32_e64 v37, v37, v1, s[12:13]
	v_cndmask_b32_e64 v63, v116, v33, s[12:13]
	;; [unrolled: 1-line block ×3, first 2 shown]
	s_mov_b64 s[12:13], s[0:1]
	v_cmp_eq_u32_e64 s[0:1], 4, v35
	v_cndmask_b32_e64 v62, v115, v33, s[14:15]
	s_mov_b64 s[14:15], s[0:1]
	v_cndmask_b32_e64 v32, v32, v94, s[0:1]
	v_cmp_eq_u32_e64 s[0:1], 5, v35
	s_mov_b64 s[18:19], s[0:1]
	v_cndmask_b32_e64 v56, v108, v33, s[30:31]
	v_cndmask_b32_e64 v32, v32, v93, s[0:1]
	v_cmp_eq_u32_e64 s[0:1], 6, v35
	v_cndmask_b32_e64 v108, v60, v1, s[20:21]
	v_cndmask_b32_e64 v60, v113, v33, s[20:21]
	;; [unrolled: 1-line block ×3, first 2 shown]
	s_mov_b64 s[20:21], s[0:1]
	v_cmp_eq_u32_e64 s[0:1], 7, v35
	v_cndmask_b32_e64 v59, v112, v33, s[22:23]
	s_mov_b64 s[22:23], s[0:1]
	v_cndmask_b32_e64 v32, v32, v91, s[0:1]
	v_cmp_eq_u32_e64 s[0:1], 8, v35
	v_cndmask_b32_e64 v58, v110, v33, s[24:25]
	s_mov_b64 s[24:25], s[0:1]
	v_cndmask_b32_e64 v32, v32, v90, s[0:1]
	v_cmp_eq_u32_e64 s[0:1], 9, v35
	s_mov_b64 s[26:27], s[0:1]
	v_cndmask_b32_e64 v0, v98, v1, s[44:45]
	v_cndmask_b32_e64 v32, v32, v89, s[0:1]
	v_cmp_eq_u32_e64 s[0:1], 10, v35
	s_mov_b64 s[30:31], s[0:1]
	v_cndmask_b32_e64 v5, v119, v33, s[44:45]
	v_cndmask_b32_e64 v32, v32, v88, s[0:1]
	v_cmp_eq_u32_e64 s[0:1], 11, v35
	s_mov_b64 s[44:45], s[0:1]
	v_writelane_b32 v126, s44, 51
	v_cndmask_b32_e64 v32, v32, v87, s[0:1]
	v_cmp_eq_u32_e64 s[0:1], 12, v35
	v_writelane_b32 v126, s45, 52
	s_mov_b64 s[84:85], s[0:1]
	v_writelane_b32 v126, s84, 53
	v_cndmask_b32_e64 v32, v32, v84, s[0:1]
	v_cmp_eq_u32_e64 s[0:1], 13, v35
	v_writelane_b32 v126, s85, 54
	v_cndmask_b32_e64 v1, v96, v1, s[2:3]
	v_writelane_b32 v126, s0, 55
	v_cndmask_b32_e64 v6, v6, v33, s[2:3]
	v_cmp_eq_u32_e64 s[2:3], 14, v35
	v_writelane_b32 v126, s1, 56
	v_cndmask_b32_e64 v32, v32, v83, s[0:1]
	;; [unrolled: 5-line block ×3, first 2 shown]
	v_writelane_b32 v126, s8, 57
	v_cndmask_b32_e32 v53, v105, v33, vcc
	v_cndmask_b32_e64 v33, v10, v9, s[58:59]
	v_cndmask_b32_e64 v32, v32, v81, s[8:9]
	ds_bpermute_b32 v32, v120, v32
	v_writelane_b32 v126, s9, 58
	s_waitcnt lgkmcnt(0)
	v_cndmask_b32_e64 v82, v82, v32, s[2:3]
	v_readlane_b32 s2, v126, 47
	v_readlane_b32 s3, v126, 48
	v_cndmask_b32_e64 v83, v83, v32, s[0:1]
	v_cmp_eq_u32_e64 s[0:1], 0, v35
	v_cndmask_b32_e64 v33, v33, v67, s[2:3]
	v_cndmask_b32_e64 v33, v33, v66, s[46:47]
	v_cndmask_b32_e64 v33, v33, v79, s[50:51]
	v_cndmask_b32_e64 v33, v33, v78, s[54:55]
	v_writelane_b32 v126, s0, 59
	v_cndmask_b32_e64 v81, v81, v32, s[8:9]
	v_cndmask_b32_e64 v84, v84, v32, s[84:85]
	;; [unrolled: 1-line block ×14, first 2 shown]
	v_writelane_b32 v126, s1, 60
	v_cndmask_b32_e64 v80, v80, v32, s[0:1]
	v_cndmask_b32_e64 v32, v26, v25, s[58:59]
	s_mov_b64 s[0:1], s[2:3]
	v_cndmask_b32_e64 v33, v33, v76, s[66:67]
	v_cndmask_b32_e64 v32, v32, v24, s[0:1]
	;; [unrolled: 1-line block ×18, first 2 shown]
	ds_bpermute_b32 v33, v120, v33
	v_cndmask_b32_e64 v32, v32, v15, s[82:83]
	v_cndmask_b32_e64 v32, v32, v14, s[86:87]
	;; [unrolled: 1-line block ×5, first 2 shown]
	s_waitcnt lgkmcnt(0)
	v_cndmask_b32_e64 v123, v73, v33, s[78:79]
	ds_bpermute_b32 v73, v120, v32
	v_cndmask_b32_e64 v32, v9, v33, s[58:59]
	v_cndmask_b32_e64 v9, v1, v0, s[58:59]
	;; [unrolled: 1-line block ×4, first 2 shown]
	s_waitcnt lgkmcnt(0)
	v_cndmask_b32_e64 v36, v19, v73, s[66:67]
	scratch_load_dword v19, off, off offset:72 ; 4-byte Folded Reload
	v_cndmask_b32_e64 v9, v9, v38, s[50:51]
	v_cndmask_b32_e64 v9, v9, v37, s[54:55]
	;; [unrolled: 1-line block ×10, first 2 shown]
	v_readlane_b32 s2, v126, 49
	v_cndmask_b32_e64 v9, v9, v28, s[42:43]
	v_readlane_b32 s3, v126, 50
	v_cndmask_b32_e64 v9, v9, v27, s[98:99]
	v_cndmask_b32_e64 v68, v68, v33, s[98:99]
	v_cndmask_b32_e64 v69, v69, v33, s[42:43]
	v_cndmask_b32_e64 v70, v70, v33, s[40:41]
	v_cndmask_b32_e64 v71, v71, v33, s[86:87]
	v_cndmask_b32_e64 v72, v72, v33, s[82:83]
	v_cndmask_b32_e64 v125, v74, v33, s[74:75]
	v_cndmask_b32_e64 v75, v75, v33, s[70:71]
	v_cndmask_b32_e64 v76, v76, v33, s[66:67]
	v_cndmask_b32_e64 v77, v77, v33, s[62:63]
	v_cndmask_b32_e64 v78, v78, v33, s[54:55]
	v_cndmask_b32_e64 v79, v79, v33, s[50:51]
	v_cndmask_b32_e64 v66, v66, v33, s[46:47]
	v_cndmask_b32_e64 v67, v67, v33, s[0:1]
	v_cndmask_b32_e64 v10, v10, v33, s[2:3]
	v_cndmask_b32_e64 v33, v16, v73, s[78:79]
	ds_bpermute_b32 v16, v120, v9
	v_cndmask_b32_e64 v9, v3, v2, s[58:59]
	v_cndmask_b32_e64 v9, v9, v8, s[0:1]
	v_cndmask_b32_e64 v9, v9, v52, s[46:47]
	v_cndmask_b32_e64 v9, v9, v51, s[50:51]
	v_cndmask_b32_e64 v9, v9, v50, s[54:55]
	v_cndmask_b32_e64 v9, v9, v49, s[62:63]
	v_cndmask_b32_e64 v9, v9, v48, s[66:67]
	v_cndmask_b32_e64 v9, v9, v47, s[70:71]
	v_cndmask_b32_e64 v9, v9, v46, s[74:75]
	v_cndmask_b32_e64 v9, v9, v45, s[78:79]
	v_cndmask_b32_e64 v9, v9, v44, s[82:83]
	v_cndmask_b32_e64 v9, v9, v43, s[86:87]
	v_cndmask_b32_e64 v9, v9, v42, s[40:41]
	v_cndmask_b32_e64 v9, v9, v41, s[42:43]
	v_cndmask_b32_e64 v9, v9, v40, s[98:99]
	v_cndmask_b32_e64 v34, v17, v73, s[74:75]
	ds_bpermute_b32 v17, v120, v9
	;; [unrolled: 17-line block ×3, first 2 shown]
	v_cndmask_b32_e64 v24, v24, v73, s[0:1]
	s_waitcnt lgkmcnt(2)
	v_cndmask_b32_e64 v9, v7, v16, s[0:1]
	s_waitcnt lgkmcnt(1)
	v_cndmask_b32_e64 v8, v8, v17, s[0:1]
	v_cndmask_b32_e64 v7, v2, v17, s[58:59]
	s_waitcnt lgkmcnt(0)
	v_cndmask_b32_e64 v113, v56, v18, s[86:87]
	v_cndmask_b32_e64 v56, v109, v16, s[66:67]
	;; [unrolled: 1-line block ×4, first 2 shown]
	s_mov_b64 s[0:1], s[2:3]
	v_cndmask_b32_e64 v4, v0, v16, s[58:59]
	v_cndmask_b32_e64 v2, v1, v16, s[0:1]
	;; [unrolled: 1-line block ×6, first 2 shown]
	s_waitcnt vmcnt(0)
	v_cmp_eq_u32_e64 s[8:9], 1, v19
	v_cmp_eq_u32_e64 s[0:1], 2, v19
	v_cndmask_b32_e64 v122, v63, v18, s[54:55]
	v_cndmask_b32_e64 v0, v80, v86, s[8:9]
	;; [unrolled: 1-line block ×6, first 2 shown]
	s_mov_b64 s[50:51], s[0:1]
	v_cmp_eq_u32_e64 s[0:1], 3, v19
	v_cndmask_b32_e64 v21, v21, v73, s[54:55]
	v_cndmask_b32_e64 v117, v58, v18, s[78:79]
	;; [unrolled: 1-line block ×6, first 2 shown]
	s_mov_b64 s[54:55], s[0:1]
	v_cmp_eq_u32_e64 s[0:1], 4, v19
	v_cndmask_b32_e64 v25, v25, v73, s[58:59]
	v_cndmask_b32_e64 v5, v5, v18, s[58:59]
	;; [unrolled: 1-line block ×3, first 2 shown]
	s_mov_b64 s[58:59], s[0:1]
	v_cmp_eq_u32_e64 s[0:1], 5, v19
	v_cndmask_b32_e64 v20, v20, v73, s[62:63]
	v_cndmask_b32_e64 v116, v57, v18, s[82:83]
	;; [unrolled: 1-line block ×6, first 2 shown]
	s_mov_b64 s[62:63], s[0:1]
	v_cmp_eq_u32_e64 s[0:1], 6, v19
	s_mov_b64 s[66:67], s[0:1]
	v_cndmask_b32_e64 v112, v55, v18, s[40:41]
	v_cndmask_b32_e64 v0, v0, v92, s[0:1]
	v_cmp_eq_u32_e64 s[0:1], 7, v19
	v_cndmask_b32_e64 v55, v108, v16, s[70:71]
	v_cndmask_b32_e64 v108, v47, v17, s[70:71]
	v_cndmask_b32_e64 v118, v60, v18, s[70:71]
	v_cndmask_b32_e64 v0, v0, v91, s[0:1]
	s_mov_b64 s[70:71], s[0:1]
	v_cmp_eq_u32_e64 s[0:1], 8, v19
	v_cndmask_b32_e64 v110, v54, v18, s[42:43]
	v_cndmask_b32_e64 v54, v107, v16, s[74:75]
	v_cndmask_b32_e64 v107, v46, v17, s[74:75]
	v_cndmask_b32_e64 v0, v0, v90, s[0:1]
	s_mov_b64 s[74:75], s[0:1]
	;; [unrolled: 6-line block ×4, first 2 shown]
	v_cmp_eq_u32_e64 s[0:1], 11, v19
	s_mov_b64 s[84:85], s[0:1]
	v_cndmask_b32_e64 v14, v14, v73, s[86:87]
	v_cndmask_b32_e64 v0, v0, v87, s[0:1]
	v_cmp_eq_u32_e64 s[0:1], 12, v19
	v_cndmask_b32_e64 v30, v30, v16, s[86:87]
	v_cndmask_b32_e64 v103, v43, v17, s[86:87]
	;; [unrolled: 1-line block ×3, first 2 shown]
	s_mov_b64 s[86:87], s[0:1]
	v_cmp_eq_u32_e64 s[0:1], 13, v19
	v_cndmask_b32_e64 v11, v11, v73, s[98:99]
	v_cndmask_b32_e64 v27, v27, v16, s[98:99]
	;; [unrolled: 1-line block ×3, first 2 shown]
	v_writelane_b32 v126, s0, 47
	v_cmp_eq_u32_e64 s[98:99], 14, v19
	v_cndmask_b32_e64 v23, v23, v73, s[46:47]
	v_cndmask_b32_e64 v0, v0, v83, s[0:1]
	;; [unrolled: 1-line block ×5, first 2 shown]
	s_mov_b64 s[46:47], s[8:9]
	v_writelane_b32 v126, s1, 48
	v_cndmask_b32_e64 v0, v0, v82, s[98:99]
	v_cmp_eq_u32_e64 s[8:9], 15, v19
	v_cndmask_b32_e64 v28, v28, v16, s[42:43]
	v_cndmask_b32_e64 v29, v29, v16, s[40:41]
	v_writelane_b32 v126, s8, 49
	v_cndmask_b32_e64 v26, v26, v73, s[2:3]
	v_cndmask_b32_e64 v13, v13, v73, s[40:41]
	;; [unrolled: 1-line block ×3, first 2 shown]
	ds_bpermute_b32 v16, v120, v0
	v_cndmask_b32_e64 v0, v10, v32, s[38:39]
	v_cndmask_b32_e64 v0, v0, v67, s[28:29]
	;; [unrolled: 1-line block ×14, first 2 shown]
	v_writelane_b32 v126, s9, 50
	s_waitcnt lgkmcnt(0)
	v_cndmask_b32_e64 v83, v83, v16, s[0:1]
	v_cndmask_b32_e64 v0, v0, v68, s[4:5]
	v_cmp_eq_u32_e64 s[0:1], 0, v19
	v_cndmask_b32_e64 v81, v81, v16, s[8:9]
	v_cndmask_b32_e64 v82, v82, v16, s[98:99]
	;; [unrolled: 1-line block ×12, first 2 shown]
	ds_bpermute_b32 v37, v120, v0
	v_cndmask_b32_e64 v0, v85, v16, s[50:51]
	v_cndmask_b32_e64 v1, v86, v16, s[46:47]
	v_writelane_b32 v126, s0, 61
	v_cndmask_b32_e64 v12, v12, v73, s[42:43]
	v_cndmask_b32_e64 v102, v42, v17, s[40:41]
	;; [unrolled: 1-line block ×18, first 2 shown]
	ds_bpermute_b32 v49, v120, v16
	v_cndmask_b32_e64 v97, v41, v17, s[42:43]
	s_waitcnt lgkmcnt(1)
	v_cndmask_b32_e64 v18, v68, v37, s[4:5]
	v_cndmask_b32_e64 v74, v69, v37, s[96:97]
	;; [unrolled: 1-line block ×3, first 2 shown]
	s_waitcnt lgkmcnt(0)
	v_cndmask_b32_e64 v47, v11, v49, s[4:5]
	v_cndmask_b32_e64 v46, v12, v49, s[96:97]
	;; [unrolled: 1-line block ×32, first 2 shown]
	ds_bpermute_b32 v11, v120, v11
	ds_bpermute_b32 v12, v120, v12
	v_cndmask_b32_e64 v75, v10, v37, s[60:61]
	v_cndmask_b32_e64 v10, v2, v4, s[38:39]
	;; [unrolled: 1-line block ×3, first 2 shown]
	s_waitcnt lgkmcnt(1)
	v_cndmask_b32_e64 v68, v105, v11, s[36:37]
	s_waitcnt lgkmcnt(0)
	v_cndmask_b32_e64 v105, v119, v12, s[68:69]
	scratch_load_dword v119, off, off offset:76 ; 4-byte Folded Reload
	v_cndmask_b32_e64 v10, v10, v60, s[48:49]
	v_cndmask_b32_e64 v10, v10, v59, s[52:53]
	;; [unrolled: 1-line block ×13, first 2 shown]
	ds_bpermute_b32 v10, v120, v10
	v_cndmask_b32_e64 v45, v13, v49, s[34:35]
	v_cndmask_b32_e64 v13, v99, v12, s[4:5]
	;; [unrolled: 1-line block ×4, first 2 shown]
	scratch_store_dword off, v13, off offset:8 ; 4-byte Folded Spill
	v_cndmask_b32_e64 v13, v110, v12, s[96:97]
	v_cndmask_b32_e64 v110, v102, v11, s[34:35]
	s_waitcnt lgkmcnt(0)
	v_cndmask_b32_e64 v52, v31, v10, s[36:37]
	v_cndmask_b32_e64 v102, v116, v12, s[36:37]
	;; [unrolled: 1-line block ×58, first 2 shown]
	s_waitcnt vmcnt(1)
	v_cmp_eq_u32_e64 s[36:37], 1, v119
	v_cmp_eq_u32_e64 s[38:39], 2, v119
	v_cmp_eq_u32_e64 s[40:41], 3, v119
	v_cndmask_b32_e64 v2, v65, v1, s[36:37]
	v_cndmask_b32_e64 v2, v2, v0, s[38:39]
	v_cndmask_b32_e64 v2, v2, v114, s[40:41]
	v_cmp_eq_u32_e64 s[42:43], 4, v119
	v_cmp_eq_u32_e64 s[44:45], 5, v119
	v_cmp_eq_u32_e64 s[48:49], 6, v119
	v_cndmask_b32_e64 v2, v2, v94, s[42:43]
	v_cndmask_b32_e64 v2, v2, v93, s[44:45]
	v_cndmask_b32_e64 v2, v2, v92, s[48:49]
	;; [unrolled: 6-line block ×4, first 2 shown]
	v_cmp_eq_u32_e64 s[76:77], 13, v119
	v_cndmask_b32_e64 v53, v53, v10, s[80:81]
	v_cmp_eq_u32_e64 s[80:81], 14, v119
	v_cndmask_b32_e64 v2, v2, v83, s[76:77]
	v_cmp_eq_u32_e32 vcc, 15, v119
	v_cndmask_b32_e64 v2, v2, v82, s[80:81]
	v_cndmask_b32_e64 v51, v30, v10, s[16:17]
	v_cndmask_b32_e32 v2, v2, v81, vcc
	ds_bpermute_b32 v20, v120, v2
	s_mov_b64 s[16:17], s[10:11]
	s_mov_b64 s[8:9], s[6:7]
	v_cndmask_b32_e64 v61, v9, v10, s[28:29]
	v_cndmask_b32_e64 v77, v8, v11, s[28:29]
	s_waitcnt lgkmcnt(0)
	v_cndmask_b32_e64 v2, v0, v20, s[38:39]
	v_cndmask_b32_e64 v0, v75, v78, s[16:17]
	;; [unrolled: 1-line block ×3, first 2 shown]
	s_mov_b64 s[28:29], s[12:13]
	v_cndmask_b32_e64 v50, v29, v10, s[34:35]
	v_cndmask_b32_e64 v0, v0, v16, s[28:29]
	s_mov_b64 s[34:35], s[14:15]
	v_cndmask_b32_e64 v32, v28, v10, s[96:97]
	v_cndmask_b32_e64 v0, v0, v123, s[34:35]
	s_mov_b64 s[96:97], s[18:19]
	v_cndmask_b32_e64 v0, v0, v125, s[96:97]
	s_mov_b64 s[6:7], s[20:21]
	v_cndmask_b32_e64 v0, v0, v85, s[6:7]
	s_mov_b64 s[10:11], s[22:23]
	v_cndmask_b32_e64 v0, v0, v86, s[10:11]
	s_mov_b64 s[12:13], s[24:25]
	v_writelane_b32 v126, s1, 62
	v_cndmask_b32_e64 v0, v0, v69, s[12:13]
	s_mov_b64 s[14:15], s[26:27]
	v_cndmask_b32_e64 v0, v0, v70, s[14:15]
	s_mov_b64 s[18:19], s[30:31]
	v_readlane_b32 s20, v126, 51
	v_cndmask_b32_e64 v0, v0, v71, s[18:19]
	v_readlane_b32 s21, v126, 52
	v_readlane_b32 s22, v126, 53
	v_readlane_b32 s23, v126, 54
	v_cndmask_b32_e64 v0, v0, v72, s[20:21]
	v_readlane_b32 s88, v126, 55
	v_cndmask_b32_e64 v0, v0, v19, s[22:23]
	v_readlane_b32 s89, v126, 56
	v_readlane_b32 s26, v126, 45
	v_readlane_b32 s27, v126, 46
	v_cndmask_b32_e64 v0, v0, v73, s[88:89]
	;; [unrolled: 6-line block ×3, first 2 shown]
	ds_bpermute_b32 v0, v120, v0
	v_cndmask_b32_e64 v66, v27, v10, s[4:5]
	v_cndmask_b32_e64 v96, v96, v11, s[4:5]
	s_mov_b64 s[4:5], s[46:47]
	s_mov_b64 s[46:47], s[50:51]
	s_waitcnt lgkmcnt(0)
	v_cndmask_b32_e64 v18, v18, v0, s[30:31]
	v_cndmask_b32_e64 v21, v74, v0, s[26:27]
	;; [unrolled: 1-line block ×18, first 2 shown]
	s_mov_b64 s[50:51], s[54:55]
	v_cndmask_b32_e64 v69, v69, v16, s[50:51]
	s_mov_b64 s[54:55], s[58:59]
	v_cndmask_b32_e64 v69, v69, v30, s[54:55]
	;; [unrolled: 2-line block ×9, first 2 shown]
	s_mov_b64 s[84:85], s[86:87]
	v_readlane_b32 s86, v126, 47
	v_cndmask_b32_e64 v69, v69, v19, s[84:85]
	v_readlane_b32 s87, v126, 48
	v_readlane_b32 s0, v126, 49
	;; [unrolled: 1-line block ×3, first 2 shown]
	v_cndmask_b32_e64 v69, v69, v22, s[86:87]
	v_cndmask_b32_e64 v69, v69, v21, s[98:99]
	;; [unrolled: 1-line block ×3, first 2 shown]
	ds_bpermute_b32 v69, v120, v69
	s_mov_b64 s[24:25], s[18:19]
	s_mov_b64 s[18:19], s[10:11]
	v_readlane_b32 s10, v126, 61
	v_readlane_b32 s11, v126, 62
	s_waitcnt lgkmcnt(0)
	v_cndmask_b32_e64 v18, v18, v69, s[0:1]
	v_cndmask_b32_e64 v21, v21, v69, s[98:99]
	;; [unrolled: 1-line block ×30, first 2 shown]
	v_cndmask_b32_e32 v0, v0, v18, vcc
	ds_bpermute_b32 v78, v120, v0
	s_mov_b64 s[94:95], s[26:27]
	s_mov_b64 s[26:27], s[20:21]
	;; [unrolled: 1-line block ×4, first 2 shown]
	s_waitcnt lgkmcnt(0)
	v_cndmask_b32_e64 v28, v19, v78, s[72:73]
	v_cndmask_b32_e64 v19, v16, v78, s[40:41]
	;; [unrolled: 1-line block ×9, first 2 shown]
	s_mov_b64 s[90:91], s[30:31]
	s_mov_b64 s[30:31], s[22:23]
	;; [unrolled: 1-line block ×3, first 2 shown]
	v_cndmask_b32_e64 v16, v16, v42, s[20:21]
	v_cndmask_b32_e64 v16, v16, v41, s[22:23]
	;; [unrolled: 1-line block ×6, first 2 shown]
	s_mov_b64 s[14:15], s[94:95]
	v_cndmask_b32_e64 v16, v16, v46, s[14:15]
	s_mov_b64 s[94:95], s[90:91]
	v_cndmask_b32_e64 v16, v16, v47, s[94:95]
	ds_bpermute_b32 v16, v120, v16
	s_mov_b64 s[8:9], s[2:3]
	v_cmp_eq_u32_e64 s[0:1], 0, v119
	v_cndmask_b32_e64 v27, v23, v78, s[68:69]
	v_cndmask_b32_e64 v26, v24, v78, s[64:65]
	s_waitcnt lgkmcnt(0)
	v_cndmask_b32_e64 v47, v47, v16, s[94:95]
	v_cndmask_b32_e64 v46, v46, v16, s[14:15]
	;; [unrolled: 1-line block ×16, first 2 shown]
	s_mov_b64 s[2:3], s[4:5]
	v_cndmask_b32_e64 v49, v16, v33, s[2:3]
	v_cndmask_b32_e64 v49, v49, v34, s[46:47]
	;; [unrolled: 1-line block ×13, first 2 shown]
	v_readlane_b32 s4, v126, 49
	v_cndmask_b32_e64 v49, v49, v46, s[98:99]
	v_readlane_b32 s5, v126, 50
	s_mov_b64 s[14:15], s[6:7]
	s_mov_b64 s[6:7], s[10:11]
	v_cndmask_b32_e64 v49, v49, v47, s[4:5]
	ds_bpermute_b32 v49, v120, v49
	v_cndmask_b32_e64 v0, v65, v20, s[0:1]
	v_cndmask_b32_e64 v24, v70, v78, s[56:57]
	;; [unrolled: 1-line block ×3, first 2 shown]
	s_mov_b64 s[88:89], s[98:99]
	s_waitcnt lgkmcnt(0)
	v_cndmask_b32_e64 v47, v47, v49, s[4:5]
	v_cndmask_b32_e64 v46, v46, v49, s[98:99]
	v_cndmask_b32_e64 v45, v45, v49, s[86:87]
	v_cndmask_b32_e64 v38, v38, v49, s[84:85]
	v_cndmask_b32_e64 v39, v39, v49, s[82:83]
	v_cndmask_b32_e64 v40, v40, v49, s[78:79]
	v_cndmask_b32_e64 v41, v41, v49, s[74:75]
	v_cndmask_b32_e64 v65, v42, v49, s[70:71]
	v_cndmask_b32_e64 v70, v43, v49, s[66:67]
	v_cndmask_b32_e64 v71, v44, v49, s[62:63]
	v_cndmask_b32_e64 v37, v37, v49, s[58:59]
	v_cndmask_b32_e64 v36, v36, v49, s[54:55]
	v_cndmask_b32_e64 v35, v35, v49, s[50:51]
	v_cndmask_b32_e64 v34, v34, v49, s[46:47]
	v_cndmask_b32_e64 v33, v33, v49, s[2:3]
	v_cndmask_b32_e64 v49, v16, v49, s[6:7]
	v_cndmask_b32_e64 v16, v49, v33, s[36:37]
	v_cndmask_b32_e64 v16, v16, v34, s[38:39]
	v_cndmask_b32_e64 v16, v16, v35, s[40:41]
	v_cndmask_b32_e64 v16, v16, v36, s[42:43]
	v_cndmask_b32_e64 v16, v16, v37, s[44:45]
	s_mov_b64 s[98:99], s[86:87]
	s_mov_b64 s[86:87], s[84:85]
	;; [unrolled: 1-line block ×10, first 2 shown]
	v_cndmask_b32_e64 v16, v16, v71, s[48:49]
	s_mov_b64 s[54:55], s[52:53]
	v_cndmask_b32_e64 v16, v16, v70, s[54:55]
	v_cndmask_b32_e64 v16, v16, v65, s[56:57]
	;; [unrolled: 1-line block ×8, first 2 shown]
	v_cndmask_b32_e32 v15, v81, v20, vcc
	v_cndmask_b32_e32 v31, v18, v78, vcc
	v_writelane_b32 v126, vcc_lo, 63
	v_cndmask_b32_e64 v29, v22, v78, s[76:77]
	v_cndmask_b32_e64 v22, v72, v78, s[48:49]
	v_cndmask_b32_e32 v16, v16, v47, vcc
	ds_bpermute_b32 v72, v120, v16
	s_mov_b64 s[4:5], s[2:3]
	s_mov_b64 s[2:3], s[12:13]
	v_cndmask_b32_e64 v16, v69, v78, s[0:1]
	s_mov_b64 s[90:91], s[0:1]
	s_waitcnt lgkmcnt(0)
	v_cndmask_b32_e64 v42, v40, v72, s[64:65]
	v_cndmask_b32_e64 v40, v65, v72, s[56:57]
	;; [unrolled: 1-line block ×7, first 2 shown]
	s_mov_b64 s[0:1], s[14:15]
	v_cndmask_b32_e64 v65, v65, v57, s[0:1]
	s_mov_b64 s[10:11], s[18:19]
	v_cndmask_b32_e64 v65, v65, v56, s[10:11]
	;; [unrolled: 2-line block ×6, first 2 shown]
	s_mov_b64 s[22:23], s[30:31]
	v_readlane_b32 s24, v126, 55
	scratch_store_dword off, v13, off offset:12 ; 4-byte Folded Spill
	v_cndmask_b32_e64 v14, v82, v20, s[80:81]
	v_cndmask_b32_e64 v13, v83, v20, s[76:77]
	;; [unrolled: 1-line block ×19, first 2 shown]
	s_mov_b64 s[52:53], s[44:45]
	v_cndmask_b32_e64 v36, v36, v72, s[42:43]
	s_mov_b64 s[44:45], s[42:43]
	v_cndmask_b32_e64 v35, v35, v72, s[40:41]
	;; [unrolled: 2-line block ×5, first 2 shown]
	v_readlane_b32 s25, v126, 56
	v_readlane_b32 s36, v126, 45
	;; [unrolled: 1-line block ×3, first 2 shown]
	v_cndmask_b32_e64 v65, v65, v50, s[24:25]
	s_mov_b64 s[26:27], s[22:23]
	v_cndmask_b32_e64 v65, v65, v32, s[36:37]
	v_cndmask_b32_e64 v65, v65, v66, s[94:95]
	ds_bpermute_b32 v65, v120, v65
	v_cndmask_b32_e64 v25, v25, v78, s[60:61]
	v_cndmask_b32_e64 v44, v38, v72, s[72:73]
	;; [unrolled: 1-line block ×4, first 2 shown]
	s_waitcnt lgkmcnt(0)
	v_cndmask_b32_e64 v62, v62, v65, s[16:17]
	v_cndmask_b32_e64 v63, v63, v65, s[8:9]
	;; [unrolled: 1-line block ×28, first 2 shown]
	s_mov_b64 s[22:23], s[18:19]
	s_mov_b64 s[18:19], s[12:13]
	;; [unrolled: 1-line block ×4, first 2 shown]
	v_cndmask_b32_e64 v65, v65, v50, s[98:99]
	v_readlane_b32 s8, v126, 49
	v_cndmask_b32_e64 v65, v65, v32, s[88:89]
	v_readlane_b32 s9, v126, 50
	v_cndmask_b32_e64 v38, v71, v72, s[48:49]
	v_writelane_b32 v127, vcc_hi, 0
	v_cndmask_b32_e64 v65, v65, v66, s[8:9]
	ds_bpermute_b32 v65, v120, v65
	v_cndmask_b32_e32 v47, v47, v72, vcc
	v_cndmask_b32_e64 v46, v46, v72, s[80:81]
	s_mov_b64 vcc, s[80:81]
	v_cndmask_b32_e64 v45, v45, v72, s[76:77]
	s_waitcnt lgkmcnt(0)
	v_cndmask_b32_e64 v66, v66, v65, s[8:9]
	v_cndmask_b32_e64 v69, v32, v65, s[88:89]
	;; [unrolled: 1-line block ×22, first 2 shown]
	s_mov_b64 s[80:81], s[76:77]
	s_mov_b64 s[76:77], s[72:73]
	;; [unrolled: 1-line block ×4, first 2 shown]
	v_cndmask_b32_e64 v41, v41, v72, s[60:61]
	s_mov_b64 s[64:65], s[60:61]
	s_mov_b64 s[60:61], s[56:57]
	v_cndmask_b32_e64 v32, v32, v70, s[54:55]
	v_cndmask_b32_e64 v32, v32, v55, s[60:61]
	;; [unrolled: 1-line block ×7, first 2 shown]
	v_readlane_b32 s56, v126, 63
	v_cndmask_b32_e32 v32, v32, v69, vcc
	v_readlane_b32 s57, v127, 0
	s_mov_b64 s[30:31], s[24:25]
	s_mov_b64 s[24:25], s[20:21]
	v_cndmask_b32_e64 v32, v32, v66, s[56:57]
	ds_bpermute_b32 v82, v120, v32
	s_mov_b64 s[20:21], s[14:15]
	s_mov_b64 s[14:15], s[10:11]
	;; [unrolled: 1-line block ×4, first 2 shown]
	s_waitcnt lgkmcnt(0)
	v_cndmask_b32_e64 v63, v66, v82, s[56:57]
	v_cndmask_b32_e64 v66, v79, v48, s[16:17]
	;; [unrolled: 1-line block ×5, first 2 shown]
	s_mov_b64 s[6:7], s[90:91]
	s_mov_b64 s[90:91], s[56:57]
	v_cndmask_b32_e64 v66, v66, v121, s[96:97]
	s_mov_b64 s[56:57], s[12:13]
	v_cndmask_b32_e64 v66, v66, v80, s[56:57]
	;; [unrolled: 2-line block ×10, first 2 shown]
	v_cndmask_b32_e64 v66, v66, v96, s[94:95]
	ds_bpermute_b32 v66, v120, v66
	v_writelane_b32 v127, s6, 1
	v_cndmask_b32_e32 v62, v69, v82, vcc
	v_cndmask_b32_e64 v61, v50, v82, s[80:81]
	v_writelane_b32 v127, s7, 2
	v_cndmask_b32_e64 v32, v49, v72, s[6:7]
	v_cndmask_b32_e64 v60, v51, v82, s[76:77]
	;; [unrolled: 1-line block ×13, first 2 shown]
	s_waitcnt lgkmcnt(0)
	v_cndmask_b32_e64 v69, v96, v66, s[94:95]
	v_cndmask_b32_e64 v70, v95, v66, s[30:31]
	v_cndmask_b32_e64 v71, v110, v66, s[26:27]
	v_cndmask_b32_e64 v67, v67, v66, s[24:25]
	v_cndmask_b32_e64 v68, v68, v66, s[22:23]
	v_cndmask_b32_e64 v72, v116, v66, s[20:21]
	v_cndmask_b32_e64 v73, v117, v66, s[18:19]
	v_cndmask_b32_e64 v74, v100, v66, s[14:15]
	v_cndmask_b32_e64 v75, v118, v66, s[12:13]
	v_cndmask_b32_e64 v78, v80, v66, s[56:57]
	v_cndmask_b32_e64 v80, v121, v66, s[96:97]
	v_cndmask_b32_e64 v81, v122, v66, s[34:35]
	v_cndmask_b32_e64 v76, v76, v66, s[28:29]
	v_cndmask_b32_e64 v77, v77, v66, s[10:11]
	v_cndmask_b32_e64 v48, v48, v66, s[16:17]
	v_cndmask_b32_e64 v66, v79, v66, s[0:1]
	v_writelane_b32 v127, s4, 3
	s_mov_b64 s[0:1], s[88:89]
	scratch_load_dwordx2 v[118:119], off, off ; 8-byte Folded Reload
	v_writelane_b32 v127, s5, 4
	v_cndmask_b32_e64 v79, v66, v48, s[4:5]
	v_writelane_b32 v127, s46, 5
	v_readlane_b32 s36, v126, 23
	v_readlane_b32 s37, v126, 24
	v_cndmask_b32_e64 v79, v79, v77, s[46:47]
	v_cndmask_b32_e64 v79, v79, v76, s[50:51]
	v_cndmask_b32_e64 v79, v79, v81, s[58:59]
	v_cndmask_b32_e64 v79, v79, v80, s[62:63]
	v_cndmask_b32_e64 v79, v79, v78, s[66:67]
	v_cndmask_b32_e64 v79, v79, v75, s[70:71]
	v_cndmask_b32_e64 v79, v79, v74, s[74:75]
	v_cndmask_b32_e64 v79, v79, v73, s[78:79]
	v_cndmask_b32_e64 v79, v79, v72, s[82:83]
	v_cndmask_b32_e64 v79, v79, v68, s[84:85]
	v_cndmask_b32_e64 v79, v79, v67, s[86:87]
	v_cndmask_b32_e64 v79, v79, v71, s[98:99]
	v_cndmask_b32_e64 v79, v79, v70, s[0:1]
	v_cndmask_b32_e64 v79, v79, v69, s[8:9]
	ds_bpermute_b32 v79, v120, v79
	v_writelane_b32 v127, s47, 6
	s_waitcnt lgkmcnt(0)
	v_cndmask_b32_e64 v86, v80, v79, s[62:63]
	v_cndmask_b32_e64 v90, v48, v79, s[4:5]
	;; [unrolled: 1-line block ×10, first 2 shown]
	s_mov_b64 s[46:47], s[52:53]
	v_cndmask_b32_e64 v85, v78, v79, s[66:67]
	v_cndmask_b32_e64 v48, v48, v86, s[46:47]
	;; [unrolled: 1-line block ×19, first 2 shown]
	v_cndmask_b32_e32 v48, v48, v70, vcc
	v_cndmask_b32_e64 v48, v48, v69, s[90:91]
	ds_bpermute_b32 v81, v120, v48
	v_cndmask_b32_e64 v48, v65, v82, s[6:7]
	v_cndmask_b32_e64 v82, v115, v109, s[16:17]
	;; [unrolled: 1-line block ×4, first 2 shown]
	s_waitcnt lgkmcnt(0)
	v_cndmask_b32_e64 v77, v71, v81, s[80:81]
	v_cndmask_b32_e64 v71, v84, v81, s[54:55]
	scratch_load_dword v84, off, off offset:12 ; 4-byte Folded Reload
	v_cndmask_b32_e64 v74, v72, v81, s[68:69]
	v_cndmask_b32_e64 v72, v83, v81, s[60:61]
	scratch_load_dword v83, off, off offset:8 ; 4-byte Folded Reload
	scratch_load_dword v116, off, off offset:40 ; 4-byte Folded Reload
	;; [unrolled: 1-line block ×4, first 2 shown]
	v_cndmask_b32_e64 v82, v82, v108, s[34:35]
	v_cndmask_b32_e64 v82, v82, v107, s[96:97]
	;; [unrolled: 1-line block ×11, first 2 shown]
	v_cndmask_b32_e32 v78, v70, v81, vcc
	v_cndmask_b32_e64 v76, v67, v81, s[76:77]
	v_cndmask_b32_e64 v75, v68, v81, s[72:73]
	;; [unrolled: 1-line block ×8, first 2 shown]
	s_mov_b64 s[52:53], s[60:61]
	s_mov_b64 s[60:61], s[38:39]
	v_readlane_b32 s39, v126, 44
	v_cndmask_b32_e64 v73, v73, v81, s[64:65]
	s_mov_b32 s6, 0
	s_mov_b32 s7, 0
	v_readlane_b32 s38, v126, 25
	s_waitcnt vmcnt(4)
	v_cndmask_b32_e64 v82, v82, v84, s[30:31]
	s_waitcnt vmcnt(3)
	v_cndmask_b32_e64 v82, v82, v83, s[94:95]
	ds_bpermute_b32 v82, v120, v82
	s_waitcnt lgkmcnt(0)
	v_cndmask_b32_e64 v95, v98, v82, s[10:11]
	v_readlane_b32 s10, v126, 59
	v_cndmask_b32_e64 v91, v105, v82, s[12:13]
	v_readlane_b32 s11, v126, 60
	v_readlane_b32 s12, v127, 3
	v_cndmask_b32_e64 v83, v83, v82, s[94:95]
	v_cndmask_b32_e64 v84, v84, v82, s[30:31]
	;; [unrolled: 1-line block ×14, first 2 shown]
	v_readlane_b32 s13, v127, 4
	v_readlane_b32 s10, v127, 5
	;; [unrolled: 1-line block ×3, first 2 shown]
	v_cndmask_b32_e64 v97, v82, v96, s[12:13]
	v_readlane_b32 s16, v126, 2
	v_cndmask_b32_e64 v97, v97, v95, s[10:11]
	v_cndmask_b32_e64 v97, v97, v64, s[50:51]
	;; [unrolled: 1-line block ×14, first 2 shown]
	ds_bpermute_b32 v97, v120, v97
	v_readlane_b32 s20, v126, 6
	v_readlane_b32 s21, v126, 7
	;; [unrolled: 1-line block ×4, first 2 shown]
	s_waitcnt lgkmcnt(0)
	v_cndmask_b32_e64 v83, v83, v97, s[8:9]
	v_cndmask_b32_e64 v84, v84, v97, s[0:1]
	;; [unrolled: 1-line block ×29, first 2 shown]
	v_cndmask_b32_e32 v64, v64, v84, vcc
	v_cndmask_b32_e64 v64, v64, v83, s[90:91]
	ds_bpermute_b32 v108, v120, v64
	v_readlane_b32 s8, v127, 1
	v_readlane_b32 s9, v127, 2
	;; [unrolled: 1-line block ×4, first 2 shown]
	s_waitcnt lgkmcnt(0)
	v_cndmask_b32_e64 v91, v87, v108, s[72:73]
	v_cndmask_b32_e64 v90, v88, v108, s[68:69]
	;; [unrolled: 1-line block ×4, first 2 shown]
	v_readlane_b32 s52, v126, 26
	v_readlane_b32 s53, v126, 27
	s_mul_i32 s0, s39, s53
	s_ashr_i32 s1, s0, 31
	v_cndmask_b32_e32 v94, v84, v108, vcc
	v_cndmask_b32_e64 v84, v105, v108, s[44:45]
	s_lshl_b64 s[0:1], s[0:1], 1
	v_readlane_b32 s44, v126, 38
	s_add_u32 s2, s20, s0
	v_readlane_b32 s45, v126, 39
	s_addc_u32 s3, s21, s1
	s_ashr_i32 s45, s44, 31
	s_lshl_b64 s[0:1], s[44:45], 1
	s_add_u32 s0, s2, s0
	v_cndmask_b32_e64 v95, v83, v108, s[90:91]
	v_cndmask_b32_e64 v93, v85, v108, s[80:81]
	;; [unrolled: 1-line block ×7, first 2 shown]
	s_addc_u32 s1, s3, s1
	v_readlane_b32 s41, v126, 42
	v_readlane_b32 s42, v126, 40
	;; [unrolled: 1-line block ×4, first 2 shown]
	v_cndmask_b32_e64 v64, v80, v81, s[8:9]
	v_cndmask_b32_e64 v89, v89, v108, s[64:65]
	v_readlane_b32 s54, v126, 28
	v_readlane_b32 s55, v126, 29
	;; [unrolled: 1-line block ×9, first 2 shown]
	v_subrev_u32_e32 v101, s41, v101
	v_cndmask_b32_e64 v81, v96, v108, s[60:61]
	v_cndmask_b32_e64 v80, v97, v108, s[8:9]
	v_lshl_add_u64 v[102:103], s[0:1], 0, v[118:119]
	s_mov_b64 s[0:1], 0
	v_readlane_b32 s11, v126, 0
	v_readlane_b32 s12, v126, 1
	v_readlane_b32 s15, v126, 11
	v_readlane_b32 s25, v126, 13
	v_readlane_b32 s13, v126, 14
	v_readlane_b32 s26, v126, 15
	v_readlane_b32 s27, v126, 16
	v_readlane_b32 s29, v126, 18
	v_readlane_b32 s30, v126, 19
	v_readlane_b32 s31, v126, 20
	v_readlane_b32 s34, v126, 21
	v_readlane_b32 s35, v126, 22
	v_readlane_b32 s40, v126, 43
	v_readlane_b32 s43, v126, 41
	v_readlane_b32 s47, v126, 37
	v_readlane_b32 s49, v126, 35
	v_readlane_b32 s56, v126, 30
                                        ; implicit-def: $sgpr2_sgpr3
	s_branch .LBB230_37
.LBB230_36:                             ;   in Loop: Header=BB230_37 Depth=2
	s_or_b64 exec, exec, s[4:5]
	s_and_b64 s[4:5], exec, s[2:3]
	s_or_b64 s[0:1], s[4:5], s[0:1]
	s_andn2_b64 exec, exec, s[0:1]
	s_cbranch_execz .LBB230_39
.LBB230_37:                             ;   Parent Loop BB230_7 Depth=1
                                        ; =>  This Inner Loop Header: Depth=2
	s_and_b32 s4, s7, 2
	s_and_b32 s5, s6, 24
	s_or_b32 s4, s5, s4
	s_waitcnt vmcnt(0)
	v_or_b32_e32 v96, s4, v121
	v_add_u32_e32 v97, s92, v96
	v_cmp_gt_u32_e32 vcc, 32, v97
	s_or_b64 s[2:3], s[2:3], exec
	s_and_saveexec_b64 s[4:5], vcc
	s_cbranch_execz .LBB230_36
; %bb.38:                               ;   in Loop: Header=BB230_37 Depth=2
	s_add_i32 s10, s7, 1
	s_set_gpr_idx_on s7, gpr_idx(SRC0)
	v_mov_b32_e32 v97, v0
	s_set_gpr_idx_off
	v_cvt_f16_f32_e32 v98, v97
	s_set_gpr_idx_on s10, gpr_idx(SRC0)
	v_mov_b32_e32 v97, v0
	s_set_gpr_idx_off
	v_cvt_f16_f32_sdwa v99, v97 dst_sel:WORD_1 dst_unused:UNUSED_PAD src0_sel:DWORD
	v_mul_lo_u32 v96, v96, s53
	v_ashrrev_i32_e32 v97, 31, v96
	v_lshl_add_u64 v[96:97], v[96:97], 1, v[102:103]
	v_or_b32_e32 v98, v99, v98
	;;#ASMSTART
	global_atomic_pk_add_f16 v[96:97], v98, off
	
	;;#ASMEND
	s_set_gpr_idx_on s7, gpr_idx(SRC0)
	v_mov_b32_e32 v98, v16
	s_set_gpr_idx_off
	v_cvt_f16_f32_e32 v105, v98
	s_set_gpr_idx_on s10, gpr_idx(SRC0)
	v_mov_b32_e32 v98, v16
	s_set_gpr_idx_off
	v_cvt_f16_f32_sdwa v106, v98 dst_sel:WORD_1 dst_unused:UNUSED_PAD src0_sel:DWORD
	v_lshl_add_u64 v[98:99], v[96:97], 0, 64
	s_mov_b64 s[8:9], 0x80
	s_add_i32 s6, s6, 4
	v_or_b32_e32 v105, v106, v105
	;;#ASMSTART
	global_atomic_pk_add_f16 v[98:99], v105, off
	
	;;#ASMEND
	s_set_gpr_idx_on s7, gpr_idx(SRC0)
	v_mov_b32_e32 v98, v32
	s_set_gpr_idx_off
	v_cvt_f16_f32_e32 v105, v98
	s_set_gpr_idx_on s10, gpr_idx(SRC0)
	v_mov_b32_e32 v98, v32
	s_set_gpr_idx_off
	v_cvt_f16_f32_sdwa v106, v98 dst_sel:WORD_1 dst_unused:UNUSED_PAD src0_sel:DWORD
	v_lshl_add_u64 v[98:99], v[96:97], 0, s[8:9]
	s_mov_b64 s[8:9], 0xc0
	v_or_b32_e32 v105, v106, v105
	;;#ASMSTART
	global_atomic_pk_add_f16 v[98:99], v105, off
	
	;;#ASMEND
	s_set_gpr_idx_on s7, gpr_idx(SRC0)
	v_mov_b32_e32 v98, v48
	s_set_gpr_idx_off
	v_cvt_f16_f32_e32 v105, v98
	s_set_gpr_idx_on s10, gpr_idx(SRC0)
	v_mov_b32_e32 v98, v48
	s_set_gpr_idx_off
	v_cvt_f16_f32_sdwa v106, v98 dst_sel:WORD_1 dst_unused:UNUSED_PAD src0_sel:DWORD
	v_lshl_add_u64 v[98:99], v[96:97], 0, s[8:9]
	s_mov_b64 s[8:9], 0x100
	;; [unrolled: 15-line block ×3, first 2 shown]
	v_lshl_add_u64 v[96:97], v[96:97], 0, s[8:9]
	v_or_b32_e32 v105, v106, v105
	;;#ASMSTART
	global_atomic_pk_add_f16 v[98:99], v105, off
	
	;;#ASMEND
	s_set_gpr_idx_on s7, gpr_idx(SRC0)
	v_mov_b32_e32 v98, v80
	s_set_gpr_idx_off
	v_cvt_f16_f32_e32 v98, v98
	s_set_gpr_idx_on s10, gpr_idx(SRC0)
	v_mov_b32_e32 v99, v80
	s_set_gpr_idx_off
	s_add_i32 s7, s7, 2
	v_cvt_f16_f32_sdwa v99, v99 dst_sel:WORD_1 dst_unused:UNUSED_PAD src0_sel:DWORD
	s_cmp_eq_u32 s7, 16
	s_cselect_b64 s[8:9], -1, 0
	s_andn2_b64 s[2:3], s[2:3], exec
	s_and_b64 s[8:9], s[8:9], exec
	s_or_b64 s[2:3], s[2:3], s[8:9]
	v_or_b32_e32 v98, v99, v98
	;;#ASMSTART
	global_atomic_pk_add_f16 v[96:97], v98, off
	
	;;#ASMEND
	s_branch .LBB230_36
.LBB230_39:                             ;   in Loop: Header=BB230_7 Depth=1
	s_or_b64 exec, exec, s[0:1]
	scratch_load_dword v14, off, off offset:32 ; 4-byte Folded Reload
	scratch_load_dword v100, off, off offset:36 ; 4-byte Folded Reload
	scratch_load_dwordx2 v[16:17], off, off offset:80 ; 8-byte Folded Reload
	scratch_load_dword v15, off, off offset:96 ; 4-byte Folded Reload
.LBB230_40:                             ;   in Loop: Header=BB230_7 Depth=1
	s_or_b64 exec, exec, s[48:49]
.LBB230_41:                             ;   in Loop: Header=BB230_7 Depth=1
	s_andn2_saveexec_b64 s[0:1], s[46:47]
	s_cbranch_execz .LBB230_50
; %bb.42:                               ;   in Loop: Header=BB230_7 Depth=1
	s_mul_i32 s10, s41, 6
	v_cmp_gt_i32_e32 vcc, s10, v101
	s_and_saveexec_b64 s[2:3], vcc
	s_cbranch_execz .LBB230_49
; %bb.43:                               ;   in Loop: Header=BB230_7 Depth=1
	scratch_load_dwordx2 v[0:1], off, off offset:88 ; 8-byte Folded Reload
	s_mul_i32 s4, s44, s55
	s_ashr_i32 s5, s4, 31
	s_add_u32 s4, s18, s4
	s_addc_u32 s5, s19, s5
	s_ashr_i32 s6, s40, 31
	s_add_u32 s4, s4, s40
	s_addc_u32 s5, s5, s6
	s_waitcnt vmcnt(0)
	v_lshl_add_u64 v[0:1], s[4:5], 0, v[0:1]
	v_lshl_add_u64 v[8:9], v[0:1], 0, v[16:17]
	s_mov_b64 s[4:5], 0
	s_branch .LBB230_45
.LBB230_44:                             ;   in Loop: Header=BB230_45 Depth=2
	s_or_b64 exec, exec, s[6:7]
	v_lshl_or_b32 v12, v10, 11, v15
	;;#ASMSTART
	s_waitcnt vmcnt(1)
	;;#ASMEND
	ds_write2_b32 v12, v4, v5 offset1:32
	ds_write2_b32 v12, v6, v7 offset0:64 offset1:96
	v_add_u32_e32 v4, 0x400, v12
	v_add_u32_e32 v101, s58, v101
	;;#ASMSTART
	s_waitcnt vmcnt(0)
	;;#ASMEND
	ds_write2_b32 v4, v0, v1 offset1:32
	ds_write2_b32 v4, v2, v3 offset0:64 offset1:96
	v_add_u32_e32 v0, 1, v111
	v_add_u32_e32 v104, s58, v10
	v_cmp_le_i32_e32 vcc, s10, v101
	ds_write_b32 v11, v0 offset:8
	v_add_u32_e32 v0, 2, v111
	s_or_b64 s[4:5], vcc, s[4:5]
	v_cmp_lt_i32_e32 vcc, 5, v104
	s_nop 1
	v_cndmask_b32_e32 v111, v111, v0, vcc
	s_andn2_b64 exec, exec, s[4:5]
	s_cbranch_execz .LBB230_48
.LBB230_45:                             ;   Parent Loop BB230_7 Depth=1
                                        ; =>  This Loop Header: Depth=2
                                        ;       Child Loop BB230_47 Depth 3
	v_cmp_gt_i32_e32 vcc, 6, v104
	s_mov_b32 s6, 0x2aaaaaab
	s_nop 0
	v_cndmask_b32_e64 v0, -6, 0, vcc
	v_add_u32_e32 v10, v0, v104
	v_mul_hi_i32 v0, v101, s6
	v_lshrrev_b32_e32 v1, 31, v0
	v_add_u32_e32 v0, v0, v1
	v_mul_lo_u32 v1, v0, 6
	v_sub_u32_e32 v2, v101, v1
	v_lshlrev_b32_e32 v0, 6, v0
	v_ashrrev_i32_e32 v1, 31, v0
	v_mul_lo_u32 v2, s31, v2
	v_lshl_add_u64 v[0:1], v[8:9], 0, v[0:1]
	v_ashrrev_i32_e32 v3, 31, v2
	v_lshl_add_u64 v[0:1], v[0:1], 0, v[2:3]
	v_lshlrev_b32_e32 v11, 2, v10
	;;#ASMSTART
	global_load_dwordx4 v[4:7], v[0:1], off offset:0   sc0 sc1 nt  
	global_load_dwordx4 v[0:3], v[0:1], off offset:32  sc0 sc1 nt  
	
	;;#ASMEND
	ds_read_b32 v12, v11 offset:16392
	v_add_u32_e32 v11, 0x4000, v11
	s_waitcnt lgkmcnt(0)
	v_cmp_ne_u32_e32 vcc, v12, v111
	s_and_saveexec_b64 s[6:7], vcc
	s_cbranch_execz .LBB230_44
; %bb.46:                               ;   in Loop: Header=BB230_45 Depth=2
	s_mov_b64 s[8:9], 0
.LBB230_47:                             ;   Parent Loop BB230_7 Depth=1
                                        ;     Parent Loop BB230_45 Depth=2
                                        ; =>    This Inner Loop Header: Depth=3
	;;#ASMSTART
	s_sleep 0
	;;#ASMEND
	ds_read_b32 v12, v11 offset:8
	s_waitcnt lgkmcnt(0)
	v_cmp_eq_u32_e32 vcc, v12, v111
	s_or_b64 s[8:9], vcc, s[8:9]
	s_andn2_b64 exec, exec, s[8:9]
	s_cbranch_execnz .LBB230_47
	s_branch .LBB230_44
.LBB230_48:                             ;   in Loop: Header=BB230_7 Depth=1
	s_or_b64 exec, exec, s[4:5]
.LBB230_49:                             ;   in Loop: Header=BB230_7 Depth=1
	s_or_b64 exec, exec, s[2:3]
	v_subrev_u32_e32 v101, s10, v101
.LBB230_50:                             ;   in Loop: Header=BB230_7 Depth=1
	s_or_b64 exec, exec, s[0:1]
.LBB230_51:                             ;   in Loop: Header=BB230_7 Depth=1
	s_andn2_saveexec_b64 s[0:1], s[42:43]
	s_cbranch_execz .LBB230_6
; %bb.52:                               ;   in Loop: Header=BB230_7 Depth=1
	s_lshl_b32 s10, s41, 1
	v_cmp_gt_i32_e32 vcc, s10, v101
	s_and_saveexec_b64 s[2:3], vcc
	s_cbranch_execz .LBB230_5
; %bb.53:                               ;   in Loop: Header=BB230_7 Depth=1
	s_mul_i32 s4, s39, s54
	s_ashr_i32 s5, s4, 31
	s_add_u32 s4, s16, s4
	s_waitcnt vmcnt(2)
	v_add_u32_e32 v2, s92, v100
	s_addc_u32 s5, s17, s5
	s_ashr_i32 s6, s40, 31
	v_mul_lo_u32 v0, s54, v100
	v_cmp_gt_u32_e32 vcc, 64, v2
	s_add_u32 s4, s4, s40
	s_addc_u32 s5, s5, s6
	v_cndmask_b32_e32 v0, 0, v0, vcc
	v_ashrrev_i32_e32 v1, 31, v0
	v_lshl_add_u64 v[0:1], s[4:5], 0, v[0:1]
	s_waitcnt vmcnt(1)
	v_lshl_add_u64 v[8:9], v[0:1], 0, v[16:17]
	v_sub_u32_e32 v10, 63, v2
	s_mov_b64 s[4:5], 0
	s_branch .LBB230_55
.LBB230_54:                             ;   in Loop: Header=BB230_55 Depth=2
	s_or_b64 exec, exec, s[6:7]
	v_lshl_add_u32 v13, v11, 11, v124
	;;#ASMSTART
	s_waitcnt vmcnt(1)
	;;#ASMEND
	ds_write2_b32 v13, v4, v5 offset1:32
	ds_write2_b32 v13, v6, v7 offset0:64 offset1:96
	v_add_u32_e32 v4, 0x400, v13
	v_add_u32_e32 v101, s57, v101
	;;#ASMSTART
	s_waitcnt vmcnt(0)
	;;#ASMEND
	ds_write2_b32 v4, v0, v1 offset1:32
	ds_write2_b32 v4, v2, v3 offset0:64 offset1:96
	v_add_u32_e32 v0, 1, v111
	v_add_u32_e32 v104, s57, v11
	v_cmp_le_i32_e32 vcc, s10, v101
	ds_write_b32 v12, v0
	v_add_u32_e32 v0, 2, v111
	s_or_b64 s[4:5], vcc, s[4:5]
	v_cmp_lt_i32_e32 vcc, 1, v104
	s_nop 1
	v_cndmask_b32_e32 v111, v111, v0, vcc
	s_andn2_b64 exec, exec, s[4:5]
	s_cbranch_execz .LBB230_4
.LBB230_55:                             ;   Parent Loop BB230_7 Depth=1
                                        ; =>  This Loop Header: Depth=2
                                        ;       Child Loop BB230_57 Depth 3
	v_cmp_gt_i32_e32 vcc, 2, v104
	s_nop 1
	v_cndmask_b32_e64 v0, -2, 0, vcc
	v_add_u32_e32 v11, v0, v104
	v_lshrrev_b32_e32 v0, 31, v101
	v_add_u32_e32 v0, v101, v0
	v_and_b32_e32 v1, 0x7fffffe, v0
	v_sub_u32_e32 v1, v101, v1
	v_lshlrev_b32_e32 v1, 5, v1
	v_cmp_le_i32_e32 vcc, v1, v10
	v_lshlrev_b32_e32 v0, 5, v0
	v_and_b32_e32 v0, 0xffffffc0, v0
	v_cndmask_b32_e32 v2, 0, v1, vcc
	v_ashrrev_i32_e32 v1, 31, v0
	v_mul_lo_u32 v2, v2, s54
	v_lshl_add_u64 v[0:1], v[8:9], 0, v[0:1]
	v_ashrrev_i32_e32 v3, 31, v2
	v_lshl_add_u64 v[0:1], v[0:1], 0, v[2:3]
	v_lshlrev_b32_e32 v12, 2, v11
	;;#ASMSTART
	global_load_dwordx4 v[4:7], v[0:1], off offset:0   
	global_load_dwordx4 v[0:3], v[0:1], off offset:32  
	
	;;#ASMEND
	ds_read_b32 v13, v12 offset:16384
	v_add_u32_e32 v12, 0x4000, v12
	s_waitcnt lgkmcnt(0)
	v_cmp_ne_u32_e32 vcc, v13, v111
	s_and_saveexec_b64 s[6:7], vcc
	s_cbranch_execz .LBB230_54
; %bb.56:                               ;   in Loop: Header=BB230_55 Depth=2
	s_mov_b64 s[8:9], 0
.LBB230_57:                             ;   Parent Loop BB230_7 Depth=1
                                        ;     Parent Loop BB230_55 Depth=2
                                        ; =>    This Inner Loop Header: Depth=3
	;;#ASMSTART
	s_sleep 0
	;;#ASMEND
	ds_read_b32 v13, v12
	s_waitcnt lgkmcnt(0)
	v_cmp_eq_u32_e32 vcc, v13, v111
	s_or_b64 s[8:9], vcc, s[8:9]
	s_andn2_b64 exec, exec, s[8:9]
	s_cbranch_execnz .LBB230_57
	s_branch .LBB230_54
.LBB230_58:
	s_endpgm
	.section	.rodata,"a",@progbits
	.p2align	6, 0x0
	.amdhsa_kernel _Z19_skinny_gemm_kernelILi2ELi6ELi1ELi32ELi4EEvPKhS1_P6__halfPKfiiiiiiii
		.amdhsa_group_segment_fixed_size 16416
		.amdhsa_private_segment_fixed_size 108
		.amdhsa_kernarg_size 64
		.amdhsa_user_sgpr_count 2
		.amdhsa_user_sgpr_dispatch_ptr 0
		.amdhsa_user_sgpr_queue_ptr 0
		.amdhsa_user_sgpr_kernarg_segment_ptr 1
		.amdhsa_user_sgpr_dispatch_id 0
		.amdhsa_user_sgpr_kernarg_preload_length 0
		.amdhsa_user_sgpr_kernarg_preload_offset 0
		.amdhsa_user_sgpr_private_segment_size 0
		.amdhsa_uses_dynamic_stack 0
		.amdhsa_enable_private_segment 1
		.amdhsa_system_sgpr_workgroup_id_x 1
		.amdhsa_system_sgpr_workgroup_id_y 0
		.amdhsa_system_sgpr_workgroup_id_z 0
		.amdhsa_system_sgpr_workgroup_info 0
		.amdhsa_system_vgpr_workitem_id 0
		.amdhsa_next_free_vgpr 128
		.amdhsa_next_free_sgpr 100
		.amdhsa_accum_offset 128
		.amdhsa_reserve_vcc 1
		.amdhsa_float_round_mode_32 0
		.amdhsa_float_round_mode_16_64 0
		.amdhsa_float_denorm_mode_32 3
		.amdhsa_float_denorm_mode_16_64 3
		.amdhsa_dx10_clamp 1
		.amdhsa_ieee_mode 1
		.amdhsa_fp16_overflow 0
		.amdhsa_tg_split 0
		.amdhsa_exception_fp_ieee_invalid_op 0
		.amdhsa_exception_fp_denorm_src 0
		.amdhsa_exception_fp_ieee_div_zero 0
		.amdhsa_exception_fp_ieee_overflow 0
		.amdhsa_exception_fp_ieee_underflow 0
		.amdhsa_exception_fp_ieee_inexact 0
		.amdhsa_exception_int_div_zero 0
	.end_amdhsa_kernel
	.section	.text._Z19_skinny_gemm_kernelILi2ELi6ELi1ELi32ELi4EEvPKhS1_P6__halfPKfiiiiiiii,"axG",@progbits,_Z19_skinny_gemm_kernelILi2ELi6ELi1ELi32ELi4EEvPKhS1_P6__halfPKfiiiiiiii,comdat
.Lfunc_end230:
	.size	_Z19_skinny_gemm_kernelILi2ELi6ELi1ELi32ELi4EEvPKhS1_P6__halfPKfiiiiiiii, .Lfunc_end230-_Z19_skinny_gemm_kernelILi2ELi6ELi1ELi32ELi4EEvPKhS1_P6__halfPKfiiiiiiii
                                        ; -- End function
	.set _Z19_skinny_gemm_kernelILi2ELi6ELi1ELi32ELi4EEvPKhS1_P6__halfPKfiiiiiiii.num_vgpr, 128
	.set _Z19_skinny_gemm_kernelILi2ELi6ELi1ELi32ELi4EEvPKhS1_P6__halfPKfiiiiiiii.num_agpr, 0
	.set _Z19_skinny_gemm_kernelILi2ELi6ELi1ELi32ELi4EEvPKhS1_P6__halfPKfiiiiiiii.numbered_sgpr, 100
	.set _Z19_skinny_gemm_kernelILi2ELi6ELi1ELi32ELi4EEvPKhS1_P6__halfPKfiiiiiiii.num_named_barrier, 0
	.set _Z19_skinny_gemm_kernelILi2ELi6ELi1ELi32ELi4EEvPKhS1_P6__halfPKfiiiiiiii.private_seg_size, 108
	.set _Z19_skinny_gemm_kernelILi2ELi6ELi1ELi32ELi4EEvPKhS1_P6__halfPKfiiiiiiii.uses_vcc, 1
	.set _Z19_skinny_gemm_kernelILi2ELi6ELi1ELi32ELi4EEvPKhS1_P6__halfPKfiiiiiiii.uses_flat_scratch, 0
	.set _Z19_skinny_gemm_kernelILi2ELi6ELi1ELi32ELi4EEvPKhS1_P6__halfPKfiiiiiiii.has_dyn_sized_stack, 0
	.set _Z19_skinny_gemm_kernelILi2ELi6ELi1ELi32ELi4EEvPKhS1_P6__halfPKfiiiiiiii.has_recursion, 0
	.set _Z19_skinny_gemm_kernelILi2ELi6ELi1ELi32ELi4EEvPKhS1_P6__halfPKfiiiiiiii.has_indirect_call, 0
	.section	.AMDGPU.csdata,"",@progbits
; Kernel info:
; codeLenInByte = 20680
; TotalNumSgprs: 106
; NumVgprs: 128
; NumAgprs: 0
; TotalNumVgprs: 128
; ScratchSize: 108
; MemoryBound: 0
; FloatMode: 240
; IeeeMode: 1
; LDSByteSize: 16416 bytes/workgroup (compile time only)
; SGPRBlocks: 13
; VGPRBlocks: 15
; NumSGPRsForWavesPerEU: 106
; NumVGPRsForWavesPerEU: 128
; AccumOffset: 128
; Occupancy: 4
; WaveLimiterHint : 0
; COMPUTE_PGM_RSRC2:SCRATCH_EN: 1
; COMPUTE_PGM_RSRC2:USER_SGPR: 2
; COMPUTE_PGM_RSRC2:TRAP_HANDLER: 0
; COMPUTE_PGM_RSRC2:TGID_X_EN: 1
; COMPUTE_PGM_RSRC2:TGID_Y_EN: 0
; COMPUTE_PGM_RSRC2:TGID_Z_EN: 0
; COMPUTE_PGM_RSRC2:TIDIG_COMP_CNT: 0
; COMPUTE_PGM_RSRC3_GFX90A:ACCUM_OFFSET: 31
; COMPUTE_PGM_RSRC3_GFX90A:TG_SPLIT: 0
	.section	.text._Z19_skinny_gemm_kernelILi2ELi6ELi1ELi32ELi8EEvPKhS1_P6__halfPKfiiiiiiii,"axG",@progbits,_Z19_skinny_gemm_kernelILi2ELi6ELi1ELi32ELi8EEvPKhS1_P6__halfPKfiiiiiiii,comdat
	.protected	_Z19_skinny_gemm_kernelILi2ELi6ELi1ELi32ELi8EEvPKhS1_P6__halfPKfiiiiiiii ; -- Begin function _Z19_skinny_gemm_kernelILi2ELi6ELi1ELi32ELi8EEvPKhS1_P6__halfPKfiiiiiiii
	.globl	_Z19_skinny_gemm_kernelILi2ELi6ELi1ELi32ELi8EEvPKhS1_P6__halfPKfiiiiiiii
	.p2align	8
	.type	_Z19_skinny_gemm_kernelILi2ELi6ELi1ELi32ELi8EEvPKhS1_P6__halfPKfiiiiiiii,@function
_Z19_skinny_gemm_kernelILi2ELi6ELi1ELi32ELi8EEvPKhS1_P6__halfPKfiiiiiiii: ; @_Z19_skinny_gemm_kernelILi2ELi6ELi1ELi32ELi8EEvPKhS1_P6__halfPKfiiiiiiii
; %bb.0:
	v_cmp_gt_u32_e32 vcc, 8, v0
	s_and_saveexec_b64 s[4:5], vcc
; %bb.1:
	v_lshlrev_b32_e32 v1, 2, v0
	v_mov_b32_e32 v2, 0
	ds_write_b32 v1, v2 offset:32768
; %bb.2:
	s_or_b64 exec, exec, s[4:5]
	s_load_dwordx8 s[52:59], s[0:1], 0x20
	s_waitcnt lgkmcnt(0)
	s_barrier
	s_add_i32 s3, s52, 63
	s_ashr_i32 s5, s3, 31
	s_add_i32 s4, s53, 0xbf
	s_lshr_b32 s5, s5, 26
	s_mul_hi_i32 s4, s4, 0x2aaaaaab
	s_add_i32 s3, s3, s5
	s_ashr_i32 s11, s3, 6
	s_lshr_b32 s3, s4, 31
	s_ashr_i32 s4, s4, 5
	s_add_i32 s12, s4, s3
	s_mul_i32 s3, s12, s11
	s_mul_i32 s3, s3, s56
	s_add_i32 s4, s3, 0x12f
	s_mul_hi_i32 s4, s4, 0x6bca1af3
	s_lshr_b32 s5, s4, 31
	s_ashr_i32 s4, s4, 7
	s_add_i32 s4, s4, s5
	s_add_i32 s5, s2, 1
	s_mul_i32 s5, s4, s5
	v_cvt_f64_i32_e32 v[2:3], s3
	v_cvt_f64_u32_e32 v[4:5], s5
	v_min_f64 v[2:3], v[2:3], v[4:5]
	v_cvt_i32_f64_e32 v22, v[2:3]
	s_mul_i32 s33, s4, s2
	v_cmp_ge_i32_e32 vcc, s33, v22
	s_cbranch_vccnz .LBB231_58
; %bb.3:
	s_load_dwordx8 s[16:23], s[0:1], 0x0
	v_lshrrev_b32_e32 v1, 6, v0
	s_add_i32 s0, s58, s57
	v_cmp_le_i32_e64 s[14:15], s0, v1
	v_mov_b32_e32 v2, s57
	v_cmp_le_i32_e64 s[24:25], s57, v1
	v_mov_b32_e32 v3, s58
	v_cndmask_b32_e64 v3, 0, v3, s[14:15]
	v_cndmask_b32_e64 v2, 0, v2, s[24:25]
	s_abs_i32 s1, s56
	v_add_u32_e32 v2, v2, v3
	v_cvt_f32_u32_e32 v3, s1
	v_sub_u32_e32 v104, v1, v2
	s_ashr_i32 s2, s54, 31
	s_lshr_b32 s2, s2, 25
	v_rcp_iflag_f32_e32 v2, v3
	s_sub_i32 s5, 0, s1
	s_add_i32 s2, s54, s2
	s_ashr_i32 s2, s2, 7
	v_mul_f32_e32 v2, 0x4f7ffffe, v2
	v_cvt_u32_f32_e32 v2, v2
	s_abs_i32 s4, s2
	s_xor_b32 s3, s2, s56
	s_ashr_i32 s3, s3, 31
	v_readfirstlane_b32 s6, v2
	s_mul_i32 s5, s5, s6
	s_mul_hi_u32 s5, s6, s5
	s_add_i32 s6, s6, s5
	s_mul_hi_u32 s5, s4, s6
	s_mul_i32 s6, s5, s1
	s_sub_i32 s4, s4, s6
	s_add_i32 s6, s5, 1
	s_sub_i32 s7, s4, s1
	s_cmp_ge_u32 s4, s1
	s_cselect_b32 s5, s6, s5
	s_cselect_b32 s4, s7, s4
	s_add_i32 s6, s5, 1
	s_cmp_ge_u32 s4, s1
	s_cselect_b32 s1, s6, s5
	s_add_i32 s0, s0, s59
	v_and_b32_e32 v121, 31, v0
	v_lshrrev_b32_e32 v2, 3, v0
	v_cmp_gt_i32_e64 s[28:29], s0, v1
	v_lshlrev_b32_e32 v1, 2, v121
	v_and_b32_e32 v3, 4, v2
	v_lshlrev_b32_e32 v2, 6, v3
	v_or_b32_e32 v4, 0x6000, v1
	v_or_b32_e32 v123, v4, v2
	;; [unrolled: 1-line block ×3, first 2 shown]
	v_and_b32_e32 v5, 1, v0
	scratch_store_dword off, v2, off        ; 4-byte Folded Spill
	v_lshlrev_b32_e32 v2, 1, v5
	v_sub_u32_e32 v2, v0, v2
	v_add_u32_e32 v2, 1, v2
	v_and_b32_e32 v6, 63, v2
	v_bitop3_b32 v2, v0, 1, v0 bitop3:0xc
	scratch_store_dword off, v2, off offset:40 ; 4-byte Folded Spill
	v_bitop3_b32 v2, v0, 3, 1 bitop3:0x6c
	scratch_store_dword off, v2, off offset:44 ; 4-byte Folded Spill
	;; [unrolled: 2-line block ×5, first 2 shown]
	v_bitop3_b32 v2, v0, 11, 1 bitop3:0x6c
	v_lshrrev_b32_e32 v7, 1, v0
	s_abs_i32 s30, s11
                                        ; implicit-def: $vgpr126 : SGPR spill to VGPR lane
	scratch_store_dword off, v2, off offset:60 ; 4-byte Folded Spill
	v_bitop3_b32 v2, v0, 13, 1 bitop3:0x6c
	v_and_b32_e32 v24, 16, v7
	v_cvt_f32_u32_e32 v7, s30
	v_writelane_b32 v126, s11, 0
	scratch_store_dword off, v2, off offset:64 ; 4-byte Folded Spill
	v_bitop3_b32 v2, v0, 15, 1 bitop3:0x6c
	v_writelane_b32 v126, s12, 1
	scratch_store_dword off, v2, off offset:68 ; 4-byte Folded Spill
	v_and_b32_e32 v2, 30, v0
	v_lshlrev_b32_e32 v0, 4, v0
	s_waitcnt lgkmcnt(0)
	v_writelane_b32 v126, s16, 2
	v_and_b32_e32 v0, 0x200, v0
	v_or_b32_e32 v23, v1, v0
	v_writelane_b32 v126, s17, 3
	v_rcp_iflag_f32_e32 v1, v7
	v_writelane_b32 v126, s18, 4
	v_writelane_b32 v126, s19, 5
	;; [unrolled: 1-line block ×3, first 2 shown]
	s_abs_i32 s34, s12
	v_writelane_b32 v126, s21, 7
	v_or_b32_e32 v118, v4, v0
	v_mul_f32_e32 v0, 0x4f7ffffe, v1
	v_cvt_f32_u32_e32 v1, s34
	v_writelane_b32 v126, s22, 8
	v_writelane_b32 v126, s23, 9
	v_cndmask_b32_e64 v119, 0, 1, s[14:15]
	v_writelane_b32 v126, s14, 10
	s_xor_b32 s1, s1, s3
	v_cvt_u32_f32_e32 v0, v0
	v_writelane_b32 v126, s15, 11
	v_rcp_iflag_f32_e32 v1, v1
	v_writelane_b32 v126, s24, 12
	s_sub_i32 s13, s1, s3
	s_add_i32 s26, s56, -1
	v_writelane_b32 v126, s25, 13
	s_mul_i32 s1, s13, s26
	v_writelane_b32 v126, s13, 14
	s_sub_i32 s27, s2, s1
	v_writelane_b32 v126, s26, 15
	v_readfirstlane_b32 s1, v0
	v_mul_f32_e32 v0, 0x4f7ffffe, v1
	v_writelane_b32 v126, s27, 16
	v_cvt_u32_f32_e32 v0, v0
	v_writelane_b32 v126, s28, 17
	s_sub_i32 s0, 0, s30
	s_lshl_b32 s31, s55, 5
	v_writelane_b32 v126, s29, 18
	s_mul_i32 s0, s0, s1
	v_writelane_b32 v126, s30, 19
	s_mul_hi_u32 s0, s1, s0
	v_writelane_b32 v126, s31, 20
	s_ashr_i32 s35, s11, 31
	s_add_i32 s36, s1, s0
	s_sub_i32 s0, 0, s34
	v_readfirstlane_b32 s1, v0
	v_writelane_b32 v126, s34, 21
	s_mul_i32 s0, s0, s1
	v_writelane_b32 v126, s35, 22
	s_ashr_i32 s37, s12, 31
	s_mul_hi_u32 s0, s1, s0
	v_writelane_b32 v126, s36, 23
	s_add_i32 s38, s1, s0
	v_writelane_b32 v126, s37, 24
	v_writelane_b32 v126, s38, 25
	v_mul_lo_u32 v8, s55, v121
	v_writelane_b32 v126, s52, 26
	v_mbcnt_lo_u32_b32 v0, -1, 0
	v_mbcnt_hi_u32_b32 v0, -1, v0
	v_writelane_b32 v126, s53, 27
	v_writelane_b32 v126, s54, 28
	;; [unrolled: 1-line block ×5, first 2 shown]
	v_mov_b32_e32 v107, 0
	v_and_or_b32 v0, v0, 64, v6
	v_writelane_b32 v126, s58, 32
	v_ashrrev_i32_e32 v9, 31, v8
	v_mov_b32_e32 v25, v107
	v_lshlrev_b32_e32 v106, 1, v2
	v_lshlrev_b32_e32 v0, 2, v0
	v_mov_b32_e32 v122, v104
	v_writelane_b32 v126, s59, 33
	scratch_store_dwordx2 off, v[8:9], off offset:80 ; 8-byte Folded Spill
	v_or_b32_e32 v97, v5, v3
	scratch_store_dword off, v0, off offset:96 ; 4-byte Folded Spill
	scratch_store_dword off, v22, off offset:28 ; 4-byte Folded Spill
	;; [unrolled: 1-line block ×4, first 2 shown]
	scratch_store_dwordx2 off, v[24:25], off offset:72 ; 8-byte Folded Spill
	scratch_store_dword off, v23, off offset:88 ; 4-byte Folded Spill
	scratch_store_dword off, v97, off offset:92 ; 4-byte Folded Spill
	s_branch .LBB231_7
.LBB231_4:                              ;   in Loop: Header=BB231_7 Depth=1
	s_or_b64 exec, exec, s[4:5]
.LBB231_5:                              ;   in Loop: Header=BB231_7 Depth=1
	s_or_b64 exec, exec, s[2:3]
	v_subrev_u32_e32 v122, s10, v122
.LBB231_6:                              ;   in Loop: Header=BB231_7 Depth=1
	s_or_b64 exec, exec, s[0:1]
	s_add_i32 s33, s33, 1
	s_waitcnt vmcnt(3)
	v_cmp_ge_i32_e32 vcc, s33, v22
	s_cbranch_vccnz .LBB231_58
.LBB231_7:                              ; =>This Loop Header: Depth=1
                                        ;     Child Loop BB231_13 Depth 2
                                        ;       Child Loop BB231_15 Depth 3
                                        ;       Child Loop BB231_18 Depth 3
	;; [unrolled: 1-line block ×7, first 2 shown]
                                        ;     Child Loop BB231_37 Depth 2
                                        ;     Child Loop BB231_45 Depth 2
                                        ;       Child Loop BB231_47 Depth 3
                                        ;     Child Loop BB231_55 Depth 2
                                        ;       Child Loop BB231_57 Depth 3
	s_abs_i32 s1, s33
	s_mul_hi_u32 s2, s1, s36
	s_mul_i32 s3, s2, s30
	s_ashr_i32 s0, s33, 31
	s_sub_i32 s1, s1, s3
	s_xor_b32 s0, s0, s35
	s_add_i32 s3, s2, 1
	s_sub_i32 s4, s1, s30
	s_cmp_ge_u32 s1, s30
	s_cselect_b32 s2, s3, s2
	s_cselect_b32 s1, s4, s1
	s_add_i32 s3, s2, 1
	s_cmp_ge_u32 s1, s30
	s_cselect_b32 s1, s3, s2
	s_xor_b32 s1, s1, s0
	s_sub_i32 s0, s1, s0
	s_abs_i32 s2, s0
	s_mul_i32 s1, s0, s11
	s_mul_hi_u32 s3, s2, s38
	s_sub_i32 s1, s33, s1
	s_mul_i32 s4, s3, s34
	s_lshl_b32 s39, s1, 6
	s_ashr_i32 s1, s0, 31
	s_sub_i32 s2, s2, s4
	s_xor_b32 s1, s1, s37
	s_add_i32 s4, s3, 1
	s_sub_i32 s5, s2, s34
	s_cmp_ge_u32 s2, s34
	s_cselect_b32 s3, s4, s3
	s_cselect_b32 s2, s5, s2
	s_add_i32 s4, s3, 1
	s_cmp_ge_u32 s2, s34
	s_cselect_b32 s2, s4, s3
	s_xor_b32 s2, s2, s1
	s_sub_i32 s1, s2, s1
	s_mul_i32 s2, s1, s13
	s_lshl_b32 s40, s2, 7
	s_cmp_eq_u32 s1, s26
	s_cselect_b32 s41, s27, s13
	s_sub_i32 s2, s39, s52
	s_add_i32 s2, s2, 64
	s_max_i32 s92, s2, 0
	s_and_saveexec_b64 s[2:3], s[24:25]
	s_xor_b64 s[42:43], exec, s[2:3]
	s_cbranch_execz .LBB231_51
; %bb.8:                                ;   in Loop: Header=BB231_7 Depth=1
	s_mul_i32 s1, s1, s12
	s_sub_i32 s0, s0, s1
	s_mulk_i32 s0, 0xc0
	s_sub_i32 s8, s0, s53
	s_addk_i32 s8, 0xc0
	s_max_i32 s1, s8, 0
	s_sub_i32 s44, s0, s1
	s_and_saveexec_b64 s[0:1], s[14:15]
	s_xor_b64 s[46:47], exec, s[0:1]
	s_cbranch_execz .LBB231_41
; %bb.9:                                ;   in Loop: Header=BB231_7 Depth=1
	s_and_saveexec_b64 s[48:49], s[28:29]
	s_cbranch_execz .LBB231_40
; %bb.10:                               ;   in Loop: Header=BB231_7 Depth=1
	global_load_dword v105, v107, s[22:23]
	v_mov_b32_e32 v95, 0
	v_cmp_gt_i32_e32 vcc, s41, v122
	v_mov_b32_e32 v94, v95
	v_mov_b32_e32 v93, v95
	;; [unrolled: 1-line block ×69, first 2 shown]
	s_waitcnt vmcnt(2)
	v_mov_b32_e32 v25, v95
	v_mov_b32_e32 v24, v95
	s_waitcnt vmcnt(1)
	v_mov_b32_e32 v23, v95
	v_mov_b32_e32 v22, v95
	;; [unrolled: 1-line block ×24, first 2 shown]
	scratch_store_dwordx2 off, v[106:107], off offset:4 ; 8-byte Folded Spill
	s_and_saveexec_b64 s[0:1], vcc
	s_cbranch_execz .LBB231_35
; %bb.11:                               ;   in Loop: Header=BB231_7 Depth=1
	v_mov_b32_e32 v0, 0
	s_mov_b64 s[2:3], 0
	v_mov_b32_e32 v1, v0
	v_mov_b32_e32 v2, v0
	;; [unrolled: 1-line block ×95, first 2 shown]
	s_waitcnt vmcnt(1)
	scratch_store_dword off, v105, off offset:12 ; 4-byte Folded Spill
	s_branch .LBB231_13
.LBB231_12:                             ;   in Loop: Header=BB231_13 Depth=2
	s_or_b64 exec, exec, s[4:5]
	v_add_u32_e32 v101, 0x5000, v96
	ds_read2_b32 v[98:99], v101 offset1:32
	v_add_u32_e32 v122, s59, v122
	s_waitcnt lgkmcnt(0)
	v_mfma_f32_32x32x16_fp8_fp8 v[0:15], v[116:117], v[98:99], v[0:15]
	ds_read2_b32 v[98:99], v101 offset0:128 offset1:160
	v_add_u32_e32 v101, 0x5400, v96
	s_waitcnt lgkmcnt(0)
	v_mfma_f32_32x32x16_fp8_fp8 v[0:15], v[114:115], v[98:99], v[0:15]
	ds_read2_b32 v[98:99], v101 offset1:32
	s_waitcnt lgkmcnt(0)
	v_mfma_f32_32x32x16_fp8_fp8 v[0:15], v[112:113], v[98:99], v[0:15]
	ds_read2_b32 v[98:99], v101 offset0:128 offset1:160
	v_add_u32_e32 v101, 0x5800, v96
	v_add_u32_e32 v96, 0x5c00, v96
	s_waitcnt lgkmcnt(0)
	v_mfma_f32_32x32x16_fp8_fp8 v[0:15], v[110:111], v[98:99], v[0:15]
	ds_read2_b32 v[98:99], v101 offset1:32
	s_waitcnt lgkmcnt(0)
	v_mfma_f32_32x32x16_fp8_fp8 v[0:15], v[108:109], v[98:99], v[0:15]
	ds_read2_b32 v[98:99], v101 offset0:128 offset1:160
	s_waitcnt lgkmcnt(0)
	v_mfma_f32_32x32x16_fp8_fp8 v[0:15], v[106:107], v[98:99], v[0:15]
	ds_read2_b32 v[98:99], v96 offset1:32
	ds_read2_b32 v[106:107], v96 offset0:128 offset1:160
	v_add_u32_e32 v96, 2, v119
	ds_write_b32 v125, v100 offset:32812
	s_waitcnt lgkmcnt(2)
	v_mfma_f32_32x32x16_fp8_fp8 v[0:15], v[104:105], v[98:99], v[0:15]
	v_add_u32_e32 v104, s59, v124
	v_cmp_lt_i32_e32 vcc, 0, v104
	s_nop 1
	v_cndmask_b32_e32 v119, v119, v96, vcc
	v_cmp_le_i32_e32 vcc, s41, v122
	s_or_b64 s[2:3], vcc, s[2:3]
	s_waitcnt lgkmcnt(1)
	v_mfma_f32_32x32x16_fp8_fp8 v[0:15], v[102:103], v[106:107], v[0:15]
	s_andn2_b64 exec, exec, s[2:3]
	s_cbranch_execz .LBB231_34
.LBB231_13:                             ;   Parent Loop BB231_7 Depth=1
                                        ; =>  This Loop Header: Depth=2
                                        ;       Child Loop BB231_15 Depth 3
                                        ;       Child Loop BB231_18 Depth 3
	;; [unrolled: 1-line block ×7, first 2 shown]
	v_cmp_lt_i32_e32 vcc, 0, v104
	s_nop 1
	v_subbrev_co_u32_e32 v124, vcc, 0, v104, vcc
	v_mul_lo_u32 v125, v124, 48
	ds_read_b32 v96, v125 offset:32768
	s_waitcnt lgkmcnt(0)
	v_cmp_ne_u32_e32 vcc, v96, v119
	s_and_saveexec_b64 s[4:5], vcc
	s_cbranch_execz .LBB231_16
; %bb.14:                               ;   in Loop: Header=BB231_13 Depth=2
	s_mov_b64 s[6:7], 0
.LBB231_15:                             ;   Parent Loop BB231_7 Depth=1
                                        ;     Parent Loop BB231_13 Depth=2
                                        ; =>    This Inner Loop Header: Depth=3
	;;#ASMSTART
	s_sleep 0
	;;#ASMEND
	ds_read_b32 v96, v125 offset:32768
	s_waitcnt lgkmcnt(0)
	v_cmp_eq_u32_e32 vcc, v96, v119
	s_or_b64 s[6:7], vcc, s[6:7]
	s_andn2_b64 exec, exec, s[6:7]
	s_cbranch_execnz .LBB231_15
.LBB231_16:                             ;   in Loop: Header=BB231_13 Depth=2
	s_or_b64 exec, exec, s[4:5]
	v_lshl_add_u32 v96, v124, 12, v123
	v_add_u32_e32 v98, 0x400, v96
	ds_read2_b32 v[116:117], v96 offset1:32
	ds_read2_b32 v[114:115], v96 offset0:128 offset1:160
	ds_read2_b32 v[112:113], v98 offset1:32
	ds_read2_b32 v[110:111], v98 offset0:128 offset1:160
	v_add_u32_e32 v98, 0x800, v96
	v_add_u32_e32 v96, 0xc00, v96
	ds_read2_b32 v[108:109], v98 offset1:32
	ds_read2_b32 v[106:107], v98 offset0:128 offset1:160
	ds_read2_b32 v[104:105], v96 offset1:32
	ds_read_b32 v98, v125 offset:32772
	ds_read2_b32 v[102:103], v96 offset0:128 offset1:160
	v_add_u32_e32 v100, 1, v119
	ds_write_b32 v125, v100 offset:32768
	s_waitcnt lgkmcnt(2)
	v_cmp_ne_u32_e32 vcc, v98, v119
	s_and_saveexec_b64 s[4:5], vcc
	s_cbranch_execz .LBB231_19
; %bb.17:                               ;   in Loop: Header=BB231_13 Depth=2
	s_mov_b64 s[6:7], 0
.LBB231_18:                             ;   Parent Loop BB231_7 Depth=1
                                        ;     Parent Loop BB231_13 Depth=2
                                        ; =>    This Inner Loop Header: Depth=3
	;;#ASMSTART
	s_sleep 0
	;;#ASMEND
	ds_read_b32 v96, v125 offset:32772
	s_waitcnt lgkmcnt(0)
	v_cmp_eq_u32_e32 vcc, v96, v119
	s_or_b64 s[6:7], vcc, s[6:7]
	s_andn2_b64 exec, exec, s[6:7]
	s_cbranch_execnz .LBB231_18
.LBB231_19:                             ;   in Loop: Header=BB231_13 Depth=2
	s_or_b64 exec, exec, s[4:5]
	scratch_load_dword v98, off, off        ; 4-byte Folded Reload
	s_movk_i32 s4, 0x6000
	v_mul_lo_u32 v96, v124, s4
	ds_write_b32 v125, v100 offset:32772
	s_waitcnt vmcnt(0)
	v_or_b32_e32 v96, v98, v96
	ds_read2_b32 v[98:99], v96 offset1:32
	v_add_u32_e32 v101, 0x400, v96
	s_waitcnt lgkmcnt(0)
	v_mfma_f32_32x32x16_fp8_fp8 v[80:95], v[116:117], v[98:99], v[80:95]
	ds_read2_b32 v[98:99], v96 offset0:128 offset1:160
	s_waitcnt lgkmcnt(0)
	v_mfma_f32_32x32x16_fp8_fp8 v[80:95], v[114:115], v[98:99], v[80:95]
	ds_read2_b32 v[98:99], v101 offset1:32
	s_waitcnt lgkmcnt(0)
	v_mfma_f32_32x32x16_fp8_fp8 v[80:95], v[112:113], v[98:99], v[80:95]
	ds_read2_b32 v[98:99], v101 offset0:128 offset1:160
	v_add_u32_e32 v101, 0x800, v96
	s_waitcnt lgkmcnt(0)
	v_mfma_f32_32x32x16_fp8_fp8 v[80:95], v[110:111], v[98:99], v[80:95]
	ds_read2_b32 v[98:99], v101 offset1:32
	s_waitcnt lgkmcnt(0)
	v_mfma_f32_32x32x16_fp8_fp8 v[80:95], v[108:109], v[98:99], v[80:95]
	ds_read2_b32 v[98:99], v101 offset0:128 offset1:160
	v_add_u32_e32 v101, 0xc00, v96
	s_waitcnt lgkmcnt(0)
	v_mfma_f32_32x32x16_fp8_fp8 v[80:95], v[106:107], v[98:99], v[80:95]
	ds_read2_b32 v[98:99], v101 offset1:32
	s_waitcnt lgkmcnt(0)
	v_mfma_f32_32x32x16_fp8_fp8 v[80:95], v[104:105], v[98:99], v[80:95]
	ds_read2_b32 v[98:99], v101 offset0:128 offset1:160
	ds_read_b32 v101, v125 offset:32780
	s_waitcnt lgkmcnt(0)
	v_cmp_ne_u32_e32 vcc, v101, v119
	v_mfma_f32_32x32x16_fp8_fp8 v[80:95], v[102:103], v[98:99], v[80:95]
	s_and_saveexec_b64 s[4:5], vcc
	s_cbranch_execz .LBB231_22
; %bb.20:                               ;   in Loop: Header=BB231_13 Depth=2
	s_mov_b64 s[6:7], 0
.LBB231_21:                             ;   Parent Loop BB231_7 Depth=1
                                        ;     Parent Loop BB231_13 Depth=2
                                        ; =>    This Inner Loop Header: Depth=3
	;;#ASMSTART
	s_sleep 0
	;;#ASMEND
	ds_read_b32 v98, v125 offset:32780
	s_waitcnt lgkmcnt(0)
	v_cmp_eq_u32_e32 vcc, v98, v119
	s_or_b64 s[6:7], vcc, s[6:7]
	s_andn2_b64 exec, exec, s[6:7]
	s_cbranch_execnz .LBB231_21
.LBB231_22:                             ;   in Loop: Header=BB231_13 Depth=2
	s_or_b64 exec, exec, s[4:5]
	v_add_u32_e32 v101, 0x1000, v96
	ds_read2_b32 v[98:99], v101 offset1:32
	s_waitcnt lgkmcnt(0)
	v_mfma_f32_32x32x16_fp8_fp8 v[64:79], v[116:117], v[98:99], v[64:79]
	ds_read2_b32 v[98:99], v101 offset0:128 offset1:160
	v_add_u32_e32 v101, 0x1400, v96
	s_waitcnt lgkmcnt(0)
	v_mfma_f32_32x32x16_fp8_fp8 v[64:79], v[114:115], v[98:99], v[64:79]
	ds_read2_b32 v[98:99], v101 offset1:32
	s_waitcnt lgkmcnt(0)
	v_mfma_f32_32x32x16_fp8_fp8 v[64:79], v[112:113], v[98:99], v[64:79]
	ds_read2_b32 v[98:99], v101 offset0:128 offset1:160
	v_add_u32_e32 v101, 0x1800, v96
	s_waitcnt lgkmcnt(0)
	v_mfma_f32_32x32x16_fp8_fp8 v[64:79], v[110:111], v[98:99], v[64:79]
	ds_read2_b32 v[98:99], v101 offset1:32
	s_waitcnt lgkmcnt(0)
	v_mfma_f32_32x32x16_fp8_fp8 v[64:79], v[108:109], v[98:99], v[64:79]
	ds_read2_b32 v[98:99], v101 offset0:128 offset1:160
	v_add_u32_e32 v101, 0x1c00, v96
	s_waitcnt lgkmcnt(0)
	v_mfma_f32_32x32x16_fp8_fp8 v[64:79], v[106:107], v[98:99], v[64:79]
	ds_read2_b32 v[98:99], v101 offset1:32
	s_waitcnt lgkmcnt(0)
	v_mfma_f32_32x32x16_fp8_fp8 v[64:79], v[104:105], v[98:99], v[64:79]
	ds_read_b32 v120, v125 offset:32788
	ds_read2_b32 v[98:99], v101 offset0:128 offset1:160
	ds_write_b32 v125, v100 offset:32780
	s_waitcnt lgkmcnt(2)
	v_cmp_ne_u32_e32 vcc, v120, v119
	s_waitcnt lgkmcnt(1)
	v_mfma_f32_32x32x16_fp8_fp8 v[64:79], v[102:103], v[98:99], v[64:79]
	s_and_saveexec_b64 s[4:5], vcc
	s_cbranch_execz .LBB231_25
; %bb.23:                               ;   in Loop: Header=BB231_13 Depth=2
	s_mov_b64 s[6:7], 0
.LBB231_24:                             ;   Parent Loop BB231_7 Depth=1
                                        ;     Parent Loop BB231_13 Depth=2
                                        ; =>    This Inner Loop Header: Depth=3
	;;#ASMSTART
	s_sleep 0
	;;#ASMEND
	ds_read_b32 v98, v125 offset:32788
	s_waitcnt lgkmcnt(0)
	v_cmp_eq_u32_e32 vcc, v98, v119
	s_or_b64 s[6:7], vcc, s[6:7]
	s_andn2_b64 exec, exec, s[6:7]
	s_cbranch_execnz .LBB231_24
.LBB231_25:                             ;   in Loop: Header=BB231_13 Depth=2
	s_or_b64 exec, exec, s[4:5]
	v_add_u32_e32 v101, 0x2000, v96
	ds_read2_b32 v[98:99], v101 offset1:32
	s_waitcnt lgkmcnt(0)
	v_mfma_f32_32x32x16_fp8_fp8 v[48:63], v[116:117], v[98:99], v[48:63]
	ds_read2_b32 v[98:99], v101 offset0:128 offset1:160
	v_add_u32_e32 v101, 0x2400, v96
	s_waitcnt lgkmcnt(0)
	v_mfma_f32_32x32x16_fp8_fp8 v[48:63], v[114:115], v[98:99], v[48:63]
	ds_read2_b32 v[98:99], v101 offset1:32
	s_waitcnt lgkmcnt(0)
	v_mfma_f32_32x32x16_fp8_fp8 v[48:63], v[112:113], v[98:99], v[48:63]
	ds_read2_b32 v[98:99], v101 offset0:128 offset1:160
	v_add_u32_e32 v101, 0x2800, v96
	s_waitcnt lgkmcnt(0)
	v_mfma_f32_32x32x16_fp8_fp8 v[48:63], v[110:111], v[98:99], v[48:63]
	ds_read2_b32 v[98:99], v101 offset1:32
	s_waitcnt lgkmcnt(0)
	v_mfma_f32_32x32x16_fp8_fp8 v[48:63], v[108:109], v[98:99], v[48:63]
	ds_read2_b32 v[98:99], v101 offset0:128 offset1:160
	v_add_u32_e32 v101, 0x2c00, v96
	s_waitcnt lgkmcnt(0)
	v_mfma_f32_32x32x16_fp8_fp8 v[48:63], v[106:107], v[98:99], v[48:63]
	ds_read2_b32 v[98:99], v101 offset1:32
	s_waitcnt lgkmcnt(0)
	v_mfma_f32_32x32x16_fp8_fp8 v[48:63], v[104:105], v[98:99], v[48:63]
	ds_read_b32 v120, v125 offset:32796
	ds_read2_b32 v[98:99], v101 offset0:128 offset1:160
	ds_write_b32 v125, v100 offset:32788
	s_waitcnt lgkmcnt(2)
	v_cmp_ne_u32_e32 vcc, v120, v119
	s_waitcnt lgkmcnt(1)
	;; [unrolled: 50-line block ×4, first 2 shown]
	v_mfma_f32_32x32x16_fp8_fp8 v[16:31], v[102:103], v[98:99], v[16:31]
	s_and_saveexec_b64 s[4:5], vcc
	s_cbranch_execz .LBB231_12
; %bb.32:                               ;   in Loop: Header=BB231_13 Depth=2
	s_mov_b64 s[6:7], 0
.LBB231_33:                             ;   Parent Loop BB231_7 Depth=1
                                        ;     Parent Loop BB231_13 Depth=2
                                        ; =>    This Inner Loop Header: Depth=3
	;;#ASMSTART
	s_sleep 0
	;;#ASMEND
	ds_read_b32 v98, v125 offset:32812
	s_waitcnt lgkmcnt(0)
	v_cmp_eq_u32_e32 vcc, v98, v119
	s_or_b64 s[6:7], vcc, s[6:7]
	s_andn2_b64 exec, exec, s[6:7]
	s_cbranch_execnz .LBB231_33
	s_branch .LBB231_12
.LBB231_34:                             ;   in Loop: Header=BB231_7 Depth=1
	s_or_b64 exec, exec, s[2:3]
	scratch_load_dword v105, off, off offset:12 ; 4-byte Folded Reload
.LBB231_35:                             ;   in Loop: Header=BB231_7 Depth=1
	v_writelane_b32 v126, s48, 34
	s_nop 1
	v_writelane_b32 v126, s49, 35
	v_writelane_b32 v126, s46, 36
	s_nop 1
	v_writelane_b32 v126, s47, 37
	;; [unrolled: 3-line block ×4, first 2 shown]
	v_writelane_b32 v126, s41, 42
	v_writelane_b32 v126, s40, 43
	v_writelane_b32 v126, s39, 44
	s_or_b64 exec, exec, s[0:1]
	v_cmp_le_i32_e32 vcc, s8, v121
	scratch_load_dword v107, off, off offset:96 ; 4-byte Folded Reload
	v_or_b32_e32 v102, 32, v121
	s_waitcnt vmcnt(1)
	v_cndmask_b32_e32 v96, 0, v105, vcc
	v_pk_mul_f32 v[94:95], v[96:97], v[94:95] op_sel_hi:[0,1]
	v_pk_mul_f32 v[92:93], v[96:97], v[92:93] op_sel_hi:[0,1]
	;; [unrolled: 1-line block ×8, first 2 shown]
	scratch_load_dword v97, off, off offset:40 ; 4-byte Folded Reload
	v_cmp_le_i32_e32 vcc, s8, v102
	v_or_b32_e32 v96, 64, v121
                                        ; implicit-def: $vgpr127 : SGPR spill to VGPR lane
	s_nop 0
	v_cndmask_b32_e32 v82, 0, v105, vcc
	v_cmp_le_i32_e32 vcc, s8, v96
	v_or_b32_e32 v96, 0x60, v121
	v_pk_mul_f32 v[100:101], v[82:83], v[66:67] op_sel_hi:[0,1]
	v_cndmask_b32_e32 v66, 0, v105, vcc
	v_cmp_le_i32_e32 vcc, s8, v96
	v_or_b32_e32 v96, 0x80, v121
	v_pk_mul_f32 v[114:115], v[66:67], v[48:49] op_sel_hi:[0,1]
	;; [unrolled: 4-line block ×3, first 2 shown]
	v_pk_mul_f32 v[102:103], v[82:83], v[76:77] op_sel_hi:[0,1]
	v_pk_mul_f32 v[110:111], v[82:83], v[74:75] op_sel_hi:[0,1]
	;; [unrolled: 1-line block ×7, first 2 shown]
	v_cndmask_b32_e32 v32, 0, v105, vcc
	v_cmp_le_i32_e32 vcc, s8, v96
	v_pk_mul_f32 v[30:31], v[32:33], v[30:31] op_sel_hi:[0,1]
	v_pk_mul_f32 v[28:29], v[32:33], v[28:29] op_sel_hi:[0,1]
	;; [unrolled: 1-line block ×8, first 2 shown]
	v_cndmask_b32_e32 v32, 0, v105, vcc
	v_pk_mul_f32 v[124:125], v[32:33], v[0:1] op_sel_hi:[0,1]
	scratch_load_dword v0, off, off offset:48 ; 4-byte Folded Reload
	v_pk_mul_f32 v[14:15], v[32:33], v[14:15] op_sel_hi:[0,1]
	v_pk_mul_f32 v[12:13], v[32:33], v[12:13] op_sel_hi:[0,1]
	;; [unrolled: 1-line block ×21, first 2 shown]
	s_waitcnt vmcnt(1)
	v_cmp_eq_u32_e64 s[6:7], 1, v97
	s_nop 1
	v_cndmask_b32_e64 v32, v80, v81, s[6:7]
	v_cmp_eq_u32_e64 s[40:41], 2, v97
	v_cmp_eq_u32_e64 s[42:43], 3, v97
	v_cmp_eq_u32_e32 vcc, 4, v97
	v_cndmask_b32_e64 v32, v32, v98, s[40:41]
	v_cndmask_b32_e64 v32, v32, v99, s[42:43]
	v_cndmask_b32_e32 v32, v32, v84, vcc
	v_cmp_eq_u32_e64 s[0:1], 5, v97
	v_cmp_eq_u32_e64 s[2:3], 6, v97
	v_cmp_eq_u32_e64 s[30:31], 7, v97
	v_cndmask_b32_e64 v32, v32, v85, s[0:1]
	v_cndmask_b32_e64 v32, v32, v86, s[2:3]
	v_cndmask_b32_e64 v32, v32, v87, s[30:31]
	v_cmp_eq_u32_e64 s[26:27], 8, v97
	v_cmp_eq_u32_e64 s[24:25], 9, v97
	v_cmp_eq_u32_e64 s[22:23], 10, v97
	v_cndmask_b32_e64 v32, v32, v88, s[26:27]
	v_cndmask_b32_e64 v32, v32, v89, s[24:25]
	v_cndmask_b32_e64 v32, v32, v90, s[22:23]
	;; [unrolled: 6-line block ×3, first 2 shown]
	v_cmp_eq_u32_e64 s[12:13], 14, v97
	v_cmp_eq_u32_e64 s[10:11], 15, v97
	;; [unrolled: 1-line block ×3, first 2 shown]
	v_cndmask_b32_e64 v32, v32, v94, s[12:13]
	v_cndmask_b32_e64 v32, v32, v95, s[10:11]
	ds_bpermute_b32 v32, v107, v32
	s_waitcnt lgkmcnt(0)
	v_cndmask_b32_e64 v69, v88, v32, s[26:27]
	scratch_load_dword v88, off, off offset:44 ; 4-byte Folded Reload
	v_cndmask_b32_e64 v33, v95, v32, s[10:11]
	v_cndmask_b32_e64 v48, v94, v32, s[12:13]
	;; [unrolled: 1-line block ×10, first 2 shown]
	v_cndmask_b32_e32 v84, v84, v32, vcc
	v_cndmask_b32_e64 v86, v99, v32, s[42:43]
	v_cndmask_b32_e64 v87, v98, v32, s[40:41]
	;; [unrolled: 1-line block ×4, first 2 shown]
	s_waitcnt vmcnt(1)
	v_cmp_eq_u32_e64 s[44:45], 1, v0
	v_cmp_eq_u32_e64 s[8:9], 3, v0
	s_waitcnt vmcnt(0)
	v_cmp_eq_u32_e64 s[4:5], 1, v88
	s_nop 1
	v_cndmask_b32_e64 v66, v32, v81, s[4:5]
	v_cmp_eq_u32_e64 s[28:29], 2, v88
	v_cmp_eq_u32_e64 s[34:35], 3, v88
	v_cmp_eq_u32_e64 s[36:37], 4, v88
	v_cndmask_b32_e64 v66, v66, v87, s[28:29]
	v_cndmask_b32_e64 v66, v66, v86, s[34:35]
	v_cndmask_b32_e64 v66, v66, v84, s[36:37]
	v_cmp_eq_u32_e64 s[38:39], 5, v88
	v_cmp_eq_u32_e64 s[48:49], 6, v88
	v_cmp_eq_u32_e64 s[52:53], 7, v88
	v_cndmask_b32_e64 v66, v66, v85, s[38:39]
	v_cndmask_b32_e64 v66, v66, v77, s[48:49]
	;; [unrolled: 6-line block ×5, first 2 shown]
	ds_bpermute_b32 v80, v107, v66
	s_waitcnt lgkmcnt(0)
	v_cndmask_b32_e64 v98, v33, v80, s[84:85]
	v_cndmask_b32_e64 v33, v64, v65, s[6:7]
	;; [unrolled: 1-line block ×4, first 2 shown]
	v_cndmask_b32_e32 v33, v33, v112, vcc
	v_cndmask_b32_e64 v33, v33, v113, s[0:1]
	v_cndmask_b32_e64 v33, v33, v70, s[2:3]
	;; [unrolled: 1-line block ×9, first 2 shown]
	v_cndmask_b32_e32 v32, v32, v52, vcc
	v_cndmask_b32_e64 v33, v33, v110, s[22:23]
	v_cndmask_b32_e64 v32, v32, v53, s[0:1]
	;; [unrolled: 1-line block ×13, first 2 shown]
	ds_bpermute_b32 v69, v107, v33
	v_cndmask_b32_e64 v32, v32, v59, s[20:21]
	v_cndmask_b32_e64 v32, v32, v60, s[18:19]
	;; [unrolled: 1-line block ×5, first 2 shown]
	s_waitcnt lgkmcnt(0)
	v_cndmask_b32_e64 v106, v109, v69, s[24:25]
	v_cndmask_b32_e64 v109, v70, v69, s[2:3]
	ds_bpermute_b32 v70, v107, v32
	v_cndmask_b32_e64 v32, v82, v83, s[6:7]
	v_cndmask_b32_e64 v32, v32, v34, s[40:41]
	v_cndmask_b32_e64 v32, v32, v35, s[42:43]
	v_cndmask_b32_e32 v32, v32, v72, vcc
	v_cndmask_b32_e64 v32, v32, v73, s[0:1]
	v_cndmask_b32_e64 v32, v32, v38, s[2:3]
	;; [unrolled: 1-line block ×11, first 2 shown]
	s_waitcnt lgkmcnt(0)
	v_cndmask_b32_e64 v93, v59, v70, s[20:21]
	ds_bpermute_b32 v59, v107, v32
	v_cndmask_b32_e64 v120, v48, v80, s[80:81]
	v_cndmask_b32_e64 v1, v49, v80, s[76:77]
	;; [unrolled: 1-line block ×13, first 2 shown]
	s_waitcnt lgkmcnt(0)
	v_cndmask_b32_e64 v80, v35, v59, s[42:43]
	v_cndmask_b32_e64 v35, v16, v17, s[6:7]
	;; [unrolled: 1-line block ×4, first 2 shown]
	v_cndmask_b32_e32 v35, v35, v20, vcc
	v_cndmask_b32_e64 v35, v35, v21, s[0:1]
	v_cndmask_b32_e64 v35, v35, v22, s[2:3]
	;; [unrolled: 1-line block ×11, first 2 shown]
	ds_bpermute_b32 v35, v107, v35
	v_cndmask_b32_e64 v87, v65, v69, s[6:7]
	v_cndmask_b32_e64 v65, v38, v59, s[2:3]
	;; [unrolled: 1-line block ×3, first 2 shown]
	scratch_store_dword off, v38, off offset:12 ; 4-byte Folded Spill
	v_cndmask_b32_e32 v38, v72, v59, vcc
	s_waitcnt lgkmcnt(0)
	v_cndmask_b32_e64 v72, v16, v35, s[46:47]
	v_cndmask_b32_e64 v16, v124, v125, s[6:7]
	;; [unrolled: 1-line block ×4, first 2 shown]
	v_cndmask_b32_e32 v16, v16, v4, vcc
	v_cndmask_b32_e64 v16, v16, v5, s[0:1]
	v_cndmask_b32_e64 v16, v16, v6, s[2:3]
	;; [unrolled: 1-line block ×11, first 2 shown]
	ds_bpermute_b32 v16, v107, v16
	v_cndmask_b32_e64 v37, v108, v69, s[26:27]
	v_cndmask_b32_e64 v108, v71, v69, s[30:31]
	;; [unrolled: 1-line block ×8, first 2 shown]
	v_cmp_eq_u32_e64 s[6:7], 2, v0
	v_cndmask_b32_e64 v79, v79, v69, s[10:11]
	v_cndmask_b32_e64 v89, v63, v70, s[10:11]
	;; [unrolled: 1-line block ×6, first 2 shown]
	s_waitcnt lgkmcnt(0)
	v_cndmask_b32_e64 v15, v15, v16, s[10:11]
	v_cmp_eq_u32_e64 s[10:11], 4, v0
	v_cndmask_b32_e64 v78, v78, v69, s[12:13]
	v_cndmask_b32_e64 v90, v62, v70, s[12:13]
	;; [unrolled: 1-line block ×6, first 2 shown]
	v_cmp_eq_u32_e64 s[12:13], 5, v0
	v_cndmask_b32_e64 v77, v103, v69, s[14:15]
	v_cndmask_b32_e64 v91, v61, v70, s[14:15]
	;; [unrolled: 1-line block ×3, first 2 shown]
	scratch_store_dword off, v38, off offset:16 ; 4-byte Folded Spill
	v_cndmask_b32_e64 v38, v29, v35, s[14:15]
	v_cndmask_b32_e64 v17, v17, v48, s[12:13]
	v_cndmask_b32_e64 v13, v13, v16, s[14:15]
	v_cmp_eq_u32_e64 s[14:15], 6, v0
	v_cndmask_b32_e64 v99, v102, v69, s[18:19]
	v_cndmask_b32_e64 v88, v64, v69, s[46:47]
	;; [unrolled: 1-line block ×8, first 2 shown]
	v_cmp_eq_u32_e64 s[18:19], 7, v0
	v_cndmask_b32_e64 v103, v111, v69, s[20:21]
	v_cndmask_b32_e64 v95, v57, v70, s[24:25]
	;; [unrolled: 1-line block ×7, first 2 shown]
	v_cmp_eq_u32_e64 s[20:21], 8, v0
	v_cndmask_b32_e64 v105, v110, v69, s[22:23]
	v_cndmask_b32_e64 v86, v100, v69, s[40:41]
	;; [unrolled: 1-line block ×8, first 2 shown]
	v_cmp_eq_u32_e64 s[22:23], 9, v0
	v_cndmask_b32_e64 v56, v56, v70, s[26:27]
	v_cndmask_b32_e64 v55, v55, v70, s[30:31]
	;; [unrolled: 1-line block ×4, first 2 shown]
	v_cndmask_b32_e32 v96, v52, v70, vcc
	v_cndmask_b32_e64 v102, v114, v70, s[46:47]
	v_cndmask_b32_e64 v52, v41, v59, s[24:25]
	;; [unrolled: 1-line block ×7, first 2 shown]
	v_cmp_eq_u32_e64 s[24:25], 10, v0
	v_cndmask_b32_e64 v61, v24, v35, s[26:27]
	v_cndmask_b32_e64 v114, v8, v16, s[26:27]
	;; [unrolled: 1-line block ×3, first 2 shown]
	v_cmp_eq_u32_e64 s[26:27], 11, v0
	v_cndmask_b32_e32 v111, v112, v69, vcc
	v_cndmask_b32_e64 v62, v23, v35, s[30:31]
	v_cndmask_b32_e64 v8, v9, v66, s[26:27]
	;; [unrolled: 1-line block ×3, first 2 shown]
	v_cmp_eq_u32_e64 s[30:31], 12, v0
	v_cndmask_b32_e64 v110, v113, v69, s[0:1]
	v_cndmask_b32_e64 v63, v22, v35, s[2:3]
	;; [unrolled: 1-line block ×4, first 2 shown]
	v_cmp_eq_u32_e64 s[2:3], 13, v0
	v_cndmask_b32_e64 v69, v21, v35, s[0:1]
	v_cndmask_b32_e64 v5, v5, v16, s[0:1]
	;; [unrolled: 1-line block ×3, first 2 shown]
	v_cmp_eq_u32_e64 s[0:1], 14, v0
	v_cndmask_b32_e32 v20, v20, v35, vcc
	v_cndmask_b32_e32 v4, v4, v16, vcc
	v_cndmask_b32_e64 v6, v6, v120, s[0:1]
	v_cmp_eq_u32_e32 vcc, 15, v0
	v_cndmask_b32_e64 v19, v19, v35, s[42:43]
	v_cndmask_b32_e64 v82, v18, v35, s[40:41]
	v_cndmask_b32_e32 v6, v6, v98, vcc
	ds_bpermute_b32 v7, v107, v6
	v_cndmask_b32_e64 v6, v3, v16, s[42:43]
	v_cmp_eq_u32_e64 s[42:43], 0, v0
	scratch_store_dword off, v20, off offset:20 ; 4-byte Folded Spill
	scratch_store_dword off, v19, off offset:24 ; 4-byte Folded Spill
	s_waitcnt lgkmcnt(0)
	v_cndmask_b32_e64 v26, v33, v7, s[44:45]
	scratch_load_dword v33, off, off offset:52 ; 4-byte Folded Reload
	v_cndmask_b32_e32 v8, v98, v7, vcc
	v_writelane_b32 v126, s42, 45
	v_cndmask_b32_e64 v98, v2, v16, s[40:41]
	v_cmp_ne_u32_e64 s[40:41], 0, v97
	v_cndmask_b32_e64 v27, v121, v7, s[42:43]
	v_cndmask_b32_e64 v10, v1, v7, s[2:3]
	;; [unrolled: 1-line block ×16, first 2 shown]
	v_writelane_b32 v126, s43, 46
	s_waitcnt vmcnt(0)
	v_cmp_eq_u32_e64 s[58:59], 1, v33
	s_nop 1
	v_cndmask_b32_e64 v1, v27, v26, s[58:59]
	v_cmp_eq_u32_e64 s[40:41], 2, v33
	v_cmp_eq_u32_e64 s[46:47], 3, v33
	v_cmp_eq_u32_e64 s[50:51], 4, v33
	v_cndmask_b32_e64 v0, v1, v25, s[40:41]
	v_cndmask_b32_e64 v0, v0, v24, s[46:47]
	v_cndmask_b32_e64 v0, v0, v23, s[50:51]
	v_cmp_eq_u32_e64 s[54:55], 5, v33
	v_cmp_eq_u32_e64 s[62:63], 6, v33
	v_cmp_eq_u32_e64 s[66:67], 7, v33
	v_cndmask_b32_e64 v0, v0, v22, s[54:55]
	v_cndmask_b32_e64 v0, v0, v21, s[62:63]
	;; [unrolled: 6-line block ×3, first 2 shown]
	v_cndmask_b32_e64 v0, v0, v17, s[78:79]
	v_cmp_eq_u32_e64 s[82:83], 11, v33
	v_cmp_eq_u32_e64 s[86:87], 12, v33
	s_mov_b64 s[96:97], s[40:41]
	v_cndmask_b32_e64 v0, v0, v12, s[82:83]
	v_cndmask_b32_e64 v0, v0, v11, s[86:87]
	v_cmp_eq_u32_e64 s[40:41], 13, v33
	v_cmp_eq_u32_e64 s[42:43], 14, v33
	;; [unrolled: 1-line block ×3, first 2 shown]
	v_cndmask_b32_e64 v0, v0, v10, s[40:41]
	v_cndmask_b32_e64 v0, v0, v9, s[42:43]
	;; [unrolled: 1-line block ×3, first 2 shown]
	ds_bpermute_b32 v16, v107, v0
	v_writelane_b32 v126, s96, 47
	s_waitcnt lgkmcnt(0)
	v_cndmask_b32_e64 v1, v8, v16, s[98:99]
	v_writelane_b32 v126, s97, 48
	v_cndmask_b32_e64 v50, v25, v16, s[96:97]
	v_cmp_eq_u32_e64 s[96:97], 0, v33
	v_cndmask_b32_e64 v2, v9, v16, s[42:43]
	v_cndmask_b32_e64 v7, v10, v16, s[40:41]
	;; [unrolled: 1-line block ×13, first 2 shown]
	v_writelane_b32 v126, s96, 49
	v_cndmask_b32_e64 v17, v88, v87, s[4:5]
	v_cndmask_b32_e64 v17, v17, v86, s[28:29]
	;; [unrolled: 1-line block ×31, first 2 shown]
	ds_bpermute_b32 v42, v107, v16
	ds_bpermute_b32 v18, v107, v17
	v_writelane_b32 v126, s97, 50
	s_waitcnt lgkmcnt(1)
	v_cndmask_b32_e64 v125, v89, v42, s[84:85]
	scratch_load_dword v89, off, off offset:24 ; 4-byte Folded Reload
	s_waitcnt lgkmcnt(0)
	v_cndmask_b32_e64 v25, v85, v18, s[34:35]
	v_cndmask_b32_e64 v124, v88, v18, s[16:17]
	;; [unrolled: 1-line block ×3, first 2 shown]
	scratch_load_dword v88, off, off offset:16 ; 4-byte Folded Reload
	scratch_load_dword v90, off, off offset:20 ; 4-byte Folded Reload
	v_cndmask_b32_e64 v21, v53, v42, s[38:39]
	v_cndmask_b32_e64 v53, v72, v81, s[4:5]
	;; [unrolled: 1-line block ×5, first 2 shown]
	scratch_load_dword v37, off, off offset:12 ; 4-byte Folded Reload
	v_cndmask_b32_e64 v27, v87, v18, s[4:5]
	v_cndmask_b32_e64 v66, v105, v18, s[64:65]
	;; [unrolled: 1-line block ×28, first 2 shown]
	s_waitcnt vmcnt(3)
	v_cndmask_b32_e64 v53, v53, v89, s[34:35]
	s_waitcnt vmcnt(2)
	v_cndmask_b32_e64 v32, v32, v88, s[36:37]
	;; [unrolled: 2-line block ×3, first 2 shown]
	v_cndmask_b32_e64 v53, v53, v69, s[38:39]
	v_cndmask_b32_e64 v53, v53, v63, s[48:49]
	;; [unrolled: 1-line block ×11, first 2 shown]
	ds_bpermute_b32 v86, v107, v53
	v_cndmask_b32_e64 v53, v68, v3, s[4:5]
	v_cndmask_b32_e64 v53, v53, v98, s[28:29]
	;; [unrolled: 1-line block ×15, first 2 shown]
	ds_bpermute_b32 v87, v107, v53
	s_waitcnt vmcnt(0)
	v_cndmask_b32_e64 v32, v32, v37, s[38:39]
	v_cndmask_b32_e64 v32, v32, v65, s[48:49]
	;; [unrolled: 1-line block ×4, first 2 shown]
	s_waitcnt lgkmcnt(0)
	v_cndmask_b32_e64 v105, v14, v87, s[80:81]
	scratch_load_dword v14, off, off offset:56 ; 4-byte Folded Reload
	v_cndmask_b32_e64 v32, v32, v52, s[60:61]
	v_cndmask_b32_e64 v32, v32, v58, s[64:65]
	v_cndmask_b32_e64 v32, v32, v57, s[68:69]
	v_cndmask_b32_e64 v32, v32, v44, s[72:73]
	v_cndmask_b32_e64 v32, v32, v45, s[76:77]
	v_cndmask_b32_e64 v32, v32, v46, s[80:81]
	v_cndmask_b32_e64 v32, v32, v47, s[84:85]
	ds_bpermute_b32 v32, v107, v32
	v_cndmask_b32_e64 v56, v39, v86, s[72:73]
	v_cndmask_b32_e64 v111, v114, v87, s[56:57]
	;; [unrolled: 1-line block ×4, first 2 shown]
	s_waitcnt lgkmcnt(0)
	v_cndmask_b32_e64 v39, v64, v32, s[52:53]
	v_cndmask_b32_e64 v37, v37, v32, s[38:39]
	v_cndmask_b32_e64 v64, v69, v86, s[38:39]
	v_cndmask_b32_e64 v108, v117, v87, s[68:69]
	v_cndmask_b32_e64 v121, v73, v32, s[28:29]
	v_cndmask_b32_e64 v101, v82, v86, s[28:29]
	v_cndmask_b32_e64 v117, v98, v87, s[28:29]
	v_cndmask_b32_e64 v55, v38, v86, s[76:77]
	v_cndmask_b32_e64 v38, v65, v32, s[48:49]
	v_cndmask_b32_e64 v63, v63, v86, s[48:49]
	v_cndmask_b32_e64 v113, v113, v87, s[48:49]
	v_cndmask_b32_e64 v62, v62, v86, s[52:53]
	v_cndmask_b32_e64 v112, v112, v87, s[52:53]
	v_cndmask_b32_e64 v60, v60, v32, s[56:57]
	v_cndmask_b32_e64 v61, v61, v86, s[56:57]
	v_cndmask_b32_e64 v53, v31, v86, s[84:85]
	v_cndmask_b32_e64 v31, v46, v32, s[80:81]
	v_cndmask_b32_e64 v46, v58, v32, s[64:65]
	v_cndmask_b32_e64 v58, v83, v86, s[64:65]
	v_cndmask_b32_e64 v109, v116, v87, s[64:65]
	v_cndmask_b32_e64 v54, v30, v86, s[80:81]
	v_cndmask_b32_e64 v30, v45, v32, s[76:77]
	v_cndmask_b32_e64 v45, v57, v32, s[68:69]
	v_cndmask_b32_e64 v57, v84, v86, s[68:69]
	v_cndmask_b32_e64 v44, v44, v32, s[72:73]
	v_cndmask_b32_e64 v97, v123, v87, s[72:73]
	v_cndmask_b32_e64 v110, v115, v87, s[60:61]
	v_cndmask_b32_e64 v5, v88, v32, s[36:37]
	v_cndmask_b32_e64 v65, v90, v86, s[36:37]
	v_cndmask_b32_e64 v115, v4, v87, s[36:37]
	v_cndmask_b32_e64 v116, v6, v87, s[34:35]
	v_cndmask_b32_e64 v123, v3, v87, s[4:5]
	v_cndmask_b32_e64 v96, v70, v32, s[16:17]
	v_cndmask_b32_e64 v3, v72, v86, s[16:17]
	v_cndmask_b32_e64 v6, v68, v87, s[16:17]
	v_cndmask_b32_e64 v4, v80, v32, s[34:35]
	v_cndmask_b32_e64 v100, v89, v86, s[34:35]
	v_cndmask_b32_e64 v98, v71, v32, s[4:5]
	v_cndmask_b32_e64 v102, v81, v86, s[4:5]
	v_cndmask_b32_e64 v47, v47, v32, s[84:85]
	v_cndmask_b32_e64 v103, v15, v87, s[84:85]
	v_readlane_b32 s84, v126, 45
	v_cndmask_b32_e64 v52, v52, v32, s[60:61]
	v_cndmask_b32_e64 v59, v59, v86, s[60:61]
	v_readlane_b32 s85, v126, 46
	s_waitcnt vmcnt(0)
	v_cmp_eq_u32_e64 s[38:39], 1, v14
	s_nop 1
	v_cndmask_b32_e64 v13, v74, v51, s[38:39]
	v_cmp_eq_u32_e64 s[28:29], 2, v14
	v_cmp_eq_u32_e64 s[48:49], 3, v14
	v_cmp_eq_u32_e64 s[52:53], 4, v14
	v_cndmask_b32_e64 v13, v13, v50, s[28:29]
	v_cndmask_b32_e64 v13, v13, v49, s[48:49]
	v_cndmask_b32_e64 v13, v13, v48, s[52:53]
	v_cmp_eq_u32_e64 s[56:57], 5, v14
	v_cmp_eq_u32_e64 s[64:65], 6, v14
	v_cmp_eq_u32_e64 s[68:69], 7, v14
	v_cndmask_b32_e64 v13, v13, v29, s[56:57]
	v_cndmask_b32_e64 v13, v13, v28, s[64:65]
	;; [unrolled: 6-line block ×5, first 2 shown]
	ds_bpermute_b32 v13, v107, v13
	s_waitcnt lgkmcnt(0)
	v_cndmask_b32_e64 v91, v0, v13, s[68:69]
	v_cndmask_b32_e64 v0, v124, v27, s[44:45]
	;; [unrolled: 1-line block ×15, first 2 shown]
	v_cndmask_b32_e32 v0, v0, v75, vcc
	v_cndmask_b32_e64 v81, v1, v13, s[4:5]
	ds_bpermute_b32 v0, v107, v0
	v_cndmask_b32_e64 v1, v42, v41, s[44:45]
	v_cndmask_b32_e64 v1, v1, v40, s[6:7]
	;; [unrolled: 1-line block ×8, first 2 shown]
	s_waitcnt lgkmcnt(0)
	v_cndmask_b32_e32 v68, v75, v0, vcc
	v_cndmask_b32_e64 v69, v76, v0, s[0:1]
	v_cndmask_b32_e64 v70, v77, v0, s[2:3]
	;; [unrolled: 1-line block ×33, first 2 shown]
	v_cndmask_b32_e32 v1, v1, v125, vcc
	v_cndmask_b32_e64 v0, v0, v46, s[24:25]
	ds_bpermute_b32 v1, v107, v1
	v_cndmask_b32_e64 v0, v0, v45, s[26:27]
	v_cndmask_b32_e64 v0, v0, v44, s[30:31]
	v_cndmask_b32_e64 v0, v0, v30, s[2:3]
	v_cndmask_b32_e64 v0, v0, v31, s[0:1]
	v_cndmask_b32_e32 v0, v0, v47, vcc
	v_cndmask_b32_e64 v82, v2, v13, s[96:97]
	v_cndmask_b32_e64 v83, v7, v13, s[34:35]
	;; [unrolled: 1-line block ×11, first 2 shown]
	s_waitcnt lgkmcnt(0)
	v_cndmask_b32_e32 v11, v125, v1, vcc
	v_cndmask_b32_e64 v12, v85, v1, s[0:1]
	v_cndmask_b32_e64 v13, v33, v1, s[2:3]
	;; [unrolled: 1-line block ×15, first 2 shown]
	ds_bpermute_b32 v1, v107, v0
	v_cndmask_b32_e64 v0, v3, v102, s[44:45]
	v_cndmask_b32_e64 v0, v0, v101, s[6:7]
	;; [unrolled: 1-line block ×14, first 2 shown]
	v_cndmask_b32_e32 v0, v0, v53, vcc
	ds_bpermute_b32 v33, v107, v0
	v_cndmask_b32_e64 v0, v6, v123, s[44:45]
	v_cndmask_b32_e64 v0, v0, v117, s[6:7]
	;; [unrolled: 1-line block ×14, first 2 shown]
	v_cndmask_b32_e32 v0, v0, v103, vcc
	ds_bpermute_b32 v34, v107, v0
	s_waitcnt lgkmcnt(1)
	v_cndmask_b32_e64 v43, v56, v33, s[30:31]
	v_cndmask_b32_e64 v28, v31, v1, s[0:1]
	;; [unrolled: 1-line block ×4, first 2 shown]
	s_waitcnt lgkmcnt(0)
	v_cndmask_b32_e64 v56, v97, v34, s[30:31]
	scratch_load_dword v97, off, off offset:60 ; 4-byte Folded Reload
	v_cndmask_b32_e64 v54, v105, v34, s[0:1]
	v_cndmask_b32_e64 v42, v55, v33, s[2:3]
	;; [unrolled: 1-line block ×8, first 2 shown]
	s_mov_b64 s[2:3], s[84:85]
	v_cndmask_b32_e32 v27, v47, v1, vcc
	v_cndmask_b32_e32 v40, v53, v33, vcc
	v_cndmask_b32_e64 v30, v44, v1, s[30:31]
	v_cndmask_b32_e64 v31, v45, v1, s[26:27]
	;; [unrolled: 1-line block ×32, first 2 shown]
	v_cndmask_b32_e32 v53, v103, v34, vcc
	v_cndmask_b32_e64 v34, v10, v9, s[58:59]
	s_waitcnt vmcnt(0)
	v_cmp_eq_u32_e64 s[0:1], 1, v97
	s_nop 1
	v_cndmask_b32_e64 v35, v80, v86, s[0:1]
	s_mov_b64 s[10:11], s[0:1]
	v_cmp_eq_u32_e64 s[0:1], 2, v97
	s_mov_b64 s[6:7], s[0:1]
	v_cmp_eq_u32_e64 s[2:3], 14, v97
	v_cndmask_b32_e64 v33, v35, v32, s[0:1]
	v_cmp_eq_u32_e64 s[0:1], 3, v97
	s_mov_b64 s[12:13], s[0:1]
	v_cmp_eq_u32_e64 s[8:9], 15, v97
	v_cndmask_b32_e64 v33, v33, v95, s[0:1]
	v_cmp_eq_u32_e64 s[0:1], 4, v97
	s_mov_b64 s[14:15], s[0:1]
	s_nop 0
	v_cndmask_b32_e64 v33, v33, v94, s[0:1]
	v_cmp_eq_u32_e64 s[0:1], 5, v97
	s_mov_b64 s[18:19], s[0:1]
	s_nop 0
	;; [unrolled: 4-line block ×7, first 2 shown]
	v_cndmask_b32_e64 v33, v33, v88, s[0:1]
	v_cmp_eq_u32_e64 s[0:1], 11, v97
	s_mov_b64 s[44:45], s[0:1]
	v_writelane_b32 v126, s44, 51
	v_cndmask_b32_e64 v33, v33, v87, s[0:1]
	v_cmp_eq_u32_e64 s[0:1], 12, v97
	v_writelane_b32 v126, s45, 52
	s_mov_b64 s[84:85], s[0:1]
	v_writelane_b32 v126, s84, 53
	v_cndmask_b32_e64 v33, v33, v84, s[0:1]
	v_cmp_eq_u32_e64 s[0:1], 13, v97
	v_writelane_b32 v126, s85, 54
	s_nop 0
	v_writelane_b32 v126, s0, 55
	s_nop 1
	v_writelane_b32 v126, s1, 56
	v_cndmask_b32_e64 v33, v33, v83, s[0:1]
	v_writelane_b32 v126, s2, 45
	s_nop 1
	v_writelane_b32 v126, s3, 46
	v_cndmask_b32_e64 v33, v33, v82, s[2:3]
	v_writelane_b32 v126, s8, 57
	s_nop 1
	v_cndmask_b32_e64 v33, v33, v81, s[8:9]
	ds_bpermute_b32 v33, v107, v33
	v_writelane_b32 v126, s9, 58
	s_waitcnt lgkmcnt(0)
	v_cndmask_b32_e64 v82, v82, v33, s[2:3]
	v_readlane_b32 s2, v126, 47
	v_readlane_b32 s3, v126, 48
	v_cndmask_b32_e64 v83, v83, v33, s[0:1]
	v_cmp_eq_u32_e64 s[0:1], 0, v97
	v_cndmask_b32_e64 v34, v34, v67, s[2:3]
	v_cndmask_b32_e64 v34, v34, v66, s[46:47]
	;; [unrolled: 1-line block ×4, first 2 shown]
	v_writelane_b32 v126, s0, 59
	v_cndmask_b32_e64 v34, v34, v77, s[62:63]
	v_cndmask_b32_e64 v85, v32, v33, s[6:7]
	v_writelane_b32 v126, s1, 60
	v_cndmask_b32_e64 v80, v80, v33, s[0:1]
	v_cndmask_b32_e64 v32, v26, v25, s[58:59]
	s_mov_b64 s[0:1], s[2:3]
	v_cndmask_b32_e64 v34, v34, v76, s[66:67]
	v_cndmask_b32_e64 v32, v32, v24, s[0:1]
	v_cndmask_b32_e64 v34, v34, v75, s[70:71]
	v_cndmask_b32_e64 v32, v32, v23, s[46:47]
	v_cndmask_b32_e64 v34, v34, v74, s[74:75]
	v_cndmask_b32_e64 v32, v32, v22, s[50:51]
	v_cndmask_b32_e64 v34, v34, v73, s[78:79]
	v_cndmask_b32_e64 v32, v32, v21, s[54:55]
	v_cndmask_b32_e64 v34, v34, v72, s[82:83]
	v_cndmask_b32_e64 v32, v32, v20, s[62:63]
	v_cndmask_b32_e64 v34, v34, v71, s[86:87]
	v_cndmask_b32_e64 v32, v32, v19, s[66:67]
	v_cndmask_b32_e64 v34, v34, v70, s[40:41]
	v_cndmask_b32_e64 v32, v32, v18, s[70:71]
	v_cndmask_b32_e64 v34, v34, v69, s[42:43]
	v_cndmask_b32_e64 v32, v32, v17, s[74:75]
	v_cndmask_b32_e64 v34, v34, v68, s[98:99]
	v_cndmask_b32_e64 v32, v32, v16, s[78:79]
	ds_bpermute_b32 v34, v107, v34
	v_cndmask_b32_e64 v32, v32, v15, s[82:83]
	v_cndmask_b32_e64 v32, v32, v14, s[86:87]
	;; [unrolled: 1-line block ×5, first 2 shown]
	s_waitcnt lgkmcnt(0)
	v_cndmask_b32_e64 v99, v72, v34, s[82:83]
	ds_bpermute_b32 v72, v107, v32
	v_cndmask_b32_e64 v32, v9, v34, s[58:59]
	v_cndmask_b32_e64 v9, v1, v0, s[58:59]
	v_cndmask_b32_e64 v9, v9, v7, s[0:1]
	v_cndmask_b32_e64 v9, v9, v39, s[46:47]
	v_cndmask_b32_e64 v9, v9, v38, s[50:51]
	v_cndmask_b32_e64 v9, v9, v37, s[54:55]
	v_cndmask_b32_e64 v9, v9, v36, s[62:63]
	v_cndmask_b32_e64 v9, v9, v110, s[66:67]
	v_cndmask_b32_e64 v9, v9, v109, s[70:71]
	v_cndmask_b32_e64 v9, v9, v108, s[74:75]
	v_cndmask_b32_e64 v9, v9, v124, s[78:79]
	v_cndmask_b32_e64 v9, v9, v31, s[82:83]
	v_cndmask_b32_e64 v9, v9, v30, s[86:87]
	v_cndmask_b32_e64 v9, v9, v29, s[40:41]
	v_cndmask_b32_e64 v9, v9, v28, s[42:43]
	v_cndmask_b32_e64 v9, v9, v27, s[98:99]
	v_cndmask_b32_e64 v81, v81, v33, s[8:9]
	v_cndmask_b32_e64 v84, v84, v33, s[84:85]
	v_cndmask_b32_e64 v87, v87, v33, s[44:45]
	v_cndmask_b32_e64 v88, v88, v33, s[30:31]
	v_cndmask_b32_e64 v89, v89, v33, s[26:27]
	v_cndmask_b32_e64 v90, v90, v33, s[24:25]
	v_cndmask_b32_e64 v91, v91, v33, s[22:23]
	v_cndmask_b32_e64 v92, v92, v33, s[20:21]
	v_cndmask_b32_e64 v93, v93, v33, s[18:19]
	v_cndmask_b32_e64 v94, v94, v33, s[14:15]
	v_cndmask_b32_e64 v95, v95, v33, s[12:13]
	v_cndmask_b32_e64 v86, v86, v33, s[10:11]
	s_waitcnt lgkmcnt(0)
	v_cndmask_b32_e64 v33, v16, v72, s[78:79]
	ds_bpermute_b32 v16, v107, v9
	v_cndmask_b32_e64 v9, v3, v2, s[58:59]
	v_cndmask_b32_e64 v9, v9, v8, s[0:1]
	;; [unrolled: 1-line block ×13, first 2 shown]
	v_readlane_b32 s2, v126, 49
	v_cndmask_b32_e64 v9, v9, v41, s[42:43]
	v_readlane_b32 s3, v126, 50
	v_cndmask_b32_e64 v9, v9, v40, s[98:99]
	v_cndmask_b32_e64 v68, v68, v34, s[98:99]
	;; [unrolled: 1-line block ×16, first 2 shown]
	ds_bpermute_b32 v17, v107, v9
	v_cndmask_b32_e64 v9, v6, v5, s[58:59]
	v_cndmask_b32_e64 v9, v9, v4, s[0:1]
	;; [unrolled: 1-line block ×16, first 2 shown]
	ds_bpermute_b32 v18, v107, v9
	v_cndmask_b32_e64 v24, v24, v72, s[0:1]
	s_waitcnt lgkmcnt(2)
	v_cndmask_b32_e64 v9, v7, v16, s[0:1]
	s_waitcnt lgkmcnt(1)
	v_cndmask_b32_e64 v8, v8, v17, s[0:1]
	v_cndmask_b32_e64 v7, v2, v17, s[58:59]
	s_waitcnt lgkmcnt(0)
	v_cndmask_b32_e64 v117, v58, v18, s[78:79]
	v_cndmask_b32_e64 v58, v37, v16, s[54:55]
	scratch_load_dword v37, off, off offset:64 ; 4-byte Folded Reload
	v_cndmask_b32_e64 v98, v64, v18, s[50:51]
	v_cndmask_b32_e64 v64, v4, v18, s[0:1]
	s_mov_b64 s[0:1], s[2:3]
	v_cndmask_b32_e64 v4, v0, v16, s[58:59]
	v_cndmask_b32_e64 v2, v1, v16, s[0:1]
	;; [unrolled: 1-line block ×53, first 2 shown]
	s_waitcnt vmcnt(0)
	v_cmp_eq_u32_e64 s[8:9], 1, v37
	s_nop 1
	v_cndmask_b32_e64 v0, v80, v86, s[8:9]
	v_cmp_eq_u32_e64 s[0:1], 2, v37
	s_mov_b64 s[50:51], s[0:1]
	v_cmp_eq_u32_e64 s[98:99], 14, v37
	v_cndmask_b32_e64 v0, v0, v85, s[0:1]
	v_cmp_eq_u32_e64 s[0:1], 3, v37
	s_mov_b64 s[54:55], s[0:1]
	s_mov_b64 s[46:47], s[8:9]
	v_cndmask_b32_e64 v0, v0, v95, s[0:1]
	v_cmp_eq_u32_e64 s[0:1], 4, v37
	s_mov_b64 s[58:59], s[0:1]
	v_cmp_eq_u32_e64 s[8:9], 15, v37
	v_cndmask_b32_e64 v0, v0, v94, s[0:1]
	v_cmp_eq_u32_e64 s[0:1], 5, v37
	s_mov_b64 s[62:63], s[0:1]
	s_nop 0
	v_cndmask_b32_e64 v0, v0, v93, s[0:1]
	v_cmp_eq_u32_e64 s[0:1], 6, v37
	s_mov_b64 s[66:67], s[0:1]
	s_nop 0
	v_cndmask_b32_e64 v0, v0, v92, s[0:1]
	v_cmp_eq_u32_e64 s[0:1], 7, v37
	s_mov_b64 s[70:71], s[0:1]
	s_nop 0
	v_cndmask_b32_e64 v0, v0, v91, s[0:1]
	v_cmp_eq_u32_e64 s[0:1], 8, v37
	s_mov_b64 s[74:75], s[0:1]
	s_nop 0
	v_cndmask_b32_e64 v0, v0, v90, s[0:1]
	v_cmp_eq_u32_e64 s[0:1], 9, v37
	s_mov_b64 s[78:79], s[0:1]
	s_nop 0
	v_cndmask_b32_e64 v0, v0, v89, s[0:1]
	v_cmp_eq_u32_e64 s[0:1], 10, v37
	s_mov_b64 s[82:83], s[0:1]
	s_nop 0
	v_cndmask_b32_e64 v0, v0, v88, s[0:1]
	v_cmp_eq_u32_e64 s[0:1], 11, v37
	s_mov_b64 s[84:85], s[0:1]
	s_nop 0
	v_cndmask_b32_e64 v0, v0, v87, s[0:1]
	v_cmp_eq_u32_e64 s[0:1], 12, v37
	s_mov_b64 s[86:87], s[0:1]
	s_nop 0
	v_cndmask_b32_e64 v0, v0, v84, s[0:1]
	v_cmp_eq_u32_e64 s[0:1], 13, v37
	s_nop 1
	v_writelane_b32 v126, s0, 47
	s_nop 1
	v_cndmask_b32_e64 v0, v0, v83, s[0:1]
	v_writelane_b32 v126, s1, 48
	v_cndmask_b32_e64 v0, v0, v82, s[98:99]
	v_writelane_b32 v126, s8, 49
	s_nop 1
	v_cndmask_b32_e64 v0, v0, v81, s[8:9]
	ds_bpermute_b32 v16, v107, v0
	v_cndmask_b32_e64 v0, v10, v32, s[38:39]
	v_cndmask_b32_e64 v0, v0, v67, s[28:29]
	;; [unrolled: 1-line block ×14, first 2 shown]
	v_writelane_b32 v126, s9, 50
	s_waitcnt lgkmcnt(0)
	v_cndmask_b32_e64 v83, v83, v16, s[0:1]
	v_cndmask_b32_e64 v0, v0, v68, s[4:5]
	v_cmp_eq_u32_e64 s[0:1], 0, v37
	v_cndmask_b32_e64 v81, v81, v16, s[8:9]
	v_cndmask_b32_e64 v82, v82, v16, s[98:99]
	;; [unrolled: 1-line block ×12, first 2 shown]
	ds_bpermute_b32 v36, v107, v0
	v_cndmask_b32_e64 v0, v85, v16, s[50:51]
	v_cndmask_b32_e64 v1, v86, v16, s[46:47]
	v_writelane_b32 v126, s0, 61
	s_mov_b64 s[8:9], s[6:7]
	s_waitcnt lgkmcnt(0)
	v_cndmask_b32_e64 v85, v76, v36, s[68:69]
	v_cndmask_b32_e64 v65, v80, v16, s[0:1]
	v_cndmask_b32_e64 v16, v26, v25, s[38:39]
	v_cndmask_b32_e64 v16, v16, v24, s[28:29]
	v_cndmask_b32_e64 v16, v16, v23, s[48:49]
	v_cndmask_b32_e64 v16, v16, v22, s[52:53]
	v_cndmask_b32_e64 v16, v16, v21, s[56:57]
	v_cndmask_b32_e64 v16, v16, v20, s[64:65]
	v_cndmask_b32_e64 v16, v16, v19, s[68:69]
	v_cndmask_b32_e64 v16, v16, v35, s[72:73]
	v_cndmask_b32_e64 v16, v16, v34, s[76:77]
	v_cndmask_b32_e64 v16, v16, v33, s[80:81]
	v_cndmask_b32_e64 v16, v16, v15, s[36:37]
	v_cndmask_b32_e64 v16, v16, v14, s[16:17]
	v_cndmask_b32_e64 v16, v16, v13, s[34:35]
	v_cndmask_b32_e64 v16, v16, v12, s[96:97]
	v_cndmask_b32_e64 v16, v16, v11, s[4:5]
	ds_bpermute_b32 v48, v107, v16
	v_cndmask_b32_e64 v16, v66, v36, s[48:49]
	v_cndmask_b32_e64 v76, v10, v36, s[60:61]
	;; [unrolled: 1-line block ×4, first 2 shown]
	s_waitcnt lgkmcnt(0)
	v_cndmask_b32_e64 v47, v11, v48, s[4:5]
	v_cndmask_b32_e64 v46, v12, v48, s[96:97]
	;; [unrolled: 1-line block ×32, first 2 shown]
	ds_bpermute_b32 v11, v107, v11
	ds_bpermute_b32 v12, v107, v12
	v_cndmask_b32_e64 v10, v10, v60, s[48:49]
	v_cndmask_b32_e64 v10, v10, v59, s[52:53]
	;; [unrolled: 1-line block ×3, first 2 shown]
	s_waitcnt lgkmcnt(1)
	v_cndmask_b32_e64 v66, v103, v11, s[34:35]
	s_waitcnt lgkmcnt(0)
	v_cndmask_b32_e64 v103, v116, v12, s[36:37]
	v_cndmask_b32_e64 v116, v97, v11, s[80:81]
	scratch_load_dword v97, off, off offset:68 ; 4-byte Folded Reload
	v_cndmask_b32_e64 v10, v10, v57, s[64:65]
	v_cndmask_b32_e64 v10, v10, v56, s[68:69]
	;; [unrolled: 1-line block ×10, first 2 shown]
	ds_bpermute_b32 v10, v107, v10
	v_cndmask_b32_e64 v45, v13, v48, s[34:35]
	v_cndmask_b32_e64 v13, v100, v11, s[4:5]
	v_cndmask_b32_e64 v18, v70, v36, s[34:35]
	v_cndmask_b32_e64 v70, v99, v36, s[36:37]
	v_cndmask_b32_e64 v39, v15, v48, s[36:37]
	scratch_store_dword off, v13, off offset:20 ; 4-byte Folded Spill
	v_cndmask_b32_e64 v13, v112, v12, s[4:5]
	v_cndmask_b32_e64 v112, v115, v12, s[16:17]
	s_waitcnt lgkmcnt(0)
	v_cndmask_b32_e64 v52, v31, v10, s[36:37]
	v_cndmask_b32_e64 v115, v106, v11, s[36:37]
	;; [unrolled: 1-line block ×46, first 2 shown]
	scratch_store_dword off, v13, off offset:12 ; 4-byte Folded Spill
	v_cndmask_b32_e64 v13, v113, v12, s[96:97]
	v_cndmask_b32_e64 v113, v114, v12, s[34:35]
	;; [unrolled: 1-line block ×13, first 2 shown]
	s_waitcnt vmcnt(2)
	v_cmp_eq_u32_e64 s[36:37], 1, v97
	v_cmp_eq_u32_e64 s[38:39], 2, v97
	v_cmp_eq_u32_e64 s[40:41], 3, v97
	v_cndmask_b32_e64 v2, v65, v1, s[36:37]
	v_cndmask_b32_e64 v2, v2, v0, s[38:39]
	v_cndmask_b32_e64 v2, v2, v95, s[40:41]
	v_cmp_eq_u32_e64 s[42:43], 4, v97
	v_cmp_eq_u32_e64 s[44:45], 5, v97
	v_cmp_eq_u32_e64 s[48:49], 6, v97
	v_cndmask_b32_e64 v2, v2, v94, s[42:43]
	v_cndmask_b32_e64 v2, v2, v93, s[44:45]
	v_cndmask_b32_e64 v2, v2, v92, s[48:49]
	;; [unrolled: 6-line block ×4, first 2 shown]
	v_cmp_eq_u32_e64 s[76:77], 13, v97
	v_cmp_eq_u32_e64 s[80:81], 14, v97
	v_cmp_eq_u32_e32 vcc, 15, v97
	v_cndmask_b32_e64 v2, v2, v83, s[76:77]
	v_cndmask_b32_e64 v2, v2, v82, s[80:81]
	v_cndmask_b32_e32 v2, v2, v81, vcc
	ds_bpermute_b32 v19, v107, v2
	s_mov_b64 s[16:17], s[10:11]
	v_cndmask_b32_e64 v61, v9, v10, s[28:29]
	v_cndmask_b32_e64 v123, v8, v11, s[28:29]
	v_cndmask_b32_e64 v64, v64, v12, s[28:29]
	s_waitcnt lgkmcnt(0)
	v_cndmask_b32_e64 v2, v0, v19, s[38:39]
	v_cndmask_b32_e64 v0, v76, v77, s[16:17]
	;; [unrolled: 1-line block ×3, first 2 shown]
	s_mov_b64 s[28:29], s[12:13]
	v_cndmask_b32_e64 v50, v29, v10, s[34:35]
	v_cndmask_b32_e64 v0, v0, v16, s[28:29]
	s_mov_b64 s[34:35], s[14:15]
	v_cndmask_b32_e64 v49, v28, v10, s[96:97]
	v_cndmask_b32_e64 v0, v0, v99, s[34:35]
	s_mov_b64 s[96:97], s[18:19]
	v_cndmask_b32_e64 v0, v0, v120, s[96:97]
	s_mov_b64 s[6:7], s[20:21]
	;; [unrolled: 2-line block ×4, first 2 shown]
	v_writelane_b32 v126, s1, 62
	v_cndmask_b32_e64 v0, v0, v86, s[12:13]
	s_mov_b64 s[14:15], s[26:27]
	v_cndmask_b32_e64 v0, v0, v68, s[14:15]
	s_mov_b64 s[18:19], s[30:31]
	v_readlane_b32 s20, v126, 51
	v_cndmask_b32_e64 v0, v0, v69, s[18:19]
	v_readlane_b32 s21, v126, 52
	v_readlane_b32 s22, v126, 53
	v_readlane_b32 s23, v126, 54
	v_cndmask_b32_e64 v0, v0, v70, s[20:21]
	v_readlane_b32 s88, v126, 55
	v_cndmask_b32_e64 v0, v0, v71, s[22:23]
	v_readlane_b32 s89, v126, 56
	v_readlane_b32 s26, v126, 45
	v_readlane_b32 s27, v126, 46
	v_cndmask_b32_e64 v0, v0, v18, s[88:89]
	;; [unrolled: 6-line block ×3, first 2 shown]
	ds_bpermute_b32 v0, v107, v0
	v_cndmask_b32_e64 v32, v27, v10, s[4:5]
	s_mov_b64 s[4:5], s[46:47]
	s_mov_b64 s[46:47], s[50:51]
	;; [unrolled: 1-line block ×3, first 2 shown]
	s_waitcnt lgkmcnt(0)
	v_cndmask_b32_e64 v20, v73, v0, s[30:31]
	v_cndmask_b32_e64 v21, v72, v0, s[26:27]
	;; [unrolled: 1-line block ×19, first 2 shown]
	s_mov_b64 s[54:55], s[58:59]
	v_cndmask_b32_e64 v68, v68, v30, s[54:55]
	s_mov_b64 s[58:59], s[62:63]
	v_cndmask_b32_e64 v68, v68, v29, s[58:59]
	;; [unrolled: 2-line block ×8, first 2 shown]
	s_mov_b64 s[84:85], s[86:87]
	v_readlane_b32 s86, v126, 47
	v_cndmask_b32_e64 v68, v68, v22, s[84:85]
	v_readlane_b32 s87, v126, 48
	v_readlane_b32 s0, v126, 49
	;; [unrolled: 1-line block ×3, first 2 shown]
	v_cndmask_b32_e64 v68, v68, v18, s[86:87]
	v_cndmask_b32_e64 v68, v68, v21, s[98:99]
	;; [unrolled: 1-line block ×3, first 2 shown]
	ds_bpermute_b32 v68, v107, v68
	s_mov_b64 s[24:25], s[18:19]
	s_mov_b64 s[18:19], s[10:11]
	v_readlane_b32 s10, v126, 61
	v_readlane_b32 s11, v126, 62
	s_waitcnt lgkmcnt(0)
	v_cndmask_b32_e64 v20, v20, v68, s[0:1]
	v_cndmask_b32_e64 v21, v21, v68, s[98:99]
	;; [unrolled: 1-line block ×30, first 2 shown]
	v_cndmask_b32_e32 v0, v0, v20, vcc
	ds_bpermute_b32 v77, v107, v0
	v_cmp_eq_u32_e64 s[0:1], 0, v97
	scratch_store_dword off, v13, off offset:16 ; 4-byte Folded Spill
	v_cndmask_b32_e32 v15, v81, v19, vcc
	v_cndmask_b32_e64 v14, v82, v19, s[80:81]
	v_cndmask_b32_e64 v13, v83, v19, s[76:77]
	;; [unrolled: 1-line block ×13, first 2 shown]
	s_mov_b64 s[94:95], s[26:27]
	s_mov_b64 s[26:27], s[20:21]
	;; [unrolled: 1-line block ×4, first 2 shown]
	v_cndmask_b32_e64 v0, v65, v19, s[0:1]
	s_waitcnt lgkmcnt(0)
	v_cndmask_b32_e64 v19, v16, v77, s[40:41]
	v_cndmask_b32_e64 v16, v48, v33, s[16:17]
	v_cndmask_b32_e64 v16, v16, v34, s[12:13]
	v_cndmask_b32_e64 v16, v16, v35, s[28:29]
	v_cndmask_b32_e64 v16, v16, v36, s[34:35]
	v_cndmask_b32_e64 v16, v16, v37, s[96:97]
	v_cndmask_b32_e64 v16, v16, v44, s[6:7]
	v_cndmask_b32_e64 v16, v16, v43, s[18:19]
	s_mov_b64 s[90:91], s[30:31]
	s_mov_b64 s[30:31], s[22:23]
	;; [unrolled: 1-line block ×3, first 2 shown]
	v_cndmask_b32_e64 v16, v16, v42, s[20:21]
	v_cndmask_b32_e64 v16, v16, v41, s[22:23]
	;; [unrolled: 1-line block ×6, first 2 shown]
	s_mov_b64 s[14:15], s[94:95]
	v_cndmask_b32_e64 v16, v16, v46, s[14:15]
	s_mov_b64 s[94:95], s[90:91]
	v_cndmask_b32_e64 v16, v16, v47, s[94:95]
	ds_bpermute_b32 v16, v107, v16
	s_mov_b64 s[8:9], s[2:3]
	v_cndmask_b32_e64 v27, v23, v77, s[68:69]
	v_cndmask_b32_e64 v26, v24, v77, s[64:65]
	;; [unrolled: 1-line block ×3, first 2 shown]
	s_waitcnt lgkmcnt(0)
	v_cndmask_b32_e64 v47, v47, v16, s[94:95]
	v_cndmask_b32_e64 v46, v46, v16, s[14:15]
	;; [unrolled: 1-line block ×16, first 2 shown]
	s_mov_b64 s[2:3], s[4:5]
	v_cndmask_b32_e64 v48, v16, v33, s[2:3]
	v_cndmask_b32_e64 v48, v48, v34, s[46:47]
	v_cndmask_b32_e64 v48, v48, v35, s[50:51]
	v_cndmask_b32_e64 v48, v48, v36, s[54:55]
	v_cndmask_b32_e64 v48, v48, v37, s[58:59]
	v_cndmask_b32_e64 v48, v48, v44, s[62:63]
	v_cndmask_b32_e64 v48, v48, v43, s[66:67]
	v_cndmask_b32_e64 v48, v48, v42, s[70:71]
	v_cndmask_b32_e64 v48, v48, v41, s[74:75]
	v_cndmask_b32_e64 v48, v48, v40, s[78:79]
	v_cndmask_b32_e64 v48, v48, v39, s[82:83]
	v_cndmask_b32_e64 v48, v48, v38, s[84:85]
	v_cndmask_b32_e64 v48, v48, v45, s[86:87]
	v_readlane_b32 s4, v126, 49
	v_cndmask_b32_e64 v48, v48, v46, s[98:99]
	v_readlane_b32 s5, v126, 50
	s_mov_b64 s[14:15], s[6:7]
	s_mov_b64 s[6:7], s[10:11]
	v_cndmask_b32_e64 v48, v48, v47, s[4:5]
	ds_bpermute_b32 v48, v107, v48
	v_cndmask_b32_e64 v23, v70, v77, s[52:53]
	s_mov_b64 s[88:89], s[98:99]
	v_cndmask_b32_e32 v31, v20, v77, vcc
	v_writelane_b32 v126, vcc_lo, 63
	s_waitcnt lgkmcnt(0)
	v_cndmask_b32_e64 v47, v47, v48, s[4:5]
	v_cndmask_b32_e64 v46, v46, v48, s[98:99]
	;; [unrolled: 1-line block ×21, first 2 shown]
	s_mov_b64 s[98:99], s[86:87]
	s_mov_b64 s[86:87], s[84:85]
	;; [unrolled: 1-line block ×10, first 2 shown]
	v_cndmask_b32_e64 v16, v16, v70, s[48:49]
	s_mov_b64 s[54:55], s[52:53]
	v_cndmask_b32_e64 v16, v16, v69, s[54:55]
	v_cndmask_b32_e64 v16, v16, v65, s[56:57]
	;; [unrolled: 1-line block ×8, first 2 shown]
	v_cndmask_b32_e32 v16, v16, v47, vcc
	v_cndmask_b32_e64 v28, v22, v77, s[72:73]
	v_cndmask_b32_e64 v22, v71, v77, s[48:49]
	ds_bpermute_b32 v71, v107, v16
	s_mov_b64 s[4:5], s[2:3]
	s_mov_b64 s[2:3], s[12:13]
	v_cndmask_b32_e64 v16, v68, v77, s[0:1]
	s_mov_b64 s[90:91], s[0:1]
	s_waitcnt lgkmcnt(0)
	v_cndmask_b32_e64 v42, v40, v71, s[64:65]
	v_cndmask_b32_e64 v40, v65, v71, s[56:57]
	;; [unrolled: 1-line block ×7, first 2 shown]
	s_mov_b64 s[0:1], s[14:15]
	v_cndmask_b32_e64 v65, v65, v57, s[0:1]
	s_mov_b64 s[10:11], s[18:19]
	v_cndmask_b32_e64 v65, v65, v56, s[10:11]
	;; [unrolled: 2-line block ×6, first 2 shown]
	s_mov_b64 s[22:23], s[30:31]
	v_readlane_b32 s24, v126, 55
	v_cndmask_b32_e64 v30, v21, v77, s[80:81]
	v_cndmask_b32_e64 v29, v18, v77, s[76:77]
	v_cndmask_b32_e64 v21, v72, v77, s[44:45]
	v_cndmask_b32_e64 v20, v73, v77, s[42:43]
	v_cndmask_b32_e64 v18, v17, v77, s[38:39]
	v_cndmask_b32_e64 v17, v76, v77, s[36:37]
	v_cndmask_b32_e64 v37, v37, v71, s[44:45]
	s_mov_b64 s[52:53], s[44:45]
	v_cndmask_b32_e64 v36, v36, v71, s[42:43]
	s_mov_b64 s[44:45], s[42:43]
	v_cndmask_b32_e64 v35, v35, v71, s[40:41]
	;; [unrolled: 2-line block ×5, first 2 shown]
	v_readlane_b32 s25, v126, 56
	v_readlane_b32 s36, v126, 45
	;; [unrolled: 1-line block ×3, first 2 shown]
	v_cndmask_b32_e64 v65, v65, v50, s[24:25]
	s_mov_b64 s[26:27], s[22:23]
	v_cndmask_b32_e64 v65, v65, v49, s[36:37]
	v_cndmask_b32_e64 v65, v65, v32, s[94:95]
	ds_bpermute_b32 v65, v107, v65
	v_cndmask_b32_e64 v25, v25, v77, s[60:61]
	v_cndmask_b32_e64 v44, v38, v71, s[72:73]
	;; [unrolled: 1-line block ×4, first 2 shown]
	s_waitcnt lgkmcnt(0)
	v_cndmask_b32_e64 v62, v62, v65, s[16:17]
	v_cndmask_b32_e64 v63, v63, v65, s[8:9]
	;; [unrolled: 1-line block ×28, first 2 shown]
	s_mov_b64 s[22:23], s[18:19]
	s_mov_b64 s[18:19], s[12:13]
	;; [unrolled: 1-line block ×4, first 2 shown]
	v_cndmask_b32_e64 v65, v65, v50, s[98:99]
	v_readlane_b32 s8, v126, 49
	v_cndmask_b32_e64 v65, v65, v49, s[88:89]
	v_readlane_b32 s9, v126, 50
	v_cndmask_b32_e64 v38, v70, v71, s[48:49]
	v_writelane_b32 v127, vcc_hi, 0
	v_cndmask_b32_e64 v65, v65, v32, s[8:9]
	ds_bpermute_b32 v65, v107, v65
	v_cndmask_b32_e32 v47, v47, v71, vcc
	v_cndmask_b32_e64 v46, v46, v71, s[80:81]
	s_mov_b64 vcc, s[80:81]
	v_cndmask_b32_e64 v45, v45, v71, s[76:77]
	s_waitcnt lgkmcnt(0)
	v_cndmask_b32_e64 v68, v32, v65, s[8:9]
	v_cndmask_b32_e64 v49, v49, v65, s[88:89]
	v_cndmask_b32_e64 v50, v50, v65, s[98:99]
	v_cndmask_b32_e64 v51, v51, v65, s[86:87]
	v_cndmask_b32_e64 v52, v52, v65, s[84:85]
	v_cndmask_b32_e64 v53, v53, v65, s[82:83]
	v_cndmask_b32_e64 v54, v54, v65, s[78:79]
	v_cndmask_b32_e64 v55, v55, v65, s[74:75]
	v_cndmask_b32_e64 v69, v56, v65, s[70:71]
	v_cndmask_b32_e64 v70, v57, v65, s[66:67]
	v_cndmask_b32_e64 v72, v58, v65, s[62:63]
	v_cndmask_b32_e64 v73, v59, v65, s[58:59]
	v_cndmask_b32_e64 v76, v60, v65, s[50:51]
	v_cndmask_b32_e64 v77, v61, v65, s[46:47]
	v_cndmask_b32_e64 v80, v62, v65, s[4:5]
	v_cndmask_b32_e64 v65, v63, v65, s[6:7]
	v_cndmask_b32_e64 v32, v65, v80, s[38:39]
	v_cndmask_b32_e64 v32, v32, v77, s[40:41]
	v_cndmask_b32_e64 v32, v32, v76, s[42:43]
	v_cndmask_b32_e64 v32, v32, v73, s[44:45]
	v_cndmask_b32_e64 v32, v32, v72, s[52:53]
	v_cndmask_b32_e64 v32, v32, v70, s[48:49]
	s_mov_b64 s[80:81], s[76:77]
	s_mov_b64 s[76:77], s[72:73]
	;; [unrolled: 1-line block ×4, first 2 shown]
	v_cndmask_b32_e64 v41, v41, v71, s[60:61]
	s_mov_b64 s[64:65], s[60:61]
	s_mov_b64 s[60:61], s[56:57]
	v_cndmask_b32_e64 v32, v32, v69, s[54:55]
	v_cndmask_b32_e64 v32, v32, v55, s[60:61]
	v_cndmask_b32_e64 v32, v32, v54, s[64:65]
	v_cndmask_b32_e64 v32, v32, v53, s[68:69]
	v_cndmask_b32_e64 v32, v32, v52, s[72:73]
	v_cndmask_b32_e64 v32, v32, v51, s[76:77]
	v_cndmask_b32_e64 v32, v32, v50, s[80:81]
	v_readlane_b32 s56, v126, 63
	v_cndmask_b32_e32 v32, v32, v49, vcc
	v_readlane_b32 s57, v127, 0
	s_mov_b64 s[30:31], s[24:25]
	s_mov_b64 s[24:25], s[20:21]
	v_cndmask_b32_e64 v32, v32, v68, s[56:57]
	ds_bpermute_b32 v82, v107, v32
	s_mov_b64 s[20:21], s[14:15]
	s_mov_b64 s[14:15], s[10:11]
	;; [unrolled: 1-line block ×4, first 2 shown]
	s_waitcnt lgkmcnt(0)
	v_cndmask_b32_e64 v63, v68, v82, s[56:57]
	scratch_load_dword v68, off, off offset:20 ; 4-byte Folded Reload
	s_mov_b64 s[6:7], s[90:91]
	v_writelane_b32 v127, s6, 1
	s_mov_b64 s[90:91], s[56:57]
	s_mov_b64 s[56:57], s[12:13]
	v_cndmask_b32_e64 v32, v48, v71, s[6:7]
	v_cndmask_b32_e64 v48, v79, v78, s[16:17]
	v_cndmask_b32_e64 v48, v48, v123, s[10:11]
	v_cndmask_b32_e64 v48, v48, v111, s[28:29]
	v_cndmask_b32_e64 v48, v48, v75, s[34:35]
	v_cndmask_b32_e64 v48, v48, v74, s[96:97]
	v_cndmask_b32_e64 v48, v48, v125, s[56:57]
	s_mov_b64 s[12:13], s[14:15]
	v_cndmask_b32_e64 v48, v48, v110, s[12:13]
	s_mov_b64 s[14:15], s[18:19]
	v_cndmask_b32_e64 v48, v48, v124, s[14:15]
	;; [unrolled: 2-line block ×8, first 2 shown]
	v_writelane_b32 v127, s7, 2
	v_cndmask_b32_e32 v62, v49, v82, vcc
	v_cndmask_b32_e64 v61, v50, v82, s[80:81]
	v_cndmask_b32_e64 v60, v51, v82, s[76:77]
	;; [unrolled: 1-line block ×13, first 2 shown]
	v_writelane_b32 v127, s4, 3
	v_readlane_b32 s36, v126, 23
	v_readlane_b32 s37, v126, 24
	v_writelane_b32 v127, s5, 4
	v_writelane_b32 v127, s46, 5
	s_waitcnt vmcnt(0)
	v_cndmask_b32_e64 v48, v48, v68, s[94:95]
	ds_bpermute_b32 v48, v107, v48
	v_writelane_b32 v127, s47, 6
	s_waitcnt lgkmcnt(0)
	v_cndmask_b32_e64 v68, v68, v48, s[94:95]
	v_cndmask_b32_e64 v69, v100, v48, s[30:31]
	v_cndmask_b32_e64 v66, v66, v48, s[26:27]
	v_cndmask_b32_e64 v67, v67, v48, s[24:25]
	v_cndmask_b32_e64 v70, v115, v48, s[22:23]
	v_cndmask_b32_e64 v71, v116, v48, s[20:21]
	v_cndmask_b32_e64 v72, v117, v48, s[18:19]
	v_cndmask_b32_e64 v73, v124, v48, s[14:15]
	v_cndmask_b32_e64 v76, v110, v48, s[12:13]
	v_cndmask_b32_e64 v77, v125, v48, s[56:57]
	v_cndmask_b32_e64 v74, v74, v48, s[96:97]
	v_cndmask_b32_e64 v75, v75, v48, s[34:35]
	v_cndmask_b32_e64 v80, v111, v48, s[28:29]
	v_cndmask_b32_e64 v81, v123, v48, s[10:11]
	v_cndmask_b32_e64 v78, v78, v48, s[16:17]
	v_cndmask_b32_e64 v48, v79, v48, s[0:1]
	v_cndmask_b32_e64 v79, v48, v78, s[4:5]
	v_cndmask_b32_e64 v79, v79, v81, s[46:47]
	v_cndmask_b32_e64 v79, v79, v80, s[50:51]
	v_cndmask_b32_e64 v79, v79, v75, s[58:59]
	v_cndmask_b32_e64 v79, v79, v74, s[62:63]
	v_cndmask_b32_e64 v79, v79, v77, s[66:67]
	v_cndmask_b32_e64 v79, v79, v76, s[70:71]
	v_cndmask_b32_e64 v79, v79, v73, s[74:75]
	v_cndmask_b32_e64 v79, v79, v72, s[78:79]
	v_cndmask_b32_e64 v79, v79, v71, s[82:83]
	v_cndmask_b32_e64 v79, v79, v70, s[84:85]
	v_cndmask_b32_e64 v79, v79, v67, s[86:87]
	v_cndmask_b32_e64 v79, v79, v66, s[98:99]
	s_mov_b64 s[0:1], s[88:89]
	v_cndmask_b32_e64 v79, v79, v69, s[0:1]
	v_cndmask_b32_e64 v79, v79, v68, s[8:9]
	ds_bpermute_b32 v79, v107, v79
	s_waitcnt lgkmcnt(0)
	v_cndmask_b32_e64 v88, v80, v79, s[50:51]
	v_cndmask_b32_e64 v90, v78, v79, s[4:5]
	;; [unrolled: 1-line block ×10, first 2 shown]
	s_mov_b64 s[46:47], s[52:53]
	v_cndmask_b32_e64 v85, v77, v79, s[66:67]
	v_cndmask_b32_e64 v48, v48, v86, s[46:47]
	;; [unrolled: 1-line block ×19, first 2 shown]
	v_cndmask_b32_e32 v48, v48, v69, vcc
	v_cndmask_b32_e64 v48, v48, v68, s[90:91]
	ds_bpermute_b32 v81, v107, v48
	v_cndmask_b32_e64 v48, v65, v82, s[6:7]
	v_cndmask_b32_e64 v82, v108, v96, s[16:17]
	;; [unrolled: 1-line block ×4, first 2 shown]
	s_waitcnt lgkmcnt(0)
	v_cndmask_b32_e64 v74, v71, v81, s[68:69]
	v_cndmask_b32_e64 v71, v84, v81, s[54:55]
	scratch_load_dword v84, off, off offset:16 ; 4-byte Folded Reload
	v_cndmask_b32_e64 v73, v72, v81, s[64:65]
	v_cndmask_b32_e64 v72, v83, v81, s[60:61]
	scratch_load_dword v83, off, off offset:12 ; 4-byte Folded Reload
	v_cndmask_b32_e64 v82, v82, v98, s[34:35]
	v_cndmask_b32_e64 v82, v82, v121, s[96:97]
	;; [unrolled: 1-line block ×11, first 2 shown]
	v_cndmask_b32_e32 v78, v69, v81, vcc
	v_cndmask_b32_e64 v77, v66, v81, s[80:81]
	v_cndmask_b32_e64 v76, v67, v81, s[76:77]
	v_cndmask_b32_e64 v75, v70, v81, s[72:73]
	v_cndmask_b32_e64 v70, v85, v81, s[48:49]
	v_cndmask_b32_e64 v69, v86, v81, s[46:47]
	v_cndmask_b32_e64 v68, v87, v81, s[44:45]
	v_cndmask_b32_e64 v67, v88, v81, s[42:43]
	v_cndmask_b32_e64 v66, v89, v81, s[40:41]
	v_cndmask_b32_e64 v65, v90, v81, s[38:39]
	s_mov_b64 s[52:53], s[60:61]
	s_mov_b64 s[60:61], s[38:39]
	v_readlane_b32 s39, v126, 44
	s_mov_b32 s6, 0
	s_mov_b32 s7, 0
	v_readlane_b32 s38, v126, 25
	s_waitcnt vmcnt(1)
	v_cndmask_b32_e64 v82, v82, v84, s[30:31]
	s_waitcnt vmcnt(0)
	v_cndmask_b32_e64 v82, v82, v83, s[94:95]
	ds_bpermute_b32 v82, v107, v82
	s_waitcnt lgkmcnt(0)
	v_cndmask_b32_e64 v64, v64, v82, s[10:11]
	v_readlane_b32 s10, v126, 59
	v_cndmask_b32_e64 v91, v102, v82, s[12:13]
	v_readlane_b32 s11, v126, 60
	v_readlane_b32 s12, v127, 3
	v_cndmask_b32_e64 v83, v83, v82, s[94:95]
	v_cndmask_b32_e64 v84, v84, v82, s[30:31]
	;; [unrolled: 1-line block ×14, first 2 shown]
	v_readlane_b32 s13, v127, 4
	v_readlane_b32 s10, v127, 5
	;; [unrolled: 1-line block ×3, first 2 shown]
	v_cndmask_b32_e64 v98, v82, v96, s[12:13]
	v_readlane_b32 s16, v126, 2
	v_cndmask_b32_e64 v98, v98, v64, s[10:11]
	v_cndmask_b32_e64 v98, v98, v95, s[50:51]
	;; [unrolled: 1-line block ×14, first 2 shown]
	ds_bpermute_b32 v98, v107, v98
	v_readlane_b32 s20, v126, 6
	v_readlane_b32 s21, v126, 7
	;; [unrolled: 1-line block ×4, first 2 shown]
	s_waitcnt lgkmcnt(0)
	v_cndmask_b32_e64 v83, v83, v98, s[8:9]
	v_cndmask_b32_e64 v84, v84, v98, s[0:1]
	;; [unrolled: 1-line block ×29, first 2 shown]
	v_cndmask_b32_e32 v64, v64, v84, vcc
	v_cndmask_b32_e64 v64, v64, v83, s[90:91]
	ds_bpermute_b32 v107, v107, v64
	v_readlane_b32 s8, v127, 1
	v_readlane_b32 s9, v127, 2
	;; [unrolled: 1-line block ×4, first 2 shown]
	v_cndmask_b32_e64 v64, v80, v81, s[8:9]
	s_waitcnt lgkmcnt(0)
	v_cndmask_b32_e64 v95, v83, v107, s[90:91]
	v_cndmask_b32_e32 v94, v84, v107, vcc
	v_cndmask_b32_e64 v93, v85, v107, s[80:81]
	v_cndmask_b32_e64 v92, v86, v107, s[76:77]
	;; [unrolled: 1-line block ×14, first 2 shown]
	scratch_load_dwordx2 v[106:107], off, off offset:4 ; 8-byte Folded Reload
	scratch_load_dword v123, off, off offset:36 ; 4-byte Folded Reload
	scratch_load_dword v97, off, off offset:92 ; 4-byte Folded Reload
	v_readlane_b32 s52, v126, 26
	v_readlane_b32 s53, v126, 27
	s_mul_i32 s0, s39, s53
	s_ashr_i32 s1, s0, 31
	s_lshl_b64 s[0:1], s[0:1], 1
	v_readlane_b32 s44, v126, 38
	s_add_u32 s2, s20, s0
	v_readlane_b32 s45, v126, 39
	s_addc_u32 s3, s21, s1
	s_ashr_i32 s45, s44, 31
	s_lshl_b64 s[0:1], s[44:45], 1
	s_add_u32 s0, s2, s0
	s_addc_u32 s1, s3, s1
	v_readlane_b32 s41, v126, 42
	v_readlane_b32 s42, v126, 40
	;; [unrolled: 1-line block ×13, first 2 shown]
	v_subrev_u32_e32 v122, s41, v122
	v_readlane_b32 s11, v126, 0
	v_readlane_b32 s12, v126, 1
	;; [unrolled: 1-line block ×17, first 2 shown]
                                        ; implicit-def: $sgpr2_sgpr3
	s_waitcnt vmcnt(2)
	v_lshl_add_u64 v[102:103], s[0:1], 0, v[106:107]
	s_mov_b64 s[0:1], 0
	s_branch .LBB231_37
.LBB231_36:                             ;   in Loop: Header=BB231_37 Depth=2
	s_or_b64 exec, exec, s[4:5]
	s_and_b64 s[4:5], exec, s[2:3]
	s_or_b64 s[0:1], s[4:5], s[0:1]
	s_andn2_b64 exec, exec, s[0:1]
	s_cbranch_execz .LBB231_39
.LBB231_37:                             ;   Parent Loop BB231_7 Depth=1
                                        ; =>  This Inner Loop Header: Depth=2
	s_and_b32 s4, s7, 2
	s_and_b32 s5, s6, 24
	s_or_b32 s4, s5, s4
	s_waitcnt vmcnt(0)
	v_or_b32_e32 v96, s4, v97
	v_add_u32_e32 v98, s92, v96
	v_cmp_gt_u32_e32 vcc, 32, v98
	s_or_b64 s[2:3], s[2:3], exec
	s_and_saveexec_b64 s[4:5], vcc
	s_cbranch_execz .LBB231_36
; %bb.38:                               ;   in Loop: Header=BB231_37 Depth=2
	s_add_i32 s10, s7, 1
	s_set_gpr_idx_on s7, gpr_idx(SRC0)
	v_mov_b32_e32 v98, v0
	s_set_gpr_idx_off
	v_cvt_f16_f32_e32 v100, v98
	s_set_gpr_idx_on s10, gpr_idx(SRC0)
	v_mov_b32_e32 v98, v0
	s_set_gpr_idx_off
	v_cvt_f16_f32_sdwa v101, v98 dst_sel:WORD_1 dst_unused:UNUSED_PAD src0_sel:DWORD
	v_mul_lo_u32 v98, v96, s53
	v_ashrrev_i32_e32 v99, 31, v98
	v_lshl_add_u64 v[98:99], v[98:99], 1, v[102:103]
	v_or_b32_e32 v96, v101, v100
	;;#ASMSTART
	global_atomic_pk_add_f16 v[98:99], v96, off
	
	;;#ASMEND
	s_set_gpr_idx_on s7, gpr_idx(SRC0)
	v_mov_b32_e32 v96, v16
	s_set_gpr_idx_off
	v_cvt_f16_f32_e32 v96, v96
	s_set_gpr_idx_on s10, gpr_idx(SRC0)
	v_mov_b32_e32 v100, v16
	s_set_gpr_idx_off
	v_cvt_f16_f32_sdwa v105, v100 dst_sel:WORD_1 dst_unused:UNUSED_PAD src0_sel:DWORD
	v_lshl_add_u64 v[100:101], v[98:99], 0, 64
	s_mov_b64 s[8:9], 0x80
	s_add_i32 s6, s6, 4
	v_or_b32_e32 v96, v105, v96
	;;#ASMSTART
	global_atomic_pk_add_f16 v[100:101], v96, off
	
	;;#ASMEND
	s_set_gpr_idx_on s7, gpr_idx(SRC0)
	v_mov_b32_e32 v96, v32
	s_set_gpr_idx_off
	v_cvt_f16_f32_e32 v96, v96
	s_set_gpr_idx_on s10, gpr_idx(SRC0)
	v_mov_b32_e32 v100, v32
	s_set_gpr_idx_off
	v_cvt_f16_f32_sdwa v105, v100 dst_sel:WORD_1 dst_unused:UNUSED_PAD src0_sel:DWORD
	v_lshl_add_u64 v[100:101], v[98:99], 0, s[8:9]
	s_mov_b64 s[8:9], 0xc0
	v_or_b32_e32 v96, v105, v96
	;;#ASMSTART
	global_atomic_pk_add_f16 v[100:101], v96, off
	
	;;#ASMEND
	s_set_gpr_idx_on s7, gpr_idx(SRC0)
	v_mov_b32_e32 v96, v48
	s_set_gpr_idx_off
	v_cvt_f16_f32_e32 v96, v96
	s_set_gpr_idx_on s10, gpr_idx(SRC0)
	v_mov_b32_e32 v100, v48
	s_set_gpr_idx_off
	v_cvt_f16_f32_sdwa v105, v100 dst_sel:WORD_1 dst_unused:UNUSED_PAD src0_sel:DWORD
	v_lshl_add_u64 v[100:101], v[98:99], 0, s[8:9]
	s_mov_b64 s[8:9], 0x100
	;; [unrolled: 15-line block ×3, first 2 shown]
	v_lshl_add_u64 v[98:99], v[98:99], 0, s[8:9]
	v_or_b32_e32 v96, v105, v96
	;;#ASMSTART
	global_atomic_pk_add_f16 v[100:101], v96, off
	
	;;#ASMEND
	s_set_gpr_idx_on s7, gpr_idx(SRC0)
	v_mov_b32_e32 v96, v80
	s_set_gpr_idx_off
	v_cvt_f16_f32_e32 v96, v96
	s_set_gpr_idx_on s10, gpr_idx(SRC0)
	v_mov_b32_e32 v100, v80
	s_set_gpr_idx_off
	s_add_i32 s7, s7, 2
	v_cvt_f16_f32_sdwa v100, v100 dst_sel:WORD_1 dst_unused:UNUSED_PAD src0_sel:DWORD
	s_cmp_eq_u32 s7, 16
	s_cselect_b64 s[8:9], -1, 0
	s_andn2_b64 s[2:3], s[2:3], exec
	s_and_b64 s[8:9], s[8:9], exec
	s_or_b64 s[2:3], s[2:3], s[8:9]
	v_or_b32_e32 v96, v100, v96
	;;#ASMSTART
	global_atomic_pk_add_f16 v[98:99], v96, off
	
	;;#ASMEND
	s_branch .LBB231_36
.LBB231_39:                             ;   in Loop: Header=BB231_7 Depth=1
	s_or_b64 exec, exec, s[0:1]
	scratch_load_dword v22, off, off offset:28 ; 4-byte Folded Reload
	scratch_load_dword v121, off, off offset:32 ; 4-byte Folded Reload
	scratch_load_dwordx2 v[24:25], off, off offset:72 ; 8-byte Folded Reload
	scratch_load_dword v23, off, off offset:88 ; 4-byte Folded Reload
.LBB231_40:                             ;   in Loop: Header=BB231_7 Depth=1
	s_or_b64 exec, exec, s[48:49]
.LBB231_41:                             ;   in Loop: Header=BB231_7 Depth=1
	s_andn2_saveexec_b64 s[0:1], s[46:47]
	s_cbranch_execz .LBB231_50
; %bb.42:                               ;   in Loop: Header=BB231_7 Depth=1
	s_mul_i32 s10, s41, 6
	v_cmp_gt_i32_e32 vcc, s10, v122
	s_and_saveexec_b64 s[2:3], vcc
	s_cbranch_execz .LBB231_49
; %bb.43:                               ;   in Loop: Header=BB231_7 Depth=1
	scratch_load_dwordx2 v[0:1], off, off offset:80 ; 8-byte Folded Reload
	s_mul_i32 s4, s44, s55
	s_ashr_i32 s5, s4, 31
	s_add_u32 s4, s18, s4
	s_addc_u32 s5, s19, s5
	s_ashr_i32 s6, s40, 31
	s_add_u32 s4, s4, s40
	s_addc_u32 s5, s5, s6
	s_waitcnt vmcnt(0)
	v_lshl_add_u64 v[0:1], s[4:5], 0, v[0:1]
	v_lshl_add_u64 v[16:17], v[0:1], 0, v[24:25]
	s_mov_b64 s[4:5], 0
	s_branch .LBB231_45
.LBB231_44:                             ;   in Loop: Header=BB231_45 Depth=2
	s_or_b64 exec, exec, s[6:7]
	v_lshl_or_b32 v20, v18, 12, v23
	;;#ASMSTART
	s_waitcnt vmcnt(3)
	;;#ASMEND
	ds_write2_b32 v20, v12, v13 offset1:32
	ds_write2_b32 v20, v14, v15 offset0:64 offset1:96
	v_add_u32_e32 v12, 0x400, v20
	;;#ASMSTART
	s_waitcnt vmcnt(2)
	;;#ASMEND
	ds_write2_b32 v12, v8, v9 offset1:32
	ds_write2_b32 v12, v10, v11 offset0:64 offset1:96
	v_add_u32_e32 v8, 0x800, v20
	;; [unrolled: 6-line block ×3, first 2 shown]
	v_add_u32_e32 v122, s58, v122
	;;#ASMSTART
	s_waitcnt vmcnt(0)
	;;#ASMEND
	ds_write2_b32 v4, v0, v1 offset1:32
	ds_write2_b32 v4, v2, v3 offset0:64 offset1:96
	v_add_u32_e32 v0, 1, v119
	v_add_u32_e32 v104, s58, v18
	v_cmp_le_i32_e32 vcc, s10, v122
	ds_write_b32 v19, v0 offset:8
	v_add_u32_e32 v0, 2, v119
	s_or_b64 s[4:5], vcc, s[4:5]
	v_cmp_lt_i32_e32 vcc, 5, v104
	s_nop 1
	v_cndmask_b32_e32 v119, v119, v0, vcc
	s_andn2_b64 exec, exec, s[4:5]
	s_cbranch_execz .LBB231_48
.LBB231_45:                             ;   Parent Loop BB231_7 Depth=1
                                        ; =>  This Loop Header: Depth=2
                                        ;       Child Loop BB231_47 Depth 3
	v_cmp_gt_i32_e32 vcc, 6, v104
	s_mov_b32 s6, 0x2aaaaaab
	s_nop 0
	v_cndmask_b32_e64 v0, -6, 0, vcc
	v_add_u32_e32 v18, v0, v104
	v_mul_hi_i32 v0, v122, s6
	v_lshrrev_b32_e32 v1, 31, v0
	v_add_u32_e32 v0, v0, v1
	v_mul_lo_u32 v1, v0, 6
	v_sub_u32_e32 v2, v122, v1
	v_lshlrev_b32_e32 v0, 7, v0
	v_ashrrev_i32_e32 v1, 31, v0
	v_mul_lo_u32 v2, s31, v2
	v_lshl_add_u64 v[0:1], v[16:17], 0, v[0:1]
	v_ashrrev_i32_e32 v3, 31, v2
	v_lshl_add_u64 v[0:1], v[0:1], 0, v[2:3]
	v_lshlrev_b32_e32 v19, 2, v18
	;;#ASMSTART
	global_load_dwordx4 v[12:15], v[0:1], off offset:0   sc0 sc1 nt  
	global_load_dwordx4 v[8:11], v[0:1], off offset:32  sc0 sc1 nt  
	global_load_dwordx4 v[4:7], v[0:1], off offset:64  sc0 sc1 nt  
	;; [unrolled: 1-line block ×3, first 2 shown]
	
	;;#ASMEND
	ds_read_b32 v20, v19 offset:32776
	v_add_u32_e32 v19, 0x8000, v19
	s_waitcnt lgkmcnt(0)
	v_cmp_ne_u32_e32 vcc, v20, v119
	s_and_saveexec_b64 s[6:7], vcc
	s_cbranch_execz .LBB231_44
; %bb.46:                               ;   in Loop: Header=BB231_45 Depth=2
	s_mov_b64 s[8:9], 0
.LBB231_47:                             ;   Parent Loop BB231_7 Depth=1
                                        ;     Parent Loop BB231_45 Depth=2
                                        ; =>    This Inner Loop Header: Depth=3
	;;#ASMSTART
	s_sleep 0
	;;#ASMEND
	ds_read_b32 v20, v19 offset:8
	s_waitcnt lgkmcnt(0)
	v_cmp_eq_u32_e32 vcc, v20, v119
	s_or_b64 s[8:9], vcc, s[8:9]
	s_andn2_b64 exec, exec, s[8:9]
	s_cbranch_execnz .LBB231_47
	s_branch .LBB231_44
.LBB231_48:                             ;   in Loop: Header=BB231_7 Depth=1
	s_or_b64 exec, exec, s[4:5]
.LBB231_49:                             ;   in Loop: Header=BB231_7 Depth=1
	s_or_b64 exec, exec, s[2:3]
	v_subrev_u32_e32 v122, s10, v122
.LBB231_50:                             ;   in Loop: Header=BB231_7 Depth=1
	s_or_b64 exec, exec, s[0:1]
.LBB231_51:                             ;   in Loop: Header=BB231_7 Depth=1
	s_andn2_saveexec_b64 s[0:1], s[42:43]
	s_cbranch_execz .LBB231_6
; %bb.52:                               ;   in Loop: Header=BB231_7 Depth=1
	s_lshl_b32 s10, s41, 1
	v_cmp_gt_i32_e32 vcc, s10, v122
	s_and_saveexec_b64 s[2:3], vcc
	s_cbranch_execz .LBB231_5
; %bb.53:                               ;   in Loop: Header=BB231_7 Depth=1
	s_mul_i32 s4, s39, s54
	s_ashr_i32 s5, s4, 31
	s_add_u32 s4, s16, s4
	s_waitcnt vmcnt(2)
	v_add_u32_e32 v2, s92, v121
	s_addc_u32 s5, s17, s5
	s_ashr_i32 s6, s40, 31
	v_mul_lo_u32 v0, s54, v121
	v_cmp_gt_u32_e32 vcc, 64, v2
	s_add_u32 s4, s4, s40
	s_addc_u32 s5, s5, s6
	v_cndmask_b32_e32 v0, 0, v0, vcc
	v_ashrrev_i32_e32 v1, 31, v0
	v_lshl_add_u64 v[0:1], s[4:5], 0, v[0:1]
	s_waitcnt vmcnt(1)
	v_lshl_add_u64 v[16:17], v[0:1], 0, v[24:25]
	v_sub_u32_e32 v18, 63, v2
	s_mov_b64 s[4:5], 0
	s_branch .LBB231_55
.LBB231_54:                             ;   in Loop: Header=BB231_55 Depth=2
	s_or_b64 exec, exec, s[6:7]
	v_lshl_add_u32 v21, v19, 12, v118
	;;#ASMSTART
	s_waitcnt vmcnt(3)
	;;#ASMEND
	ds_write2_b32 v21, v12, v13 offset1:32
	ds_write2_b32 v21, v14, v15 offset0:64 offset1:96
	v_add_u32_e32 v12, 0x400, v21
	;;#ASMSTART
	s_waitcnt vmcnt(2)
	;;#ASMEND
	ds_write2_b32 v12, v8, v9 offset1:32
	ds_write2_b32 v12, v10, v11 offset0:64 offset1:96
	v_add_u32_e32 v8, 0x800, v21
	;; [unrolled: 6-line block ×3, first 2 shown]
	v_add_u32_e32 v122, s57, v122
	;;#ASMSTART
	s_waitcnt vmcnt(0)
	;;#ASMEND
	ds_write2_b32 v4, v0, v1 offset1:32
	ds_write2_b32 v4, v2, v3 offset0:64 offset1:96
	v_add_u32_e32 v0, 1, v119
	v_add_u32_e32 v104, s57, v19
	v_cmp_le_i32_e32 vcc, s10, v122
	ds_write_b32 v20, v0
	v_add_u32_e32 v0, 2, v119
	s_or_b64 s[4:5], vcc, s[4:5]
	v_cmp_lt_i32_e32 vcc, 1, v104
	s_nop 1
	v_cndmask_b32_e32 v119, v119, v0, vcc
	s_andn2_b64 exec, exec, s[4:5]
	s_cbranch_execz .LBB231_4
.LBB231_55:                             ;   Parent Loop BB231_7 Depth=1
                                        ; =>  This Loop Header: Depth=2
                                        ;       Child Loop BB231_57 Depth 3
	v_cmp_gt_i32_e32 vcc, 2, v104
	s_nop 1
	v_cndmask_b32_e64 v0, -2, 0, vcc
	v_add_u32_e32 v19, v0, v104
	v_lshrrev_b32_e32 v0, 31, v122
	v_add_u32_e32 v0, v122, v0
	v_and_b32_e32 v1, 0x7fffffe, v0
	v_sub_u32_e32 v1, v122, v1
	v_lshlrev_b32_e32 v1, 5, v1
	v_cmp_le_i32_e32 vcc, v1, v18
	v_lshlrev_b32_e32 v0, 6, v0
	v_and_b32_e32 v0, 0xffffff80, v0
	v_cndmask_b32_e32 v2, 0, v1, vcc
	v_ashrrev_i32_e32 v1, 31, v0
	v_mul_lo_u32 v2, v2, s54
	v_lshl_add_u64 v[0:1], v[16:17], 0, v[0:1]
	v_ashrrev_i32_e32 v3, 31, v2
	v_lshl_add_u64 v[0:1], v[0:1], 0, v[2:3]
	v_lshlrev_b32_e32 v20, 2, v19
	;;#ASMSTART
	global_load_dwordx4 v[12:15], v[0:1], off offset:0   
	global_load_dwordx4 v[8:11], v[0:1], off offset:32  
	global_load_dwordx4 v[4:7], v[0:1], off offset:64  
	global_load_dwordx4 v[0:3], v[0:1], off offset:96  
	
	;;#ASMEND
	ds_read_b32 v21, v20 offset:32768
	v_add_u32_e32 v20, 0x8000, v20
	s_waitcnt lgkmcnt(0)
	v_cmp_ne_u32_e32 vcc, v21, v119
	s_and_saveexec_b64 s[6:7], vcc
	s_cbranch_execz .LBB231_54
; %bb.56:                               ;   in Loop: Header=BB231_55 Depth=2
	s_mov_b64 s[8:9], 0
.LBB231_57:                             ;   Parent Loop BB231_7 Depth=1
                                        ;     Parent Loop BB231_55 Depth=2
                                        ; =>    This Inner Loop Header: Depth=3
	;;#ASMSTART
	s_sleep 0
	;;#ASMEND
	ds_read_b32 v21, v20
	s_waitcnt lgkmcnt(0)
	v_cmp_eq_u32_e32 vcc, v21, v119
	s_or_b64 s[8:9], vcc, s[8:9]
	s_andn2_b64 exec, exec, s[8:9]
	s_cbranch_execnz .LBB231_57
	s_branch .LBB231_54
.LBB231_58:
	s_endpgm
	.section	.rodata,"a",@progbits
	.p2align	6, 0x0
	.amdhsa_kernel _Z19_skinny_gemm_kernelILi2ELi6ELi1ELi32ELi8EEvPKhS1_P6__halfPKfiiiiiiii
		.amdhsa_group_segment_fixed_size 32800
		.amdhsa_private_segment_fixed_size 104
		.amdhsa_kernarg_size 64
		.amdhsa_user_sgpr_count 2
		.amdhsa_user_sgpr_dispatch_ptr 0
		.amdhsa_user_sgpr_queue_ptr 0
		.amdhsa_user_sgpr_kernarg_segment_ptr 1
		.amdhsa_user_sgpr_dispatch_id 0
		.amdhsa_user_sgpr_kernarg_preload_length 0
		.amdhsa_user_sgpr_kernarg_preload_offset 0
		.amdhsa_user_sgpr_private_segment_size 0
		.amdhsa_uses_dynamic_stack 0
		.amdhsa_enable_private_segment 1
		.amdhsa_system_sgpr_workgroup_id_x 1
		.amdhsa_system_sgpr_workgroup_id_y 0
		.amdhsa_system_sgpr_workgroup_id_z 0
		.amdhsa_system_sgpr_workgroup_info 0
		.amdhsa_system_vgpr_workitem_id 0
		.amdhsa_next_free_vgpr 128
		.amdhsa_next_free_sgpr 100
		.amdhsa_accum_offset 128
		.amdhsa_reserve_vcc 1
		.amdhsa_float_round_mode_32 0
		.amdhsa_float_round_mode_16_64 0
		.amdhsa_float_denorm_mode_32 3
		.amdhsa_float_denorm_mode_16_64 3
		.amdhsa_dx10_clamp 1
		.amdhsa_ieee_mode 1
		.amdhsa_fp16_overflow 0
		.amdhsa_tg_split 0
		.amdhsa_exception_fp_ieee_invalid_op 0
		.amdhsa_exception_fp_denorm_src 0
		.amdhsa_exception_fp_ieee_div_zero 0
		.amdhsa_exception_fp_ieee_overflow 0
		.amdhsa_exception_fp_ieee_underflow 0
		.amdhsa_exception_fp_ieee_inexact 0
		.amdhsa_exception_int_div_zero 0
	.end_amdhsa_kernel
	.section	.text._Z19_skinny_gemm_kernelILi2ELi6ELi1ELi32ELi8EEvPKhS1_P6__halfPKfiiiiiiii,"axG",@progbits,_Z19_skinny_gemm_kernelILi2ELi6ELi1ELi32ELi8EEvPKhS1_P6__halfPKfiiiiiiii,comdat
.Lfunc_end231:
	.size	_Z19_skinny_gemm_kernelILi2ELi6ELi1ELi32ELi8EEvPKhS1_P6__halfPKfiiiiiiii, .Lfunc_end231-_Z19_skinny_gemm_kernelILi2ELi6ELi1ELi32ELi8EEvPKhS1_P6__halfPKfiiiiiiii
                                        ; -- End function
	.set _Z19_skinny_gemm_kernelILi2ELi6ELi1ELi32ELi8EEvPKhS1_P6__halfPKfiiiiiiii.num_vgpr, 128
	.set _Z19_skinny_gemm_kernelILi2ELi6ELi1ELi32ELi8EEvPKhS1_P6__halfPKfiiiiiiii.num_agpr, 0
	.set _Z19_skinny_gemm_kernelILi2ELi6ELi1ELi32ELi8EEvPKhS1_P6__halfPKfiiiiiiii.numbered_sgpr, 100
	.set _Z19_skinny_gemm_kernelILi2ELi6ELi1ELi32ELi8EEvPKhS1_P6__halfPKfiiiiiiii.num_named_barrier, 0
	.set _Z19_skinny_gemm_kernelILi2ELi6ELi1ELi32ELi8EEvPKhS1_P6__halfPKfiiiiiiii.private_seg_size, 104
	.set _Z19_skinny_gemm_kernelILi2ELi6ELi1ELi32ELi8EEvPKhS1_P6__halfPKfiiiiiiii.uses_vcc, 1
	.set _Z19_skinny_gemm_kernelILi2ELi6ELi1ELi32ELi8EEvPKhS1_P6__halfPKfiiiiiiii.uses_flat_scratch, 0
	.set _Z19_skinny_gemm_kernelILi2ELi6ELi1ELi32ELi8EEvPKhS1_P6__halfPKfiiiiiiii.has_dyn_sized_stack, 0
	.set _Z19_skinny_gemm_kernelILi2ELi6ELi1ELi32ELi8EEvPKhS1_P6__halfPKfiiiiiiii.has_recursion, 0
	.set _Z19_skinny_gemm_kernelILi2ELi6ELi1ELi32ELi8EEvPKhS1_P6__halfPKfiiiiiiii.has_indirect_call, 0
	.section	.AMDGPU.csdata,"",@progbits
; Kernel info:
; codeLenInByte = 21668
; TotalNumSgprs: 106
; NumVgprs: 128
; NumAgprs: 0
; TotalNumVgprs: 128
; ScratchSize: 104
; MemoryBound: 0
; FloatMode: 240
; IeeeMode: 1
; LDSByteSize: 32800 bytes/workgroup (compile time only)
; SGPRBlocks: 13
; VGPRBlocks: 15
; NumSGPRsForWavesPerEU: 106
; NumVGPRsForWavesPerEU: 128
; AccumOffset: 128
; Occupancy: 4
; WaveLimiterHint : 0
; COMPUTE_PGM_RSRC2:SCRATCH_EN: 1
; COMPUTE_PGM_RSRC2:USER_SGPR: 2
; COMPUTE_PGM_RSRC2:TRAP_HANDLER: 0
; COMPUTE_PGM_RSRC2:TGID_X_EN: 1
; COMPUTE_PGM_RSRC2:TGID_Y_EN: 0
; COMPUTE_PGM_RSRC2:TGID_Z_EN: 0
; COMPUTE_PGM_RSRC2:TIDIG_COMP_CNT: 0
; COMPUTE_PGM_RSRC3_GFX90A:ACCUM_OFFSET: 31
; COMPUTE_PGM_RSRC3_GFX90A:TG_SPLIT: 0
	.section	.text._Z19_skinny_gemm_kernelILi2ELi6ELi2ELi16ELi4EEvPKhS1_P6__halfPKfiiiiiiii,"axG",@progbits,_Z19_skinny_gemm_kernelILi2ELi6ELi2ELi16ELi4EEvPKhS1_P6__halfPKfiiiiiiii,comdat
	.protected	_Z19_skinny_gemm_kernelILi2ELi6ELi2ELi16ELi4EEvPKhS1_P6__halfPKfiiiiiiii ; -- Begin function _Z19_skinny_gemm_kernelILi2ELi6ELi2ELi16ELi4EEvPKhS1_P6__halfPKfiiiiiiii
	.globl	_Z19_skinny_gemm_kernelILi2ELi6ELi2ELi16ELi4EEvPKhS1_P6__halfPKfiiiiiiii
	.p2align	8
	.type	_Z19_skinny_gemm_kernelILi2ELi6ELi2ELi16ELi4EEvPKhS1_P6__halfPKfiiiiiiii,@function
_Z19_skinny_gemm_kernelILi2ELi6ELi2ELi16ELi4EEvPKhS1_P6__halfPKfiiiiiiii: ; @_Z19_skinny_gemm_kernelILi2ELi6ELi2ELi16ELi4EEvPKhS1_P6__halfPKfiiiiiiii
; %bb.0:
	v_cmp_gt_u32_e32 vcc, 16, v0
	v_lshlrev_b32_e32 v1, 2, v0
	s_and_saveexec_b64 s[4:5], vcc
; %bb.1:
	v_mov_b32_e32 v2, 0
	ds_write_b32 v1, v2 offset:32768
; %bb.2:
	s_or_b64 exec, exec, s[4:5]
	s_load_dwordx8 s[20:27], s[0:1], 0x20
	s_mov_b32 s58, 0x2aaaaaab
	s_waitcnt lgkmcnt(0)
	s_barrier
	s_add_i32 s3, s20, 31
	s_ashr_i32 s5, s3, 31
	s_lshr_b32 s5, s5, 27
	s_add_i32 s4, s21, 0x5f
	s_add_i32 s3, s3, s5
	s_ashr_i32 s33, s3, 5
	s_mul_hi_i32 s3, s4, 0x2aaaaaab
	s_lshr_b32 s4, s3, 31
	s_ashr_i32 s56, s3, 4
	s_add_i32 s56, s56, s4
	s_mul_i32 s3, s56, s33
	s_mul_i32 s3, s3, s24
	s_add_i32 s4, s3, 0x12f
	s_mul_hi_i32 s4, s4, 0x6bca1af3
	s_lshr_b32 s5, s4, 31
	s_ashr_i32 s4, s4, 7
	s_add_i32 s4, s4, s5
	s_add_i32 s5, s2, 1
	s_mul_i32 s5, s4, s5
	v_cvt_f64_i32_e32 v[2:3], s3
	v_cvt_f64_u32_e32 v[4:5], s5
	v_min_f64 v[2:3], v[2:3], v[4:5]
	v_cvt_i32_f64_e32 v49, v[2:3]
	s_mul_i32 s57, s4, s2
	v_cmp_ge_i32_e32 vcc, s57, v49
	s_cbranch_vccnz .LBB232_62
; %bb.3:
	v_lshrrev_b32_e32 v2, 6, v0
	s_add_i32 s4, s26, s25
	s_load_dwordx8 s[36:43], s[0:1], 0x0
	v_cmp_le_i32_e64 s[0:1], s4, v2
	v_mov_b32_e32 v3, s25
	v_cmp_le_i32_e64 s[2:3], s25, v2
	v_mov_b32_e32 v4, s26
	v_cndmask_b32_e64 v4, 0, v4, s[0:1]
	v_cndmask_b32_e64 v3, 0, v3, s[2:3]
	s_abs_i32 s5, s24
	v_add_u32_e32 v3, v3, v4
	v_cvt_f32_u32_e32 v4, s5
	v_sub_u32_e32 v62, v2, v3
	s_ashr_i32 s6, s22, 31
	s_lshr_b32 s6, s6, 25
	v_rcp_iflag_f32_e32 v3, v4
	s_sub_i32 s9, 0, s5
	s_add_i32 s6, s22, s6
	s_ashr_i32 s6, s6, 7
	v_mul_f32_e32 v3, 0x4f7ffffe, v3
	v_cvt_u32_f32_e32 v3, v3
	s_abs_i32 s8, s6
	s_xor_b32 s7, s6, s24
	s_ashr_i32 s7, s7, 31
	v_readfirstlane_b32 s10, v3
	s_mul_i32 s9, s9, s10
	s_mul_hi_u32 s9, s10, s9
	s_add_i32 s10, s10, s9
	s_mul_hi_u32 s9, s8, s10
	s_mul_i32 s10, s9, s5
	s_sub_i32 s8, s8, s10
	s_add_i32 s10, s9, 1
	s_sub_i32 s11, s8, s5
	s_cmp_ge_u32 s8, s5
	s_cselect_b32 s9, s10, s9
	s_cselect_b32 s8, s11, s8
	s_add_i32 s10, s9, 1
	s_cmp_ge_u32 s8, s5
	s_cselect_b32 s5, s10, s9
	s_xor_b32 s5, s5, s7
	s_sub_i32 s59, s5, s7
	s_add_i32 s24, s24, -1
	s_mul_i32 s5, s59, s24
	s_add_i32 s4, s4, s27
	s_sub_i32 s60, s6, s5
	v_cmp_gt_i32_e64 s[4:5], s4, v2
	v_lshlrev_b32_e32 v2, 1, v0
	v_lshlrev_b32_e32 v3, 4, v0
	v_and_b32_e32 v1, 60, v1
	v_and_b32_e32 v2, 64, v2
	;; [unrolled: 1-line block ×3, first 2 shown]
	v_or3_b32 v81, v1, v2, v4
	v_and_b32_e32 v1, 1, v0
	v_lshrrev_b32_e32 v4, 2, v0
	s_abs_i32 s61, s33
	v_and_or_b32 v90, v4, 12, v1
	v_cvt_f32_u32_e32 v4, s61
	v_lshlrev_b32_e32 v2, 1, v1
	v_and_b32_e32 v48, 14, v0
	v_sub_u32_e32 v2, v0, v2
	v_bitop3_b32 v83, v0, 1, v0 bitop3:0xc
	v_bitop3_b32 v84, v0, 3, 1 bitop3:0x6c
	v_and_b32_e32 v54, 48, v3
	v_bfe_u32 v92, v0, 2, 4
	v_and_b32_e32 v1, 60, v0
	v_lshlrev_b32_e32 v3, 8, v0
	v_lshlrev_b32_e32 v0, 6, v0
	v_and_b32_e32 v3, 0x200, v3
	v_and_b32_e32 v0, 64, v0
	v_or3_b32 v93, v1, v3, v0
	v_rcp_iflag_f32_e32 v0, v4
	s_abs_i32 s63, s56
	v_cvt_f32_u32_e32 v1, s63
	v_mad_u64_u32 v[50:51], s[6:7], s21, v90, v[48:49]
	v_mul_f32_e32 v0, 0x4f7ffffe, v0
	v_cvt_u32_f32_e32 v0, v0
	v_rcp_iflag_f32_e32 v1, v1
	s_sub_i32 s6, 0, s61
	v_add_u32_e32 v2, 1, v2
	v_readfirstlane_b32 s7, v0
	v_mul_f32_e32 v0, 0x4f7ffffe, v1
	v_cvt_u32_f32_e32 v0, v0
	s_mul_i32 s6, s6, s7
	s_mul_hi_u32 s6, s7, s6
	s_add_i32 s65, s7, s6
	s_sub_i32 s6, 0, s63
	v_readfirstlane_b32 s7, v0
	v_mbcnt_lo_u32_b32 v0, -1, 0
	v_and_b32_e32 v2, 63, v2
	s_mul_i32 s6, s6, s7
	v_mbcnt_hi_u32_b32 v0, -1, v0
	v_lshl_add_u32 v52, s21, 4, v50
	v_mul_lo_u32 v56, s23, v92
	s_mul_hi_u32 s6, s7, s6
	v_and_or_b32 v0, v0, 64, v2
	v_cndmask_b32_e64 v80, 0, 1, s[0:1]
	v_or_b32_e32 v82, 0x6000, v81
	s_ashr_i32 s29, s21, 31
	s_mov_b32 s28, s21
	v_or_b32_e32 v85, 16, v48
	v_or_b32_e32 v86, 32, v48
	;; [unrolled: 1-line block ×5, first 2 shown]
	v_ashrrev_i32_e32 v51, 31, v50
	v_or_b32_e32 v91, 16, v90
	v_ashrrev_i32_e32 v53, 31, v52
	v_ashrrev_i32_e32 v57, 31, v56
	v_mov_b32_e32 v55, 0
	s_lshl_b32 s62, s23, 4
	v_mul_lo_u32 v94, s22, v92
	v_or_b32_e32 v95, 0x6000, v93
	s_ashr_i32 s64, s33, 31
	s_ashr_i32 s66, s56, 31
	s_add_i32 s67, s7, s6
	s_movk_i32 s68, 0x3000
	s_mov_b64 s[30:31], 0x60
	s_mov_b64 s[34:35], 0x80
	;; [unrolled: 1-line block ×3, first 2 shown]
	v_lshlrev_b32_e32 v96, 2, v0
	v_mov_b32_e32 v97, v62
	s_branch .LBB232_7
.LBB232_4:                              ;   in Loop: Header=BB232_7 Depth=1
	s_or_b64 exec, exec, s[10:11]
.LBB232_5:                              ;   in Loop: Header=BB232_7 Depth=1
	s_or_b64 exec, exec, s[8:9]
	v_subrev_u32_e32 v97, s16, v97
.LBB232_6:                              ;   in Loop: Header=BB232_7 Depth=1
	s_or_b64 exec, exec, s[6:7]
	s_add_i32 s57, s57, 1
	v_cmp_ge_i32_e32 vcc, s57, v49
	s_cbranch_vccnz .LBB232_62
.LBB232_7:                              ; =>This Loop Header: Depth=1
                                        ;     Child Loop BB232_13 Depth 2
                                        ;       Child Loop BB232_15 Depth 3
                                        ;       Child Loop BB232_18 Depth 3
	;; [unrolled: 1-line block ×8, first 2 shown]
                                        ;     Child Loop BB232_49 Depth 2
                                        ;       Child Loop BB232_51 Depth 3
                                        ;     Child Loop BB232_59 Depth 2
                                        ;       Child Loop BB232_61 Depth 3
	s_abs_i32 s7, s57
	s_mul_hi_u32 s8, s7, s65
	s_mul_i32 s9, s8, s61
	s_ashr_i32 s6, s57, 31
	s_sub_i32 s7, s7, s9
	s_xor_b32 s6, s6, s64
	s_add_i32 s9, s8, 1
	s_sub_i32 s10, s7, s61
	s_cmp_ge_u32 s7, s61
	s_cselect_b32 s8, s9, s8
	s_cselect_b32 s7, s10, s7
	s_add_i32 s9, s8, 1
	s_cmp_ge_u32 s7, s61
	s_cselect_b32 s7, s9, s8
	s_xor_b32 s7, s7, s6
	s_sub_i32 s6, s7, s6
	s_abs_i32 s8, s6
	s_mul_i32 s7, s6, s33
	s_mul_hi_u32 s9, s8, s67
	s_sub_i32 s7, s57, s7
	s_mul_i32 s10, s9, s63
	s_lshl_b32 s69, s7, 5
	s_ashr_i32 s7, s6, 31
	s_sub_i32 s8, s8, s10
	s_xor_b32 s7, s7, s66
	s_add_i32 s10, s9, 1
	s_sub_i32 s11, s8, s63
	s_cmp_ge_u32 s8, s63
	s_cselect_b32 s9, s10, s9
	s_cselect_b32 s8, s11, s8
	s_add_i32 s10, s9, 1
	s_cmp_ge_u32 s8, s63
	s_cselect_b32 s8, s10, s9
	s_xor_b32 s8, s8, s7
	s_sub_i32 s7, s8, s7
	s_mul_i32 s8, s7, s59
	s_lshl_b32 s70, s8, 7
	s_cmp_eq_u32 s7, s24
	s_cselect_b32 s72, s60, s59
	s_sub_i32 s8, s69, s20
	s_add_i32 s8, s8, 32
	s_max_i32 s71, s8, 0
	s_and_saveexec_b64 s[8:9], s[2:3]
	s_xor_b64 s[46:47], exec, s[8:9]
	s_cbranch_execz .LBB232_55
; %bb.8:                                ;   in Loop: Header=BB232_7 Depth=1
	s_mul_i32 s7, s7, s56
	s_sub_i32 s6, s6, s7
	s_mulk_i32 s6, 0x60
	s_sub_i32 s49, s6, s21
	s_addk_i32 s49, 0x60
	s_max_i32 s7, s49, 0
	s_sub_i32 s48, s6, s7
	s_and_saveexec_b64 s[6:7], s[0:1]
	s_xor_b64 s[50:51], exec, s[6:7]
	s_cbranch_execz .LBB232_45
; %bb.9:                                ;   in Loop: Header=BB232_7 Depth=1
	s_and_saveexec_b64 s[52:53], s[4:5]
	s_cbranch_execz .LBB232_44
; %bb.10:                               ;   in Loop: Header=BB232_7 Depth=1
	s_waitcnt lgkmcnt(0)
	global_load_dword v98, v55, s[42:43]
	v_mov_b32_e32 v47, 0
	v_cmp_gt_i32_e32 vcc, s72, v97
	v_mov_b32_e32 v46, v47
	v_mov_b32_e32 v45, v47
	;; [unrolled: 1-line block ×47, first 2 shown]
	s_and_saveexec_b64 s[6:7], vcc
	s_cbranch_execz .LBB232_38
; %bb.11:                               ;   in Loop: Header=BB232_7 Depth=1
	v_mov_b32_e32 v8, 0
	s_mov_b64 s[8:9], 0
	v_mov_b32_e32 v9, v8
	v_mov_b32_e32 v10, v8
	;; [unrolled: 1-line block ×47, first 2 shown]
	s_branch .LBB232_13
.LBB232_12:                             ;   in Loop: Header=BB232_13 Depth=2
	s_or_b64 exec, exec, s[10:11]
	v_add_u32_e32 v75, 0x2800, v74
	ds_read2_b32 v[76:77], v75 offset1:32
	v_add_u32_e32 v78, 0x2c00, v74
	v_add_u32_e32 v97, s27, v97
	s_waitcnt lgkmcnt(0)
	v_mfma_f32_16x16x32_fp8_fp8 v[24:27], v[58:59], v[76:77], v[24:27]
	ds_read2_b32 v[58:59], v75 offset0:128 offset1:160
	ds_read2_b32 v[74:75], v78 offset1:32
	v_mfma_f32_16x16x32_fp8_fp8 v[8:11], v[68:69], v[76:77], v[8:11]
	s_waitcnt lgkmcnt(1)
	v_mfma_f32_16x16x32_fp8_fp8 v[24:27], v[62:63], v[58:59], v[24:27]
	v_add_u32_e32 v62, s27, v99
	v_cmp_lt_i32_e32 vcc, 1, v62
	v_mfma_f32_16x16x32_fp8_fp8 v[8:11], v[70:71], v[58:59], v[8:11]
	v_add_u32_e32 v58, 2, v80
	v_cndmask_b32_e32 v80, v80, v58, vcc
	v_cmp_le_i32_e32 vcc, s72, v97
	s_waitcnt lgkmcnt(0)
	v_mfma_f32_16x16x32_fp8_fp8 v[24:27], v[64:65], v[74:75], v[24:27]
	ds_read2_b32 v[64:65], v78 offset0:128 offset1:160
	s_or_b64 s[8:9], vcc, s[8:9]
	;;#ASMSTART
	s_waitcnt lgkmcnt(0)
	;;#ASMEND
	v_mfma_f32_16x16x32_fp8_fp8 v[8:11], v[72:73], v[74:75], v[8:11]
	ds_write_b32 v100, v101 offset:32804
	s_waitcnt lgkmcnt(1)
	v_mfma_f32_16x16x32_fp8_fp8 v[24:27], v[66:67], v[64:65], v[24:27]
	v_mfma_f32_16x16x32_fp8_fp8 v[8:11], v[60:61], v[64:65], v[8:11]
	s_andn2_b64 exec, exec, s[8:9]
	s_cbranch_execz .LBB232_37
.LBB232_13:                             ;   Parent Loop BB232_7 Depth=1
                                        ; =>  This Loop Header: Depth=2
                                        ;       Child Loop BB232_15 Depth 3
                                        ;       Child Loop BB232_18 Depth 3
	;; [unrolled: 1-line block ×8, first 2 shown]
	v_cmp_gt_i32_e32 vcc, 2, v62
	s_nop 1
	v_cndmask_b32_e64 v58, -2, 0, vcc
	v_add_u32_e32 v99, v58, v62
	v_mul_lo_u32 v100, v99, 24
	ds_read_b32 v58, v100 offset:32784
	s_waitcnt lgkmcnt(0)
	v_cmp_ne_u32_e32 vcc, v58, v80
	s_and_saveexec_b64 s[10:11], vcc
	s_cbranch_execz .LBB232_16
; %bb.14:                               ;   in Loop: Header=BB232_13 Depth=2
	s_mov_b64 s[12:13], 0
.LBB232_15:                             ;   Parent Loop BB232_7 Depth=1
                                        ;     Parent Loop BB232_13 Depth=2
                                        ; =>    This Inner Loop Header: Depth=3
	;;#ASMSTART
	s_sleep 0
	;;#ASMEND
	ds_read_b32 v58, v100 offset:32784
	s_waitcnt lgkmcnt(0)
	v_cmp_eq_u32_e32 vcc, v58, v80
	s_or_b64 s[12:13], vcc, s[12:13]
	s_andn2_b64 exec, exec, s[12:13]
	s_cbranch_execnz .LBB232_15
.LBB232_16:                             ;   in Loop: Header=BB232_13 Depth=2
	s_or_b64 exec, exec, s[10:11]
	v_mul_lo_u32 v102, v99, s68
	v_or_b32_e32 v58, v81, v102
	ds_read2_b32 v[60:61], v58 offset1:32
	ds_read2_b32 v[74:75], v58 offset0:128 offset1:160
	v_add_u32_e32 v58, 0x400, v58
	v_add_u32_e32 v101, 1, v80
	ds_read2_b32 v[78:79], v58 offset1:32
	ds_read2_b32 v[76:77], v58 offset0:128 offset1:160
	;;#ASMSTART
	s_waitcnt lgkmcnt(0)
	;;#ASMEND
	ds_write_b32 v100, v101 offset:32784
	v_lshlrev_b32_e32 v103, 3, v99
	ds_read_b32 v58, v103 offset:32768
	s_waitcnt lgkmcnt(0)
	v_cmp_ne_u32_e32 vcc, v58, v80
	s_and_saveexec_b64 s[10:11], vcc
	s_cbranch_execz .LBB232_19
; %bb.17:                               ;   in Loop: Header=BB232_13 Depth=2
	s_mov_b64 s[12:13], 0
.LBB232_18:                             ;   Parent Loop BB232_7 Depth=1
                                        ;     Parent Loop BB232_13 Depth=2
                                        ; =>    This Inner Loop Header: Depth=3
	;;#ASMSTART
	s_sleep 0
	;;#ASMEND
	ds_read_b32 v58, v103 offset:32768
	s_waitcnt lgkmcnt(0)
	v_cmp_eq_u32_e32 vcc, v58, v80
	s_or_b64 s[12:13], vcc, s[12:13]
	s_andn2_b64 exec, exec, s[12:13]
	s_cbranch_execnz .LBB232_18
.LBB232_19:                             ;   in Loop: Header=BB232_13 Depth=2
	s_or_b64 exec, exec, s[10:11]
	v_lshlrev_b32_e32 v58, 12, v99
	v_add_u32_e32 v72, v82, v58
	ds_read2_b32 v[58:59], v72 offset1:32
	ds_read2_b32 v[62:63], v72 offset0:128 offset1:160
	v_add_u32_e32 v66, 0x400, v72
	ds_read2_b32 v[64:65], v66 offset1:32
	ds_read2_b32 v[66:67], v66 offset0:128 offset1:160
	ds_read_b32 v68, v103 offset:32772
	ds_write_b32 v103, v101 offset:32768
	s_waitcnt lgkmcnt(5)
	v_mfma_f32_16x16x32_fp8_fp8 v[44:47], v[58:59], v[60:61], v[44:47]
	s_waitcnt lgkmcnt(1)
	v_cmp_ne_u32_e32 vcc, v68, v80
	v_mfma_f32_16x16x32_fp8_fp8 v[44:47], v[62:63], v[74:75], v[44:47]
	v_mfma_f32_16x16x32_fp8_fp8 v[44:47], v[64:65], v[78:79], v[44:47]
	;; [unrolled: 1-line block ×3, first 2 shown]
	s_and_saveexec_b64 s[10:11], vcc
	s_cbranch_execz .LBB232_22
; %bb.20:                               ;   in Loop: Header=BB232_13 Depth=2
	s_mov_b64 s[12:13], 0
.LBB232_21:                             ;   Parent Loop BB232_7 Depth=1
                                        ;     Parent Loop BB232_13 Depth=2
                                        ; =>    This Inner Loop Header: Depth=3
	;;#ASMSTART
	s_sleep 0
	;;#ASMEND
	ds_read_b32 v68, v103 offset:32772
	s_waitcnt lgkmcnt(0)
	v_cmp_eq_u32_e32 vcc, v68, v80
	s_or_b64 s[12:13], vcc, s[12:13]
	s_andn2_b64 exec, exec, s[12:13]
	s_cbranch_execnz .LBB232_21
.LBB232_22:                             ;   in Loop: Header=BB232_13 Depth=2
	s_or_b64 exec, exec, s[10:11]
	v_add_u32_e32 v70, 0x800, v72
	ds_read2_b32 v[68:69], v70 offset1:32
	ds_read2_b32 v[70:71], v70 offset0:128 offset1:160
	v_add_u32_e32 v104, 0xc00, v72
	ds_read2_b32 v[72:73], v104 offset1:32
	ds_write_b32 v103, v101 offset:32772
	s_waitcnt lgkmcnt(3)
	v_mfma_f32_16x16x32_fp8_fp8 v[20:23], v[68:69], v[60:61], v[20:23]
	ds_read2_b32 v[60:61], v104 offset0:128 offset1:160
	s_waitcnt lgkmcnt(3)
	v_mfma_f32_16x16x32_fp8_fp8 v[20:23], v[70:71], v[74:75], v[20:23]
	ds_read_b32 v74, v100 offset:32788
	s_waitcnt lgkmcnt(0)
	v_cmp_ne_u32_e32 vcc, v74, v80
	v_mfma_f32_16x16x32_fp8_fp8 v[20:23], v[72:73], v[78:79], v[20:23]
	v_mfma_f32_16x16x32_fp8_fp8 v[20:23], v[60:61], v[76:77], v[20:23]
	s_and_saveexec_b64 s[10:11], vcc
	s_cbranch_execz .LBB232_25
; %bb.23:                               ;   in Loop: Header=BB232_13 Depth=2
	s_mov_b64 s[12:13], 0
.LBB232_24:                             ;   Parent Loop BB232_7 Depth=1
                                        ;     Parent Loop BB232_13 Depth=2
                                        ; =>    This Inner Loop Header: Depth=3
	;;#ASMSTART
	s_sleep 0
	;;#ASMEND
	ds_read_b32 v74, v100 offset:32788
	s_waitcnt lgkmcnt(0)
	v_cmp_eq_u32_e32 vcc, v74, v80
	s_or_b64 s[12:13], vcc, s[12:13]
	s_andn2_b64 exec, exec, s[12:13]
	s_cbranch_execnz .LBB232_24
.LBB232_25:                             ;   in Loop: Header=BB232_13 Depth=2
	s_or_b64 exec, exec, s[10:11]
	v_add_u32_e32 v74, v81, v102
	v_add_u32_e32 v75, 0x800, v74
	ds_read2_b32 v[76:77], v75 offset1:32
	s_waitcnt lgkmcnt(0)
	v_mfma_f32_16x16x32_fp8_fp8 v[40:43], v[58:59], v[76:77], v[40:43]
	v_mfma_f32_16x16x32_fp8_fp8 v[16:19], v[68:69], v[76:77], v[16:19]
	ds_read2_b32 v[76:77], v75 offset0:128 offset1:160
	v_add_u32_e32 v75, 0xc00, v74
	ds_read2_b32 v[78:79], v75 offset1:32
	s_waitcnt lgkmcnt(1)
	v_mfma_f32_16x16x32_fp8_fp8 v[40:43], v[62:63], v[76:77], v[40:43]
	ds_read2_b32 v[102:103], v75 offset0:128 offset1:160
	;;#ASMSTART
	s_waitcnt lgkmcnt(0)
	;;#ASMEND
	ds_read_b32 v75, v100 offset:32792
	v_mfma_f32_16x16x32_fp8_fp8 v[16:19], v[70:71], v[76:77], v[16:19]
	ds_write_b32 v100, v101 offset:32788
	s_waitcnt lgkmcnt(1)
	v_cmp_ne_u32_e32 vcc, v75, v80
	v_mfma_f32_16x16x32_fp8_fp8 v[40:43], v[64:65], v[78:79], v[40:43]
	v_mfma_f32_16x16x32_fp8_fp8 v[16:19], v[72:73], v[78:79], v[16:19]
	v_mfma_f32_16x16x32_fp8_fp8 v[40:43], v[66:67], v[102:103], v[40:43]
	v_mfma_f32_16x16x32_fp8_fp8 v[16:19], v[60:61], v[102:103], v[16:19]
	s_and_saveexec_b64 s[10:11], vcc
	s_cbranch_execz .LBB232_28
; %bb.26:                               ;   in Loop: Header=BB232_13 Depth=2
	s_mov_b64 s[12:13], 0
.LBB232_27:                             ;   Parent Loop BB232_7 Depth=1
                                        ;     Parent Loop BB232_13 Depth=2
                                        ; =>    This Inner Loop Header: Depth=3
	;;#ASMSTART
	s_sleep 0
	;;#ASMEND
	ds_read_b32 v75, v100 offset:32792
	s_waitcnt lgkmcnt(0)
	v_cmp_eq_u32_e32 vcc, v75, v80
	s_or_b64 s[12:13], vcc, s[12:13]
	s_andn2_b64 exec, exec, s[12:13]
	s_cbranch_execnz .LBB232_27
.LBB232_28:                             ;   in Loop: Header=BB232_13 Depth=2
	s_or_b64 exec, exec, s[10:11]
	v_add_u32_e32 v75, 0x1000, v74
	ds_read2_b32 v[76:77], v75 offset1:32
	ds_read2_b32 v[78:79], v75 offset0:128 offset1:160
	v_add_u32_e32 v75, 0x1400, v74
	ds_read2_b32 v[102:103], v75 offset1:32
	ds_read2_b32 v[104:105], v75 offset0:128 offset1:160
	s_waitcnt lgkmcnt(3)
	v_mfma_f32_16x16x32_fp8_fp8 v[36:39], v[58:59], v[76:77], v[36:39]
	;;#ASMSTART
	s_waitcnt lgkmcnt(0)
	;;#ASMEND
	ds_read_b32 v75, v100 offset:32796
	ds_write_b32 v100, v101 offset:32792
	v_mfma_f32_16x16x32_fp8_fp8 v[12:15], v[68:69], v[76:77], v[12:15]
	s_waitcnt lgkmcnt(1)
	v_cmp_ne_u32_e32 vcc, v75, v80
	v_mfma_f32_16x16x32_fp8_fp8 v[36:39], v[62:63], v[78:79], v[36:39]
	v_mfma_f32_16x16x32_fp8_fp8 v[12:15], v[70:71], v[78:79], v[12:15]
	v_mfma_f32_16x16x32_fp8_fp8 v[36:39], v[64:65], v[102:103], v[36:39]
	v_mfma_f32_16x16x32_fp8_fp8 v[12:15], v[72:73], v[102:103], v[12:15]
	v_mfma_f32_16x16x32_fp8_fp8 v[36:39], v[66:67], v[104:105], v[36:39]
	v_mfma_f32_16x16x32_fp8_fp8 v[12:15], v[60:61], v[104:105], v[12:15]
	s_and_saveexec_b64 s[10:11], vcc
	s_cbranch_execz .LBB232_31
; %bb.29:                               ;   in Loop: Header=BB232_13 Depth=2
	s_mov_b64 s[12:13], 0
.LBB232_30:                             ;   Parent Loop BB232_7 Depth=1
                                        ;     Parent Loop BB232_13 Depth=2
                                        ; =>    This Inner Loop Header: Depth=3
	;;#ASMSTART
	s_sleep 0
	;;#ASMEND
	ds_read_b32 v75, v100 offset:32796
	s_waitcnt lgkmcnt(0)
	v_cmp_eq_u32_e32 vcc, v75, v80
	s_or_b64 s[12:13], vcc, s[12:13]
	s_andn2_b64 exec, exec, s[12:13]
	s_cbranch_execnz .LBB232_30
.LBB232_31:                             ;   in Loop: Header=BB232_13 Depth=2
	s_or_b64 exec, exec, s[10:11]
	v_add_u32_e32 v75, 0x1800, v74
	ds_read2_b32 v[76:77], v75 offset1:32
	ds_read2_b32 v[78:79], v75 offset0:128 offset1:160
	v_add_u32_e32 v75, 0x1c00, v74
	ds_read2_b32 v[102:103], v75 offset1:32
	ds_read2_b32 v[104:105], v75 offset0:128 offset1:160
	s_waitcnt lgkmcnt(3)
	v_mfma_f32_16x16x32_fp8_fp8 v[32:35], v[58:59], v[76:77], v[32:35]
	;;#ASMSTART
	s_waitcnt lgkmcnt(0)
	;;#ASMEND
	ds_read_b32 v75, v100 offset:32800
	ds_write_b32 v100, v101 offset:32796
	v_mfma_f32_16x16x32_fp8_fp8 v[4:7], v[68:69], v[76:77], v[4:7]
	s_waitcnt lgkmcnt(1)
	v_cmp_ne_u32_e32 vcc, v75, v80
	v_mfma_f32_16x16x32_fp8_fp8 v[32:35], v[62:63], v[78:79], v[32:35]
	v_mfma_f32_16x16x32_fp8_fp8 v[4:7], v[70:71], v[78:79], v[4:7]
	;; [unrolled: 40-line block ×3, first 2 shown]
	v_mfma_f32_16x16x32_fp8_fp8 v[28:31], v[64:65], v[102:103], v[28:31]
	v_mfma_f32_16x16x32_fp8_fp8 v[0:3], v[72:73], v[102:103], v[0:3]
	;; [unrolled: 1-line block ×4, first 2 shown]
	s_and_saveexec_b64 s[10:11], vcc
	s_cbranch_execz .LBB232_12
; %bb.35:                               ;   in Loop: Header=BB232_13 Depth=2
	s_mov_b64 s[12:13], 0
.LBB232_36:                             ;   Parent Loop BB232_7 Depth=1
                                        ;     Parent Loop BB232_13 Depth=2
                                        ; =>    This Inner Loop Header: Depth=3
	;;#ASMSTART
	s_sleep 0
	;;#ASMEND
	ds_read_b32 v75, v100 offset:32804
	s_waitcnt lgkmcnt(0)
	v_cmp_eq_u32_e32 vcc, v75, v80
	s_or_b64 s[12:13], vcc, s[12:13]
	s_andn2_b64 exec, exec, s[12:13]
	s_cbranch_execnz .LBB232_36
	s_branch .LBB232_12
.LBB232_37:                             ;   in Loop: Header=BB232_7 Depth=1
	s_or_b64 exec, exec, s[8:9]
.LBB232_38:                             ;   in Loop: Header=BB232_7 Depth=1
	s_or_b64 exec, exec, s[6:7]
	v_cmp_le_i32_e32 vcc, s49, v48
	v_cmp_eq_u32_e64 s[12:13], 1, v83
	v_cmp_eq_u32_e64 s[6:7], 3, v83
	s_waitcnt vmcnt(0)
	v_cndmask_b32_e32 v58, 0, v98, vcc
	v_pk_mul_f32 v[44:45], v[58:59], v[44:45] op_sel_hi:[0,1]
	v_pk_mul_f32 v[60:61], v[58:59], v[46:47] op_sel_hi:[0,1]
	v_cndmask_b32_e64 v46, v44, v45, s[12:13]
	v_cmp_eq_u32_e32 vcc, 2, v83
	v_cmp_eq_u32_e64 s[8:9], 0, v83
	v_cmp_le_i32_e64 s[14:15], s49, v85
	v_cndmask_b32_e32 v46, v46, v60, vcc
	v_cndmask_b32_e64 v46, v46, v61, s[6:7]
	ds_bpermute_b32 v59, v96, v46
	v_cmp_le_i32_e64 s[18:19], s49, v86
	v_cmp_eq_u32_e64 s[10:11], 1, v84
	v_cmp_eq_u32_e64 s[16:17], 3, v84
	s_waitcnt lgkmcnt(0)
	v_cndmask_b32_e64 v46, v61, v59, s[6:7]
	v_cndmask_b32_e32 v47, v60, v59, vcc
	v_cndmask_b32_e64 v45, v45, v59, s[12:13]
	v_cndmask_b32_e64 v59, v44, v59, s[8:9]
	;; [unrolled: 1-line block ×3, first 2 shown]
	v_pk_mul_f32 v[40:41], v[44:45], v[40:41] op_sel_hi:[0,1]
	v_pk_mul_f32 v[60:61], v[44:45], v[42:43] op_sel_hi:[0,1]
	v_cndmask_b32_e64 v42, v40, v41, s[12:13]
	v_cndmask_b32_e32 v42, v42, v60, vcc
	v_cndmask_b32_e64 v42, v42, v61, s[6:7]
	ds_bpermute_b32 v64, v96, v42
	v_cndmask_b32_e64 v63, v59, v45, s[10:11]
	v_cmp_eq_u32_e64 s[14:15], 2, v84
	s_waitcnt lgkmcnt(0)
	v_cndmask_b32_e64 v41, v41, v64, s[12:13]
	v_cndmask_b32_e64 v65, v40, v64, s[8:9]
	;; [unrolled: 1-line block ×3, first 2 shown]
	v_pk_mul_f32 v[36:37], v[40:41], v[36:37] op_sel_hi:[0,1]
	v_pk_mul_f32 v[66:67], v[40:41], v[38:39] op_sel_hi:[0,1]
	v_cndmask_b32_e64 v38, v36, v37, s[12:13]
	v_cndmask_b32_e32 v38, v38, v66, vcc
	v_cndmask_b32_e64 v38, v38, v67, s[6:7]
	v_cndmask_b32_e64 v42, v63, v47, s[14:15]
	ds_bpermute_b32 v63, v96, v38
	v_cmp_le_i32_e64 s[18:19], s49, v87
	v_cndmask_b32_e64 v43, v61, v64, s[6:7]
	v_cndmask_b32_e32 v60, v60, v64, vcc
	v_cndmask_b32_e64 v38, v65, v41, s[10:11]
	s_waitcnt lgkmcnt(0)
	v_cndmask_b32_e64 v37, v37, v63, s[12:13]
	v_cndmask_b32_e64 v68, v36, v63, s[8:9]
	;; [unrolled: 1-line block ×3, first 2 shown]
	v_pk_mul_f32 v[32:33], v[36:37], v[32:33] op_sel_hi:[0,1]
	v_cndmask_b32_e64 v39, v67, v63, s[6:7]
	v_cndmask_b32_e32 v61, v66, v63, vcc
	v_pk_mul_f32 v[66:67], v[36:37], v[34:35] op_sel_hi:[0,1]
	v_cndmask_b32_e64 v34, v32, v33, s[12:13]
	v_cndmask_b32_e32 v34, v34, v66, vcc
	v_cndmask_b32_e64 v34, v34, v67, s[6:7]
	ds_bpermute_b32 v64, v96, v34
	v_cmp_le_i32_e64 s[18:19], s49, v88
	v_cndmask_b32_e64 v34, v68, v37, s[10:11]
	v_cndmask_b32_e64 v38, v38, v60, s[14:15]
	;; [unrolled: 1-line block ×3, first 2 shown]
	s_waitcnt lgkmcnt(0)
	v_cndmask_b32_e64 v33, v33, v64, s[12:13]
	v_cndmask_b32_e64 v69, v32, v64, s[8:9]
	;; [unrolled: 1-line block ×3, first 2 shown]
	v_pk_mul_f32 v[28:29], v[32:33], v[28:29] op_sel_hi:[0,1]
	v_cndmask_b32_e64 v35, v67, v64, s[6:7]
	v_cndmask_b32_e32 v63, v66, v64, vcc
	v_pk_mul_f32 v[66:67], v[32:33], v[30:31] op_sel_hi:[0,1]
	v_cndmask_b32_e64 v30, v28, v29, s[12:13]
	v_cndmask_b32_e32 v30, v30, v66, vcc
	v_cndmask_b32_e64 v30, v30, v67, s[6:7]
	ds_bpermute_b32 v71, v96, v30
	v_cmp_le_i32_e64 s[18:19], s49, v89
	v_cndmask_b32_e64 v30, v69, v33, s[10:11]
	v_cndmask_b32_e64 v30, v30, v63, s[14:15]
	;; [unrolled: 1-line block ×3, first 2 shown]
	s_waitcnt lgkmcnt(0)
	v_cndmask_b32_e64 v31, v67, v71, s[6:7]
	v_cndmask_b32_e32 v64, v66, v71, vcc
	v_cndmask_b32_e64 v70, v29, v71, s[12:13]
	v_cndmask_b32_e64 v71, v28, v71, s[8:9]
	;; [unrolled: 1-line block ×3, first 2 shown]
	v_pk_mul_f32 v[74:75], v[28:29], v[24:25] op_sel_hi:[0,1]
	v_pk_mul_f32 v[72:73], v[28:29], v[26:27] op_sel_hi:[0,1]
	v_cndmask_b32_e64 v24, v74, v75, s[12:13]
	v_cndmask_b32_e32 v24, v24, v72, vcc
	v_cndmask_b32_e64 v24, v24, v73, s[6:7]
	ds_bpermute_b32 v25, v96, v24
	v_cndmask_b32_e64 v24, v71, v70, s[10:11]
	v_cndmask_b32_e64 v24, v24, v64, s[14:15]
	;; [unrolled: 1-line block ×3, first 2 shown]
	ds_bpermute_b32 v66, v96, v24
	s_waitcnt lgkmcnt(1)
	v_cndmask_b32_e32 v27, v72, v25, vcc
	v_cmp_ne_u32_e32 vcc, 0, v83
	v_cndmask_b32_e64 v26, v73, v25, s[6:7]
	v_cndmask_b32_e64 v38, v38, v43, s[16:17]
	v_cndmask_b32_e32 v24, v75, v25, vcc
	v_cndmask_b32_e64 v25, v74, v25, s[8:9]
	v_cndmask_b32_e64 v29, v25, v24, s[10:11]
	;; [unrolled: 1-line block ×6, first 2 shown]
	ds_bpermute_b32 v42, v96, v42
	ds_bpermute_b32 v38, v96, v38
	;; [unrolled: 1-line block ×5, first 2 shown]
	v_add_u32_e32 v29, s71, v90
	v_cmp_gt_u32_e32 vcc, 32, v29
	s_and_saveexec_b64 s[18:19], vcc
	s_cbranch_execz .LBB232_43
; %bb.39:                               ;   in Loop: Header=BB232_7 Depth=1
	v_cmp_eq_u32_e64 s[8:9], 1, v84
	v_cmp_eq_u32_e64 s[10:11], 0, v84
	v_cmp_eq_u32_e32 vcc, 3, v84
	s_waitcnt lgkmcnt(4)
	v_cndmask_b32_e64 v45, v45, v42, s[8:9]
	s_waitcnt lgkmcnt(3)
	v_cndmask_b32_e64 v41, v41, v38, s[8:9]
	;; [unrolled: 2-line block ×4, first 2 shown]
	v_cndmask_b32_e64 v70, v70, v66, s[8:9]
	s_waitcnt lgkmcnt(0)
	v_cndmask_b32_e64 v74, v24, v67, s[8:9]
	s_mul_i32 s8, s69, s21
	s_ashr_i32 s9, s8, 31
	s_lshl_b64 s[8:9], s[8:9], 1
	v_cndmask_b32_e64 v59, v59, v42, s[10:11]
	v_cndmask_b32_e64 v65, v65, v38, s[10:11]
	;; [unrolled: 1-line block ×6, first 2 shown]
	s_add_u32 s10, s40, s8
	s_addc_u32 s11, s41, s9
	s_ashr_i32 s49, s48, 31
	v_cvt_f16_f32_e32 v59, v59
	v_cvt_f16_f32_sdwa v45, v45 dst_sel:WORD_1 dst_unused:UNUSED_PAD src0_sel:DWORD
	v_cvt_f16_f32_e32 v65, v65
	v_cvt_f16_f32_sdwa v41, v41 dst_sel:WORD_1 dst_unused:UNUSED_PAD src0_sel:DWORD
	s_lshl_b64 s[8:9], s[48:49], 1
	s_add_u32 s54, s10, s8
	s_addc_u32 s55, s11, s9
	v_lshl_add_u64 v[24:25], v[50:51], 1, s[54:55]
	v_or_b32_e32 v45, v45, v59
	v_or_b32_e32 v41, v41, v65
	;;#ASMSTART
	global_atomic_pk_add_f16 v[24:25], v45, off
	
	;;#ASMEND
	v_lshl_add_u64 v[68:69], v[24:25], 0, 32
	;;#ASMSTART
	global_atomic_pk_add_f16 v[68:69], v41, off
	
	;;#ASMEND
	v_cvt_f16_f32_e32 v41, v72
	v_cvt_f16_f32_sdwa v37, v37 dst_sel:WORD_1 dst_unused:UNUSED_PAD src0_sel:DWORD
	v_cvt_f16_f32_e32 v45, v73
	v_cvt_f16_f32_sdwa v33, v33 dst_sel:WORD_1 dst_unused:UNUSED_PAD src0_sel:DWORD
	v_lshl_add_u64 v[68:69], v[24:25], 0, 64
	v_or_b32_e32 v37, v37, v41
	;;#ASMSTART
	global_atomic_pk_add_f16 v[68:69], v37, off
	
	;;#ASMEND
	v_or_b32_e32 v33, v33, v45
	v_lshl_add_u64 v[68:69], v[24:25], 0, s[30:31]
	;;#ASMSTART
	global_atomic_pk_add_f16 v[68:69], v33, off
	
	;;#ASMEND
	v_cvt_f16_f32_e32 v33, v71
	v_cvt_f16_f32_sdwa v37, v70 dst_sel:WORD_1 dst_unused:UNUSED_PAD src0_sel:DWORD
	v_cvt_f16_f32_e32 v41, v75
	v_cvt_f16_f32_sdwa v45, v74 dst_sel:WORD_1 dst_unused:UNUSED_PAD src0_sel:DWORD
	v_cmp_eq_u32_e64 s[6:7], 2, v84
	v_lshl_add_u64 v[68:69], v[24:25], 0, s[34:35]
	v_or_b32_e32 v33, v37, v33
	v_cmp_gt_u32_e64 s[8:9], 30, v29
	;;#ASMSTART
	global_atomic_pk_add_f16 v[68:69], v33, off
	
	;;#ASMEND
	v_lshl_add_u64 v[68:69], v[24:25], 0, s[44:45]
	v_or_b32_e32 v33, v45, v41
	;;#ASMSTART
	global_atomic_pk_add_f16 v[68:69], v33, off
	
	;;#ASMEND
	s_and_b64 exec, exec, s[8:9]
	s_cbranch_execz .LBB232_43
; %bb.40:                               ;   in Loop: Header=BB232_7 Depth=1
	v_cndmask_b32_e32 v46, v46, v42, vcc
	v_cndmask_b32_e64 v42, v47, v42, s[6:7]
	v_cvt_f16_f32_e32 v42, v42
	v_cvt_f16_f32_sdwa v46, v46 dst_sel:WORD_1 dst_unused:UNUSED_PAD src0_sel:DWORD
	v_cndmask_b32_e32 v39, v39, v34, vcc
	v_cndmask_b32_e64 v34, v61, v34, s[6:7]
	v_cndmask_b32_e32 v43, v43, v38, vcc
	v_cndmask_b32_e64 v38, v60, v38, s[6:7]
	v_cvt_f16_f32_e32 v34, v34
	v_cvt_f16_f32_sdwa v39, v39 dst_sel:WORD_1 dst_unused:UNUSED_PAD src0_sel:DWORD
	v_cndmask_b32_e32 v60, v26, v67, vcc
	v_or_b32_e32 v26, v46, v42
	v_cvt_f16_f32_e32 v38, v38
	v_cvt_f16_f32_sdwa v42, v43 dst_sel:WORD_1 dst_unused:UNUSED_PAD src0_sel:DWORD
	v_lshl_add_u64 v[24:25], s[28:29], 2, v[24:25]
	v_cndmask_b32_e32 v35, v35, v30, vcc
	v_cndmask_b32_e64 v30, v63, v30, s[6:7]
	v_cndmask_b32_e64 v61, v27, v67, s[6:7]
	;;#ASMSTART
	global_atomic_pk_add_f16 v[24:25], v26, off
	
	;;#ASMEND
	v_lshl_add_u64 v[26:27], v[24:25], 0, 32
	v_or_b32_e32 v34, v39, v34
	v_cndmask_b32_e32 v31, v31, v66, vcc
	v_cndmask_b32_e64 v47, v64, v66, s[6:7]
	v_or_b32_e32 v38, v42, v38
	;;#ASMSTART
	global_atomic_pk_add_f16 v[26:27], v38, off
	
	;;#ASMEND
	v_lshl_add_u64 v[26:27], v[24:25], 0, 64
	;;#ASMSTART
	global_atomic_pk_add_f16 v[26:27], v34, off
	
	;;#ASMEND
	v_cvt_f16_f32_e32 v30, v30
	v_cvt_f16_f32_sdwa v34, v35 dst_sel:WORD_1 dst_unused:UNUSED_PAD src0_sel:DWORD
	v_cvt_f16_f32_e32 v35, v47
	v_cvt_f16_f32_sdwa v31, v31 dst_sel:WORD_1 dst_unused:UNUSED_PAD src0_sel:DWORD
	v_mov_b32_e32 v59, v58
	v_or_b32_e32 v30, v34, v30
	v_lshl_add_u64 v[26:27], v[24:25], 0, s[30:31]
	;;#ASMSTART
	global_atomic_pk_add_f16 v[26:27], v30, off
	
	;;#ASMEND
	v_or_b32_e32 v38, v31, v35
	v_mov_b32_e32 v30, v58
	v_mov_b32_e32 v31, v58
	v_pk_mul_f32 v[34:35], v[58:59], v[20:21]
	v_cmp_eq_u32_e64 s[8:9], 1, v83
	v_pk_mul_f32 v[30:31], v[30:31], v[22:23]
	v_cmp_eq_u32_e32 vcc, 2, v83
	v_cndmask_b32_e64 v20, v34, v35, s[8:9]
	v_cmp_eq_u32_e64 s[6:7], 3, v83
	v_cndmask_b32_e32 v20, v20, v30, vcc
	v_lshl_add_u64 v[26:27], v[24:25], 0, s[34:35]
	v_cndmask_b32_e64 v20, v20, v31, s[6:7]
	v_mov_b32_e32 v45, v44
	ds_bpermute_b32 v39, v96, v20
	;;#ASMSTART
	global_atomic_pk_add_f16 v[26:27], v38, off
	
	;;#ASMEND
	v_mov_b32_e32 v26, v44
	v_mov_b32_e32 v27, v44
	v_pk_mul_f32 v[18:19], v[26:27], v[18:19]
	v_pk_mul_f32 v[26:27], v[44:45], v[16:17]
	s_waitcnt lgkmcnt(0)
	v_cndmask_b32_e64 v22, v31, v39, s[6:7]
	v_cndmask_b32_e64 v16, v26, v27, s[8:9]
	v_cndmask_b32_e32 v16, v16, v18, vcc
	v_cndmask_b32_e64 v16, v16, v19, s[6:7]
	ds_bpermute_b32 v31, v96, v16
	v_cmp_eq_u32_e64 s[10:11], 0, v83
	v_lshl_add_u64 v[20:21], v[24:25], 0, s[44:45]
	v_cndmask_b32_e64 v24, v35, v39, s[8:9]
	v_cndmask_b32_e64 v25, v34, v39, s[10:11]
	v_cmp_eq_u32_e64 s[12:13], 1, v84
	v_cndmask_b32_e32 v23, v30, v39, vcc
	v_cmp_eq_u32_e64 s[14:15], 2, v84
	v_cndmask_b32_e64 v30, v25, v24, s[12:13]
	v_mov_b32_e32 v41, v40
	v_cndmask_b32_e64 v16, v30, v23, s[14:15]
	s_waitcnt lgkmcnt(0)
	v_cndmask_b32_e64 v17, v19, v31, s[6:7]
	v_cndmask_b32_e32 v18, v18, v31, vcc
	v_cndmask_b32_e64 v19, v27, v31, s[8:9]
	v_cndmask_b32_e64 v26, v26, v31, s[10:11]
	v_mov_b32_e32 v30, v40
	v_mov_b32_e32 v31, v40
	v_pk_mul_f32 v[14:15], v[30:31], v[14:15]
	v_pk_mul_f32 v[30:31], v[40:41], v[12:13]
	v_mov_b32_e32 v37, v36
	v_cndmask_b32_e64 v12, v30, v31, s[8:9]
	v_cndmask_b32_e32 v12, v12, v14, vcc
	v_cndmask_b32_e64 v12, v12, v15, s[6:7]
	ds_bpermute_b32 v27, v96, v12
	v_pk_mul_f32 v[34:35], v[36:37], v[4:5]
	v_mov_b32_e32 v33, v32
	v_cndmask_b32_e64 v4, v34, v35, s[8:9]
	v_cmp_eq_u32_e64 s[16:17], 3, v84
	s_waitcnt lgkmcnt(0)
	v_cndmask_b32_e64 v13, v15, v27, s[6:7]
	v_cndmask_b32_e32 v14, v14, v27, vcc
	v_cndmask_b32_e64 v15, v31, v27, s[8:9]
	v_cndmask_b32_e64 v27, v30, v27, s[10:11]
	v_mov_b32_e32 v30, v36
	v_mov_b32_e32 v31, v36
	v_pk_mul_f32 v[6:7], v[30:31], v[6:7]
	v_mov_b32_e32 v29, v28
	v_cndmask_b32_e32 v4, v4, v6, vcc
	v_cndmask_b32_e64 v4, v4, v7, s[6:7]
	ds_bpermute_b32 v31, v96, v4
	v_cndmask_b32_e64 v12, v26, v19, s[12:13]
	v_cndmask_b32_e64 v4, v27, v15, s[12:13]
	v_cndmask_b32_e64 v12, v12, v18, s[14:15]
	v_cndmask_b32_e64 v4, v4, v14, s[14:15]
	s_waitcnt lgkmcnt(0)
	v_cndmask_b32_e64 v5, v7, v31, s[6:7]
	v_cndmask_b32_e32 v6, v6, v31, vcc
	v_cndmask_b32_e64 v30, v35, v31, s[8:9]
	v_cndmask_b32_e64 v31, v34, v31, s[10:11]
	v_mov_b32_e32 v34, v32
	v_mov_b32_e32 v35, v32
	v_pk_mul_f32 v[32:33], v[32:33], v[0:1]
	v_pk_mul_f32 v[34:35], v[34:35], v[2:3]
	v_cndmask_b32_e64 v0, v32, v33, s[8:9]
	v_cndmask_b32_e32 v0, v0, v34, vcc
	v_cndmask_b32_e64 v0, v0, v35, s[6:7]
	ds_bpermute_b32 v1, v96, v0
	v_cndmask_b32_e64 v0, v31, v30, s[12:13]
	v_cndmask_b32_e64 v0, v0, v6, s[14:15]
	;; [unrolled: 1-line block ×3, first 2 shown]
	ds_bpermute_b32 v2, v96, v0
	s_waitcnt lgkmcnt(1)
	v_cndmask_b32_e64 v3, v35, v1, s[6:7]
	v_cndmask_b32_e32 v7, v34, v1, vcc
	v_cndmask_b32_e64 v0, v33, v1, s[8:9]
	v_cndmask_b32_e64 v1, v32, v1, s[10:11]
	v_mov_b32_e32 v32, v28
	v_mov_b32_e32 v33, v28
	v_pk_mul_f32 v[10:11], v[32:33], v[10:11]
	v_pk_mul_f32 v[32:33], v[28:29], v[8:9]
	v_cvt_f16_f32_e32 v38, v61
	v_cndmask_b32_e64 v8, v32, v33, s[8:9]
	v_cndmask_b32_e32 v8, v8, v10, vcc
	v_cndmask_b32_e64 v8, v8, v11, s[6:7]
	ds_bpermute_b32 v29, v96, v8
	v_cndmask_b32_e64 v8, v1, v0, s[12:13]
	v_cndmask_b32_e64 v8, v8, v7, s[14:15]
	v_cvt_f16_f32_sdwa v42, v60 dst_sel:WORD_1 dst_unused:UNUSED_PAD src0_sel:DWORD
	v_cndmask_b32_e64 v16, v16, v22, s[16:17]
	s_waitcnt lgkmcnt(0)
	v_cndmask_b32_e32 v10, v10, v29, vcc
	v_cmp_ne_u32_e32 vcc, 0, v83
	v_cndmask_b32_e64 v9, v11, v29, s[6:7]
	v_cndmask_b32_e64 v12, v12, v17, s[16:17]
	v_cndmask_b32_e32 v28, v33, v29, vcc
	v_cndmask_b32_e64 v29, v32, v29, s[10:11]
	v_cndmask_b32_e64 v11, v29, v28, s[12:13]
	;; [unrolled: 1-line block ×6, first 2 shown]
	ds_bpermute_b32 v16, v96, v16
	ds_bpermute_b32 v12, v96, v12
	;; [unrolled: 1-line block ×5, first 2 shown]
	v_or_b32_e32 v32, v42, v38
	;;#ASMSTART
	global_atomic_pk_add_f16 v[20:21], v32, off
	
	;;#ASMEND
	v_add_u32_e32 v20, s71, v91
	v_cmp_gt_u32_e32 vcc, 32, v20
	s_and_b64 exec, exec, vcc
	s_cbranch_execz .LBB232_43
; %bb.41:                               ;   in Loop: Header=BB232_7 Depth=1
	v_cmp_eq_u32_e64 s[8:9], 1, v84
	v_cmp_eq_u32_e64 s[10:11], 0, v84
	v_cmp_eq_u32_e32 vcc, 3, v84
	s_waitcnt lgkmcnt(4)
	v_cndmask_b32_e64 v21, v24, v16, s[8:9]
	v_cndmask_b32_e64 v24, v25, v16, s[10:11]
	s_waitcnt lgkmcnt(3)
	v_cndmask_b32_e64 v19, v19, v12, s[8:9]
	v_cndmask_b32_e64 v25, v26, v12, s[10:11]
	v_cvt_f16_f32_e32 v33, v25
	v_cvt_f16_f32_sdwa v19, v19 dst_sel:WORD_1 dst_unused:UNUSED_PAD src0_sel:DWORD
	v_cvt_f16_f32_e32 v24, v24
	v_cvt_f16_f32_sdwa v21, v21 dst_sel:WORD_1 dst_unused:UNUSED_PAD src0_sel:DWORD
	s_waitcnt lgkmcnt(2)
	v_cndmask_b32_e64 v15, v15, v4, s[8:9]
	v_cndmask_b32_e64 v26, v27, v4, s[10:11]
	;; [unrolled: 1-line block ×4, first 2 shown]
	s_waitcnt lgkmcnt(1)
	v_cndmask_b32_e64 v31, v0, v8, s[8:9]
	v_cndmask_b32_e64 v32, v1, v8, s[10:11]
	v_lshl_add_u64 v[0:1], v[52:53], 1, s[54:55]
	v_or_b32_e32 v19, v19, v33
	v_or_b32_e32 v21, v21, v24
	;;#ASMSTART
	global_atomic_pk_add_f16 v[0:1], v21, off
	
	;;#ASMEND
	v_lshl_add_u64 v[24:25], v[0:1], 0, 32
	;;#ASMSTART
	global_atomic_pk_add_f16 v[24:25], v19, off
	
	;;#ASMEND
	v_cvt_f16_f32_e32 v19, v26
	v_cvt_f16_f32_sdwa v15, v15 dst_sel:WORD_1 dst_unused:UNUSED_PAD src0_sel:DWORD
	v_cvt_f16_f32_e32 v21, v30
	v_cvt_f16_f32_sdwa v26, v27 dst_sel:WORD_1 dst_unused:UNUSED_PAD src0_sel:DWORD
	v_lshl_add_u64 v[24:25], v[0:1], 0, 64
	v_or_b32_e32 v15, v15, v19
	;;#ASMSTART
	global_atomic_pk_add_f16 v[24:25], v15, off
	
	;;#ASMEND
	v_or_b32_e32 v15, v26, v21
	s_waitcnt lgkmcnt(0)
	v_cndmask_b32_e64 v28, v28, v11, s[8:9]
	v_cndmask_b32_e64 v29, v29, v11, s[10:11]
	v_lshl_add_u64 v[24:25], v[0:1], 0, s[30:31]
	;;#ASMSTART
	global_atomic_pk_add_f16 v[24:25], v15, off
	
	;;#ASMEND
	v_cvt_f16_f32_e32 v15, v32
	v_cvt_f16_f32_sdwa v19, v31 dst_sel:WORD_1 dst_unused:UNUSED_PAD src0_sel:DWORD
	v_cvt_f16_f32_e32 v21, v29
	v_cvt_f16_f32_sdwa v26, v28 dst_sel:WORD_1 dst_unused:UNUSED_PAD src0_sel:DWORD
	v_cmp_eq_u32_e64 s[6:7], 2, v84
	v_lshl_add_u64 v[24:25], v[0:1], 0, s[34:35]
	v_or_b32_e32 v15, v19, v15
	v_cmp_gt_u32_e64 s[8:9], 30, v20
	;;#ASMSTART
	global_atomic_pk_add_f16 v[24:25], v15, off
	
	;;#ASMEND
	v_lshl_add_u64 v[24:25], v[0:1], 0, s[44:45]
	v_or_b32_e32 v15, v26, v21
	;;#ASMSTART
	global_atomic_pk_add_f16 v[24:25], v15, off
	
	;;#ASMEND
	s_and_b64 exec, exec, s[8:9]
	s_cbranch_execz .LBB232_43
; %bb.42:                               ;   in Loop: Header=BB232_7 Depth=1
	v_cndmask_b32_e32 v15, v22, v16, vcc
	v_cndmask_b32_e64 v16, v23, v16, s[6:7]
	v_cndmask_b32_e32 v17, v17, v12, vcc
	v_cndmask_b32_e64 v12, v18, v12, s[6:7]
	;; [unrolled: 2-line block ×6, first 2 shown]
	v_cvt_f16_f32_e32 v2, v16
	v_cvt_f16_f32_sdwa v3, v15 dst_sel:WORD_1 dst_unused:UNUSED_PAD src0_sel:DWORD
	v_cvt_f16_f32_e32 v10, v12
	v_cvt_f16_f32_sdwa v11, v17 dst_sel:WORD_1 dst_unused:UNUSED_PAD src0_sel:DWORD
	v_lshl_add_u64 v[0:1], s[28:29], 2, v[0:1]
	v_or_b32_e32 v2, v3, v2
	;;#ASMSTART
	global_atomic_pk_add_f16 v[0:1], v2, off
	
	;;#ASMEND
	v_or_b32_e32 v10, v11, v10
	v_lshl_add_u64 v[2:3], v[0:1], 0, 32
	;;#ASMSTART
	global_atomic_pk_add_f16 v[2:3], v10, off
	
	;;#ASMEND
	v_cvt_f16_f32_e32 v4, v4
	v_cvt_f16_f32_sdwa v10, v13 dst_sel:WORD_1 dst_unused:UNUSED_PAD src0_sel:DWORD
	v_cvt_f16_f32_e32 v6, v6
	v_cvt_f16_f32_sdwa v5, v5 dst_sel:WORD_1 dst_unused:UNUSED_PAD src0_sel:DWORD
	v_lshl_add_u64 v[2:3], v[0:1], 0, 64
	v_or_b32_e32 v4, v10, v4
	;;#ASMSTART
	global_atomic_pk_add_f16 v[2:3], v4, off
	
	;;#ASMEND
	v_or_b32_e32 v4, v5, v6
	v_lshl_add_u64 v[2:3], v[0:1], 0, s[30:31]
	;;#ASMSTART
	global_atomic_pk_add_f16 v[2:3], v4, off
	
	;;#ASMEND
	v_cvt_f16_f32_e32 v4, v7
	v_cvt_f16_f32_sdwa v5, v14 dst_sel:WORD_1 dst_unused:UNUSED_PAD src0_sel:DWORD
	v_cvt_f16_f32_e32 v6, v9
	v_cvt_f16_f32_sdwa v7, v8 dst_sel:WORD_1 dst_unused:UNUSED_PAD src0_sel:DWORD
	v_lshl_add_u64 v[2:3], v[0:1], 0, s[34:35]
	v_or_b32_e32 v4, v5, v4
	;;#ASMSTART
	global_atomic_pk_add_f16 v[2:3], v4, off
	
	;;#ASMEND
	v_lshl_add_u64 v[0:1], v[0:1], 0, s[44:45]
	v_or_b32_e32 v2, v7, v6
	;;#ASMSTART
	global_atomic_pk_add_f16 v[0:1], v2, off
	
	;;#ASMEND
.LBB232_43:                             ;   in Loop: Header=BB232_7 Depth=1
	s_or_b64 exec, exec, s[18:19]
	v_subrev_u32_e32 v97, s72, v97
.LBB232_44:                             ;   in Loop: Header=BB232_7 Depth=1
	s_or_b64 exec, exec, s[52:53]
.LBB232_45:                             ;   in Loop: Header=BB232_7 Depth=1
	s_andn2_saveexec_b64 s[6:7], s[50:51]
	s_cbranch_execz .LBB232_54
; %bb.46:                               ;   in Loop: Header=BB232_7 Depth=1
	s_mul_i32 s16, s72, 6
	v_cmp_gt_i32_e32 vcc, s16, v97
	s_and_saveexec_b64 s[8:9], vcc
	s_cbranch_execz .LBB232_53
; %bb.47:                               ;   in Loop: Header=BB232_7 Depth=1
	s_mul_i32 s10, s48, s23
	s_ashr_i32 s11, s10, 31
	s_waitcnt lgkmcnt(0)
	s_add_u32 s10, s38, s10
	s_addc_u32 s11, s39, s11
	s_ashr_i32 s12, s70, 31
	s_add_u32 s10, s10, s70
	s_addc_u32 s11, s11, s12
	v_lshl_add_u64 v[0:1], s[10:11], 0, v[56:57]
	v_lshl_add_u64 v[8:9], v[0:1], 0, v[54:55]
	s_mov_b64 s[10:11], 0
	s_branch .LBB232_49
.LBB232_48:                             ;   in Loop: Header=BB232_49 Depth=2
	s_or_b64 exec, exec, s[12:13]
	v_lshl_or_b32 v12, v10, 11, v93
	;;#ASMSTART
	s_waitcnt vmcnt(1)
	;;#ASMEND
	ds_write2_b32 v12, v4, v5 offset1:32
	ds_write2_b32 v12, v6, v7 offset0:64 offset1:96
	v_add_u32_e32 v4, 0x400, v12
	v_add_u32_e32 v97, s26, v97
	;;#ASMSTART
	s_waitcnt vmcnt(0)
	;;#ASMEND
	ds_write2_b32 v4, v0, v1 offset1:32
	ds_write2_b32 v4, v2, v3 offset0:64 offset1:96
	v_add_u32_e32 v0, 1, v80
	v_add_u32_e32 v62, s26, v10
	v_cmp_le_i32_e32 vcc, s16, v97
	ds_write_b32 v11, v0 offset:16
	v_add_u32_e32 v0, 2, v80
	s_or_b64 s[10:11], vcc, s[10:11]
	v_cmp_lt_i32_e32 vcc, 11, v62
	s_nop 1
	v_cndmask_b32_e32 v80, v80, v0, vcc
	s_andn2_b64 exec, exec, s[10:11]
	s_cbranch_execz .LBB232_52
.LBB232_49:                             ;   Parent Loop BB232_7 Depth=1
                                        ; =>  This Loop Header: Depth=2
                                        ;       Child Loop BB232_51 Depth 3
	v_cmp_gt_i32_e32 vcc, 12, v62
	s_nop 1
	v_cndmask_b32_e64 v0, -12, 0, vcc
	v_add_u32_e32 v10, v0, v62
	v_mul_hi_i32 v0, v97, s58
	v_lshrrev_b32_e32 v1, 31, v0
	v_add_u32_e32 v0, v0, v1
	v_mul_lo_u32 v1, v0, 6
	v_sub_u32_e32 v2, v97, v1
	v_lshlrev_b32_e32 v0, 7, v0
	v_ashrrev_i32_e32 v1, 31, v0
	v_mul_lo_u32 v2, s62, v2
	v_lshl_add_u64 v[0:1], v[8:9], 0, v[0:1]
	v_ashrrev_i32_e32 v3, 31, v2
	v_lshl_add_u64 v[0:1], v[0:1], 0, v[2:3]
	v_lshlrev_b32_e32 v11, 2, v10
	;;#ASMSTART
	global_load_dwordx4 v[4:7], v[0:1], off offset:0   sc0 sc1 nt  
	global_load_dwordx4 v[0:3], v[0:1], off offset:64  sc0 sc1 nt  
	
	;;#ASMEND
	ds_read_b32 v12, v11 offset:32784
	v_add_u32_e32 v11, 0x8000, v11
	s_waitcnt lgkmcnt(0)
	v_cmp_ne_u32_e32 vcc, v12, v80
	s_and_saveexec_b64 s[12:13], vcc
	s_cbranch_execz .LBB232_48
; %bb.50:                               ;   in Loop: Header=BB232_49 Depth=2
	s_mov_b64 s[14:15], 0
.LBB232_51:                             ;   Parent Loop BB232_7 Depth=1
                                        ;     Parent Loop BB232_49 Depth=2
                                        ; =>    This Inner Loop Header: Depth=3
	;;#ASMSTART
	s_sleep 0
	;;#ASMEND
	ds_read_b32 v12, v11 offset:16
	s_waitcnt lgkmcnt(0)
	v_cmp_eq_u32_e32 vcc, v12, v80
	s_or_b64 s[14:15], vcc, s[14:15]
	s_andn2_b64 exec, exec, s[14:15]
	s_cbranch_execnz .LBB232_51
	s_branch .LBB232_48
.LBB232_52:                             ;   in Loop: Header=BB232_7 Depth=1
	s_or_b64 exec, exec, s[10:11]
.LBB232_53:                             ;   in Loop: Header=BB232_7 Depth=1
	s_or_b64 exec, exec, s[8:9]
	v_subrev_u32_e32 v97, s16, v97
.LBB232_54:                             ;   in Loop: Header=BB232_7 Depth=1
	s_or_b64 exec, exec, s[6:7]
.LBB232_55:                             ;   in Loop: Header=BB232_7 Depth=1
	s_andn2_saveexec_b64 s[6:7], s[46:47]
	s_cbranch_execz .LBB232_6
; %bb.56:                               ;   in Loop: Header=BB232_7 Depth=1
	s_lshl_b32 s16, s72, 1
	v_cmp_gt_i32_e32 vcc, s16, v97
	s_and_saveexec_b64 s[8:9], vcc
	s_cbranch_execz .LBB232_5
; %bb.57:                               ;   in Loop: Header=BB232_7 Depth=1
	s_mul_i32 s69, s69, s22
	s_ashr_i32 s10, s69, 31
	s_waitcnt lgkmcnt(0)
	s_add_u32 s11, s36, s69
	v_add_u32_e32 v2, s71, v92
	s_addc_u32 s12, s37, s10
	s_ashr_i32 s13, s70, 31
	v_cmp_gt_u32_e32 vcc, 32, v2
	s_add_u32 s10, s11, s70
	s_addc_u32 s11, s12, s13
	v_cndmask_b32_e32 v0, 0, v94, vcc
	v_ashrrev_i32_e32 v1, 31, v0
	v_lshl_add_u64 v[0:1], s[10:11], 0, v[0:1]
	v_lshl_add_u64 v[8:9], v[0:1], 0, v[54:55]
	v_sub_u32_e32 v10, 31, v2
	s_mov_b64 s[10:11], 0
	s_branch .LBB232_59
.LBB232_58:                             ;   in Loop: Header=BB232_59 Depth=2
	s_or_b64 exec, exec, s[12:13]
	v_lshl_add_u32 v13, v11, 11, v95
	;;#ASMSTART
	s_waitcnt vmcnt(1)
	;;#ASMEND
	ds_write2_b32 v13, v4, v5 offset1:32
	ds_write2_b32 v13, v6, v7 offset0:64 offset1:96
	v_add_u32_e32 v4, 0x400, v13
	v_add_u32_e32 v97, s25, v97
	;;#ASMSTART
	s_waitcnt vmcnt(0)
	;;#ASMEND
	ds_write2_b32 v4, v0, v1 offset1:32
	ds_write2_b32 v4, v2, v3 offset0:64 offset1:96
	v_add_u32_e32 v0, 1, v80
	v_add_u32_e32 v62, s25, v11
	v_cmp_le_i32_e32 vcc, s16, v97
	ds_write_b32 v12, v0
	v_add_u32_e32 v0, 2, v80
	s_or_b64 s[10:11], vcc, s[10:11]
	v_cmp_lt_i32_e32 vcc, 3, v62
	s_nop 1
	v_cndmask_b32_e32 v80, v80, v0, vcc
	s_andn2_b64 exec, exec, s[10:11]
	s_cbranch_execz .LBB232_4
.LBB232_59:                             ;   Parent Loop BB232_7 Depth=1
                                        ; =>  This Loop Header: Depth=2
                                        ;       Child Loop BB232_61 Depth 3
	v_cmp_gt_i32_e32 vcc, 4, v62
	s_nop 1
	v_cndmask_b32_e64 v0, -4, 0, vcc
	v_add_u32_e32 v11, v0, v62
	v_lshrrev_b32_e32 v0, 31, v97
	v_add_u32_e32 v0, v97, v0
	v_and_b32_e32 v1, 0xffffffe, v0
	v_sub_u32_e32 v1, v97, v1
	v_lshlrev_b32_e32 v1, 4, v1
	v_cmp_le_i32_e32 vcc, v1, v10
	v_lshlrev_b32_e32 v0, 6, v0
	v_and_b32_e32 v0, 0xffffff80, v0
	v_cndmask_b32_e32 v2, 0, v1, vcc
	v_ashrrev_i32_e32 v1, 31, v0
	v_mul_lo_u32 v2, v2, s22
	v_lshl_add_u64 v[0:1], v[8:9], 0, v[0:1]
	v_ashrrev_i32_e32 v3, 31, v2
	v_lshl_add_u64 v[0:1], v[0:1], 0, v[2:3]
	v_lshlrev_b32_e32 v12, 2, v11
	;;#ASMSTART
	global_load_dwordx4 v[4:7], v[0:1], off offset:0   
	global_load_dwordx4 v[0:3], v[0:1], off offset:64  
	
	;;#ASMEND
	ds_read_b32 v13, v12 offset:32768
	v_add_u32_e32 v12, 0x8000, v12
	s_waitcnt lgkmcnt(0)
	v_cmp_ne_u32_e32 vcc, v13, v80
	s_and_saveexec_b64 s[12:13], vcc
	s_cbranch_execz .LBB232_58
; %bb.60:                               ;   in Loop: Header=BB232_59 Depth=2
	s_mov_b64 s[14:15], 0
.LBB232_61:                             ;   Parent Loop BB232_7 Depth=1
                                        ;     Parent Loop BB232_59 Depth=2
                                        ; =>    This Inner Loop Header: Depth=3
	;;#ASMSTART
	s_sleep 0
	;;#ASMEND
	ds_read_b32 v13, v12
	s_waitcnt lgkmcnt(0)
	v_cmp_eq_u32_e32 vcc, v13, v80
	s_or_b64 s[14:15], vcc, s[14:15]
	s_andn2_b64 exec, exec, s[14:15]
	s_cbranch_execnz .LBB232_61
	s_branch .LBB232_58
.LBB232_62:
	s_endpgm
	.section	.rodata,"a",@progbits
	.p2align	6, 0x0
	.amdhsa_kernel _Z19_skinny_gemm_kernelILi2ELi6ELi2ELi16ELi4EEvPKhS1_P6__halfPKfiiiiiiii
		.amdhsa_group_segment_fixed_size 32832
		.amdhsa_private_segment_fixed_size 0
		.amdhsa_kernarg_size 64
		.amdhsa_user_sgpr_count 2
		.amdhsa_user_sgpr_dispatch_ptr 0
		.amdhsa_user_sgpr_queue_ptr 0
		.amdhsa_user_sgpr_kernarg_segment_ptr 1
		.amdhsa_user_sgpr_dispatch_id 0
		.amdhsa_user_sgpr_kernarg_preload_length 0
		.amdhsa_user_sgpr_kernarg_preload_offset 0
		.amdhsa_user_sgpr_private_segment_size 0
		.amdhsa_uses_dynamic_stack 0
		.amdhsa_enable_private_segment 0
		.amdhsa_system_sgpr_workgroup_id_x 1
		.amdhsa_system_sgpr_workgroup_id_y 0
		.amdhsa_system_sgpr_workgroup_id_z 0
		.amdhsa_system_sgpr_workgroup_info 0
		.amdhsa_system_vgpr_workitem_id 0
		.amdhsa_next_free_vgpr 106
		.amdhsa_next_free_sgpr 73
		.amdhsa_accum_offset 108
		.amdhsa_reserve_vcc 1
		.amdhsa_float_round_mode_32 0
		.amdhsa_float_round_mode_16_64 0
		.amdhsa_float_denorm_mode_32 3
		.amdhsa_float_denorm_mode_16_64 3
		.amdhsa_dx10_clamp 1
		.amdhsa_ieee_mode 1
		.amdhsa_fp16_overflow 0
		.amdhsa_tg_split 0
		.amdhsa_exception_fp_ieee_invalid_op 0
		.amdhsa_exception_fp_denorm_src 0
		.amdhsa_exception_fp_ieee_div_zero 0
		.amdhsa_exception_fp_ieee_overflow 0
		.amdhsa_exception_fp_ieee_underflow 0
		.amdhsa_exception_fp_ieee_inexact 0
		.amdhsa_exception_int_div_zero 0
	.end_amdhsa_kernel
	.section	.text._Z19_skinny_gemm_kernelILi2ELi6ELi2ELi16ELi4EEvPKhS1_P6__halfPKfiiiiiiii,"axG",@progbits,_Z19_skinny_gemm_kernelILi2ELi6ELi2ELi16ELi4EEvPKhS1_P6__halfPKfiiiiiiii,comdat
.Lfunc_end232:
	.size	_Z19_skinny_gemm_kernelILi2ELi6ELi2ELi16ELi4EEvPKhS1_P6__halfPKfiiiiiiii, .Lfunc_end232-_Z19_skinny_gemm_kernelILi2ELi6ELi2ELi16ELi4EEvPKhS1_P6__halfPKfiiiiiiii
                                        ; -- End function
	.set _Z19_skinny_gemm_kernelILi2ELi6ELi2ELi16ELi4EEvPKhS1_P6__halfPKfiiiiiiii.num_vgpr, 106
	.set _Z19_skinny_gemm_kernelILi2ELi6ELi2ELi16ELi4EEvPKhS1_P6__halfPKfiiiiiiii.num_agpr, 0
	.set _Z19_skinny_gemm_kernelILi2ELi6ELi2ELi16ELi4EEvPKhS1_P6__halfPKfiiiiiiii.numbered_sgpr, 73
	.set _Z19_skinny_gemm_kernelILi2ELi6ELi2ELi16ELi4EEvPKhS1_P6__halfPKfiiiiiiii.num_named_barrier, 0
	.set _Z19_skinny_gemm_kernelILi2ELi6ELi2ELi16ELi4EEvPKhS1_P6__halfPKfiiiiiiii.private_seg_size, 0
	.set _Z19_skinny_gemm_kernelILi2ELi6ELi2ELi16ELi4EEvPKhS1_P6__halfPKfiiiiiiii.uses_vcc, 1
	.set _Z19_skinny_gemm_kernelILi2ELi6ELi2ELi16ELi4EEvPKhS1_P6__halfPKfiiiiiiii.uses_flat_scratch, 0
	.set _Z19_skinny_gemm_kernelILi2ELi6ELi2ELi16ELi4EEvPKhS1_P6__halfPKfiiiiiiii.has_dyn_sized_stack, 0
	.set _Z19_skinny_gemm_kernelILi2ELi6ELi2ELi16ELi4EEvPKhS1_P6__halfPKfiiiiiiii.has_recursion, 0
	.set _Z19_skinny_gemm_kernelILi2ELi6ELi2ELi16ELi4EEvPKhS1_P6__halfPKfiiiiiiii.has_indirect_call, 0
	.section	.AMDGPU.csdata,"",@progbits
; Kernel info:
; codeLenInByte = 7096
; TotalNumSgprs: 79
; NumVgprs: 106
; NumAgprs: 0
; TotalNumVgprs: 106
; ScratchSize: 0
; MemoryBound: 0
; FloatMode: 240
; IeeeMode: 1
; LDSByteSize: 32832 bytes/workgroup (compile time only)
; SGPRBlocks: 9
; VGPRBlocks: 13
; NumSGPRsForWavesPerEU: 79
; NumVGPRsForWavesPerEU: 106
; AccumOffset: 108
; Occupancy: 4
; WaveLimiterHint : 0
; COMPUTE_PGM_RSRC2:SCRATCH_EN: 0
; COMPUTE_PGM_RSRC2:USER_SGPR: 2
; COMPUTE_PGM_RSRC2:TRAP_HANDLER: 0
; COMPUTE_PGM_RSRC2:TGID_X_EN: 1
; COMPUTE_PGM_RSRC2:TGID_Y_EN: 0
; COMPUTE_PGM_RSRC2:TGID_Z_EN: 0
; COMPUTE_PGM_RSRC2:TIDIG_COMP_CNT: 0
; COMPUTE_PGM_RSRC3_GFX90A:ACCUM_OFFSET: 26
; COMPUTE_PGM_RSRC3_GFX90A:TG_SPLIT: 0
	.section	.text._Z19_skinny_gemm_kernelILi2ELi6ELi2ELi32ELi4EEvPKhS1_P6__halfPKfiiiiiiii,"axG",@progbits,_Z19_skinny_gemm_kernelILi2ELi6ELi2ELi32ELi4EEvPKhS1_P6__halfPKfiiiiiiii,comdat
	.protected	_Z19_skinny_gemm_kernelILi2ELi6ELi2ELi32ELi4EEvPKhS1_P6__halfPKfiiiiiiii ; -- Begin function _Z19_skinny_gemm_kernelILi2ELi6ELi2ELi32ELi4EEvPKhS1_P6__halfPKfiiiiiiii
	.globl	_Z19_skinny_gemm_kernelILi2ELi6ELi2ELi32ELi4EEvPKhS1_P6__halfPKfiiiiiiii
	.p2align	8
	.type	_Z19_skinny_gemm_kernelILi2ELi6ELi2ELi32ELi4EEvPKhS1_P6__halfPKfiiiiiiii,@function
_Z19_skinny_gemm_kernelILi2ELi6ELi2ELi32ELi4EEvPKhS1_P6__halfPKfiiiiiiii: ; @_Z19_skinny_gemm_kernelILi2ELi6ELi2ELi32ELi4EEvPKhS1_P6__halfPKfiiiiiiii
; %bb.0:
	v_cmp_gt_u32_e32 vcc, 16, v0
	s_and_saveexec_b64 s[4:5], vcc
; %bb.1:
	v_lshlrev_b32_e32 v1, 2, v0
	v_mov_b32_e32 v2, 0
	ds_write_b32 v1, v2 offset:32768
; %bb.2:
	s_or_b64 exec, exec, s[4:5]
	s_load_dwordx8 s[52:59], s[0:1], 0x20
	s_waitcnt lgkmcnt(0)
	s_barrier
	s_add_i32 s3, s52, 63
	s_ashr_i32 s5, s3, 31
	s_add_i32 s4, s53, 0xbf
	s_lshr_b32 s5, s5, 26
	s_mul_hi_i32 s4, s4, 0x2aaaaaab
	s_add_i32 s3, s3, s5
	s_ashr_i32 s11, s3, 6
	s_lshr_b32 s3, s4, 31
	s_ashr_i32 s4, s4, 5
	s_add_i32 s12, s4, s3
	s_mul_i32 s3, s12, s11
	s_mul_i32 s3, s3, s56
	s_add_i32 s4, s3, 0x12f
	s_mul_hi_i32 s4, s4, 0x6bca1af3
	s_lshr_b32 s5, s4, 31
	s_ashr_i32 s4, s4, 7
	s_add_i32 s4, s4, s5
	s_add_i32 s5, s2, 1
	s_mul_i32 s5, s4, s5
	v_cvt_f64_i32_e32 v[2:3], s3
	v_cvt_f64_u32_e32 v[4:5], s5
	v_min_f64 v[2:3], v[2:3], v[4:5]
	v_cvt_i32_f64_e32 v14, v[2:3]
	s_mul_i32 s33, s4, s2
	v_cmp_ge_i32_e32 vcc, s33, v14
	s_cbranch_vccnz .LBB233_58
; %bb.3:
	s_load_dwordx8 s[16:23], s[0:1], 0x0
	v_lshrrev_b32_e32 v1, 6, v0
	s_add_i32 s0, s58, s57
	v_cmp_le_i32_e64 s[14:15], s0, v1
	v_mov_b32_e32 v2, s57
	v_cmp_le_i32_e64 s[24:25], s57, v1
	v_mov_b32_e32 v3, s58
	v_cndmask_b32_e64 v3, 0, v3, s[14:15]
	v_cndmask_b32_e64 v2, 0, v2, s[24:25]
	s_abs_i32 s1, s56
	v_add_u32_e32 v2, v2, v3
	v_cvt_f32_u32_e32 v3, s1
	v_sub_u32_e32 v104, v1, v2
	s_ashr_i32 s2, s54, 31
	s_lshr_b32 s2, s2, 26
	v_rcp_iflag_f32_e32 v2, v3
	s_sub_i32 s5, 0, s1
	s_add_i32 s2, s54, s2
	s_ashr_i32 s2, s2, 6
	v_mul_f32_e32 v2, 0x4f7ffffe, v2
	v_cvt_u32_f32_e32 v2, v2
	s_abs_i32 s4, s2
	s_xor_b32 s3, s2, s56
	s_ashr_i32 s3, s3, 31
	v_readfirstlane_b32 s6, v2
	s_mul_i32 s5, s5, s6
	s_mul_hi_u32 s5, s6, s5
	s_add_i32 s6, s6, s5
	s_mul_hi_u32 s5, s4, s6
	s_mul_i32 s6, s5, s1
	s_sub_i32 s4, s4, s6
	s_add_i32 s6, s5, 1
	s_sub_i32 s7, s4, s1
	s_cmp_ge_u32 s4, s1
	s_cselect_b32 s5, s6, s5
	s_cselect_b32 s4, s7, s4
	s_add_i32 s6, s5, 1
	s_cmp_ge_u32 s4, s1
	s_cselect_b32 s1, s6, s5
	s_add_i32 s0, s0, s59
	v_and_b32_e32 v100, 31, v0
	v_lshrrev_b32_e32 v2, 3, v0
	v_cmp_gt_i32_e64 s[28:29], s0, v1
	v_lshlrev_b32_e32 v1, 2, v100
	v_and_b32_e32 v3, 4, v2
	v_lshlrev_b32_e32 v2, 6, v3
	v_or_b32_e32 v4, 0x6000, v1
	v_and_b32_e32 v5, 1, v0
	v_or_b32_e32 v116, v4, v2
	v_or_b32_e32 v117, v1, v2
	v_lshlrev_b32_e32 v2, 1, v5
	v_sub_u32_e32 v2, v0, v2
	v_add_u32_e32 v2, 1, v2
	v_and_b32_e32 v6, 63, v2
	v_bitop3_b32 v2, v0, 1, v0 bitop3:0xc
	scratch_store_dword off, v2, off offset:48 ; 4-byte Folded Spill
	v_bitop3_b32 v2, v0, 3, 1 bitop3:0x6c
	scratch_store_dword off, v2, off offset:52 ; 4-byte Folded Spill
	;; [unrolled: 2-line block ×5, first 2 shown]
	v_bitop3_b32 v2, v0, 11, 1 bitop3:0x6c
	v_lshrrev_b32_e32 v7, 1, v0
	s_abs_i32 s30, s11
                                        ; implicit-def: $vgpr126 : SGPR spill to VGPR lane
	scratch_store_dword off, v2, off offset:68 ; 4-byte Folded Spill
	v_bitop3_b32 v2, v0, 13, 1 bitop3:0x6c
	v_and_b32_e32 v16, 16, v7
	v_cvt_f32_u32_e32 v7, s30
	v_writelane_b32 v126, s11, 0
	scratch_store_dword off, v2, off offset:72 ; 4-byte Folded Spill
	v_bitop3_b32 v2, v0, 15, 1 bitop3:0x6c
	v_writelane_b32 v126, s12, 1
	scratch_store_dword off, v2, off offset:76 ; 4-byte Folded Spill
	v_and_b32_e32 v2, 30, v0
	v_lshlrev_b32_e32 v0, 4, v0
	s_waitcnt lgkmcnt(0)
	v_writelane_b32 v126, s16, 2
	v_and_b32_e32 v0, 0x200, v0
	v_or_b32_e32 v15, v1, v0
	v_writelane_b32 v126, s17, 3
	v_rcp_iflag_f32_e32 v1, v7
	v_writelane_b32 v126, s18, 4
	v_writelane_b32 v126, s19, 5
	;; [unrolled: 1-line block ×3, first 2 shown]
	s_abs_i32 s34, s12
	v_writelane_b32 v126, s21, 7
	v_or_b32_e32 v124, v4, v0
	v_mul_f32_e32 v0, 0x4f7ffffe, v1
	v_cvt_f32_u32_e32 v1, s34
	v_writelane_b32 v126, s22, 8
	v_writelane_b32 v126, s23, 9
	v_cndmask_b32_e64 v111, 0, 1, s[14:15]
	v_writelane_b32 v126, s14, 10
	s_xor_b32 s1, s1, s3
	v_cvt_u32_f32_e32 v0, v0
	v_writelane_b32 v126, s15, 11
	v_rcp_iflag_f32_e32 v1, v1
	v_writelane_b32 v126, s24, 12
	s_sub_i32 s13, s1, s3
	s_add_i32 s26, s56, -1
	v_writelane_b32 v126, s25, 13
	s_mul_i32 s1, s13, s26
	v_writelane_b32 v126, s13, 14
	s_sub_i32 s27, s2, s1
	v_writelane_b32 v126, s26, 15
	v_readfirstlane_b32 s1, v0
	v_mul_f32_e32 v0, 0x4f7ffffe, v1
	v_writelane_b32 v126, s27, 16
	v_cvt_u32_f32_e32 v0, v0
	v_writelane_b32 v126, s28, 17
	s_sub_i32 s0, 0, s30
	s_lshl_b32 s31, s55, 5
	v_writelane_b32 v126, s29, 18
	s_mul_i32 s0, s0, s1
	v_writelane_b32 v126, s30, 19
	s_mul_hi_u32 s0, s1, s0
	v_writelane_b32 v126, s31, 20
	s_ashr_i32 s35, s11, 31
	s_add_i32 s36, s1, s0
	s_sub_i32 s0, 0, s34
	v_readfirstlane_b32 s1, v0
	v_writelane_b32 v126, s34, 21
	s_mul_i32 s0, s0, s1
	v_writelane_b32 v126, s35, 22
	s_ashr_i32 s37, s12, 31
	s_mul_hi_u32 s0, s1, s0
	v_writelane_b32 v126, s36, 23
	s_add_i32 s38, s1, s0
	v_writelane_b32 v126, s37, 24
	v_writelane_b32 v126, s38, 25
	v_mul_lo_u32 v8, s55, v100
	v_writelane_b32 v126, s52, 26
	v_mbcnt_lo_u32_b32 v0, -1, 0
	v_mbcnt_hi_u32_b32 v0, -1, v0
	v_writelane_b32 v126, s53, 27
	v_writelane_b32 v126, s54, 28
	;; [unrolled: 1-line block ×5, first 2 shown]
	v_mov_b32_e32 v119, 0
	v_and_or_b32 v0, v0, 64, v6
	v_writelane_b32 v126, s58, 32
	v_ashrrev_i32_e32 v9, 31, v8
	v_mov_b32_e32 v17, v119
	v_lshlrev_b32_e32 v118, 1, v2
	v_lshlrev_b32_e32 v120, 2, v0
	v_mov_b32_e32 v101, v104
	v_writelane_b32 v126, s59, 33
	scratch_store_dwordx2 off, v[8:9], off offset:88 ; 8-byte Folded Spill
	v_or_b32_e32 v121, v5, v3
	scratch_store_dword off, v14, off offset:32 ; 4-byte Folded Spill
	scratch_store_dword off, v100, off offset:36 ; 4-byte Folded Spill
	;; [unrolled: 1-line block ×4, first 2 shown]
	scratch_store_dwordx2 off, v[16:17], off offset:80 ; 8-byte Folded Spill
	scratch_store_dword off, v15, off offset:96 ; 4-byte Folded Spill
	scratch_store_dword off, v121, off offset:100 ; 4-byte Folded Spill
	s_branch .LBB233_7
.LBB233_4:                              ;   in Loop: Header=BB233_7 Depth=1
	s_or_b64 exec, exec, s[4:5]
.LBB233_5:                              ;   in Loop: Header=BB233_7 Depth=1
	s_or_b64 exec, exec, s[2:3]
	v_subrev_u32_e32 v101, s10, v101
.LBB233_6:                              ;   in Loop: Header=BB233_7 Depth=1
	s_or_b64 exec, exec, s[0:1]
	s_add_i32 s33, s33, 1
	s_waitcnt vmcnt(3)
	v_cmp_ge_i32_e32 vcc, s33, v14
	s_cbranch_vccnz .LBB233_58
.LBB233_7:                              ; =>This Loop Header: Depth=1
                                        ;     Child Loop BB233_13 Depth 2
                                        ;       Child Loop BB233_15 Depth 3
                                        ;       Child Loop BB233_18 Depth 3
	;; [unrolled: 1-line block ×7, first 2 shown]
                                        ;     Child Loop BB233_37 Depth 2
                                        ;     Child Loop BB233_45 Depth 2
                                        ;       Child Loop BB233_47 Depth 3
                                        ;     Child Loop BB233_55 Depth 2
                                        ;       Child Loop BB233_57 Depth 3
	s_abs_i32 s1, s33
	s_mul_hi_u32 s2, s1, s36
	s_mul_i32 s3, s2, s30
	s_ashr_i32 s0, s33, 31
	s_sub_i32 s1, s1, s3
	s_xor_b32 s0, s0, s35
	s_add_i32 s3, s2, 1
	s_sub_i32 s4, s1, s30
	s_cmp_ge_u32 s1, s30
	s_cselect_b32 s2, s3, s2
	s_cselect_b32 s1, s4, s1
	s_add_i32 s3, s2, 1
	s_cmp_ge_u32 s1, s30
	s_cselect_b32 s1, s3, s2
	s_xor_b32 s1, s1, s0
	s_sub_i32 s0, s1, s0
	s_abs_i32 s2, s0
	s_mul_i32 s1, s0, s11
	s_mul_hi_u32 s3, s2, s38
	s_sub_i32 s1, s33, s1
	s_mul_i32 s4, s3, s34
	s_lshl_b32 s39, s1, 6
	s_ashr_i32 s1, s0, 31
	s_sub_i32 s2, s2, s4
	s_xor_b32 s1, s1, s37
	s_add_i32 s4, s3, 1
	s_sub_i32 s5, s2, s34
	s_cmp_ge_u32 s2, s34
	s_cselect_b32 s3, s4, s3
	s_cselect_b32 s2, s5, s2
	s_add_i32 s4, s3, 1
	s_cmp_ge_u32 s2, s34
	s_cselect_b32 s2, s4, s3
	s_xor_b32 s2, s2, s1
	s_sub_i32 s1, s2, s1
	s_mul_i32 s2, s1, s13
	s_lshl_b32 s40, s2, 6
	s_cmp_eq_u32 s1, s26
	s_cselect_b32 s41, s27, s13
	s_sub_i32 s2, s39, s52
	s_add_i32 s2, s2, 64
	s_max_i32 s92, s2, 0
	s_and_saveexec_b64 s[2:3], s[24:25]
	s_xor_b64 s[42:43], exec, s[2:3]
	s_cbranch_execz .LBB233_51
; %bb.8:                                ;   in Loop: Header=BB233_7 Depth=1
	s_mul_i32 s1, s1, s12
	s_sub_i32 s0, s0, s1
	s_mulk_i32 s0, 0xc0
	s_sub_i32 s8, s0, s53
	s_addk_i32 s8, 0xc0
	s_max_i32 s1, s8, 0
	s_sub_i32 s44, s0, s1
	s_and_saveexec_b64 s[0:1], s[14:15]
	s_xor_b64 s[46:47], exec, s[0:1]
	s_cbranch_execz .LBB233_41
; %bb.9:                                ;   in Loop: Header=BB233_7 Depth=1
	s_and_saveexec_b64 s[48:49], s[28:29]
	s_cbranch_execz .LBB233_40
; %bb.10:                               ;   in Loop: Header=BB233_7 Depth=1
	global_load_dword v96, v119, s[22:23]
	v_mov_b32_e32 v95, 0
	v_cmp_gt_i32_e32 vcc, s41, v101
	v_mov_b32_e32 v94, v95
	v_mov_b32_e32 v93, v95
	;; [unrolled: 1-line block ×77, first 2 shown]
	s_waitcnt vmcnt(2)
	v_mov_b32_e32 v17, v95
	v_mov_b32_e32 v16, v95
	s_waitcnt vmcnt(1)
	v_mov_b32_e32 v15, v95
	v_mov_b32_e32 v14, v95
	;; [unrolled: 1-line block ×16, first 2 shown]
	s_and_saveexec_b64 s[0:1], vcc
	s_cbranch_execz .LBB233_35
; %bb.11:                               ;   in Loop: Header=BB233_7 Depth=1
	v_mov_b32_e32 v0, 0
	s_mov_b64 s[2:3], 0
	v_mov_b32_e32 v1, v0
	v_mov_b32_e32 v2, v0
	;; [unrolled: 1-line block ×95, first 2 shown]
	s_branch .LBB233_13
.LBB233_12:                             ;   in Loop: Header=BB233_13 Depth=2
	s_or_b64 exec, exec, s[4:5]
	v_add_u32_e32 v114, 0x2800, v110
	ds_read2_b32 v[112:113], v114 offset1:32
	v_add_u32_e32 v101, s59, v101
	s_waitcnt lgkmcnt(0)
	v_mfma_f32_32x32x16_fp8_fp8 v[0:15], v[108:109], v[112:113], v[0:15]
	ds_read2_b32 v[108:109], v114 offset0:128 offset1:160
	s_waitcnt lgkmcnt(0)
	v_mfma_f32_32x32x16_fp8_fp8 v[0:15], v[106:107], v[108:109], v[0:15]
	v_add_u32_e32 v108, 0x2c00, v110
	ds_read2_b32 v[106:107], v108 offset1:32
	ds_read2_b32 v[108:109], v108 offset0:128 offset1:160
	ds_write_b32 v98, v99 offset:32812
	s_waitcnt lgkmcnt(2)
	v_mfma_f32_32x32x16_fp8_fp8 v[0:15], v[104:105], v[106:107], v[0:15]
	v_add_u32_e32 v104, s59, v97
	v_add_u32_e32 v97, 2, v111
	v_cmp_lt_i32_e32 vcc, 1, v104
	s_nop 1
	v_cndmask_b32_e32 v111, v111, v97, vcc
	v_cmp_le_i32_e32 vcc, s41, v101
	s_waitcnt lgkmcnt(1)
	v_mfma_f32_32x32x16_fp8_fp8 v[0:15], v[102:103], v[108:109], v[0:15]
	s_or_b64 s[2:3], vcc, s[2:3]
	s_andn2_b64 exec, exec, s[2:3]
	s_cbranch_execz .LBB233_34
.LBB233_13:                             ;   Parent Loop BB233_7 Depth=1
                                        ; =>  This Loop Header: Depth=2
                                        ;       Child Loop BB233_15 Depth 3
                                        ;       Child Loop BB233_18 Depth 3
                                        ;       Child Loop BB233_21 Depth 3
                                        ;       Child Loop BB233_24 Depth 3
                                        ;       Child Loop BB233_27 Depth 3
                                        ;       Child Loop BB233_30 Depth 3
                                        ;       Child Loop BB233_33 Depth 3
	v_cmp_gt_i32_e32 vcc, 2, v104
	s_nop 1
	v_cndmask_b32_e64 v97, -2, 0, vcc
	v_add_u32_e32 v97, v97, v104
	v_mul_lo_u32 v98, v97, 48
	ds_read_b32 v99, v98 offset:32768
	s_waitcnt lgkmcnt(0)
	v_cmp_ne_u32_e32 vcc, v99, v111
	s_and_saveexec_b64 s[4:5], vcc
	s_cbranch_execz .LBB233_16
; %bb.14:                               ;   in Loop: Header=BB233_13 Depth=2
	s_mov_b64 s[6:7], 0
.LBB233_15:                             ;   Parent Loop BB233_7 Depth=1
                                        ;     Parent Loop BB233_13 Depth=2
                                        ; =>    This Inner Loop Header: Depth=3
	;;#ASMSTART
	s_sleep 0
	;;#ASMEND
	ds_read_b32 v99, v98 offset:32768
	s_waitcnt lgkmcnt(0)
	v_cmp_eq_u32_e32 vcc, v99, v111
	s_or_b64 s[6:7], vcc, s[6:7]
	s_andn2_b64 exec, exec, s[6:7]
	s_cbranch_execnz .LBB233_15
.LBB233_16:                             ;   in Loop: Header=BB233_13 Depth=2
	s_or_b64 exec, exec, s[4:5]
	v_lshl_add_u32 v99, v97, 11, v116
	ds_read2_b32 v[108:109], v99 offset1:32
	ds_read2_b32 v[106:107], v99 offset0:128 offset1:160
	v_add_u32_e32 v99, 0x400, v99
	ds_read2_b32 v[104:105], v99 offset1:32
	ds_read_b32 v110, v98 offset:32772
	ds_read2_b32 v[102:103], v99 offset0:128 offset1:160
	v_add_u32_e32 v99, 1, v111
	ds_write_b32 v98, v99 offset:32768
	s_waitcnt lgkmcnt(2)
	v_cmp_ne_u32_e32 vcc, v110, v111
	s_and_saveexec_b64 s[4:5], vcc
	s_cbranch_execz .LBB233_19
; %bb.17:                               ;   in Loop: Header=BB233_13 Depth=2
	s_mov_b64 s[6:7], 0
.LBB233_18:                             ;   Parent Loop BB233_7 Depth=1
                                        ;     Parent Loop BB233_13 Depth=2
                                        ; =>    This Inner Loop Header: Depth=3
	;;#ASMSTART
	s_sleep 0
	;;#ASMEND
	ds_read_b32 v110, v98 offset:32772
	s_waitcnt lgkmcnt(0)
	v_cmp_eq_u32_e32 vcc, v110, v111
	s_or_b64 s[6:7], vcc, s[6:7]
	s_andn2_b64 exec, exec, s[6:7]
	s_cbranch_execnz .LBB233_18
.LBB233_19:                             ;   in Loop: Header=BB233_13 Depth=2
	s_or_b64 exec, exec, s[4:5]
	s_movk_i32 s4, 0x3000
	v_mul_lo_u32 v110, v97, s4
	v_or_b32_e32 v114, v117, v110
	ds_read2_b32 v[112:113], v114 offset1:32
	ds_write_b32 v98, v99 offset:32772
	s_waitcnt lgkmcnt(1)
	v_mfma_f32_32x32x16_fp8_fp8 v[80:95], v[108:109], v[112:113], v[80:95]
	ds_read2_b32 v[112:113], v114 offset0:128 offset1:160
	v_add_u32_e32 v114, 0x400, v114
	s_waitcnt lgkmcnt(0)
	v_mfma_f32_32x32x16_fp8_fp8 v[80:95], v[106:107], v[112:113], v[80:95]
	ds_read2_b32 v[112:113], v114 offset1:32
	s_waitcnt lgkmcnt(0)
	v_mfma_f32_32x32x16_fp8_fp8 v[80:95], v[104:105], v[112:113], v[80:95]
	ds_read2_b32 v[112:113], v114 offset0:128 offset1:160
	ds_read_b32 v114, v98 offset:32780
	s_waitcnt lgkmcnt(0)
	v_cmp_ne_u32_e32 vcc, v114, v111
	v_mfma_f32_32x32x16_fp8_fp8 v[80:95], v[102:103], v[112:113], v[80:95]
	s_and_saveexec_b64 s[4:5], vcc
	s_cbranch_execz .LBB233_22
; %bb.20:                               ;   in Loop: Header=BB233_13 Depth=2
	s_mov_b64 s[6:7], 0
.LBB233_21:                             ;   Parent Loop BB233_7 Depth=1
                                        ;     Parent Loop BB233_13 Depth=2
                                        ; =>    This Inner Loop Header: Depth=3
	;;#ASMSTART
	s_sleep 0
	;;#ASMEND
	ds_read_b32 v112, v98 offset:32780
	s_waitcnt lgkmcnt(0)
	v_cmp_eq_u32_e32 vcc, v112, v111
	s_or_b64 s[6:7], vcc, s[6:7]
	s_andn2_b64 exec, exec, s[6:7]
	s_cbranch_execnz .LBB233_21
.LBB233_22:                             ;   in Loop: Header=BB233_13 Depth=2
	s_or_b64 exec, exec, s[4:5]
	v_add_u32_e32 v110, v117, v110
	v_add_u32_e32 v114, 0x800, v110
	ds_read2_b32 v[112:113], v114 offset1:32
	ds_write_b32 v98, v99 offset:32780
	s_waitcnt lgkmcnt(1)
	v_mfma_f32_32x32x16_fp8_fp8 v[64:79], v[108:109], v[112:113], v[64:79]
	ds_read2_b32 v[112:113], v114 offset0:128 offset1:160
	v_add_u32_e32 v114, 0xc00, v110
	s_waitcnt lgkmcnt(0)
	v_mfma_f32_32x32x16_fp8_fp8 v[64:79], v[106:107], v[112:113], v[64:79]
	ds_read2_b32 v[112:113], v114 offset1:32
	s_waitcnt lgkmcnt(0)
	v_mfma_f32_32x32x16_fp8_fp8 v[64:79], v[104:105], v[112:113], v[64:79]
	ds_read2_b32 v[112:113], v114 offset0:128 offset1:160
	ds_read_b32 v114, v98 offset:32788
	s_waitcnt lgkmcnt(0)
	v_cmp_ne_u32_e32 vcc, v114, v111
	v_mfma_f32_32x32x16_fp8_fp8 v[64:79], v[102:103], v[112:113], v[64:79]
	s_and_saveexec_b64 s[4:5], vcc
	s_cbranch_execz .LBB233_25
; %bb.23:                               ;   in Loop: Header=BB233_13 Depth=2
	s_mov_b64 s[6:7], 0
.LBB233_24:                             ;   Parent Loop BB233_7 Depth=1
                                        ;     Parent Loop BB233_13 Depth=2
                                        ; =>    This Inner Loop Header: Depth=3
	;;#ASMSTART
	s_sleep 0
	;;#ASMEND
	ds_read_b32 v112, v98 offset:32788
	s_waitcnt lgkmcnt(0)
	v_cmp_eq_u32_e32 vcc, v112, v111
	s_or_b64 s[6:7], vcc, s[6:7]
	s_andn2_b64 exec, exec, s[6:7]
	s_cbranch_execnz .LBB233_24
.LBB233_25:                             ;   in Loop: Header=BB233_13 Depth=2
	s_or_b64 exec, exec, s[4:5]
	v_add_u32_e32 v114, 0x1000, v110
	ds_read2_b32 v[112:113], v114 offset1:32
	s_waitcnt lgkmcnt(0)
	v_mfma_f32_32x32x16_fp8_fp8 v[48:63], v[108:109], v[112:113], v[48:63]
	ds_read2_b32 v[112:113], v114 offset0:128 offset1:160
	v_add_u32_e32 v114, 0x1400, v110
	s_waitcnt lgkmcnt(0)
	v_mfma_f32_32x32x16_fp8_fp8 v[48:63], v[106:107], v[112:113], v[48:63]
	ds_read2_b32 v[112:113], v114 offset1:32
	s_waitcnt lgkmcnt(0)
	v_mfma_f32_32x32x16_fp8_fp8 v[48:63], v[104:105], v[112:113], v[48:63]
	ds_read_b32 v115, v98 offset:32796
	ds_read2_b32 v[112:113], v114 offset0:128 offset1:160
	ds_write_b32 v98, v99 offset:32788
	s_waitcnt lgkmcnt(2)
	v_cmp_ne_u32_e32 vcc, v115, v111
	s_waitcnt lgkmcnt(1)
	v_mfma_f32_32x32x16_fp8_fp8 v[48:63], v[102:103], v[112:113], v[48:63]
	s_and_saveexec_b64 s[4:5], vcc
	s_cbranch_execz .LBB233_28
; %bb.26:                               ;   in Loop: Header=BB233_13 Depth=2
	s_mov_b64 s[6:7], 0
.LBB233_27:                             ;   Parent Loop BB233_7 Depth=1
                                        ;     Parent Loop BB233_13 Depth=2
                                        ; =>    This Inner Loop Header: Depth=3
	;;#ASMSTART
	s_sleep 0
	;;#ASMEND
	ds_read_b32 v112, v98 offset:32796
	s_waitcnt lgkmcnt(0)
	v_cmp_eq_u32_e32 vcc, v112, v111
	s_or_b64 s[6:7], vcc, s[6:7]
	s_andn2_b64 exec, exec, s[6:7]
	s_cbranch_execnz .LBB233_27
.LBB233_28:                             ;   in Loop: Header=BB233_13 Depth=2
	s_or_b64 exec, exec, s[4:5]
	v_add_u32_e32 v114, 0x1800, v110
	ds_read2_b32 v[112:113], v114 offset1:32
	s_waitcnt lgkmcnt(0)
	v_mfma_f32_32x32x16_fp8_fp8 v[32:47], v[108:109], v[112:113], v[32:47]
	ds_read2_b32 v[112:113], v114 offset0:128 offset1:160
	v_add_u32_e32 v114, 0x1c00, v110
	s_waitcnt lgkmcnt(0)
	v_mfma_f32_32x32x16_fp8_fp8 v[32:47], v[106:107], v[112:113], v[32:47]
	ds_read2_b32 v[112:113], v114 offset1:32
	s_waitcnt lgkmcnt(0)
	v_mfma_f32_32x32x16_fp8_fp8 v[32:47], v[104:105], v[112:113], v[32:47]
	ds_read_b32 v115, v98 offset:32804
	ds_read2_b32 v[112:113], v114 offset0:128 offset1:160
	ds_write_b32 v98, v99 offset:32796
	s_waitcnt lgkmcnt(2)
	v_cmp_ne_u32_e32 vcc, v115, v111
	s_waitcnt lgkmcnt(1)
	;; [unrolled: 36-line block ×3, first 2 shown]
	v_mfma_f32_32x32x16_fp8_fp8 v[16:31], v[102:103], v[112:113], v[16:31]
	s_and_saveexec_b64 s[4:5], vcc
	s_cbranch_execz .LBB233_12
; %bb.32:                               ;   in Loop: Header=BB233_13 Depth=2
	s_mov_b64 s[6:7], 0
.LBB233_33:                             ;   Parent Loop BB233_7 Depth=1
                                        ;     Parent Loop BB233_13 Depth=2
                                        ; =>    This Inner Loop Header: Depth=3
	;;#ASMSTART
	s_sleep 0
	;;#ASMEND
	ds_read_b32 v112, v98 offset:32812
	s_waitcnt lgkmcnt(0)
	v_cmp_eq_u32_e32 vcc, v112, v111
	s_or_b64 s[6:7], vcc, s[6:7]
	s_andn2_b64 exec, exec, s[6:7]
	s_cbranch_execnz .LBB233_33
	s_branch .LBB233_12
.LBB233_34:                             ;   in Loop: Header=BB233_7 Depth=1
	s_or_b64 exec, exec, s[2:3]
.LBB233_35:                             ;   in Loop: Header=BB233_7 Depth=1
	v_writelane_b32 v126, s48, 34
	s_nop 1
	v_writelane_b32 v126, s49, 35
	v_writelane_b32 v126, s46, 36
	s_nop 1
	v_writelane_b32 v126, s47, 37
	;; [unrolled: 3-line block ×4, first 2 shown]
	v_writelane_b32 v126, s41, 42
	v_writelane_b32 v126, s40, 43
	;; [unrolled: 1-line block ×3, first 2 shown]
	s_or_b64 exec, exec, s[0:1]
	v_cmp_le_i32_e32 vcc, s8, v100
	v_or_b32_e32 v97, 32, v100
	scratch_store_dwordx2 off, v[118:119], off ; 8-byte Folded Spill
	s_waitcnt vmcnt(1)
	v_cndmask_b32_e32 v98, 0, v96, vcc
	v_cmp_le_i32_e32 vcc, s8, v97
	v_or_b32_e32 v97, 64, v100
	v_pk_mul_f32 v[112:113], v[98:99], v[94:95] op_sel_hi:[0,1]
	v_pk_mul_f32 v[92:93], v[98:99], v[92:93] op_sel_hi:[0,1]
	v_pk_mul_f32 v[90:91], v[98:99], v[90:91] op_sel_hi:[0,1]
	v_pk_mul_f32 v[88:89], v[98:99], v[88:89] op_sel_hi:[0,1]
	v_pk_mul_f32 v[86:87], v[98:99], v[86:87] op_sel_hi:[0,1]
	v_pk_mul_f32 v[84:85], v[98:99], v[84:85] op_sel_hi:[0,1]
	v_pk_mul_f32 v[82:83], v[98:99], v[82:83] op_sel_hi:[0,1]
	v_pk_mul_f32 v[80:81], v[98:99], v[80:81] op_sel_hi:[0,1]
	v_cndmask_b32_e32 v98, 0, v96, vcc
	v_cmp_le_i32_e32 vcc, s8, v97
	v_or_b32_e32 v97, 0x60, v100
	v_pk_mul_f32 v[102:103], v[98:99], v[66:67] op_sel_hi:[0,1]
	v_cndmask_b32_e32 v66, 0, v96, vcc
	v_cmp_le_i32_e32 vcc, s8, v97
	v_or_b32_e32 v97, 0x80, v100
	v_pk_mul_f32 v[116:117], v[66:67], v[48:49] op_sel_hi:[0,1]
	v_cndmask_b32_e32 v48, 0, v96, vcc
	v_cmp_le_i32_e32 vcc, s8, v97
	v_or_b32_e32 v97, 0xa0, v100
	scratch_load_dword v100, off, off offset:48 ; 4-byte Folded Reload
	scratch_load_dword v118, off, off offset:56 ; 4-byte Folded Reload
	v_pk_mul_f32 v[46:47], v[48:49], v[46:47] op_sel_hi:[0,1]
	v_pk_mul_f32 v[44:45], v[48:49], v[44:45] op_sel_hi:[0,1]
	;; [unrolled: 1-line block ×8, first 2 shown]
	v_cndmask_b32_e32 v48, 0, v96, vcc
	v_cmp_le_i32_e32 vcc, s8, v97
	v_pk_mul_f32 v[30:31], v[48:49], v[30:31] op_sel_hi:[0,1]
	v_pk_mul_f32 v[28:29], v[48:49], v[28:29] op_sel_hi:[0,1]
	;; [unrolled: 1-line block ×8, first 2 shown]
	v_cndmask_b32_e32 v48, 0, v96, vcc
	v_pk_mul_f32 v[14:15], v[48:49], v[14:15] op_sel_hi:[0,1]
	v_pk_mul_f32 v[12:13], v[48:49], v[12:13] op_sel_hi:[0,1]
	;; [unrolled: 1-line block ×22, first 2 shown]
                                        ; implicit-def: $vgpr127 : SGPR spill to VGPR lane
	s_waitcnt vmcnt(1)
	v_cmp_eq_u32_e64 s[6:7], 1, v100
	s_nop 1
	v_cndmask_b32_e64 v48, v80, v81, s[6:7]
	v_cmp_eq_u32_e64 s[40:41], 2, v100
	v_cmp_eq_u32_e64 s[42:43], 3, v100
	v_cmp_eq_u32_e32 vcc, 4, v100
	v_cndmask_b32_e64 v48, v48, v82, s[40:41]
	v_cndmask_b32_e64 v48, v48, v83, s[42:43]
	v_cndmask_b32_e32 v48, v48, v84, vcc
	v_cmp_eq_u32_e64 s[0:1], 5, v100
	v_cmp_eq_u32_e64 s[2:3], 6, v100
	v_cmp_eq_u32_e64 s[30:31], 7, v100
	v_cndmask_b32_e64 v48, v48, v85, s[0:1]
	v_cndmask_b32_e64 v48, v48, v86, s[2:3]
	v_cndmask_b32_e64 v48, v48, v87, s[30:31]
	v_cmp_eq_u32_e64 s[26:27], 8, v100
	v_cmp_eq_u32_e64 s[24:25], 9, v100
	v_cmp_eq_u32_e64 s[22:23], 10, v100
	v_cndmask_b32_e64 v48, v48, v88, s[26:27]
	v_cndmask_b32_e64 v48, v48, v89, s[24:25]
	v_cndmask_b32_e64 v48, v48, v90, s[22:23]
	;; [unrolled: 6-line block ×3, first 2 shown]
	v_cmp_eq_u32_e64 s[12:13], 14, v100
	v_cmp_eq_u32_e64 s[10:11], 15, v100
	;; [unrolled: 1-line block ×3, first 2 shown]
	v_cndmask_b32_e64 v48, v48, v112, s[12:13]
	v_cndmask_b32_e64 v48, v48, v113, s[10:11]
	ds_bpermute_b32 v48, v120, v48
	s_waitcnt vmcnt(0)
	v_cmp_eq_u32_e64 s[44:45], 1, v118
	v_cmp_eq_u32_e64 s[8:9], 3, v118
	s_waitcnt lgkmcnt(0)
	v_cndmask_b32_e64 v75, v87, v48, s[30:31]
	scratch_load_dword v87, off, off offset:52 ; 4-byte Folded Reload
	v_cndmask_b32_e64 v81, v81, v48, s[6:7]
	v_cndmask_b32_e64 v80, v80, v48, s[46:47]
	;; [unrolled: 1-line block ×12, first 2 shown]
	v_cndmask_b32_e32 v84, v84, v48, vcc
	v_cndmask_b32_e64 v83, v83, v48, s[42:43]
	v_cndmask_b32_e64 v82, v82, v48, s[40:41]
	s_waitcnt vmcnt(0)
	v_cmp_eq_u32_e64 s[4:5], 1, v87
	s_nop 1
	v_cndmask_b32_e64 v48, v80, v81, s[4:5]
	v_cmp_eq_u32_e64 s[28:29], 2, v87
	v_cmp_eq_u32_e64 s[34:35], 3, v87
	v_cmp_eq_u32_e64 s[36:37], 4, v87
	v_cndmask_b32_e64 v48, v48, v82, s[28:29]
	v_cndmask_b32_e64 v48, v48, v83, s[34:35]
	v_cndmask_b32_e64 v48, v48, v84, s[36:37]
	v_cmp_eq_u32_e64 s[38:39], 5, v87
	v_cmp_eq_u32_e64 s[48:49], 6, v87
	v_cmp_eq_u32_e64 s[52:53], 7, v87
	v_cndmask_b32_e64 v48, v48, v85, s[38:39]
	v_cndmask_b32_e64 v48, v48, v77, s[48:49]
	;; [unrolled: 6-line block ×5, first 2 shown]
	ds_bpermute_b32 v86, v120, v48
	s_waitcnt lgkmcnt(0)
	v_cndmask_b32_e64 v121, v50, v86, s[80:81]
	v_cndmask_b32_e64 v50, v94, v95, s[6:7]
	;; [unrolled: 1-line block ×4, first 2 shown]
	v_cndmask_b32_e32 v50, v50, v114, vcc
	v_cndmask_b32_e64 v50, v50, v115, s[0:1]
	v_cndmask_b32_e64 v50, v50, v70, s[2:3]
	;; [unrolled: 1-line block ×13, first 2 shown]
	ds_bpermute_b32 v82, v120, v50
	v_cndmask_b32_e64 v76, v74, v86, s[56:57]
	v_cndmask_b32_e64 v74, v75, v86, s[52:53]
	;; [unrolled: 1-line block ×4, first 2 shown]
	s_waitcnt lgkmcnt(0)
	v_cndmask_b32_e64 v112, v70, v82, s[2:3]
	v_cndmask_b32_e64 v70, v116, v117, s[6:7]
	;; [unrolled: 1-line block ×4, first 2 shown]
	v_cndmask_b32_e32 v70, v70, v52, vcc
	v_cndmask_b32_e64 v70, v70, v53, s[0:1]
	v_cndmask_b32_e64 v70, v70, v54, s[2:3]
	;; [unrolled: 1-line block ×11, first 2 shown]
	ds_bpermute_b32 v70, v120, v70
	v_cndmask_b32_e64 v77, v107, v82, s[14:15]
	v_cndmask_b32_e64 v107, v108, v82, s[22:23]
	;; [unrolled: 1-line block ×4, first 2 shown]
	s_waitcnt lgkmcnt(0)
	v_cndmask_b32_e32 v96, v52, v70, vcc
	v_cndmask_b32_e64 v52, v32, v33, s[6:7]
	v_cndmask_b32_e64 v52, v52, v34, s[40:41]
	;; [unrolled: 1-line block ×3, first 2 shown]
	v_cndmask_b32_e32 v52, v52, v36, vcc
	v_cndmask_b32_e64 v52, v52, v37, s[0:1]
	v_cndmask_b32_e64 v52, v52, v38, s[2:3]
	v_cndmask_b32_e64 v52, v52, v39, s[30:31]
	v_cndmask_b32_e64 v52, v52, v40, s[26:27]
	v_cndmask_b32_e64 v52, v52, v41, s[24:25]
	v_cndmask_b32_e64 v52, v52, v42, s[22:23]
	v_cndmask_b32_e64 v52, v52, v43, s[20:21]
	v_cndmask_b32_e64 v52, v52, v44, s[18:19]
	v_cndmask_b32_e64 v52, v52, v45, s[14:15]
	v_cndmask_b32_e64 v52, v52, v46, s[12:13]
	v_cndmask_b32_e64 v52, v52, v47, s[10:11]
	v_cndmask_b32_e64 v93, v59, v70, s[20:21]
	ds_bpermute_b32 v59, v120, v52
	v_cndmask_b32_e64 v125, v67, v86, s[68:69]
	v_cndmask_b32_e64 v66, v68, v86, s[64:65]
	;; [unrolled: 1-line block ×4, first 2 shown]
	s_waitcnt lgkmcnt(0)
	v_cndmask_b32_e64 v73, v33, v59, s[6:7]
	scratch_load_dword v33, off, off offset:60 ; 4-byte Folded Reload
	v_cndmask_b32_e64 v69, v84, v86, s[36:37]
	v_cndmask_b32_e64 v48, v83, v86, s[34:35]
	;; [unrolled: 1-line block ×11, first 2 shown]
	v_cndmask_b32_e32 v114, v114, v82, vcc
	v_cndmask_b32_e64 v85, v103, v82, s[42:43]
	v_cndmask_b32_e64 v86, v102, v82, s[40:41]
	;; [unrolled: 1-line block ×8, first 2 shown]
	v_cndmask_b32_e32 v35, v35, v20, vcc
	v_cndmask_b32_e64 v35, v35, v21, s[0:1]
	v_cndmask_b32_e64 v35, v35, v22, s[2:3]
	;; [unrolled: 1-line block ×11, first 2 shown]
	ds_bpermute_b32 v35, v120, v35
	v_cndmask_b32_e64 v102, v117, v70, s[6:7]
	v_cndmask_b32_e64 v72, v32, v59, s[46:47]
	v_cndmask_b32_e64 v32, v50, v51, s[44:45]
	v_cndmask_b32_e64 v89, v63, v70, s[10:11]
	s_waitcnt lgkmcnt(0)
	v_cndmask_b32_e64 v80, v16, v35, s[46:47]
	v_cndmask_b32_e64 v16, v0, v1, s[6:7]
	;; [unrolled: 1-line block ×4, first 2 shown]
	v_cndmask_b32_e32 v16, v16, v4, vcc
	v_cndmask_b32_e64 v16, v16, v5, s[0:1]
	v_cndmask_b32_e64 v16, v16, v6, s[2:3]
	v_cndmask_b32_e64 v16, v16, v7, s[30:31]
	v_cndmask_b32_e64 v16, v16, v8, s[26:27]
	v_cndmask_b32_e64 v16, v16, v9, s[24:25]
	v_cndmask_b32_e64 v16, v16, v10, s[22:23]
	v_cndmask_b32_e64 v16, v16, v11, s[20:21]
	v_cndmask_b32_e64 v16, v16, v12, s[18:19]
	v_cndmask_b32_e64 v16, v16, v13, s[14:15]
	v_cndmask_b32_e64 v16, v16, v14, s[12:13]
	v_cndmask_b32_e64 v16, v16, v15, s[10:11]
	ds_bpermute_b32 v16, v120, v16
	v_cndmask_b32_e64 v17, v17, v35, s[6:7]
	v_cmp_eq_u32_e64 s[6:7], 2, v118
	scratch_store_dword off, v17, off offset:28 ; 4-byte Folded Spill
	v_cndmask_b32_e64 v47, v47, v59, s[10:11]
	v_cndmask_b32_e64 v17, v32, v49, s[6:7]
	;; [unrolled: 1-line block ×4, first 2 shown]
	s_waitcnt lgkmcnt(0)
	v_cndmask_b32_e64 v15, v15, v16, s[10:11]
	v_cmp_eq_u32_e64 s[10:11], 4, v118
	v_cndmask_b32_e64 v90, v62, v70, s[12:13]
	v_cndmask_b32_e64 v46, v46, v59, s[12:13]
	;; [unrolled: 1-line block ×6, first 2 shown]
	v_cmp_eq_u32_e64 s[12:13], 5, v118
	v_cndmask_b32_e64 v91, v61, v70, s[14:15]
	v_cndmask_b32_e64 v45, v45, v59, s[14:15]
	scratch_store_dword off, v37, off offset:8 ; 4-byte Folded Spill
	v_cndmask_b32_e64 v37, v29, v35, s[14:15]
	v_cndmask_b32_e64 v17, v17, v68, s[12:13]
	;; [unrolled: 1-line block ×3, first 2 shown]
	v_cmp_eq_u32_e64 s[14:15], 6, v118
	v_cndmask_b32_e64 v92, v60, v70, s[18:19]
	v_cndmask_b32_e64 v99, v64, v70, s[40:41]
	;; [unrolled: 1-line block ×7, first 2 shown]
	v_cmp_eq_u32_e64 s[18:19], 7, v118
	v_cndmask_b32_e64 v95, v57, v70, s[24:25]
	v_cndmask_b32_e64 v57, v43, v59, s[20:21]
	;; [unrolled: 1-line block ×5, first 2 shown]
	v_cmp_eq_u32_e64 s[20:21], 8, v118
	v_cndmask_b32_e64 v94, v58, v70, s[22:23]
	v_cndmask_b32_e64 v58, v42, v59, s[22:23]
	;; [unrolled: 1-line block ×5, first 2 shown]
	v_cmp_eq_u32_e64 s[22:23], 9, v118
	v_cndmask_b32_e64 v52, v41, v59, s[24:25]
	v_cndmask_b32_e64 v60, v40, v59, s[26:27]
	;; [unrolled: 1-line block ×3, first 2 shown]
	v_cndmask_b32_e32 v36, v36, v59, vcc
	v_cndmask_b32_e64 v81, v34, v59, s[40:41]
	v_cndmask_b32_e64 v59, v25, v35, s[24:25]
	;; [unrolled: 1-line block ×4, first 2 shown]
	v_cmp_eq_u32_e64 s[24:25], 10, v118
	v_cndmask_b32_e64 v56, v56, v70, s[26:27]
	v_cndmask_b32_e64 v61, v24, v35, s[26:27]
	;; [unrolled: 1-line block ×4, first 2 shown]
	v_cmp_eq_u32_e64 s[26:27], 11, v118
	v_cndmask_b32_e64 v55, v55, v70, s[30:31]
	v_cndmask_b32_e64 v103, v116, v70, s[46:47]
	;; [unrolled: 1-line block ×5, first 2 shown]
	v_cmp_eq_u32_e64 s[30:31], 12, v118
	v_cndmask_b32_e64 v54, v54, v70, s[2:3]
	v_cndmask_b32_e64 v63, v22, v35, s[2:3]
	;; [unrolled: 1-line block ×4, first 2 shown]
	v_cmp_eq_u32_e64 s[2:3], 13, v118
	v_cndmask_b32_e64 v53, v53, v70, s[0:1]
	v_cndmask_b32_e64 v97, v65, v70, s[42:43]
	;; [unrolled: 1-line block ×5, first 2 shown]
	v_cmp_eq_u32_e64 s[0:1], 14, v118
	v_cndmask_b32_e32 v20, v20, v35, vcc
	v_cndmask_b32_e32 v4, v4, v16, vcc
	v_cndmask_b32_e64 v6, v6, v121, s[0:1]
	v_cmp_eq_u32_e32 vcc, 15, v118
	v_cndmask_b32_e64 v19, v19, v35, s[42:43]
	v_cndmask_b32_e64 v18, v18, v35, s[40:41]
	v_cndmask_b32_e32 v6, v6, v98, vcc
	ds_bpermute_b32 v7, v120, v6
	v_cndmask_b32_e64 v6, v3, v16, s[42:43]
	v_cmp_eq_u32_e64 s[42:43], 0, v118
	s_waitcnt vmcnt(2)
	v_cmp_eq_u32_e64 s[58:59], 1, v33
	v_cndmask_b32_e64 v71, v0, v16, s[46:47]
	s_waitcnt lgkmcnt(0)
	v_cndmask_b32_e32 v8, v98, v7, vcc
	v_cndmask_b32_e64 v27, v51, v7, s[44:45]
	v_writelane_b32 v126, s42, 45
	v_cndmask_b32_e64 v98, v2, v16, s[40:41]
	v_cmp_ne_u32_e64 s[40:41], 0, v100
	v_cndmask_b32_e64 v32, v50, v7, s[42:43]
	v_cndmask_b32_e64 v26, v49, v7, s[6:7]
	;; [unrolled: 1-line block ×4, first 2 shown]
	v_cmp_eq_u32_e64 s[40:41], 2, v33
	v_cndmask_b32_e64 v25, v48, v7, s[8:9]
	v_cmp_eq_u32_e64 s[46:47], 3, v33
	v_cndmask_b32_e64 v0, v1, v26, s[40:41]
	v_cndmask_b32_e64 v24, v69, v7, s[10:11]
	;; [unrolled: 1-line block ×3, first 2 shown]
	v_cmp_eq_u32_e64 s[50:51], 4, v33
	v_cndmask_b32_e64 v23, v68, v7, s[12:13]
	v_cmp_eq_u32_e64 s[54:55], 5, v33
	v_cndmask_b32_e64 v0, v0, v24, s[50:51]
	v_cndmask_b32_e64 v22, v75, v7, s[14:15]
	v_cndmask_b32_e64 v0, v0, v23, s[54:55]
	v_cmp_eq_u32_e64 s[62:63], 6, v33
	v_cndmask_b32_e64 v21, v74, v7, s[18:19]
	v_cmp_eq_u32_e64 s[66:67], 7, v33
	v_cndmask_b32_e64 v0, v0, v22, s[62:63]
	scratch_store_dword off, v20, off offset:16 ; 4-byte Folded Spill
	v_cndmask_b32_e64 v20, v76, v7, s[20:21]
	v_cndmask_b32_e64 v0, v0, v21, s[66:67]
	v_cmp_eq_u32_e64 s[70:71], 8, v33
	scratch_store_dword off, v19, off offset:20 ; 4-byte Folded Spill
	v_cndmask_b32_e64 v19, v67, v7, s[22:23]
	v_cndmask_b32_e64 v0, v0, v20, s[70:71]
	v_cmp_eq_u32_e64 s[74:75], 9, v33
	scratch_store_dword off, v18, off offset:24 ; 4-byte Folded Spill
	v_cndmask_b32_e64 v18, v66, v7, s[24:25]
	v_cndmask_b32_e64 v0, v0, v19, s[74:75]
	v_cmp_eq_u32_e64 s[78:79], 10, v33
	v_cndmask_b32_e64 v17, v125, v7, s[26:27]
	v_cmp_eq_u32_e64 s[82:83], 11, v33
	v_cndmask_b32_e64 v0, v0, v18, s[78:79]
	v_cndmask_b32_e64 v11, v123, v7, s[30:31]
	;; [unrolled: 1-line block ×3, first 2 shown]
	v_cmp_eq_u32_e64 s[86:87], 12, v33
	v_cndmask_b32_e64 v10, v122, v7, s[2:3]
	s_mov_b64 s[96:97], s[40:41]
	v_cndmask_b32_e64 v0, v0, v11, s[86:87]
	v_cmp_eq_u32_e64 s[40:41], 13, v33
	v_cndmask_b32_e64 v9, v121, v7, s[0:1]
	v_writelane_b32 v126, s43, 46
	v_cndmask_b32_e64 v0, v0, v10, s[40:41]
	v_cmp_eq_u32_e64 s[42:43], 14, v33
	v_cmp_eq_u32_e64 s[98:99], 15, v33
	v_writelane_b32 v126, s96, 47
	v_cndmask_b32_e64 v0, v0, v9, s[42:43]
	v_cndmask_b32_e64 v0, v0, v8, s[98:99]
	ds_bpermute_b32 v16, v120, v0
	v_writelane_b32 v126, s97, 48
	scratch_store_dword off, v36, off offset:12 ; 4-byte Folded Spill
	s_waitcnt lgkmcnt(0)
	v_cndmask_b32_e64 v2, v9, v16, s[42:43]
	v_cndmask_b32_e64 v9, v17, v16, s[82:83]
	v_cndmask_b32_e64 v17, v88, v87, s[4:5]
	v_cndmask_b32_e64 v50, v26, v16, s[96:97]
	v_cmp_eq_u32_e64 s[96:97], 0, v33
	v_cndmask_b32_e64 v1, v8, v16, s[98:99]
	v_cndmask_b32_e64 v7, v10, v16, s[40:41]
	;; [unrolled: 1-line block ×13, first 2 shown]
	v_writelane_b32 v126, s96, 49
	v_cndmask_b32_e64 v17, v17, v85, s[34:35]
	v_cndmask_b32_e64 v17, v17, v114, s[36:37]
	;; [unrolled: 1-line block ×28, first 2 shown]
	ds_bpermute_b32 v18, v120, v17
	v_cndmask_b32_e64 v16, v16, v89, s[84:85]
	ds_bpermute_b32 v42, v120, v16
	v_writelane_b32 v126, s97, 50
	s_waitcnt lgkmcnt(1)
	v_cndmask_b32_e64 v121, v88, v18, s[16:17]
	scratch_load_dword v88, off, off offset:12 ; 4-byte Folded Reload
	s_waitcnt lgkmcnt(0)
	v_cndmask_b32_e64 v122, v89, v42, s[84:85]
	v_cndmask_b32_e64 v32, v90, v42, s[80:81]
	;; [unrolled: 1-line block ×5, first 2 shown]
	scratch_load_dword v89, off, off offset:28 ; 4-byte Folded Reload
	scratch_load_dword v90, off, off offset:24 ; 4-byte Folded Reload
	;; [unrolled: 1-line block ×5, first 2 shown]
	v_cndmask_b32_e64 v21, v53, v42, s[38:39]
	v_cndmask_b32_e64 v53, v72, v73, s[4:5]
	;; [unrolled: 1-line block ×29, first 2 shown]
	s_waitcnt vmcnt(5)
	v_cndmask_b32_e64 v53, v53, v88, s[36:37]
	s_waitcnt vmcnt(0)
	v_cndmask_b32_e64 v53, v53, v93, s[38:39]
	v_cndmask_b32_e64 v53, v53, v64, s[48:49]
	;; [unrolled: 1-line block ×11, first 2 shown]
	ds_bpermute_b32 v85, v120, v53
	v_cndmask_b32_e64 v53, v80, v89, s[4:5]
	v_cndmask_b32_e64 v53, v53, v90, s[28:29]
	;; [unrolled: 1-line block ×15, first 2 shown]
	ds_bpermute_b32 v86, v120, v53
	v_cndmask_b32_e64 v53, v71, v3, s[4:5]
	v_cndmask_b32_e64 v53, v53, v98, s[28:29]
	;; [unrolled: 1-line block ×15, first 2 shown]
	ds_bpermute_b32 v87, v120, v53
	s_waitcnt lgkmcnt(1)
	v_cndmask_b32_e64 v55, v37, v86, s[76:77]
	v_cndmask_b32_e64 v56, v38, v86, s[72:73]
	;; [unrolled: 1-line block ×4, first 2 shown]
	s_waitcnt lgkmcnt(0)
	v_cndmask_b32_e64 v107, v13, v87, s[76:77]
	scratch_load_dword v13, off, off offset:64 ; 4-byte Folded Reload
	v_cndmask_b32_e64 v114, v116, v87, s[52:53]
	v_cndmask_b32_e64 v64, v65, v86, s[38:39]
	v_cndmask_b32_e64 v116, v5, v87, s[38:39]
	v_cndmask_b32_e64 v108, v12, v87, s[72:73]
	v_cndmask_b32_e64 v97, v81, v85, s[28:29]
	v_cndmask_b32_e64 v102, v90, v86, s[28:29]
	v_cndmask_b32_e64 v118, v98, v87, s[28:29]
	v_cndmask_b32_e64 v63, v63, v86, s[48:49]
	v_cndmask_b32_e64 v115, v115, v87, s[48:49]
	v_cndmask_b32_e64 v39, v39, v85, s[52:53]
	v_cndmask_b32_e64 v62, v62, v86, s[52:53]
	v_cndmask_b32_e64 v60, v60, v85, s[56:57]
	v_cndmask_b32_e64 v61, v61, v86, s[56:57]
	v_cndmask_b32_e64 v113, v117, v87, s[56:57]
	v_cndmask_b32_e64 v53, v31, v86, s[84:85]
	v_cndmask_b32_e64 v31, v46, v85, s[80:81]
	v_cndmask_b32_e64 v46, v58, v85, s[64:65]
	v_cndmask_b32_e64 v58, v83, v86, s[64:65]
	v_cndmask_b32_e64 v110, v28, v87, s[64:65]
	v_cndmask_b32_e64 v54, v30, v86, s[80:81]
	v_cndmask_b32_e64 v30, v45, v85, s[76:77]
	v_cndmask_b32_e64 v45, v57, v85, s[68:69]
	v_cndmask_b32_e64 v57, v84, v86, s[68:69]
	v_cndmask_b32_e64 v109, v119, v87, s[68:69]
	v_cndmask_b32_e64 v44, v44, v85, s[72:73]
	v_cndmask_b32_e64 v106, v14, v87, s[80:81]
	v_cndmask_b32_e64 v5, v88, v85, s[36:37]
	v_cndmask_b32_e64 v65, v92, v86, s[36:37]
	v_cndmask_b32_e64 v117, v4, v87, s[36:37]
	v_cndmask_b32_e64 v100, v6, v87, s[34:35]
	v_cndmask_b32_e64 v119, v3, v87, s[4:5]
	v_cndmask_b32_e64 v96, v72, v85, s[16:17]
	v_cndmask_b32_e64 v3, v80, v86, s[16:17]
	v_cndmask_b32_e64 v6, v71, v87, s[16:17]
	v_cndmask_b32_e64 v4, v82, v85, s[34:35]
	v_cndmask_b32_e64 v99, v91, v86, s[34:35]
	v_cndmask_b32_e64 v98, v73, v85, s[4:5]
	v_cndmask_b32_e64 v103, v89, v86, s[4:5]
	v_cndmask_b32_e64 v47, v47, v85, s[84:85]
	v_cndmask_b32_e64 v105, v15, v87, s[84:85]
	v_readlane_b32 s84, v126, 45
	v_cndmask_b32_e64 v52, v52, v85, s[60:61]
	v_cndmask_b32_e64 v59, v59, v86, s[60:61]
	;; [unrolled: 1-line block ×3, first 2 shown]
	v_readlane_b32 s85, v126, 46
	s_waitcnt vmcnt(0)
	v_cmp_eq_u32_e64 s[38:39], 1, v13
	s_nop 1
	v_cndmask_b32_e64 v12, v74, v51, s[38:39]
	v_cmp_eq_u32_e64 s[28:29], 2, v13
	v_cmp_eq_u32_e64 s[48:49], 3, v13
	v_cmp_eq_u32_e64 s[52:53], 4, v13
	v_cndmask_b32_e64 v12, v12, v50, s[28:29]
	v_cndmask_b32_e64 v12, v12, v49, s[48:49]
	v_cndmask_b32_e64 v12, v12, v48, s[52:53]
	v_cmp_eq_u32_e64 s[56:57], 5, v13
	v_cmp_eq_u32_e64 s[64:65], 6, v13
	v_cmp_eq_u32_e64 s[68:69], 7, v13
	v_cndmask_b32_e64 v12, v12, v68, s[56:57]
	v_cndmask_b32_e64 v12, v12, v70, s[64:65]
	;; [unrolled: 6-line block ×5, first 2 shown]
	ds_bpermute_b32 v12, v120, v12
	s_waitcnt lgkmcnt(0)
	v_cndmask_b32_e64 v81, v1, v12, s[4:5]
	v_cndmask_b32_e64 v1, v42, v41, s[44:45]
	;; [unrolled: 1-line block ×15, first 2 shown]
	v_cndmask_b32_e32 v1, v1, v122, vcc
	ds_bpermute_b32 v1, v120, v1
	v_cndmask_b32_e64 v90, v0, v12, s[72:73]
	v_cndmask_b32_e64 v0, v121, v27, s[44:45]
	v_cndmask_b32_e64 v0, v0, v26, s[6:7]
	v_cndmask_b32_e64 v0, v0, v25, s[8:9]
	s_waitcnt lgkmcnt(0)
	v_cndmask_b32_e64 v14, v35, v1, s[30:31]
	scratch_load_dword v35, off, off offset:68 ; 4-byte Folded Reload
	v_cndmask_b32_e64 v0, v0, v43, s[10:11]
	v_cndmask_b32_e64 v0, v0, v24, s[12:13]
	;; [unrolled: 1-line block ×11, first 2 shown]
	v_cndmask_b32_e32 v0, v0, v75, vcc
	ds_bpermute_b32 v0, v120, v0
	v_cndmask_b32_e64 v87, v9, v12, s[36:37]
	v_cndmask_b32_e64 v88, v10, v12, s[80:81]
	v_cndmask_b32_e64 v91, v69, v12, s[68:69]
	v_cndmask_b32_e64 v92, v70, v12, s[64:65]
	v_cndmask_b32_e64 v93, v68, v12, s[56:57]
	v_cndmask_b32_e64 v80, v74, v12, s[60:61]
	s_waitcnt lgkmcnt(0)
	v_cndmask_b32_e32 v68, v75, v0, vcc
	v_cndmask_b32_e64 v69, v76, v0, s[0:1]
	v_cndmask_b32_e64 v70, v77, v0, s[2:3]
	;; [unrolled: 1-line block ×29, first 2 shown]
	v_cndmask_b32_e32 v0, v0, v47, vcc
	v_cndmask_b32_e64 v82, v2, v12, s[96:97]
	v_cndmask_b32_e64 v83, v7, v12, s[34:35]
	v_cndmask_b32_e64 v84, v8, v12, s[16:17]
	v_cndmask_b32_e64 v89, v11, v12, s[76:77]
	v_cndmask_b32_e64 v94, v48, v12, s[52:53]
	v_cndmask_b32_e64 v95, v49, v12, s[48:49]
	v_cndmask_b32_e64 v85, v50, v12, s[28:29]
	v_cndmask_b32_e64 v86, v51, v12, s[38:39]
	v_cndmask_b32_e32 v11, v122, v1, vcc
	v_cndmask_b32_e64 v12, v32, v1, s[0:1]
	v_cndmask_b32_e64 v13, v33, v1, s[2:3]
	;; [unrolled: 1-line block ×14, first 2 shown]
	ds_bpermute_b32 v1, v120, v0
	v_cndmask_b32_e64 v0, v3, v103, s[44:45]
	v_cndmask_b32_e64 v0, v0, v102, s[6:7]
	;; [unrolled: 1-line block ×14, first 2 shown]
	v_cndmask_b32_e32 v0, v0, v53, vcc
	ds_bpermute_b32 v32, v120, v0
	v_cndmask_b32_e64 v0, v6, v119, s[44:45]
	v_cndmask_b32_e64 v0, v0, v118, s[6:7]
	;; [unrolled: 1-line block ×14, first 2 shown]
	v_cndmask_b32_e32 v0, v0, v105, vcc
	ds_bpermute_b32 v33, v120, v0
	s_waitcnt lgkmcnt(2)
	v_cndmask_b32_e64 v28, v31, v1, s[0:1]
	s_waitcnt lgkmcnt(1)
	v_cndmask_b32_e64 v41, v54, v32, s[0:1]
	v_cndmask_b32_e32 v27, v47, v1, vcc
	v_cndmask_b32_e64 v29, v30, v1, s[2:3]
	s_waitcnt lgkmcnt(0)
	v_cndmask_b32_e64 v54, v106, v33, s[0:1]
	s_waitcnt vmcnt(0)
	v_cmp_eq_u32_e64 s[0:1], 1, v35
	v_cndmask_b32_e64 v42, v55, v32, s[2:3]
	v_cndmask_b32_e64 v55, v107, v33, s[2:3]
	;; [unrolled: 1-line block ×9, first 2 shown]
	s_mov_b64 s[2:3], s[84:85]
	v_cndmask_b32_e64 v34, v80, v86, s[0:1]
	s_mov_b64 s[10:11], s[0:1]
	v_cmp_eq_u32_e64 s[0:1], 2, v35
	v_cndmask_b32_e32 v40, v53, v32, vcc
	v_cndmask_b32_e64 v30, v44, v1, s[30:31]
	v_cndmask_b32_e64 v43, v56, v32, s[30:31]
	;; [unrolled: 1-line block ×20, first 2 shown]
	s_mov_b64 s[6:7], s[0:1]
	v_cmp_eq_u32_e64 s[0:1], 3, v35
	v_cndmask_b32_e64 v37, v37, v1, s[12:13]
	v_cndmask_b32_e64 v63, v116, v33, s[12:13]
	;; [unrolled: 1-line block ×3, first 2 shown]
	s_mov_b64 s[12:13], s[0:1]
	v_cmp_eq_u32_e64 s[0:1], 4, v35
	v_cndmask_b32_e64 v62, v115, v33, s[14:15]
	s_mov_b64 s[14:15], s[0:1]
	v_cndmask_b32_e64 v32, v32, v94, s[0:1]
	v_cmp_eq_u32_e64 s[0:1], 5, v35
	s_mov_b64 s[18:19], s[0:1]
	v_cndmask_b32_e64 v56, v108, v33, s[30:31]
	v_cndmask_b32_e64 v32, v32, v93, s[0:1]
	v_cmp_eq_u32_e64 s[0:1], 6, v35
	v_cndmask_b32_e64 v108, v60, v1, s[20:21]
	v_cndmask_b32_e64 v60, v113, v33, s[20:21]
	v_cndmask_b32_e64 v32, v32, v92, s[0:1]
	s_mov_b64 s[20:21], s[0:1]
	v_cmp_eq_u32_e64 s[0:1], 7, v35
	v_cndmask_b32_e64 v59, v112, v33, s[22:23]
	s_mov_b64 s[22:23], s[0:1]
	v_cndmask_b32_e64 v32, v32, v91, s[0:1]
	v_cmp_eq_u32_e64 s[0:1], 8, v35
	v_cndmask_b32_e64 v58, v110, v33, s[24:25]
	s_mov_b64 s[24:25], s[0:1]
	v_cndmask_b32_e64 v32, v32, v90, s[0:1]
	v_cmp_eq_u32_e64 s[0:1], 9, v35
	s_mov_b64 s[26:27], s[0:1]
	v_cndmask_b32_e64 v0, v98, v1, s[44:45]
	v_cndmask_b32_e64 v32, v32, v89, s[0:1]
	v_cmp_eq_u32_e64 s[0:1], 10, v35
	s_mov_b64 s[30:31], s[0:1]
	v_cndmask_b32_e64 v5, v119, v33, s[44:45]
	v_cndmask_b32_e64 v32, v32, v88, s[0:1]
	v_cmp_eq_u32_e64 s[0:1], 11, v35
	s_mov_b64 s[44:45], s[0:1]
	v_writelane_b32 v126, s44, 51
	v_cndmask_b32_e64 v32, v32, v87, s[0:1]
	v_cmp_eq_u32_e64 s[0:1], 12, v35
	v_writelane_b32 v126, s45, 52
	s_mov_b64 s[84:85], s[0:1]
	v_writelane_b32 v126, s84, 53
	v_cndmask_b32_e64 v32, v32, v84, s[0:1]
	v_cmp_eq_u32_e64 s[0:1], 13, v35
	v_writelane_b32 v126, s85, 54
	v_cndmask_b32_e64 v1, v96, v1, s[2:3]
	v_writelane_b32 v126, s0, 55
	v_cndmask_b32_e64 v6, v6, v33, s[2:3]
	v_cmp_eq_u32_e64 s[2:3], 14, v35
	v_writelane_b32 v126, s1, 56
	v_cndmask_b32_e64 v32, v32, v83, s[0:1]
	;; [unrolled: 5-line block ×3, first 2 shown]
	v_writelane_b32 v126, s8, 57
	v_cndmask_b32_e32 v53, v105, v33, vcc
	v_cndmask_b32_e64 v33, v10, v9, s[58:59]
	v_cndmask_b32_e64 v32, v32, v81, s[8:9]
	ds_bpermute_b32 v32, v120, v32
	v_writelane_b32 v126, s9, 58
	s_waitcnt lgkmcnt(0)
	v_cndmask_b32_e64 v82, v82, v32, s[2:3]
	v_readlane_b32 s2, v126, 47
	v_readlane_b32 s3, v126, 48
	v_cndmask_b32_e64 v83, v83, v32, s[0:1]
	v_cmp_eq_u32_e64 s[0:1], 0, v35
	v_cndmask_b32_e64 v33, v33, v67, s[2:3]
	v_cndmask_b32_e64 v33, v33, v66, s[46:47]
	;; [unrolled: 1-line block ×4, first 2 shown]
	v_writelane_b32 v126, s0, 59
	v_cndmask_b32_e64 v81, v81, v32, s[8:9]
	v_cndmask_b32_e64 v84, v84, v32, s[84:85]
	;; [unrolled: 1-line block ×14, first 2 shown]
	v_writelane_b32 v126, s1, 60
	v_cndmask_b32_e64 v80, v80, v32, s[0:1]
	v_cndmask_b32_e64 v32, v26, v25, s[58:59]
	s_mov_b64 s[0:1], s[2:3]
	v_cndmask_b32_e64 v33, v33, v76, s[66:67]
	v_cndmask_b32_e64 v32, v32, v24, s[0:1]
	;; [unrolled: 1-line block ×18, first 2 shown]
	ds_bpermute_b32 v33, v120, v33
	v_cndmask_b32_e64 v32, v32, v15, s[82:83]
	v_cndmask_b32_e64 v32, v32, v14, s[86:87]
	;; [unrolled: 1-line block ×5, first 2 shown]
	s_waitcnt lgkmcnt(0)
	v_cndmask_b32_e64 v123, v73, v33, s[78:79]
	ds_bpermute_b32 v73, v120, v32
	v_cndmask_b32_e64 v32, v9, v33, s[58:59]
	v_cndmask_b32_e64 v9, v1, v0, s[58:59]
	;; [unrolled: 1-line block ×4, first 2 shown]
	s_waitcnt lgkmcnt(0)
	v_cndmask_b32_e64 v36, v19, v73, s[66:67]
	scratch_load_dword v19, off, off offset:72 ; 4-byte Folded Reload
	v_cndmask_b32_e64 v9, v9, v38, s[50:51]
	v_cndmask_b32_e64 v9, v9, v37, s[54:55]
	;; [unrolled: 1-line block ×10, first 2 shown]
	v_readlane_b32 s2, v126, 49
	v_cndmask_b32_e64 v9, v9, v28, s[42:43]
	v_readlane_b32 s3, v126, 50
	v_cndmask_b32_e64 v9, v9, v27, s[98:99]
	v_cndmask_b32_e64 v68, v68, v33, s[98:99]
	v_cndmask_b32_e64 v69, v69, v33, s[42:43]
	v_cndmask_b32_e64 v70, v70, v33, s[40:41]
	v_cndmask_b32_e64 v71, v71, v33, s[86:87]
	v_cndmask_b32_e64 v72, v72, v33, s[82:83]
	v_cndmask_b32_e64 v125, v74, v33, s[74:75]
	v_cndmask_b32_e64 v75, v75, v33, s[70:71]
	v_cndmask_b32_e64 v76, v76, v33, s[66:67]
	v_cndmask_b32_e64 v77, v77, v33, s[62:63]
	v_cndmask_b32_e64 v78, v78, v33, s[54:55]
	v_cndmask_b32_e64 v79, v79, v33, s[50:51]
	v_cndmask_b32_e64 v66, v66, v33, s[46:47]
	v_cndmask_b32_e64 v67, v67, v33, s[0:1]
	v_cndmask_b32_e64 v10, v10, v33, s[2:3]
	v_cndmask_b32_e64 v33, v16, v73, s[78:79]
	ds_bpermute_b32 v16, v120, v9
	v_cndmask_b32_e64 v9, v3, v2, s[58:59]
	v_cndmask_b32_e64 v9, v9, v8, s[0:1]
	v_cndmask_b32_e64 v9, v9, v52, s[46:47]
	v_cndmask_b32_e64 v9, v9, v51, s[50:51]
	v_cndmask_b32_e64 v9, v9, v50, s[54:55]
	v_cndmask_b32_e64 v9, v9, v49, s[62:63]
	v_cndmask_b32_e64 v9, v9, v48, s[66:67]
	v_cndmask_b32_e64 v9, v9, v47, s[70:71]
	v_cndmask_b32_e64 v9, v9, v46, s[74:75]
	v_cndmask_b32_e64 v9, v9, v45, s[78:79]
	v_cndmask_b32_e64 v9, v9, v44, s[82:83]
	v_cndmask_b32_e64 v9, v9, v43, s[86:87]
	v_cndmask_b32_e64 v9, v9, v42, s[40:41]
	v_cndmask_b32_e64 v9, v9, v41, s[42:43]
	v_cndmask_b32_e64 v9, v9, v40, s[98:99]
	v_cndmask_b32_e64 v34, v17, v73, s[74:75]
	ds_bpermute_b32 v17, v120, v9
	;; [unrolled: 17-line block ×3, first 2 shown]
	v_cndmask_b32_e64 v24, v24, v73, s[0:1]
	s_waitcnt lgkmcnt(2)
	v_cndmask_b32_e64 v9, v7, v16, s[0:1]
	s_waitcnt lgkmcnt(1)
	v_cndmask_b32_e64 v8, v8, v17, s[0:1]
	v_cndmask_b32_e64 v7, v2, v17, s[58:59]
	s_waitcnt lgkmcnt(0)
	v_cndmask_b32_e64 v113, v56, v18, s[86:87]
	v_cndmask_b32_e64 v56, v109, v16, s[66:67]
	;; [unrolled: 1-line block ×4, first 2 shown]
	s_mov_b64 s[0:1], s[2:3]
	v_cndmask_b32_e64 v4, v0, v16, s[58:59]
	v_cndmask_b32_e64 v2, v1, v16, s[0:1]
	;; [unrolled: 1-line block ×6, first 2 shown]
	s_waitcnt vmcnt(0)
	v_cmp_eq_u32_e64 s[8:9], 1, v19
	v_cmp_eq_u32_e64 s[0:1], 2, v19
	v_cndmask_b32_e64 v122, v63, v18, s[54:55]
	v_cndmask_b32_e64 v0, v80, v86, s[8:9]
	;; [unrolled: 1-line block ×6, first 2 shown]
	s_mov_b64 s[50:51], s[0:1]
	v_cmp_eq_u32_e64 s[0:1], 3, v19
	v_cndmask_b32_e64 v21, v21, v73, s[54:55]
	v_cndmask_b32_e64 v117, v58, v18, s[78:79]
	;; [unrolled: 1-line block ×6, first 2 shown]
	s_mov_b64 s[54:55], s[0:1]
	v_cmp_eq_u32_e64 s[0:1], 4, v19
	v_cndmask_b32_e64 v25, v25, v73, s[58:59]
	v_cndmask_b32_e64 v5, v5, v18, s[58:59]
	;; [unrolled: 1-line block ×3, first 2 shown]
	s_mov_b64 s[58:59], s[0:1]
	v_cmp_eq_u32_e64 s[0:1], 5, v19
	v_cndmask_b32_e64 v20, v20, v73, s[62:63]
	v_cndmask_b32_e64 v116, v57, v18, s[82:83]
	;; [unrolled: 1-line block ×6, first 2 shown]
	s_mov_b64 s[62:63], s[0:1]
	v_cmp_eq_u32_e64 s[0:1], 6, v19
	s_mov_b64 s[66:67], s[0:1]
	v_cndmask_b32_e64 v112, v55, v18, s[40:41]
	v_cndmask_b32_e64 v0, v0, v92, s[0:1]
	v_cmp_eq_u32_e64 s[0:1], 7, v19
	v_cndmask_b32_e64 v55, v108, v16, s[70:71]
	v_cndmask_b32_e64 v108, v47, v17, s[70:71]
	v_cndmask_b32_e64 v118, v60, v18, s[70:71]
	v_cndmask_b32_e64 v0, v0, v91, s[0:1]
	s_mov_b64 s[70:71], s[0:1]
	v_cmp_eq_u32_e64 s[0:1], 8, v19
	v_cndmask_b32_e64 v110, v54, v18, s[42:43]
	v_cndmask_b32_e64 v54, v107, v16, s[74:75]
	v_cndmask_b32_e64 v107, v46, v17, s[74:75]
	v_cndmask_b32_e64 v0, v0, v90, s[0:1]
	s_mov_b64 s[74:75], s[0:1]
	;; [unrolled: 6-line block ×4, first 2 shown]
	v_cmp_eq_u32_e64 s[0:1], 11, v19
	s_mov_b64 s[84:85], s[0:1]
	v_cndmask_b32_e64 v14, v14, v73, s[86:87]
	v_cndmask_b32_e64 v0, v0, v87, s[0:1]
	v_cmp_eq_u32_e64 s[0:1], 12, v19
	v_cndmask_b32_e64 v30, v30, v16, s[86:87]
	v_cndmask_b32_e64 v103, v43, v17, s[86:87]
	;; [unrolled: 1-line block ×3, first 2 shown]
	s_mov_b64 s[86:87], s[0:1]
	v_cmp_eq_u32_e64 s[0:1], 13, v19
	v_cndmask_b32_e64 v11, v11, v73, s[98:99]
	v_cndmask_b32_e64 v27, v27, v16, s[98:99]
	;; [unrolled: 1-line block ×3, first 2 shown]
	v_writelane_b32 v126, s0, 47
	v_cmp_eq_u32_e64 s[98:99], 14, v19
	v_cndmask_b32_e64 v23, v23, v73, s[46:47]
	v_cndmask_b32_e64 v0, v0, v83, s[0:1]
	;; [unrolled: 1-line block ×5, first 2 shown]
	s_mov_b64 s[46:47], s[8:9]
	v_writelane_b32 v126, s1, 48
	v_cndmask_b32_e64 v0, v0, v82, s[98:99]
	v_cmp_eq_u32_e64 s[8:9], 15, v19
	v_cndmask_b32_e64 v28, v28, v16, s[42:43]
	v_cndmask_b32_e64 v29, v29, v16, s[40:41]
	v_writelane_b32 v126, s8, 49
	v_cndmask_b32_e64 v26, v26, v73, s[2:3]
	v_cndmask_b32_e64 v13, v13, v73, s[40:41]
	;; [unrolled: 1-line block ×3, first 2 shown]
	ds_bpermute_b32 v16, v120, v0
	v_cndmask_b32_e64 v0, v10, v32, s[38:39]
	v_cndmask_b32_e64 v0, v0, v67, s[28:29]
	;; [unrolled: 1-line block ×14, first 2 shown]
	v_writelane_b32 v126, s9, 50
	s_waitcnt lgkmcnt(0)
	v_cndmask_b32_e64 v83, v83, v16, s[0:1]
	v_cndmask_b32_e64 v0, v0, v68, s[4:5]
	v_cmp_eq_u32_e64 s[0:1], 0, v19
	v_cndmask_b32_e64 v81, v81, v16, s[8:9]
	v_cndmask_b32_e64 v82, v82, v16, s[98:99]
	v_cndmask_b32_e64 v84, v84, v16, s[86:87]
	v_cndmask_b32_e64 v87, v87, v16, s[84:85]
	v_cndmask_b32_e64 v88, v88, v16, s[82:83]
	v_cndmask_b32_e64 v89, v89, v16, s[78:79]
	v_cndmask_b32_e64 v90, v90, v16, s[74:75]
	v_cndmask_b32_e64 v91, v91, v16, s[70:71]
	v_cndmask_b32_e64 v92, v92, v16, s[66:67]
	v_cndmask_b32_e64 v93, v93, v16, s[62:63]
	v_cndmask_b32_e64 v94, v94, v16, s[58:59]
	v_cndmask_b32_e64 v114, v95, v16, s[54:55]
	ds_bpermute_b32 v37, v120, v0
	v_cndmask_b32_e64 v0, v85, v16, s[50:51]
	v_cndmask_b32_e64 v1, v86, v16, s[46:47]
	v_writelane_b32 v126, s0, 61
	v_cndmask_b32_e64 v12, v12, v73, s[42:43]
	v_cndmask_b32_e64 v102, v42, v17, s[40:41]
	;; [unrolled: 1-line block ×18, first 2 shown]
	ds_bpermute_b32 v49, v120, v16
	v_cndmask_b32_e64 v97, v41, v17, s[42:43]
	s_waitcnt lgkmcnt(1)
	v_cndmask_b32_e64 v18, v68, v37, s[4:5]
	v_cndmask_b32_e64 v74, v69, v37, s[96:97]
	;; [unrolled: 1-line block ×3, first 2 shown]
	s_waitcnt lgkmcnt(0)
	v_cndmask_b32_e64 v47, v11, v49, s[4:5]
	v_cndmask_b32_e64 v46, v12, v49, s[96:97]
	;; [unrolled: 1-line block ×32, first 2 shown]
	ds_bpermute_b32 v11, v120, v11
	ds_bpermute_b32 v12, v120, v12
	v_cndmask_b32_e64 v75, v10, v37, s[60:61]
	v_cndmask_b32_e64 v10, v2, v4, s[38:39]
	;; [unrolled: 1-line block ×3, first 2 shown]
	s_waitcnt lgkmcnt(1)
	v_cndmask_b32_e64 v68, v105, v11, s[36:37]
	s_waitcnt lgkmcnt(0)
	v_cndmask_b32_e64 v105, v119, v12, s[68:69]
	scratch_load_dword v119, off, off offset:76 ; 4-byte Folded Reload
	v_cndmask_b32_e64 v10, v10, v60, s[48:49]
	v_cndmask_b32_e64 v10, v10, v59, s[52:53]
	;; [unrolled: 1-line block ×13, first 2 shown]
	ds_bpermute_b32 v10, v120, v10
	v_cndmask_b32_e64 v45, v13, v49, s[34:35]
	v_cndmask_b32_e64 v13, v99, v12, s[4:5]
	;; [unrolled: 1-line block ×4, first 2 shown]
	scratch_store_dword off, v13, off offset:8 ; 4-byte Folded Spill
	v_cndmask_b32_e64 v13, v110, v12, s[96:97]
	v_cndmask_b32_e64 v110, v102, v11, s[34:35]
	s_waitcnt lgkmcnt(0)
	v_cndmask_b32_e64 v52, v31, v10, s[36:37]
	v_cndmask_b32_e64 v102, v116, v12, s[36:37]
	;; [unrolled: 1-line block ×58, first 2 shown]
	s_waitcnt vmcnt(1)
	v_cmp_eq_u32_e64 s[36:37], 1, v119
	v_cmp_eq_u32_e64 s[38:39], 2, v119
	v_cmp_eq_u32_e64 s[40:41], 3, v119
	v_cndmask_b32_e64 v2, v65, v1, s[36:37]
	v_cndmask_b32_e64 v2, v2, v0, s[38:39]
	v_cndmask_b32_e64 v2, v2, v114, s[40:41]
	v_cmp_eq_u32_e64 s[42:43], 4, v119
	v_cmp_eq_u32_e64 s[44:45], 5, v119
	v_cmp_eq_u32_e64 s[48:49], 6, v119
	v_cndmask_b32_e64 v2, v2, v94, s[42:43]
	v_cndmask_b32_e64 v2, v2, v93, s[44:45]
	v_cndmask_b32_e64 v2, v2, v92, s[48:49]
	;; [unrolled: 6-line block ×4, first 2 shown]
	v_cmp_eq_u32_e64 s[76:77], 13, v119
	v_cndmask_b32_e64 v53, v53, v10, s[80:81]
	v_cmp_eq_u32_e64 s[80:81], 14, v119
	v_cndmask_b32_e64 v2, v2, v83, s[76:77]
	v_cmp_eq_u32_e32 vcc, 15, v119
	v_cndmask_b32_e64 v2, v2, v82, s[80:81]
	v_cndmask_b32_e64 v51, v30, v10, s[16:17]
	v_cndmask_b32_e32 v2, v2, v81, vcc
	ds_bpermute_b32 v20, v120, v2
	s_mov_b64 s[16:17], s[10:11]
	s_mov_b64 s[8:9], s[6:7]
	v_cndmask_b32_e64 v61, v9, v10, s[28:29]
	v_cndmask_b32_e64 v77, v8, v11, s[28:29]
	s_waitcnt lgkmcnt(0)
	v_cndmask_b32_e64 v2, v0, v20, s[38:39]
	v_cndmask_b32_e64 v0, v75, v78, s[16:17]
	;; [unrolled: 1-line block ×3, first 2 shown]
	s_mov_b64 s[28:29], s[12:13]
	v_cndmask_b32_e64 v50, v29, v10, s[34:35]
	v_cndmask_b32_e64 v0, v0, v16, s[28:29]
	s_mov_b64 s[34:35], s[14:15]
	v_cndmask_b32_e64 v32, v28, v10, s[96:97]
	v_cndmask_b32_e64 v0, v0, v123, s[34:35]
	s_mov_b64 s[96:97], s[18:19]
	v_cndmask_b32_e64 v0, v0, v125, s[96:97]
	s_mov_b64 s[6:7], s[20:21]
	;; [unrolled: 2-line block ×4, first 2 shown]
	v_writelane_b32 v126, s1, 62
	v_cndmask_b32_e64 v0, v0, v69, s[12:13]
	s_mov_b64 s[14:15], s[26:27]
	v_cndmask_b32_e64 v0, v0, v70, s[14:15]
	s_mov_b64 s[18:19], s[30:31]
	v_readlane_b32 s20, v126, 51
	v_cndmask_b32_e64 v0, v0, v71, s[18:19]
	v_readlane_b32 s21, v126, 52
	v_readlane_b32 s22, v126, 53
	v_readlane_b32 s23, v126, 54
	v_cndmask_b32_e64 v0, v0, v72, s[20:21]
	v_readlane_b32 s88, v126, 55
	v_cndmask_b32_e64 v0, v0, v19, s[22:23]
	v_readlane_b32 s89, v126, 56
	v_readlane_b32 s26, v126, 45
	v_readlane_b32 s27, v126, 46
	v_cndmask_b32_e64 v0, v0, v73, s[88:89]
	;; [unrolled: 6-line block ×3, first 2 shown]
	ds_bpermute_b32 v0, v120, v0
	v_cndmask_b32_e64 v66, v27, v10, s[4:5]
	v_cndmask_b32_e64 v96, v96, v11, s[4:5]
	s_mov_b64 s[4:5], s[46:47]
	s_mov_b64 s[46:47], s[50:51]
	s_waitcnt lgkmcnt(0)
	v_cndmask_b32_e64 v18, v18, v0, s[30:31]
	v_cndmask_b32_e64 v21, v74, v0, s[26:27]
	v_cndmask_b32_e64 v22, v73, v0, s[88:89]
	v_cndmask_b32_e64 v19, v19, v0, s[22:23]
	v_cndmask_b32_e64 v23, v72, v0, s[20:21]
	v_cndmask_b32_e64 v24, v71, v0, s[18:19]
	v_cndmask_b32_e64 v25, v70, v0, s[14:15]
	v_cndmask_b32_e64 v26, v69, v0, s[12:13]
	v_cndmask_b32_e64 v27, v86, v0, s[10:11]
	v_cndmask_b32_e64 v28, v85, v0, s[6:7]
	v_cndmask_b32_e64 v29, v125, v0, s[96:97]
	v_cndmask_b32_e64 v30, v123, v0, s[34:35]
	v_cndmask_b32_e64 v16, v16, v0, s[28:29]
	v_cndmask_b32_e64 v17, v17, v0, s[8:9]
	v_cndmask_b32_e64 v31, v78, v0, s[16:17]
	v_cndmask_b32_e64 v0, v75, v0, s[2:3]
	v_cndmask_b32_e64 v69, v0, v31, s[4:5]
	v_cndmask_b32_e64 v69, v69, v17, s[46:47]
	s_mov_b64 s[50:51], s[54:55]
	v_cndmask_b32_e64 v69, v69, v16, s[50:51]
	s_mov_b64 s[54:55], s[58:59]
	v_cndmask_b32_e64 v69, v69, v30, s[54:55]
	;; [unrolled: 2-line block ×9, first 2 shown]
	s_mov_b64 s[84:85], s[86:87]
	v_readlane_b32 s86, v126, 47
	v_cndmask_b32_e64 v69, v69, v19, s[84:85]
	v_readlane_b32 s87, v126, 48
	v_readlane_b32 s0, v126, 49
	;; [unrolled: 1-line block ×3, first 2 shown]
	v_cndmask_b32_e64 v69, v69, v22, s[86:87]
	v_cndmask_b32_e64 v69, v69, v21, s[98:99]
	;; [unrolled: 1-line block ×3, first 2 shown]
	ds_bpermute_b32 v69, v120, v69
	s_mov_b64 s[24:25], s[18:19]
	s_mov_b64 s[18:19], s[10:11]
	v_readlane_b32 s10, v126, 61
	v_readlane_b32 s11, v126, 62
	s_waitcnt lgkmcnt(0)
	v_cndmask_b32_e64 v18, v18, v69, s[0:1]
	v_cndmask_b32_e64 v21, v21, v69, s[98:99]
	;; [unrolled: 1-line block ×30, first 2 shown]
	v_cndmask_b32_e32 v0, v0, v18, vcc
	ds_bpermute_b32 v78, v120, v0
	s_mov_b64 s[94:95], s[26:27]
	s_mov_b64 s[26:27], s[20:21]
	;; [unrolled: 1-line block ×4, first 2 shown]
	s_waitcnt lgkmcnt(0)
	v_cndmask_b32_e64 v28, v19, v78, s[72:73]
	v_cndmask_b32_e64 v19, v16, v78, s[40:41]
	;; [unrolled: 1-line block ×9, first 2 shown]
	s_mov_b64 s[90:91], s[30:31]
	s_mov_b64 s[30:31], s[22:23]
	;; [unrolled: 1-line block ×3, first 2 shown]
	v_cndmask_b32_e64 v16, v16, v42, s[20:21]
	v_cndmask_b32_e64 v16, v16, v41, s[22:23]
	;; [unrolled: 1-line block ×6, first 2 shown]
	s_mov_b64 s[14:15], s[94:95]
	v_cndmask_b32_e64 v16, v16, v46, s[14:15]
	s_mov_b64 s[94:95], s[90:91]
	v_cndmask_b32_e64 v16, v16, v47, s[94:95]
	ds_bpermute_b32 v16, v120, v16
	s_mov_b64 s[8:9], s[2:3]
	v_cmp_eq_u32_e64 s[0:1], 0, v119
	v_cndmask_b32_e64 v27, v23, v78, s[68:69]
	v_cndmask_b32_e64 v26, v24, v78, s[64:65]
	s_waitcnt lgkmcnt(0)
	v_cndmask_b32_e64 v47, v47, v16, s[94:95]
	v_cndmask_b32_e64 v46, v46, v16, s[14:15]
	;; [unrolled: 1-line block ×16, first 2 shown]
	s_mov_b64 s[2:3], s[4:5]
	v_cndmask_b32_e64 v49, v16, v33, s[2:3]
	v_cndmask_b32_e64 v49, v49, v34, s[46:47]
	;; [unrolled: 1-line block ×13, first 2 shown]
	v_readlane_b32 s4, v126, 49
	v_cndmask_b32_e64 v49, v49, v46, s[98:99]
	v_readlane_b32 s5, v126, 50
	s_mov_b64 s[14:15], s[6:7]
	s_mov_b64 s[6:7], s[10:11]
	v_cndmask_b32_e64 v49, v49, v47, s[4:5]
	ds_bpermute_b32 v49, v120, v49
	v_cndmask_b32_e64 v0, v65, v20, s[0:1]
	v_cndmask_b32_e64 v24, v70, v78, s[56:57]
	;; [unrolled: 1-line block ×3, first 2 shown]
	s_mov_b64 s[88:89], s[98:99]
	s_waitcnt lgkmcnt(0)
	v_cndmask_b32_e64 v47, v47, v49, s[4:5]
	v_cndmask_b32_e64 v46, v46, v49, s[98:99]
	;; [unrolled: 1-line block ×21, first 2 shown]
	s_mov_b64 s[98:99], s[86:87]
	s_mov_b64 s[86:87], s[84:85]
	;; [unrolled: 1-line block ×10, first 2 shown]
	v_cndmask_b32_e64 v16, v16, v71, s[48:49]
	s_mov_b64 s[54:55], s[52:53]
	v_cndmask_b32_e64 v16, v16, v70, s[54:55]
	v_cndmask_b32_e64 v16, v16, v65, s[56:57]
	;; [unrolled: 1-line block ×8, first 2 shown]
	v_cndmask_b32_e32 v15, v81, v20, vcc
	v_cndmask_b32_e32 v31, v18, v78, vcc
	v_writelane_b32 v126, vcc_lo, 63
	v_cndmask_b32_e64 v29, v22, v78, s[76:77]
	v_cndmask_b32_e64 v22, v72, v78, s[48:49]
	v_cndmask_b32_e32 v16, v16, v47, vcc
	ds_bpermute_b32 v72, v120, v16
	s_mov_b64 s[4:5], s[2:3]
	s_mov_b64 s[2:3], s[12:13]
	v_cndmask_b32_e64 v16, v69, v78, s[0:1]
	s_mov_b64 s[90:91], s[0:1]
	s_waitcnt lgkmcnt(0)
	v_cndmask_b32_e64 v42, v40, v72, s[64:65]
	v_cndmask_b32_e64 v40, v65, v72, s[56:57]
	;; [unrolled: 1-line block ×7, first 2 shown]
	s_mov_b64 s[0:1], s[14:15]
	v_cndmask_b32_e64 v65, v65, v57, s[0:1]
	s_mov_b64 s[10:11], s[18:19]
	v_cndmask_b32_e64 v65, v65, v56, s[10:11]
	;; [unrolled: 2-line block ×6, first 2 shown]
	s_mov_b64 s[22:23], s[30:31]
	v_readlane_b32 s24, v126, 55
	scratch_store_dword off, v13, off offset:12 ; 4-byte Folded Spill
	v_cndmask_b32_e64 v14, v82, v20, s[80:81]
	v_cndmask_b32_e64 v13, v83, v20, s[76:77]
	;; [unrolled: 1-line block ×19, first 2 shown]
	s_mov_b64 s[52:53], s[44:45]
	v_cndmask_b32_e64 v36, v36, v72, s[42:43]
	s_mov_b64 s[44:45], s[42:43]
	v_cndmask_b32_e64 v35, v35, v72, s[40:41]
	;; [unrolled: 2-line block ×5, first 2 shown]
	v_readlane_b32 s25, v126, 56
	v_readlane_b32 s36, v126, 45
	;; [unrolled: 1-line block ×3, first 2 shown]
	v_cndmask_b32_e64 v65, v65, v50, s[24:25]
	s_mov_b64 s[26:27], s[22:23]
	v_cndmask_b32_e64 v65, v65, v32, s[36:37]
	v_cndmask_b32_e64 v65, v65, v66, s[94:95]
	ds_bpermute_b32 v65, v120, v65
	v_cndmask_b32_e64 v25, v25, v78, s[60:61]
	v_cndmask_b32_e64 v44, v38, v72, s[72:73]
	;; [unrolled: 1-line block ×4, first 2 shown]
	s_waitcnt lgkmcnt(0)
	v_cndmask_b32_e64 v62, v62, v65, s[16:17]
	v_cndmask_b32_e64 v63, v63, v65, s[8:9]
	;; [unrolled: 1-line block ×28, first 2 shown]
	s_mov_b64 s[22:23], s[18:19]
	s_mov_b64 s[18:19], s[12:13]
	;; [unrolled: 1-line block ×4, first 2 shown]
	v_cndmask_b32_e64 v65, v65, v50, s[98:99]
	v_readlane_b32 s8, v126, 49
	v_cndmask_b32_e64 v65, v65, v32, s[88:89]
	v_readlane_b32 s9, v126, 50
	v_cndmask_b32_e64 v38, v71, v72, s[48:49]
	v_writelane_b32 v127, vcc_hi, 0
	v_cndmask_b32_e64 v65, v65, v66, s[8:9]
	ds_bpermute_b32 v65, v120, v65
	v_cndmask_b32_e32 v47, v47, v72, vcc
	v_cndmask_b32_e64 v46, v46, v72, s[80:81]
	s_mov_b64 vcc, s[80:81]
	v_cndmask_b32_e64 v45, v45, v72, s[76:77]
	s_waitcnt lgkmcnt(0)
	v_cndmask_b32_e64 v66, v66, v65, s[8:9]
	v_cndmask_b32_e64 v69, v32, v65, s[88:89]
	;; [unrolled: 1-line block ×22, first 2 shown]
	s_mov_b64 s[80:81], s[76:77]
	s_mov_b64 s[76:77], s[72:73]
	;; [unrolled: 1-line block ×4, first 2 shown]
	v_cndmask_b32_e64 v41, v41, v72, s[60:61]
	s_mov_b64 s[64:65], s[60:61]
	s_mov_b64 s[60:61], s[56:57]
	v_cndmask_b32_e64 v32, v32, v70, s[54:55]
	v_cndmask_b32_e64 v32, v32, v55, s[60:61]
	;; [unrolled: 1-line block ×7, first 2 shown]
	v_readlane_b32 s56, v126, 63
	v_cndmask_b32_e32 v32, v32, v69, vcc
	v_readlane_b32 s57, v127, 0
	s_mov_b64 s[30:31], s[24:25]
	s_mov_b64 s[24:25], s[20:21]
	v_cndmask_b32_e64 v32, v32, v66, s[56:57]
	ds_bpermute_b32 v82, v120, v32
	s_mov_b64 s[20:21], s[14:15]
	s_mov_b64 s[14:15], s[10:11]
	;; [unrolled: 1-line block ×4, first 2 shown]
	s_waitcnt lgkmcnt(0)
	v_cndmask_b32_e64 v63, v66, v82, s[56:57]
	v_cndmask_b32_e64 v66, v79, v48, s[16:17]
	;; [unrolled: 1-line block ×5, first 2 shown]
	s_mov_b64 s[6:7], s[90:91]
	s_mov_b64 s[90:91], s[56:57]
	v_cndmask_b32_e64 v66, v66, v121, s[96:97]
	s_mov_b64 s[56:57], s[12:13]
	v_cndmask_b32_e64 v66, v66, v80, s[56:57]
	;; [unrolled: 2-line block ×10, first 2 shown]
	v_cndmask_b32_e64 v66, v66, v96, s[94:95]
	ds_bpermute_b32 v66, v120, v66
	v_writelane_b32 v127, s6, 1
	v_cndmask_b32_e32 v62, v69, v82, vcc
	v_cndmask_b32_e64 v61, v50, v82, s[80:81]
	v_writelane_b32 v127, s7, 2
	v_cndmask_b32_e64 v32, v49, v72, s[6:7]
	v_cndmask_b32_e64 v60, v51, v82, s[76:77]
	;; [unrolled: 1-line block ×13, first 2 shown]
	s_waitcnt lgkmcnt(0)
	v_cndmask_b32_e64 v69, v96, v66, s[94:95]
	v_cndmask_b32_e64 v70, v95, v66, s[30:31]
	;; [unrolled: 1-line block ×16, first 2 shown]
	v_writelane_b32 v127, s4, 3
	s_mov_b64 s[0:1], s[88:89]
	scratch_load_dwordx2 v[118:119], off, off ; 8-byte Folded Reload
	v_writelane_b32 v127, s5, 4
	v_cndmask_b32_e64 v79, v66, v48, s[4:5]
	v_writelane_b32 v127, s46, 5
	v_readlane_b32 s36, v126, 23
	v_readlane_b32 s37, v126, 24
	v_cndmask_b32_e64 v79, v79, v77, s[46:47]
	v_cndmask_b32_e64 v79, v79, v76, s[50:51]
	;; [unrolled: 1-line block ×14, first 2 shown]
	ds_bpermute_b32 v79, v120, v79
	v_writelane_b32 v127, s47, 6
	s_waitcnt lgkmcnt(0)
	v_cndmask_b32_e64 v86, v80, v79, s[62:63]
	v_cndmask_b32_e64 v90, v48, v79, s[4:5]
	;; [unrolled: 1-line block ×10, first 2 shown]
	s_mov_b64 s[46:47], s[52:53]
	v_cndmask_b32_e64 v85, v78, v79, s[66:67]
	v_cndmask_b32_e64 v48, v48, v86, s[46:47]
	;; [unrolled: 1-line block ×19, first 2 shown]
	v_cndmask_b32_e32 v48, v48, v70, vcc
	v_cndmask_b32_e64 v48, v48, v69, s[90:91]
	ds_bpermute_b32 v81, v120, v48
	v_cndmask_b32_e64 v48, v65, v82, s[6:7]
	v_cndmask_b32_e64 v82, v115, v109, s[16:17]
	;; [unrolled: 1-line block ×4, first 2 shown]
	s_waitcnt lgkmcnt(0)
	v_cndmask_b32_e64 v77, v71, v81, s[80:81]
	v_cndmask_b32_e64 v71, v84, v81, s[54:55]
	scratch_load_dword v84, off, off offset:12 ; 4-byte Folded Reload
	v_cndmask_b32_e64 v74, v72, v81, s[68:69]
	v_cndmask_b32_e64 v72, v83, v81, s[60:61]
	scratch_load_dword v83, off, off offset:8 ; 4-byte Folded Reload
	scratch_load_dword v116, off, off offset:40 ; 4-byte Folded Reload
	;; [unrolled: 1-line block ×4, first 2 shown]
	v_cndmask_b32_e64 v82, v82, v108, s[34:35]
	v_cndmask_b32_e64 v82, v82, v107, s[96:97]
	;; [unrolled: 1-line block ×11, first 2 shown]
	v_cndmask_b32_e32 v78, v70, v81, vcc
	v_cndmask_b32_e64 v76, v67, v81, s[76:77]
	v_cndmask_b32_e64 v75, v68, v81, s[72:73]
	;; [unrolled: 1-line block ×8, first 2 shown]
	s_mov_b64 s[52:53], s[60:61]
	s_mov_b64 s[60:61], s[38:39]
	v_readlane_b32 s39, v126, 44
	v_cndmask_b32_e64 v73, v73, v81, s[64:65]
	s_mov_b32 s6, 0
	s_mov_b32 s7, 0
	v_readlane_b32 s38, v126, 25
	s_waitcnt vmcnt(4)
	v_cndmask_b32_e64 v82, v82, v84, s[30:31]
	s_waitcnt vmcnt(3)
	v_cndmask_b32_e64 v82, v82, v83, s[94:95]
	ds_bpermute_b32 v82, v120, v82
	s_waitcnt lgkmcnt(0)
	v_cndmask_b32_e64 v95, v98, v82, s[10:11]
	v_readlane_b32 s10, v126, 59
	v_cndmask_b32_e64 v91, v105, v82, s[12:13]
	v_readlane_b32 s11, v126, 60
	v_readlane_b32 s12, v127, 3
	v_cndmask_b32_e64 v83, v83, v82, s[94:95]
	v_cndmask_b32_e64 v84, v84, v82, s[30:31]
	;; [unrolled: 1-line block ×14, first 2 shown]
	v_readlane_b32 s13, v127, 4
	v_readlane_b32 s10, v127, 5
	;; [unrolled: 1-line block ×3, first 2 shown]
	v_cndmask_b32_e64 v97, v82, v96, s[12:13]
	v_readlane_b32 s16, v126, 2
	v_cndmask_b32_e64 v97, v97, v95, s[10:11]
	v_cndmask_b32_e64 v97, v97, v64, s[50:51]
	;; [unrolled: 1-line block ×14, first 2 shown]
	ds_bpermute_b32 v97, v120, v97
	v_readlane_b32 s20, v126, 6
	v_readlane_b32 s21, v126, 7
	;; [unrolled: 1-line block ×4, first 2 shown]
	s_waitcnt lgkmcnt(0)
	v_cndmask_b32_e64 v83, v83, v97, s[8:9]
	v_cndmask_b32_e64 v84, v84, v97, s[0:1]
	;; [unrolled: 1-line block ×29, first 2 shown]
	v_cndmask_b32_e32 v64, v64, v84, vcc
	v_cndmask_b32_e64 v64, v64, v83, s[90:91]
	ds_bpermute_b32 v108, v120, v64
	v_readlane_b32 s8, v127, 1
	v_readlane_b32 s9, v127, 2
	v_readlane_b32 s28, v126, 17
	v_readlane_b32 s17, v126, 3
	s_waitcnt lgkmcnt(0)
	v_cndmask_b32_e64 v91, v87, v108, s[72:73]
	v_cndmask_b32_e64 v90, v88, v108, s[68:69]
	;; [unrolled: 1-line block ×4, first 2 shown]
	v_readlane_b32 s52, v126, 26
	v_readlane_b32 s53, v126, 27
	s_mul_i32 s0, s39, s53
	s_ashr_i32 s1, s0, 31
	v_cndmask_b32_e32 v94, v84, v108, vcc
	v_cndmask_b32_e64 v84, v105, v108, s[44:45]
	s_lshl_b64 s[0:1], s[0:1], 1
	v_readlane_b32 s44, v126, 38
	s_add_u32 s2, s20, s0
	v_readlane_b32 s45, v126, 39
	s_addc_u32 s3, s21, s1
	s_ashr_i32 s45, s44, 31
	s_lshl_b64 s[0:1], s[44:45], 1
	s_add_u32 s0, s2, s0
	v_cndmask_b32_e64 v95, v83, v108, s[90:91]
	v_cndmask_b32_e64 v93, v85, v108, s[80:81]
	;; [unrolled: 1-line block ×7, first 2 shown]
	s_addc_u32 s1, s3, s1
	v_readlane_b32 s41, v126, 42
	v_readlane_b32 s42, v126, 40
	;; [unrolled: 1-line block ×4, first 2 shown]
	v_cndmask_b32_e64 v64, v80, v81, s[8:9]
	v_cndmask_b32_e64 v89, v89, v108, s[64:65]
	v_readlane_b32 s54, v126, 28
	v_readlane_b32 s55, v126, 29
	v_readlane_b32 s57, v126, 31
	v_readlane_b32 s58, v126, 32
	v_readlane_b32 s59, v126, 33
	v_readlane_b32 s18, v126, 4
	v_readlane_b32 s19, v126, 5
	v_readlane_b32 s22, v126, 8
	v_readlane_b32 s23, v126, 9
	v_subrev_u32_e32 v101, s41, v101
	v_cndmask_b32_e64 v81, v96, v108, s[60:61]
	v_cndmask_b32_e64 v80, v97, v108, s[8:9]
	v_lshl_add_u64 v[102:103], s[0:1], 0, v[118:119]
	s_mov_b64 s[0:1], 0
	v_readlane_b32 s11, v126, 0
	v_readlane_b32 s12, v126, 1
	;; [unrolled: 1-line block ×17, first 2 shown]
                                        ; implicit-def: $sgpr2_sgpr3
	s_branch .LBB233_37
.LBB233_36:                             ;   in Loop: Header=BB233_37 Depth=2
	s_or_b64 exec, exec, s[4:5]
	s_and_b64 s[4:5], exec, s[2:3]
	s_or_b64 s[0:1], s[4:5], s[0:1]
	s_andn2_b64 exec, exec, s[0:1]
	s_cbranch_execz .LBB233_39
.LBB233_37:                             ;   Parent Loop BB233_7 Depth=1
                                        ; =>  This Inner Loop Header: Depth=2
	s_and_b32 s4, s7, 2
	s_and_b32 s5, s6, 24
	s_or_b32 s4, s5, s4
	s_waitcnt vmcnt(0)
	v_or_b32_e32 v96, s4, v121
	v_add_u32_e32 v97, s92, v96
	v_cmp_gt_u32_e32 vcc, 32, v97
	s_or_b64 s[2:3], s[2:3], exec
	s_and_saveexec_b64 s[4:5], vcc
	s_cbranch_execz .LBB233_36
; %bb.38:                               ;   in Loop: Header=BB233_37 Depth=2
	s_add_i32 s10, s7, 1
	s_set_gpr_idx_on s7, gpr_idx(SRC0)
	v_mov_b32_e32 v97, v0
	s_set_gpr_idx_off
	v_cvt_f16_f32_e32 v98, v97
	s_set_gpr_idx_on s10, gpr_idx(SRC0)
	v_mov_b32_e32 v97, v0
	s_set_gpr_idx_off
	v_cvt_f16_f32_sdwa v99, v97 dst_sel:WORD_1 dst_unused:UNUSED_PAD src0_sel:DWORD
	v_mul_lo_u32 v96, v96, s53
	v_ashrrev_i32_e32 v97, 31, v96
	v_lshl_add_u64 v[96:97], v[96:97], 1, v[102:103]
	v_or_b32_e32 v98, v99, v98
	;;#ASMSTART
	global_atomic_pk_add_f16 v[96:97], v98, off
	
	;;#ASMEND
	s_set_gpr_idx_on s7, gpr_idx(SRC0)
	v_mov_b32_e32 v98, v16
	s_set_gpr_idx_off
	v_cvt_f16_f32_e32 v105, v98
	s_set_gpr_idx_on s10, gpr_idx(SRC0)
	v_mov_b32_e32 v98, v16
	s_set_gpr_idx_off
	v_cvt_f16_f32_sdwa v106, v98 dst_sel:WORD_1 dst_unused:UNUSED_PAD src0_sel:DWORD
	v_lshl_add_u64 v[98:99], v[96:97], 0, 64
	s_mov_b64 s[8:9], 0x80
	s_add_i32 s6, s6, 4
	v_or_b32_e32 v105, v106, v105
	;;#ASMSTART
	global_atomic_pk_add_f16 v[98:99], v105, off
	
	;;#ASMEND
	s_set_gpr_idx_on s7, gpr_idx(SRC0)
	v_mov_b32_e32 v98, v32
	s_set_gpr_idx_off
	v_cvt_f16_f32_e32 v105, v98
	s_set_gpr_idx_on s10, gpr_idx(SRC0)
	v_mov_b32_e32 v98, v32
	s_set_gpr_idx_off
	v_cvt_f16_f32_sdwa v106, v98 dst_sel:WORD_1 dst_unused:UNUSED_PAD src0_sel:DWORD
	v_lshl_add_u64 v[98:99], v[96:97], 0, s[8:9]
	s_mov_b64 s[8:9], 0xc0
	v_or_b32_e32 v105, v106, v105
	;;#ASMSTART
	global_atomic_pk_add_f16 v[98:99], v105, off
	
	;;#ASMEND
	s_set_gpr_idx_on s7, gpr_idx(SRC0)
	v_mov_b32_e32 v98, v48
	s_set_gpr_idx_off
	v_cvt_f16_f32_e32 v105, v98
	s_set_gpr_idx_on s10, gpr_idx(SRC0)
	v_mov_b32_e32 v98, v48
	s_set_gpr_idx_off
	v_cvt_f16_f32_sdwa v106, v98 dst_sel:WORD_1 dst_unused:UNUSED_PAD src0_sel:DWORD
	v_lshl_add_u64 v[98:99], v[96:97], 0, s[8:9]
	s_mov_b64 s[8:9], 0x100
	;; [unrolled: 15-line block ×3, first 2 shown]
	v_lshl_add_u64 v[96:97], v[96:97], 0, s[8:9]
	v_or_b32_e32 v105, v106, v105
	;;#ASMSTART
	global_atomic_pk_add_f16 v[98:99], v105, off
	
	;;#ASMEND
	s_set_gpr_idx_on s7, gpr_idx(SRC0)
	v_mov_b32_e32 v98, v80
	s_set_gpr_idx_off
	v_cvt_f16_f32_e32 v98, v98
	s_set_gpr_idx_on s10, gpr_idx(SRC0)
	v_mov_b32_e32 v99, v80
	s_set_gpr_idx_off
	s_add_i32 s7, s7, 2
	v_cvt_f16_f32_sdwa v99, v99 dst_sel:WORD_1 dst_unused:UNUSED_PAD src0_sel:DWORD
	s_cmp_eq_u32 s7, 16
	s_cselect_b64 s[8:9], -1, 0
	s_andn2_b64 s[2:3], s[2:3], exec
	s_and_b64 s[8:9], s[8:9], exec
	s_or_b64 s[2:3], s[2:3], s[8:9]
	v_or_b32_e32 v98, v99, v98
	;;#ASMSTART
	global_atomic_pk_add_f16 v[96:97], v98, off
	
	;;#ASMEND
	s_branch .LBB233_36
.LBB233_39:                             ;   in Loop: Header=BB233_7 Depth=1
	s_or_b64 exec, exec, s[0:1]
	scratch_load_dword v14, off, off offset:32 ; 4-byte Folded Reload
	scratch_load_dword v100, off, off offset:36 ; 4-byte Folded Reload
	scratch_load_dwordx2 v[16:17], off, off offset:80 ; 8-byte Folded Reload
	scratch_load_dword v15, off, off offset:96 ; 4-byte Folded Reload
.LBB233_40:                             ;   in Loop: Header=BB233_7 Depth=1
	s_or_b64 exec, exec, s[48:49]
.LBB233_41:                             ;   in Loop: Header=BB233_7 Depth=1
	s_andn2_saveexec_b64 s[0:1], s[46:47]
	s_cbranch_execz .LBB233_50
; %bb.42:                               ;   in Loop: Header=BB233_7 Depth=1
	s_mul_i32 s10, s41, 6
	v_cmp_gt_i32_e32 vcc, s10, v101
	s_and_saveexec_b64 s[2:3], vcc
	s_cbranch_execz .LBB233_49
; %bb.43:                               ;   in Loop: Header=BB233_7 Depth=1
	scratch_load_dwordx2 v[0:1], off, off offset:88 ; 8-byte Folded Reload
	s_mul_i32 s4, s44, s55
	s_ashr_i32 s5, s4, 31
	s_add_u32 s4, s18, s4
	s_addc_u32 s5, s19, s5
	s_ashr_i32 s6, s40, 31
	s_add_u32 s4, s4, s40
	s_addc_u32 s5, s5, s6
	s_waitcnt vmcnt(0)
	v_lshl_add_u64 v[0:1], s[4:5], 0, v[0:1]
	v_lshl_add_u64 v[8:9], v[0:1], 0, v[16:17]
	s_mov_b64 s[4:5], 0
	s_branch .LBB233_45
.LBB233_44:                             ;   in Loop: Header=BB233_45 Depth=2
	s_or_b64 exec, exec, s[6:7]
	v_lshl_or_b32 v12, v10, 11, v15
	;;#ASMSTART
	s_waitcnt vmcnt(1)
	;;#ASMEND
	ds_write2_b32 v12, v4, v5 offset1:32
	ds_write2_b32 v12, v6, v7 offset0:64 offset1:96
	v_add_u32_e32 v4, 0x400, v12
	v_add_u32_e32 v101, s58, v101
	;;#ASMSTART
	s_waitcnt vmcnt(0)
	;;#ASMEND
	ds_write2_b32 v4, v0, v1 offset1:32
	ds_write2_b32 v4, v2, v3 offset0:64 offset1:96
	v_add_u32_e32 v0, 1, v111
	v_add_u32_e32 v104, s58, v10
	v_cmp_le_i32_e32 vcc, s10, v101
	ds_write_b32 v11, v0 offset:16
	v_add_u32_e32 v0, 2, v111
	s_or_b64 s[4:5], vcc, s[4:5]
	v_cmp_lt_i32_e32 vcc, 11, v104
	s_nop 1
	v_cndmask_b32_e32 v111, v111, v0, vcc
	s_andn2_b64 exec, exec, s[4:5]
	s_cbranch_execz .LBB233_48
.LBB233_45:                             ;   Parent Loop BB233_7 Depth=1
                                        ; =>  This Loop Header: Depth=2
                                        ;       Child Loop BB233_47 Depth 3
	v_cmp_gt_i32_e32 vcc, 12, v104
	s_mov_b32 s6, 0x2aaaaaab
	s_nop 0
	v_cndmask_b32_e64 v0, -12, 0, vcc
	v_add_u32_e32 v10, v0, v104
	v_mul_hi_i32 v0, v101, s6
	v_lshrrev_b32_e32 v1, 31, v0
	v_add_u32_e32 v0, v0, v1
	v_mul_lo_u32 v1, v0, 6
	v_sub_u32_e32 v2, v101, v1
	v_lshlrev_b32_e32 v0, 6, v0
	v_ashrrev_i32_e32 v1, 31, v0
	v_mul_lo_u32 v2, s31, v2
	v_lshl_add_u64 v[0:1], v[8:9], 0, v[0:1]
	v_ashrrev_i32_e32 v3, 31, v2
	v_lshl_add_u64 v[0:1], v[0:1], 0, v[2:3]
	v_lshlrev_b32_e32 v11, 2, v10
	;;#ASMSTART
	global_load_dwordx4 v[4:7], v[0:1], off offset:0   sc0 sc1 nt  
	global_load_dwordx4 v[0:3], v[0:1], off offset:32  sc0 sc1 nt  
	
	;;#ASMEND
	ds_read_b32 v12, v11 offset:32784
	v_add_u32_e32 v11, 0x8000, v11
	s_waitcnt lgkmcnt(0)
	v_cmp_ne_u32_e32 vcc, v12, v111
	s_and_saveexec_b64 s[6:7], vcc
	s_cbranch_execz .LBB233_44
; %bb.46:                               ;   in Loop: Header=BB233_45 Depth=2
	s_mov_b64 s[8:9], 0
.LBB233_47:                             ;   Parent Loop BB233_7 Depth=1
                                        ;     Parent Loop BB233_45 Depth=2
                                        ; =>    This Inner Loop Header: Depth=3
	;;#ASMSTART
	s_sleep 0
	;;#ASMEND
	ds_read_b32 v12, v11 offset:16
	s_waitcnt lgkmcnt(0)
	v_cmp_eq_u32_e32 vcc, v12, v111
	s_or_b64 s[8:9], vcc, s[8:9]
	s_andn2_b64 exec, exec, s[8:9]
	s_cbranch_execnz .LBB233_47
	s_branch .LBB233_44
.LBB233_48:                             ;   in Loop: Header=BB233_7 Depth=1
	s_or_b64 exec, exec, s[4:5]
.LBB233_49:                             ;   in Loop: Header=BB233_7 Depth=1
	s_or_b64 exec, exec, s[2:3]
	v_subrev_u32_e32 v101, s10, v101
.LBB233_50:                             ;   in Loop: Header=BB233_7 Depth=1
	s_or_b64 exec, exec, s[0:1]
.LBB233_51:                             ;   in Loop: Header=BB233_7 Depth=1
	s_andn2_saveexec_b64 s[0:1], s[42:43]
	s_cbranch_execz .LBB233_6
; %bb.52:                               ;   in Loop: Header=BB233_7 Depth=1
	s_lshl_b32 s10, s41, 1
	v_cmp_gt_i32_e32 vcc, s10, v101
	s_and_saveexec_b64 s[2:3], vcc
	s_cbranch_execz .LBB233_5
; %bb.53:                               ;   in Loop: Header=BB233_7 Depth=1
	s_mul_i32 s4, s39, s54
	s_ashr_i32 s5, s4, 31
	s_add_u32 s4, s16, s4
	s_waitcnt vmcnt(2)
	v_add_u32_e32 v2, s92, v100
	s_addc_u32 s5, s17, s5
	s_ashr_i32 s6, s40, 31
	v_mul_lo_u32 v0, s54, v100
	v_cmp_gt_u32_e32 vcc, 64, v2
	s_add_u32 s4, s4, s40
	s_addc_u32 s5, s5, s6
	v_cndmask_b32_e32 v0, 0, v0, vcc
	v_ashrrev_i32_e32 v1, 31, v0
	v_lshl_add_u64 v[0:1], s[4:5], 0, v[0:1]
	s_waitcnt vmcnt(1)
	v_lshl_add_u64 v[8:9], v[0:1], 0, v[16:17]
	v_sub_u32_e32 v10, 63, v2
	s_mov_b64 s[4:5], 0
	s_branch .LBB233_55
.LBB233_54:                             ;   in Loop: Header=BB233_55 Depth=2
	s_or_b64 exec, exec, s[6:7]
	v_lshl_add_u32 v13, v11, 11, v124
	;;#ASMSTART
	s_waitcnt vmcnt(1)
	;;#ASMEND
	ds_write2_b32 v13, v4, v5 offset1:32
	ds_write2_b32 v13, v6, v7 offset0:64 offset1:96
	v_add_u32_e32 v4, 0x400, v13
	v_add_u32_e32 v101, s57, v101
	;;#ASMSTART
	s_waitcnt vmcnt(0)
	;;#ASMEND
	ds_write2_b32 v4, v0, v1 offset1:32
	ds_write2_b32 v4, v2, v3 offset0:64 offset1:96
	v_add_u32_e32 v0, 1, v111
	v_add_u32_e32 v104, s57, v11
	v_cmp_le_i32_e32 vcc, s10, v101
	ds_write_b32 v12, v0
	v_add_u32_e32 v0, 2, v111
	s_or_b64 s[4:5], vcc, s[4:5]
	v_cmp_lt_i32_e32 vcc, 3, v104
	s_nop 1
	v_cndmask_b32_e32 v111, v111, v0, vcc
	s_andn2_b64 exec, exec, s[4:5]
	s_cbranch_execz .LBB233_4
.LBB233_55:                             ;   Parent Loop BB233_7 Depth=1
                                        ; =>  This Loop Header: Depth=2
                                        ;       Child Loop BB233_57 Depth 3
	v_cmp_gt_i32_e32 vcc, 4, v104
	s_nop 1
	v_cndmask_b32_e64 v0, -4, 0, vcc
	v_add_u32_e32 v11, v0, v104
	v_lshrrev_b32_e32 v0, 31, v101
	v_add_u32_e32 v0, v101, v0
	v_and_b32_e32 v1, 0x7fffffe, v0
	v_sub_u32_e32 v1, v101, v1
	v_lshlrev_b32_e32 v1, 5, v1
	v_cmp_le_i32_e32 vcc, v1, v10
	v_lshlrev_b32_e32 v0, 5, v0
	v_and_b32_e32 v0, 0xffffffc0, v0
	v_cndmask_b32_e32 v2, 0, v1, vcc
	v_ashrrev_i32_e32 v1, 31, v0
	v_mul_lo_u32 v2, v2, s54
	v_lshl_add_u64 v[0:1], v[8:9], 0, v[0:1]
	v_ashrrev_i32_e32 v3, 31, v2
	v_lshl_add_u64 v[0:1], v[0:1], 0, v[2:3]
	v_lshlrev_b32_e32 v12, 2, v11
	;;#ASMSTART
	global_load_dwordx4 v[4:7], v[0:1], off offset:0   
	global_load_dwordx4 v[0:3], v[0:1], off offset:32  
	
	;;#ASMEND
	ds_read_b32 v13, v12 offset:32768
	v_add_u32_e32 v12, 0x8000, v12
	s_waitcnt lgkmcnt(0)
	v_cmp_ne_u32_e32 vcc, v13, v111
	s_and_saveexec_b64 s[6:7], vcc
	s_cbranch_execz .LBB233_54
; %bb.56:                               ;   in Loop: Header=BB233_55 Depth=2
	s_mov_b64 s[8:9], 0
.LBB233_57:                             ;   Parent Loop BB233_7 Depth=1
                                        ;     Parent Loop BB233_55 Depth=2
                                        ; =>    This Inner Loop Header: Depth=3
	;;#ASMSTART
	s_sleep 0
	;;#ASMEND
	ds_read_b32 v13, v12
	s_waitcnt lgkmcnt(0)
	v_cmp_eq_u32_e32 vcc, v13, v111
	s_or_b64 s[8:9], vcc, s[8:9]
	s_andn2_b64 exec, exec, s[8:9]
	s_cbranch_execnz .LBB233_57
	s_branch .LBB233_54
.LBB233_58:
	s_endpgm
	.section	.rodata,"a",@progbits
	.p2align	6, 0x0
	.amdhsa_kernel _Z19_skinny_gemm_kernelILi2ELi6ELi2ELi32ELi4EEvPKhS1_P6__halfPKfiiiiiiii
		.amdhsa_group_segment_fixed_size 32832
		.amdhsa_private_segment_fixed_size 108
		.amdhsa_kernarg_size 64
		.amdhsa_user_sgpr_count 2
		.amdhsa_user_sgpr_dispatch_ptr 0
		.amdhsa_user_sgpr_queue_ptr 0
		.amdhsa_user_sgpr_kernarg_segment_ptr 1
		.amdhsa_user_sgpr_dispatch_id 0
		.amdhsa_user_sgpr_kernarg_preload_length 0
		.amdhsa_user_sgpr_kernarg_preload_offset 0
		.amdhsa_user_sgpr_private_segment_size 0
		.amdhsa_uses_dynamic_stack 0
		.amdhsa_enable_private_segment 1
		.amdhsa_system_sgpr_workgroup_id_x 1
		.amdhsa_system_sgpr_workgroup_id_y 0
		.amdhsa_system_sgpr_workgroup_id_z 0
		.amdhsa_system_sgpr_workgroup_info 0
		.amdhsa_system_vgpr_workitem_id 0
		.amdhsa_next_free_vgpr 128
		.amdhsa_next_free_sgpr 100
		.amdhsa_accum_offset 128
		.amdhsa_reserve_vcc 1
		.amdhsa_float_round_mode_32 0
		.amdhsa_float_round_mode_16_64 0
		.amdhsa_float_denorm_mode_32 3
		.amdhsa_float_denorm_mode_16_64 3
		.amdhsa_dx10_clamp 1
		.amdhsa_ieee_mode 1
		.amdhsa_fp16_overflow 0
		.amdhsa_tg_split 0
		.amdhsa_exception_fp_ieee_invalid_op 0
		.amdhsa_exception_fp_denorm_src 0
		.amdhsa_exception_fp_ieee_div_zero 0
		.amdhsa_exception_fp_ieee_overflow 0
		.amdhsa_exception_fp_ieee_underflow 0
		.amdhsa_exception_fp_ieee_inexact 0
		.amdhsa_exception_int_div_zero 0
	.end_amdhsa_kernel
	.section	.text._Z19_skinny_gemm_kernelILi2ELi6ELi2ELi32ELi4EEvPKhS1_P6__halfPKfiiiiiiii,"axG",@progbits,_Z19_skinny_gemm_kernelILi2ELi6ELi2ELi32ELi4EEvPKhS1_P6__halfPKfiiiiiiii,comdat
.Lfunc_end233:
	.size	_Z19_skinny_gemm_kernelILi2ELi6ELi2ELi32ELi4EEvPKhS1_P6__halfPKfiiiiiiii, .Lfunc_end233-_Z19_skinny_gemm_kernelILi2ELi6ELi2ELi32ELi4EEvPKhS1_P6__halfPKfiiiiiiii
                                        ; -- End function
	.set _Z19_skinny_gemm_kernelILi2ELi6ELi2ELi32ELi4EEvPKhS1_P6__halfPKfiiiiiiii.num_vgpr, 128
	.set _Z19_skinny_gemm_kernelILi2ELi6ELi2ELi32ELi4EEvPKhS1_P6__halfPKfiiiiiiii.num_agpr, 0
	.set _Z19_skinny_gemm_kernelILi2ELi6ELi2ELi32ELi4EEvPKhS1_P6__halfPKfiiiiiiii.numbered_sgpr, 100
	.set _Z19_skinny_gemm_kernelILi2ELi6ELi2ELi32ELi4EEvPKhS1_P6__halfPKfiiiiiiii.num_named_barrier, 0
	.set _Z19_skinny_gemm_kernelILi2ELi6ELi2ELi32ELi4EEvPKhS1_P6__halfPKfiiiiiiii.private_seg_size, 108
	.set _Z19_skinny_gemm_kernelILi2ELi6ELi2ELi32ELi4EEvPKhS1_P6__halfPKfiiiiiiii.uses_vcc, 1
	.set _Z19_skinny_gemm_kernelILi2ELi6ELi2ELi32ELi4EEvPKhS1_P6__halfPKfiiiiiiii.uses_flat_scratch, 0
	.set _Z19_skinny_gemm_kernelILi2ELi6ELi2ELi32ELi4EEvPKhS1_P6__halfPKfiiiiiiii.has_dyn_sized_stack, 0
	.set _Z19_skinny_gemm_kernelILi2ELi6ELi2ELi32ELi4EEvPKhS1_P6__halfPKfiiiiiiii.has_recursion, 0
	.set _Z19_skinny_gemm_kernelILi2ELi6ELi2ELi32ELi4EEvPKhS1_P6__halfPKfiiiiiiii.has_indirect_call, 0
	.section	.AMDGPU.csdata,"",@progbits
; Kernel info:
; codeLenInByte = 20688
; TotalNumSgprs: 106
; NumVgprs: 128
; NumAgprs: 0
; TotalNumVgprs: 128
; ScratchSize: 108
; MemoryBound: 0
; FloatMode: 240
; IeeeMode: 1
; LDSByteSize: 32832 bytes/workgroup (compile time only)
; SGPRBlocks: 13
; VGPRBlocks: 15
; NumSGPRsForWavesPerEU: 106
; NumVGPRsForWavesPerEU: 128
; AccumOffset: 128
; Occupancy: 4
; WaveLimiterHint : 0
; COMPUTE_PGM_RSRC2:SCRATCH_EN: 1
; COMPUTE_PGM_RSRC2:USER_SGPR: 2
; COMPUTE_PGM_RSRC2:TRAP_HANDLER: 0
; COMPUTE_PGM_RSRC2:TGID_X_EN: 1
; COMPUTE_PGM_RSRC2:TGID_Y_EN: 0
; COMPUTE_PGM_RSRC2:TGID_Z_EN: 0
; COMPUTE_PGM_RSRC2:TIDIG_COMP_CNT: 0
; COMPUTE_PGM_RSRC3_GFX90A:ACCUM_OFFSET: 31
; COMPUTE_PGM_RSRC3_GFX90A:TG_SPLIT: 0
	.section	.text._Z19_skinny_gemm_kernelILi2ELi6ELi3ELi16ELi4EEvPKhS1_P6__halfPKfiiiiiiii,"axG",@progbits,_Z19_skinny_gemm_kernelILi2ELi6ELi3ELi16ELi4EEvPKhS1_P6__halfPKfiiiiiiii,comdat
	.protected	_Z19_skinny_gemm_kernelILi2ELi6ELi3ELi16ELi4EEvPKhS1_P6__halfPKfiiiiiiii ; -- Begin function _Z19_skinny_gemm_kernelILi2ELi6ELi3ELi16ELi4EEvPKhS1_P6__halfPKfiiiiiiii
	.globl	_Z19_skinny_gemm_kernelILi2ELi6ELi3ELi16ELi4EEvPKhS1_P6__halfPKfiiiiiiii
	.p2align	8
	.type	_Z19_skinny_gemm_kernelILi2ELi6ELi3ELi16ELi4EEvPKhS1_P6__halfPKfiiiiiiii,@function
_Z19_skinny_gemm_kernelILi2ELi6ELi3ELi16ELi4EEvPKhS1_P6__halfPKfiiiiiiii: ; @_Z19_skinny_gemm_kernelILi2ELi6ELi3ELi16ELi4EEvPKhS1_P6__halfPKfiiiiiiii
; %bb.0:
	v_cmp_gt_u32_e32 vcc, 24, v0
	v_lshlrev_b32_e32 v1, 2, v0
	s_and_saveexec_b64 s[4:5], vcc
; %bb.1:
	v_mov_b32_e32 v2, 0
	ds_write_b32 v1, v2 offset:49152
; %bb.2:
	s_or_b64 exec, exec, s[4:5]
	s_load_dwordx8 s[20:27], s[0:1], 0x20
	s_mov_b32 s58, 0x2aaaaaab
	s_waitcnt lgkmcnt(0)
	s_barrier
	s_add_i32 s3, s20, 31
	s_ashr_i32 s5, s3, 31
	s_lshr_b32 s5, s5, 27
	s_add_i32 s4, s21, 0x5f
	s_add_i32 s3, s3, s5
	s_ashr_i32 s33, s3, 5
	s_mul_hi_i32 s3, s4, 0x2aaaaaab
	s_lshr_b32 s4, s3, 31
	s_ashr_i32 s56, s3, 4
	s_add_i32 s56, s56, s4
	s_mul_i32 s3, s56, s33
	s_mul_i32 s3, s3, s24
	s_add_i32 s4, s3, 0x12f
	s_mul_hi_i32 s4, s4, 0x6bca1af3
	s_lshr_b32 s5, s4, 31
	s_ashr_i32 s4, s4, 7
	s_add_i32 s4, s4, s5
	s_add_i32 s5, s2, 1
	s_mul_i32 s5, s4, s5
	v_cvt_f64_i32_e32 v[2:3], s3
	v_cvt_f64_u32_e32 v[4:5], s5
	v_min_f64 v[2:3], v[2:3], v[4:5]
	v_cvt_i32_f64_e32 v49, v[2:3]
	s_mul_i32 s57, s4, s2
	v_cmp_ge_i32_e32 vcc, s57, v49
	s_cbranch_vccnz .LBB234_62
; %bb.3:
	v_lshrrev_b32_e32 v2, 6, v0
	s_add_i32 s4, s26, s25
	s_load_dwordx8 s[36:43], s[0:1], 0x0
	v_cmp_le_i32_e64 s[0:1], s4, v2
	v_mov_b32_e32 v3, s25
	v_cmp_le_i32_e64 s[2:3], s25, v2
	v_mov_b32_e32 v4, s26
	v_cndmask_b32_e64 v4, 0, v4, s[0:1]
	v_cndmask_b32_e64 v3, 0, v3, s[2:3]
	s_abs_i32 s5, s24
	v_add_u32_e32 v3, v3, v4
	v_cvt_f32_u32_e32 v4, s5
	v_sub_u32_e32 v62, v2, v3
	s_ashr_i32 s6, s22, 31
	s_lshr_b32 s6, s6, 25
	v_rcp_iflag_f32_e32 v3, v4
	s_sub_i32 s9, 0, s5
	s_add_i32 s6, s22, s6
	s_ashr_i32 s6, s6, 7
	v_mul_f32_e32 v3, 0x4f7ffffe, v3
	v_cvt_u32_f32_e32 v3, v3
	s_abs_i32 s8, s6
	s_xor_b32 s7, s6, s24
	s_ashr_i32 s7, s7, 31
	v_readfirstlane_b32 s10, v3
	s_mul_i32 s9, s9, s10
	s_mul_hi_u32 s9, s10, s9
	s_add_i32 s10, s10, s9
	s_mul_hi_u32 s9, s8, s10
	s_mul_i32 s10, s9, s5
	s_sub_i32 s8, s8, s10
	s_add_i32 s10, s9, 1
	s_sub_i32 s11, s8, s5
	s_cmp_ge_u32 s8, s5
	s_cselect_b32 s9, s10, s9
	s_cselect_b32 s8, s11, s8
	s_add_i32 s10, s9, 1
	s_cmp_ge_u32 s8, s5
	s_cselect_b32 s5, s10, s9
	s_xor_b32 s5, s5, s7
	s_sub_i32 s59, s5, s7
	s_add_i32 s24, s24, -1
	s_mul_i32 s5, s59, s24
	s_add_i32 s4, s4, s27
	s_sub_i32 s60, s6, s5
	v_cmp_gt_i32_e64 s[4:5], s4, v2
	v_lshlrev_b32_e32 v2, 1, v0
	v_lshlrev_b32_e32 v3, 4, v0
	v_and_b32_e32 v1, 60, v1
	v_and_b32_e32 v2, 64, v2
	;; [unrolled: 1-line block ×3, first 2 shown]
	v_or3_b32 v79, v1, v2, v4
	v_and_b32_e32 v1, 1, v0
	v_lshrrev_b32_e32 v4, 2, v0
	s_abs_i32 s61, s33
	v_and_or_b32 v88, v4, 12, v1
	v_cvt_f32_u32_e32 v4, s61
	v_lshlrev_b32_e32 v2, 1, v1
	v_and_b32_e32 v48, 14, v0
	v_sub_u32_e32 v2, v0, v2
	v_bitop3_b32 v81, v0, 1, v0 bitop3:0xc
	v_bitop3_b32 v82, v0, 3, 1 bitop3:0x6c
	v_and_b32_e32 v54, 48, v3
	v_bfe_u32 v90, v0, 2, 4
	v_and_b32_e32 v1, 60, v0
	v_lshlrev_b32_e32 v3, 8, v0
	v_lshlrev_b32_e32 v0, 6, v0
	v_and_b32_e32 v3, 0x200, v3
	v_and_b32_e32 v0, 64, v0
	v_or3_b32 v91, v1, v3, v0
	v_rcp_iflag_f32_e32 v0, v4
	s_abs_i32 s63, s56
	v_cvt_f32_u32_e32 v1, s63
	v_mad_u64_u32 v[50:51], s[6:7], s21, v88, v[48:49]
	v_mul_f32_e32 v0, 0x4f7ffffe, v0
	v_cvt_u32_f32_e32 v0, v0
	v_rcp_iflag_f32_e32 v1, v1
	s_sub_i32 s6, 0, s61
	v_add_u32_e32 v2, 1, v2
	v_readfirstlane_b32 s7, v0
	v_mul_f32_e32 v0, 0x4f7ffffe, v1
	v_cvt_u32_f32_e32 v0, v0
	s_mul_i32 s6, s6, s7
	s_mul_hi_u32 s6, s7, s6
	s_add_i32 s65, s7, s6
	s_sub_i32 s6, 0, s63
	v_readfirstlane_b32 s7, v0
	v_mbcnt_lo_u32_b32 v0, -1, 0
	v_and_b32_e32 v2, 63, v2
	s_mul_i32 s6, s6, s7
	v_mbcnt_hi_u32_b32 v0, -1, v0
	v_lshl_add_u32 v52, s21, 4, v50
	v_mul_lo_u32 v56, s23, v90
	s_mul_hi_u32 s6, s7, s6
	v_and_or_b32 v0, v0, 64, v2
	v_cndmask_b32_e64 v78, 0, 1, s[0:1]
	v_or_b32_e32 v80, 0x9000, v79
	s_ashr_i32 s29, s21, 31
	s_mov_b32 s28, s21
	v_or_b32_e32 v83, 16, v48
	v_or_b32_e32 v84, 32, v48
	;; [unrolled: 1-line block ×5, first 2 shown]
	v_ashrrev_i32_e32 v51, 31, v50
	v_or_b32_e32 v89, 16, v88
	v_ashrrev_i32_e32 v53, 31, v52
	v_ashrrev_i32_e32 v57, 31, v56
	v_mov_b32_e32 v55, 0
	s_lshl_b32 s62, s23, 4
	v_mul_lo_u32 v92, s22, v90
	v_or_b32_e32 v93, 0x9000, v91
	s_ashr_i32 s64, s33, 31
	s_ashr_i32 s66, s56, 31
	s_add_i32 s67, s7, s6
	s_movk_i32 s68, 0x3000
	s_mov_b64 s[30:31], 0x60
	s_mov_b64 s[34:35], 0x80
	;; [unrolled: 1-line block ×3, first 2 shown]
	v_lshlrev_b32_e32 v94, 2, v0
	v_not_b32_e32 v95, 17
	v_mov_b32_e32 v96, v62
	s_branch .LBB234_7
.LBB234_4:                              ;   in Loop: Header=BB234_7 Depth=1
	s_or_b64 exec, exec, s[10:11]
.LBB234_5:                              ;   in Loop: Header=BB234_7 Depth=1
	s_or_b64 exec, exec, s[8:9]
	v_subrev_u32_e32 v96, s16, v96
.LBB234_6:                              ;   in Loop: Header=BB234_7 Depth=1
	s_or_b64 exec, exec, s[6:7]
	s_add_i32 s57, s57, 1
	v_cmp_ge_i32_e32 vcc, s57, v49
	s_cbranch_vccnz .LBB234_62
.LBB234_7:                              ; =>This Loop Header: Depth=1
                                        ;     Child Loop BB234_13 Depth 2
                                        ;       Child Loop BB234_15 Depth 3
                                        ;       Child Loop BB234_18 Depth 3
	;; [unrolled: 1-line block ×8, first 2 shown]
                                        ;     Child Loop BB234_49 Depth 2
                                        ;       Child Loop BB234_51 Depth 3
                                        ;     Child Loop BB234_59 Depth 2
                                        ;       Child Loop BB234_61 Depth 3
	s_abs_i32 s7, s57
	s_mul_hi_u32 s8, s7, s65
	s_mul_i32 s9, s8, s61
	s_ashr_i32 s6, s57, 31
	s_sub_i32 s7, s7, s9
	s_xor_b32 s6, s6, s64
	s_add_i32 s9, s8, 1
	s_sub_i32 s10, s7, s61
	s_cmp_ge_u32 s7, s61
	s_cselect_b32 s8, s9, s8
	s_cselect_b32 s7, s10, s7
	s_add_i32 s9, s8, 1
	s_cmp_ge_u32 s7, s61
	s_cselect_b32 s7, s9, s8
	s_xor_b32 s7, s7, s6
	s_sub_i32 s6, s7, s6
	s_abs_i32 s8, s6
	s_mul_i32 s7, s6, s33
	s_mul_hi_u32 s9, s8, s67
	s_sub_i32 s7, s57, s7
	s_mul_i32 s10, s9, s63
	s_lshl_b32 s69, s7, 5
	s_ashr_i32 s7, s6, 31
	s_sub_i32 s8, s8, s10
	s_xor_b32 s7, s7, s66
	s_add_i32 s10, s9, 1
	s_sub_i32 s11, s8, s63
	s_cmp_ge_u32 s8, s63
	s_cselect_b32 s9, s10, s9
	s_cselect_b32 s8, s11, s8
	s_add_i32 s10, s9, 1
	s_cmp_ge_u32 s8, s63
	s_cselect_b32 s8, s10, s9
	s_xor_b32 s8, s8, s7
	s_sub_i32 s7, s8, s7
	s_mul_i32 s8, s7, s59
	s_lshl_b32 s70, s8, 7
	s_cmp_eq_u32 s7, s24
	s_cselect_b32 s72, s60, s59
	s_sub_i32 s8, s69, s20
	s_add_i32 s8, s8, 32
	s_max_i32 s71, s8, 0
	s_and_saveexec_b64 s[8:9], s[2:3]
	s_xor_b64 s[46:47], exec, s[8:9]
	s_cbranch_execz .LBB234_55
; %bb.8:                                ;   in Loop: Header=BB234_7 Depth=1
	s_mul_i32 s7, s7, s56
	s_sub_i32 s6, s6, s7
	s_mulk_i32 s6, 0x60
	s_sub_i32 s49, s6, s21
	s_addk_i32 s49, 0x60
	s_max_i32 s7, s49, 0
	s_sub_i32 s48, s6, s7
	s_and_saveexec_b64 s[6:7], s[0:1]
	s_xor_b64 s[50:51], exec, s[6:7]
	s_cbranch_execz .LBB234_45
; %bb.9:                                ;   in Loop: Header=BB234_7 Depth=1
	s_and_saveexec_b64 s[52:53], s[4:5]
	s_cbranch_execz .LBB234_44
; %bb.10:                               ;   in Loop: Header=BB234_7 Depth=1
	s_waitcnt lgkmcnt(0)
	global_load_dword v97, v55, s[42:43]
	v_mov_b32_e32 v47, 0
	v_cmp_gt_i32_e32 vcc, s72, v96
	v_mov_b32_e32 v46, v47
	v_mov_b32_e32 v45, v47
	;; [unrolled: 1-line block ×47, first 2 shown]
	s_and_saveexec_b64 s[6:7], vcc
	s_cbranch_execz .LBB234_38
; %bb.11:                               ;   in Loop: Header=BB234_7 Depth=1
	v_mov_b32_e32 v8, 0
	s_mov_b64 s[8:9], 0
	v_mov_b32_e32 v9, v8
	v_mov_b32_e32 v10, v8
	;; [unrolled: 1-line block ×47, first 2 shown]
	s_branch .LBB234_13
.LBB234_12:                             ;   in Loop: Header=BB234_13 Depth=2
	s_or_b64 exec, exec, s[10:11]
	v_add_u32_e32 v75, 0x2800, v74
	ds_read2_b32 v[76:77], v75 offset1:32
	v_add_u32_e32 v101, 0x2c00, v74
	v_add_u32_e32 v96, s27, v96
	s_waitcnt lgkmcnt(0)
	v_mfma_f32_16x16x32_fp8_fp8 v[24:27], v[58:59], v[76:77], v[24:27]
	ds_read2_b32 v[58:59], v75 offset0:128 offset1:160
	ds_read2_b32 v[74:75], v101 offset1:32
	v_mfma_f32_16x16x32_fp8_fp8 v[8:11], v[68:69], v[76:77], v[8:11]
	s_waitcnt lgkmcnt(1)
	v_mfma_f32_16x16x32_fp8_fp8 v[24:27], v[62:63], v[58:59], v[24:27]
	v_add_u32_e32 v62, s27, v98
	v_cmp_lt_i32_e32 vcc, 2, v62
	v_mfma_f32_16x16x32_fp8_fp8 v[8:11], v[72:73], v[58:59], v[8:11]
	v_add_u32_e32 v58, 2, v78
	v_cndmask_b32_e32 v78, v78, v58, vcc
	v_cmp_le_i32_e32 vcc, s72, v96
	s_waitcnt lgkmcnt(0)
	v_mfma_f32_16x16x32_fp8_fp8 v[24:27], v[64:65], v[74:75], v[24:27]
	ds_read2_b32 v[64:65], v101 offset0:128 offset1:160
	s_or_b64 s[8:9], vcc, s[8:9]
	;;#ASMSTART
	s_waitcnt lgkmcnt(0)
	;;#ASMEND
	v_mfma_f32_16x16x32_fp8_fp8 v[8:11], v[70:71], v[74:75], v[8:11]
	ds_write_b32 v99, v100 offset:49196
	s_waitcnt lgkmcnt(1)
	v_mfma_f32_16x16x32_fp8_fp8 v[24:27], v[66:67], v[64:65], v[24:27]
	v_mfma_f32_16x16x32_fp8_fp8 v[8:11], v[60:61], v[64:65], v[8:11]
	s_andn2_b64 exec, exec, s[8:9]
	s_cbranch_execz .LBB234_37
.LBB234_13:                             ;   Parent Loop BB234_7 Depth=1
                                        ; =>  This Loop Header: Depth=2
                                        ;       Child Loop BB234_15 Depth 3
                                        ;       Child Loop BB234_18 Depth 3
	;; [unrolled: 1-line block ×8, first 2 shown]
	v_cmp_gt_i32_e32 vcc, 3, v62
	s_nop 1
	v_cndmask_b32_e64 v58, -3, 0, vcc
	v_add_u32_e32 v98, v58, v62
	v_mul_lo_u32 v99, v98, 24
	ds_read_b32 v58, v99 offset:49176
	s_waitcnt lgkmcnt(0)
	v_cmp_ne_u32_e32 vcc, v58, v78
	s_and_saveexec_b64 s[10:11], vcc
	s_cbranch_execz .LBB234_16
; %bb.14:                               ;   in Loop: Header=BB234_13 Depth=2
	s_mov_b64 s[12:13], 0
.LBB234_15:                             ;   Parent Loop BB234_7 Depth=1
                                        ;     Parent Loop BB234_13 Depth=2
                                        ; =>    This Inner Loop Header: Depth=3
	;;#ASMSTART
	s_sleep 0
	;;#ASMEND
	ds_read_b32 v58, v99 offset:49176
	s_waitcnt lgkmcnt(0)
	v_cmp_eq_u32_e32 vcc, v58, v78
	s_or_b64 s[12:13], vcc, s[12:13]
	s_andn2_b64 exec, exec, s[12:13]
	s_cbranch_execnz .LBB234_15
.LBB234_16:                             ;   in Loop: Header=BB234_13 Depth=2
	s_or_b64 exec, exec, s[10:11]
	v_mul_lo_u32 v101, v98, s68
	v_or_b32_e32 v58, v79, v101
	ds_read2_b32 v[70:71], v58 offset1:32
	ds_read2_b32 v[60:61], v58 offset0:128 offset1:160
	v_add_u32_e32 v58, 0x400, v58
	v_lshlrev_b32_e32 v102, 3, v98
	ds_read2_b32 v[76:77], v58 offset1:32
	ds_read2_b32 v[74:75], v58 offset0:128 offset1:160
	;;#ASMSTART
	s_waitcnt lgkmcnt(0)
	;;#ASMEND
	ds_read_b32 v58, v102 offset:49152
	v_add_u32_e32 v100, 1, v78
	ds_write_b32 v99, v100 offset:49176
	s_waitcnt lgkmcnt(1)
	v_cmp_ne_u32_e32 vcc, v58, v78
	s_and_saveexec_b64 s[10:11], vcc
	s_cbranch_execz .LBB234_19
; %bb.17:                               ;   in Loop: Header=BB234_13 Depth=2
	s_mov_b64 s[12:13], 0
.LBB234_18:                             ;   Parent Loop BB234_7 Depth=1
                                        ;     Parent Loop BB234_13 Depth=2
                                        ; =>    This Inner Loop Header: Depth=3
	;;#ASMSTART
	s_sleep 0
	;;#ASMEND
	ds_read_b32 v58, v102 offset:49152
	s_waitcnt lgkmcnt(0)
	v_cmp_eq_u32_e32 vcc, v58, v78
	s_or_b64 s[12:13], vcc, s[12:13]
	s_andn2_b64 exec, exec, s[12:13]
	s_cbranch_execnz .LBB234_18
.LBB234_19:                             ;   in Loop: Header=BB234_13 Depth=2
	s_or_b64 exec, exec, s[10:11]
	v_lshlrev_b32_e32 v58, 12, v98
	v_add_u32_e32 v103, v80, v58
	ds_read2_b32 v[58:59], v103 offset1:32
	ds_read2_b32 v[62:63], v103 offset0:128 offset1:160
	v_add_u32_e32 v66, 0x400, v103
	ds_read2_b32 v[64:65], v66 offset1:32
	ds_read2_b32 v[66:67], v66 offset0:128 offset1:160
	ds_read_b32 v68, v102 offset:49156
	ds_write_b32 v102, v100 offset:49152
	s_waitcnt lgkmcnt(5)
	v_mfma_f32_16x16x32_fp8_fp8 v[44:47], v[58:59], v[70:71], v[44:47]
	s_waitcnt lgkmcnt(1)
	v_cmp_ne_u32_e32 vcc, v68, v78
	v_mfma_f32_16x16x32_fp8_fp8 v[44:47], v[62:63], v[60:61], v[44:47]
	v_mfma_f32_16x16x32_fp8_fp8 v[44:47], v[64:65], v[76:77], v[44:47]
	v_mfma_f32_16x16x32_fp8_fp8 v[44:47], v[66:67], v[74:75], v[44:47]
	s_and_saveexec_b64 s[10:11], vcc
	s_cbranch_execz .LBB234_22
; %bb.20:                               ;   in Loop: Header=BB234_13 Depth=2
	s_mov_b64 s[12:13], 0
.LBB234_21:                             ;   Parent Loop BB234_7 Depth=1
                                        ;     Parent Loop BB234_13 Depth=2
                                        ; =>    This Inner Loop Header: Depth=3
	;;#ASMSTART
	s_sleep 0
	;;#ASMEND
	ds_read_b32 v68, v102 offset:49156
	s_waitcnt lgkmcnt(0)
	v_cmp_eq_u32_e32 vcc, v68, v78
	s_or_b64 s[12:13], vcc, s[12:13]
	s_andn2_b64 exec, exec, s[12:13]
	s_cbranch_execnz .LBB234_21
.LBB234_22:                             ;   in Loop: Header=BB234_13 Depth=2
	s_or_b64 exec, exec, s[10:11]
	v_add_u32_e32 v72, 0x800, v103
	ds_read2_b32 v[68:69], v72 offset1:32
	ds_read2_b32 v[72:73], v72 offset0:128 offset1:160
	v_add_u32_e32 v103, 0xc00, v103
	s_waitcnt lgkmcnt(1)
	v_mfma_f32_16x16x32_fp8_fp8 v[20:23], v[68:69], v[70:71], v[20:23]
	ds_read2_b32 v[70:71], v103 offset1:32
	s_waitcnt lgkmcnt(1)
	v_mfma_f32_16x16x32_fp8_fp8 v[20:23], v[72:73], v[60:61], v[20:23]
	s_waitcnt lgkmcnt(0)
	v_mfma_f32_16x16x32_fp8_fp8 v[20:23], v[70:71], v[76:77], v[20:23]
	ds_read2_b32 v[60:61], v103 offset0:128 offset1:160
	ds_read_b32 v76, v99 offset:49180
	ds_write_b32 v102, v100 offset:49156
	s_waitcnt lgkmcnt(1)
	v_cmp_ne_u32_e32 vcc, v76, v78
	v_mfma_f32_16x16x32_fp8_fp8 v[20:23], v[60:61], v[74:75], v[20:23]
	s_and_saveexec_b64 s[10:11], vcc
	s_cbranch_execz .LBB234_25
; %bb.23:                               ;   in Loop: Header=BB234_13 Depth=2
	s_mov_b64 s[12:13], 0
.LBB234_24:                             ;   Parent Loop BB234_7 Depth=1
                                        ;     Parent Loop BB234_13 Depth=2
                                        ; =>    This Inner Loop Header: Depth=3
	;;#ASMSTART
	s_sleep 0
	;;#ASMEND
	ds_read_b32 v74, v99 offset:49180
	s_waitcnt lgkmcnt(0)
	v_cmp_eq_u32_e32 vcc, v74, v78
	s_or_b64 s[12:13], vcc, s[12:13]
	s_andn2_b64 exec, exec, s[12:13]
	s_cbranch_execnz .LBB234_24
.LBB234_25:                             ;   in Loop: Header=BB234_13 Depth=2
	s_or_b64 exec, exec, s[10:11]
	v_add_u32_e32 v74, v79, v101
	v_add_u32_e32 v75, 0x800, v74
	ds_read2_b32 v[76:77], v75 offset1:32
	s_waitcnt lgkmcnt(0)
	v_mfma_f32_16x16x32_fp8_fp8 v[40:43], v[58:59], v[76:77], v[40:43]
	v_mfma_f32_16x16x32_fp8_fp8 v[16:19], v[68:69], v[76:77], v[16:19]
	ds_read2_b32 v[76:77], v75 offset0:128 offset1:160
	v_add_u32_e32 v75, 0xc00, v74
	ds_read2_b32 v[102:103], v75 offset1:32
	s_waitcnt lgkmcnt(1)
	v_mfma_f32_16x16x32_fp8_fp8 v[40:43], v[62:63], v[76:77], v[40:43]
	ds_read2_b32 v[104:105], v75 offset0:128 offset1:160
	;;#ASMSTART
	s_waitcnt lgkmcnt(0)
	;;#ASMEND
	ds_read_b32 v75, v99 offset:49184
	v_mfma_f32_16x16x32_fp8_fp8 v[16:19], v[72:73], v[76:77], v[16:19]
	ds_write_b32 v99, v100 offset:49180
	s_waitcnt lgkmcnt(1)
	v_cmp_ne_u32_e32 vcc, v75, v78
	v_mfma_f32_16x16x32_fp8_fp8 v[40:43], v[64:65], v[102:103], v[40:43]
	v_mfma_f32_16x16x32_fp8_fp8 v[16:19], v[70:71], v[102:103], v[16:19]
	v_mfma_f32_16x16x32_fp8_fp8 v[40:43], v[66:67], v[104:105], v[40:43]
	v_mfma_f32_16x16x32_fp8_fp8 v[16:19], v[60:61], v[104:105], v[16:19]
	s_and_saveexec_b64 s[10:11], vcc
	s_cbranch_execz .LBB234_28
; %bb.26:                               ;   in Loop: Header=BB234_13 Depth=2
	s_mov_b64 s[12:13], 0
.LBB234_27:                             ;   Parent Loop BB234_7 Depth=1
                                        ;     Parent Loop BB234_13 Depth=2
                                        ; =>    This Inner Loop Header: Depth=3
	;;#ASMSTART
	s_sleep 0
	;;#ASMEND
	ds_read_b32 v75, v99 offset:49184
	s_waitcnt lgkmcnt(0)
	v_cmp_eq_u32_e32 vcc, v75, v78
	s_or_b64 s[12:13], vcc, s[12:13]
	s_andn2_b64 exec, exec, s[12:13]
	s_cbranch_execnz .LBB234_27
.LBB234_28:                             ;   in Loop: Header=BB234_13 Depth=2
	s_or_b64 exec, exec, s[10:11]
	v_add_u32_e32 v75, 0x1000, v74
	ds_read2_b32 v[76:77], v75 offset1:32
	ds_read2_b32 v[102:103], v75 offset0:128 offset1:160
	v_add_u32_e32 v75, 0x1400, v74
	ds_read2_b32 v[104:105], v75 offset1:32
	ds_read2_b32 v[106:107], v75 offset0:128 offset1:160
	s_waitcnt lgkmcnt(3)
	v_mfma_f32_16x16x32_fp8_fp8 v[36:39], v[58:59], v[76:77], v[36:39]
	;;#ASMSTART
	s_waitcnt lgkmcnt(0)
	;;#ASMEND
	ds_read_b32 v75, v99 offset:49188
	ds_write_b32 v99, v100 offset:49184
	v_mfma_f32_16x16x32_fp8_fp8 v[12:15], v[68:69], v[76:77], v[12:15]
	s_waitcnt lgkmcnt(1)
	v_cmp_ne_u32_e32 vcc, v75, v78
	v_mfma_f32_16x16x32_fp8_fp8 v[36:39], v[62:63], v[102:103], v[36:39]
	v_mfma_f32_16x16x32_fp8_fp8 v[12:15], v[72:73], v[102:103], v[12:15]
	v_mfma_f32_16x16x32_fp8_fp8 v[36:39], v[64:65], v[104:105], v[36:39]
	v_mfma_f32_16x16x32_fp8_fp8 v[12:15], v[70:71], v[104:105], v[12:15]
	v_mfma_f32_16x16x32_fp8_fp8 v[36:39], v[66:67], v[106:107], v[36:39]
	v_mfma_f32_16x16x32_fp8_fp8 v[12:15], v[60:61], v[106:107], v[12:15]
	s_and_saveexec_b64 s[10:11], vcc
	s_cbranch_execz .LBB234_31
; %bb.29:                               ;   in Loop: Header=BB234_13 Depth=2
	s_mov_b64 s[12:13], 0
.LBB234_30:                             ;   Parent Loop BB234_7 Depth=1
                                        ;     Parent Loop BB234_13 Depth=2
                                        ; =>    This Inner Loop Header: Depth=3
	;;#ASMSTART
	s_sleep 0
	;;#ASMEND
	ds_read_b32 v75, v99 offset:49188
	s_waitcnt lgkmcnt(0)
	v_cmp_eq_u32_e32 vcc, v75, v78
	s_or_b64 s[12:13], vcc, s[12:13]
	s_andn2_b64 exec, exec, s[12:13]
	s_cbranch_execnz .LBB234_30
.LBB234_31:                             ;   in Loop: Header=BB234_13 Depth=2
	s_or_b64 exec, exec, s[10:11]
	v_add_u32_e32 v75, 0x1800, v74
	ds_read2_b32 v[76:77], v75 offset1:32
	ds_read2_b32 v[102:103], v75 offset0:128 offset1:160
	v_add_u32_e32 v75, 0x1c00, v74
	ds_read2_b32 v[104:105], v75 offset1:32
	ds_read2_b32 v[106:107], v75 offset0:128 offset1:160
	s_waitcnt lgkmcnt(3)
	v_mfma_f32_16x16x32_fp8_fp8 v[32:35], v[58:59], v[76:77], v[32:35]
	;;#ASMSTART
	s_waitcnt lgkmcnt(0)
	;;#ASMEND
	ds_read_b32 v75, v99 offset:49192
	ds_write_b32 v99, v100 offset:49188
	v_mfma_f32_16x16x32_fp8_fp8 v[4:7], v[68:69], v[76:77], v[4:7]
	s_waitcnt lgkmcnt(1)
	v_cmp_ne_u32_e32 vcc, v75, v78
	v_mfma_f32_16x16x32_fp8_fp8 v[32:35], v[62:63], v[102:103], v[32:35]
	v_mfma_f32_16x16x32_fp8_fp8 v[4:7], v[72:73], v[102:103], v[4:7]
	;; [unrolled: 40-line block ×3, first 2 shown]
	v_mfma_f32_16x16x32_fp8_fp8 v[28:31], v[64:65], v[104:105], v[28:31]
	v_mfma_f32_16x16x32_fp8_fp8 v[0:3], v[70:71], v[104:105], v[0:3]
	;; [unrolled: 1-line block ×4, first 2 shown]
	s_and_saveexec_b64 s[10:11], vcc
	s_cbranch_execz .LBB234_12
; %bb.35:                               ;   in Loop: Header=BB234_13 Depth=2
	s_mov_b64 s[12:13], 0
.LBB234_36:                             ;   Parent Loop BB234_7 Depth=1
                                        ;     Parent Loop BB234_13 Depth=2
                                        ; =>    This Inner Loop Header: Depth=3
	;;#ASMSTART
	s_sleep 0
	;;#ASMEND
	ds_read_b32 v75, v99 offset:49196
	s_waitcnt lgkmcnt(0)
	v_cmp_eq_u32_e32 vcc, v75, v78
	s_or_b64 s[12:13], vcc, s[12:13]
	s_andn2_b64 exec, exec, s[12:13]
	s_cbranch_execnz .LBB234_36
	s_branch .LBB234_12
.LBB234_37:                             ;   in Loop: Header=BB234_7 Depth=1
	s_or_b64 exec, exec, s[8:9]
.LBB234_38:                             ;   in Loop: Header=BB234_7 Depth=1
	s_or_b64 exec, exec, s[6:7]
	v_cmp_le_i32_e32 vcc, s49, v48
	v_cmp_eq_u32_e64 s[12:13], 1, v81
	v_cmp_eq_u32_e64 s[6:7], 3, v81
	s_waitcnt vmcnt(0)
	v_cndmask_b32_e32 v58, 0, v97, vcc
	v_pk_mul_f32 v[44:45], v[58:59], v[44:45] op_sel_hi:[0,1]
	v_pk_mul_f32 v[60:61], v[58:59], v[46:47] op_sel_hi:[0,1]
	v_cndmask_b32_e64 v46, v44, v45, s[12:13]
	v_cmp_eq_u32_e32 vcc, 2, v81
	v_cmp_eq_u32_e64 s[8:9], 0, v81
	v_cmp_le_i32_e64 s[14:15], s49, v83
	v_cndmask_b32_e32 v46, v46, v60, vcc
	v_cndmask_b32_e64 v46, v46, v61, s[6:7]
	ds_bpermute_b32 v59, v94, v46
	v_cmp_le_i32_e64 s[18:19], s49, v84
	v_cmp_eq_u32_e64 s[10:11], 1, v82
	v_cmp_eq_u32_e64 s[16:17], 3, v82
	s_waitcnt lgkmcnt(0)
	v_cndmask_b32_e64 v46, v61, v59, s[6:7]
	v_cndmask_b32_e32 v47, v60, v59, vcc
	v_cndmask_b32_e64 v45, v45, v59, s[12:13]
	v_cndmask_b32_e64 v59, v44, v59, s[8:9]
	;; [unrolled: 1-line block ×3, first 2 shown]
	v_pk_mul_f32 v[40:41], v[44:45], v[40:41] op_sel_hi:[0,1]
	v_pk_mul_f32 v[60:61], v[44:45], v[42:43] op_sel_hi:[0,1]
	v_cndmask_b32_e64 v42, v40, v41, s[12:13]
	v_cndmask_b32_e32 v42, v42, v60, vcc
	v_cndmask_b32_e64 v42, v42, v61, s[6:7]
	ds_bpermute_b32 v64, v94, v42
	v_cndmask_b32_e64 v63, v59, v45, s[10:11]
	v_cmp_eq_u32_e64 s[14:15], 2, v82
	s_waitcnt lgkmcnt(0)
	v_cndmask_b32_e64 v41, v41, v64, s[12:13]
	v_cndmask_b32_e64 v65, v40, v64, s[8:9]
	;; [unrolled: 1-line block ×3, first 2 shown]
	v_pk_mul_f32 v[36:37], v[40:41], v[36:37] op_sel_hi:[0,1]
	v_pk_mul_f32 v[66:67], v[40:41], v[38:39] op_sel_hi:[0,1]
	v_cndmask_b32_e64 v38, v36, v37, s[12:13]
	v_cndmask_b32_e32 v38, v38, v66, vcc
	v_cndmask_b32_e64 v38, v38, v67, s[6:7]
	v_cndmask_b32_e64 v42, v63, v47, s[14:15]
	ds_bpermute_b32 v63, v94, v38
	v_cmp_le_i32_e64 s[18:19], s49, v85
	v_cndmask_b32_e64 v43, v61, v64, s[6:7]
	v_cndmask_b32_e32 v60, v60, v64, vcc
	v_cndmask_b32_e64 v38, v65, v41, s[10:11]
	s_waitcnt lgkmcnt(0)
	v_cndmask_b32_e64 v37, v37, v63, s[12:13]
	v_cndmask_b32_e64 v68, v36, v63, s[8:9]
	;; [unrolled: 1-line block ×3, first 2 shown]
	v_pk_mul_f32 v[32:33], v[36:37], v[32:33] op_sel_hi:[0,1]
	v_cndmask_b32_e64 v39, v67, v63, s[6:7]
	v_cndmask_b32_e32 v61, v66, v63, vcc
	v_pk_mul_f32 v[66:67], v[36:37], v[34:35] op_sel_hi:[0,1]
	v_cndmask_b32_e64 v34, v32, v33, s[12:13]
	v_cndmask_b32_e32 v34, v34, v66, vcc
	v_cndmask_b32_e64 v34, v34, v67, s[6:7]
	ds_bpermute_b32 v64, v94, v34
	v_cmp_le_i32_e64 s[18:19], s49, v86
	v_cndmask_b32_e64 v34, v68, v37, s[10:11]
	v_cndmask_b32_e64 v38, v38, v60, s[14:15]
	;; [unrolled: 1-line block ×3, first 2 shown]
	s_waitcnt lgkmcnt(0)
	v_cndmask_b32_e64 v33, v33, v64, s[12:13]
	v_cndmask_b32_e64 v69, v32, v64, s[8:9]
	;; [unrolled: 1-line block ×3, first 2 shown]
	v_pk_mul_f32 v[28:29], v[32:33], v[28:29] op_sel_hi:[0,1]
	v_cndmask_b32_e64 v35, v67, v64, s[6:7]
	v_cndmask_b32_e32 v63, v66, v64, vcc
	v_pk_mul_f32 v[66:67], v[32:33], v[30:31] op_sel_hi:[0,1]
	v_cndmask_b32_e64 v30, v28, v29, s[12:13]
	v_cndmask_b32_e32 v30, v30, v66, vcc
	v_cndmask_b32_e64 v30, v30, v67, s[6:7]
	ds_bpermute_b32 v71, v94, v30
	v_cmp_le_i32_e64 s[18:19], s49, v87
	v_cndmask_b32_e64 v30, v69, v33, s[10:11]
	v_cndmask_b32_e64 v30, v30, v63, s[14:15]
	;; [unrolled: 1-line block ×3, first 2 shown]
	s_waitcnt lgkmcnt(0)
	v_cndmask_b32_e64 v31, v67, v71, s[6:7]
	v_cndmask_b32_e32 v64, v66, v71, vcc
	v_cndmask_b32_e64 v70, v29, v71, s[12:13]
	v_cndmask_b32_e64 v71, v28, v71, s[8:9]
	;; [unrolled: 1-line block ×3, first 2 shown]
	v_pk_mul_f32 v[74:75], v[28:29], v[24:25] op_sel_hi:[0,1]
	v_pk_mul_f32 v[72:73], v[28:29], v[26:27] op_sel_hi:[0,1]
	v_cndmask_b32_e64 v24, v74, v75, s[12:13]
	v_cndmask_b32_e32 v24, v24, v72, vcc
	v_cndmask_b32_e64 v24, v24, v73, s[6:7]
	ds_bpermute_b32 v25, v94, v24
	v_cndmask_b32_e64 v24, v71, v70, s[10:11]
	v_cndmask_b32_e64 v24, v24, v64, s[14:15]
	;; [unrolled: 1-line block ×3, first 2 shown]
	ds_bpermute_b32 v66, v94, v24
	s_waitcnt lgkmcnt(1)
	v_cndmask_b32_e32 v27, v72, v25, vcc
	v_cmp_ne_u32_e32 vcc, 0, v81
	v_cndmask_b32_e64 v26, v73, v25, s[6:7]
	v_cndmask_b32_e64 v38, v38, v43, s[16:17]
	v_cndmask_b32_e32 v24, v75, v25, vcc
	v_cndmask_b32_e64 v25, v74, v25, s[8:9]
	v_cndmask_b32_e64 v29, v25, v24, s[10:11]
	;; [unrolled: 1-line block ×6, first 2 shown]
	ds_bpermute_b32 v42, v94, v42
	ds_bpermute_b32 v38, v94, v38
	;; [unrolled: 1-line block ×5, first 2 shown]
	v_add_u32_e32 v29, s71, v88
	v_cmp_gt_u32_e32 vcc, 32, v29
	s_and_saveexec_b64 s[18:19], vcc
	s_cbranch_execz .LBB234_43
; %bb.39:                               ;   in Loop: Header=BB234_7 Depth=1
	v_cmp_eq_u32_e64 s[8:9], 1, v82
	v_cmp_eq_u32_e64 s[10:11], 0, v82
	v_cmp_eq_u32_e32 vcc, 3, v82
	s_waitcnt lgkmcnt(4)
	v_cndmask_b32_e64 v45, v45, v42, s[8:9]
	s_waitcnt lgkmcnt(3)
	v_cndmask_b32_e64 v41, v41, v38, s[8:9]
	;; [unrolled: 2-line block ×4, first 2 shown]
	v_cndmask_b32_e64 v70, v70, v66, s[8:9]
	s_waitcnt lgkmcnt(0)
	v_cndmask_b32_e64 v74, v24, v67, s[8:9]
	s_mul_i32 s8, s69, s21
	s_ashr_i32 s9, s8, 31
	s_lshl_b64 s[8:9], s[8:9], 1
	v_cndmask_b32_e64 v59, v59, v42, s[10:11]
	v_cndmask_b32_e64 v65, v65, v38, s[10:11]
	;; [unrolled: 1-line block ×6, first 2 shown]
	s_add_u32 s10, s40, s8
	s_addc_u32 s11, s41, s9
	s_ashr_i32 s49, s48, 31
	v_cvt_f16_f32_e32 v59, v59
	v_cvt_f16_f32_sdwa v45, v45 dst_sel:WORD_1 dst_unused:UNUSED_PAD src0_sel:DWORD
	v_cvt_f16_f32_e32 v65, v65
	v_cvt_f16_f32_sdwa v41, v41 dst_sel:WORD_1 dst_unused:UNUSED_PAD src0_sel:DWORD
	s_lshl_b64 s[8:9], s[48:49], 1
	s_add_u32 s54, s10, s8
	s_addc_u32 s55, s11, s9
	v_lshl_add_u64 v[24:25], v[50:51], 1, s[54:55]
	v_or_b32_e32 v45, v45, v59
	v_or_b32_e32 v41, v41, v65
	;;#ASMSTART
	global_atomic_pk_add_f16 v[24:25], v45, off
	
	;;#ASMEND
	v_lshl_add_u64 v[68:69], v[24:25], 0, 32
	;;#ASMSTART
	global_atomic_pk_add_f16 v[68:69], v41, off
	
	;;#ASMEND
	v_cvt_f16_f32_e32 v41, v72
	v_cvt_f16_f32_sdwa v37, v37 dst_sel:WORD_1 dst_unused:UNUSED_PAD src0_sel:DWORD
	v_cvt_f16_f32_e32 v45, v73
	v_cvt_f16_f32_sdwa v33, v33 dst_sel:WORD_1 dst_unused:UNUSED_PAD src0_sel:DWORD
	v_lshl_add_u64 v[68:69], v[24:25], 0, 64
	v_or_b32_e32 v37, v37, v41
	;;#ASMSTART
	global_atomic_pk_add_f16 v[68:69], v37, off
	
	;;#ASMEND
	v_or_b32_e32 v33, v33, v45
	v_lshl_add_u64 v[68:69], v[24:25], 0, s[30:31]
	;;#ASMSTART
	global_atomic_pk_add_f16 v[68:69], v33, off
	
	;;#ASMEND
	v_cvt_f16_f32_e32 v33, v71
	v_cvt_f16_f32_sdwa v37, v70 dst_sel:WORD_1 dst_unused:UNUSED_PAD src0_sel:DWORD
	v_cvt_f16_f32_e32 v41, v75
	v_cvt_f16_f32_sdwa v45, v74 dst_sel:WORD_1 dst_unused:UNUSED_PAD src0_sel:DWORD
	v_cmp_eq_u32_e64 s[6:7], 2, v82
	v_lshl_add_u64 v[68:69], v[24:25], 0, s[34:35]
	v_or_b32_e32 v33, v37, v33
	v_cmp_gt_u32_e64 s[8:9], 30, v29
	;;#ASMSTART
	global_atomic_pk_add_f16 v[68:69], v33, off
	
	;;#ASMEND
	v_lshl_add_u64 v[68:69], v[24:25], 0, s[44:45]
	v_or_b32_e32 v33, v45, v41
	;;#ASMSTART
	global_atomic_pk_add_f16 v[68:69], v33, off
	
	;;#ASMEND
	s_and_b64 exec, exec, s[8:9]
	s_cbranch_execz .LBB234_43
; %bb.40:                               ;   in Loop: Header=BB234_7 Depth=1
	v_cndmask_b32_e32 v46, v46, v42, vcc
	v_cndmask_b32_e64 v42, v47, v42, s[6:7]
	v_cvt_f16_f32_e32 v42, v42
	v_cvt_f16_f32_sdwa v46, v46 dst_sel:WORD_1 dst_unused:UNUSED_PAD src0_sel:DWORD
	v_cndmask_b32_e32 v39, v39, v34, vcc
	v_cndmask_b32_e64 v34, v61, v34, s[6:7]
	v_cndmask_b32_e32 v43, v43, v38, vcc
	v_cndmask_b32_e64 v38, v60, v38, s[6:7]
	v_cvt_f16_f32_e32 v34, v34
	v_cvt_f16_f32_sdwa v39, v39 dst_sel:WORD_1 dst_unused:UNUSED_PAD src0_sel:DWORD
	v_cndmask_b32_e32 v60, v26, v67, vcc
	v_or_b32_e32 v26, v46, v42
	v_cvt_f16_f32_e32 v38, v38
	v_cvt_f16_f32_sdwa v42, v43 dst_sel:WORD_1 dst_unused:UNUSED_PAD src0_sel:DWORD
	v_lshl_add_u64 v[24:25], s[28:29], 2, v[24:25]
	v_cndmask_b32_e32 v35, v35, v30, vcc
	v_cndmask_b32_e64 v30, v63, v30, s[6:7]
	v_cndmask_b32_e64 v61, v27, v67, s[6:7]
	;;#ASMSTART
	global_atomic_pk_add_f16 v[24:25], v26, off
	
	;;#ASMEND
	v_lshl_add_u64 v[26:27], v[24:25], 0, 32
	v_or_b32_e32 v34, v39, v34
	v_cndmask_b32_e32 v31, v31, v66, vcc
	v_cndmask_b32_e64 v47, v64, v66, s[6:7]
	v_or_b32_e32 v38, v42, v38
	;;#ASMSTART
	global_atomic_pk_add_f16 v[26:27], v38, off
	
	;;#ASMEND
	v_lshl_add_u64 v[26:27], v[24:25], 0, 64
	;;#ASMSTART
	global_atomic_pk_add_f16 v[26:27], v34, off
	
	;;#ASMEND
	v_cvt_f16_f32_e32 v30, v30
	v_cvt_f16_f32_sdwa v34, v35 dst_sel:WORD_1 dst_unused:UNUSED_PAD src0_sel:DWORD
	v_cvt_f16_f32_e32 v35, v47
	v_cvt_f16_f32_sdwa v31, v31 dst_sel:WORD_1 dst_unused:UNUSED_PAD src0_sel:DWORD
	v_mov_b32_e32 v59, v58
	v_or_b32_e32 v30, v34, v30
	v_lshl_add_u64 v[26:27], v[24:25], 0, s[30:31]
	;;#ASMSTART
	global_atomic_pk_add_f16 v[26:27], v30, off
	
	;;#ASMEND
	v_or_b32_e32 v38, v31, v35
	v_mov_b32_e32 v30, v58
	v_mov_b32_e32 v31, v58
	v_pk_mul_f32 v[34:35], v[58:59], v[20:21]
	v_cmp_eq_u32_e64 s[8:9], 1, v81
	v_pk_mul_f32 v[30:31], v[30:31], v[22:23]
	v_cmp_eq_u32_e32 vcc, 2, v81
	v_cndmask_b32_e64 v20, v34, v35, s[8:9]
	v_cmp_eq_u32_e64 s[6:7], 3, v81
	v_cndmask_b32_e32 v20, v20, v30, vcc
	v_lshl_add_u64 v[26:27], v[24:25], 0, s[34:35]
	v_cndmask_b32_e64 v20, v20, v31, s[6:7]
	v_mov_b32_e32 v45, v44
	ds_bpermute_b32 v39, v94, v20
	;;#ASMSTART
	global_atomic_pk_add_f16 v[26:27], v38, off
	
	;;#ASMEND
	v_mov_b32_e32 v26, v44
	v_mov_b32_e32 v27, v44
	v_pk_mul_f32 v[18:19], v[26:27], v[18:19]
	v_pk_mul_f32 v[26:27], v[44:45], v[16:17]
	s_waitcnt lgkmcnt(0)
	v_cndmask_b32_e64 v22, v31, v39, s[6:7]
	v_cndmask_b32_e64 v16, v26, v27, s[8:9]
	v_cndmask_b32_e32 v16, v16, v18, vcc
	v_cndmask_b32_e64 v16, v16, v19, s[6:7]
	ds_bpermute_b32 v31, v94, v16
	v_cmp_eq_u32_e64 s[10:11], 0, v81
	v_lshl_add_u64 v[20:21], v[24:25], 0, s[44:45]
	v_cndmask_b32_e64 v24, v35, v39, s[8:9]
	v_cndmask_b32_e64 v25, v34, v39, s[10:11]
	v_cmp_eq_u32_e64 s[12:13], 1, v82
	v_cndmask_b32_e32 v23, v30, v39, vcc
	v_cmp_eq_u32_e64 s[14:15], 2, v82
	v_cndmask_b32_e64 v30, v25, v24, s[12:13]
	v_mov_b32_e32 v41, v40
	v_cndmask_b32_e64 v16, v30, v23, s[14:15]
	s_waitcnt lgkmcnt(0)
	v_cndmask_b32_e64 v17, v19, v31, s[6:7]
	v_cndmask_b32_e32 v18, v18, v31, vcc
	v_cndmask_b32_e64 v19, v27, v31, s[8:9]
	v_cndmask_b32_e64 v26, v26, v31, s[10:11]
	v_mov_b32_e32 v30, v40
	v_mov_b32_e32 v31, v40
	v_pk_mul_f32 v[14:15], v[30:31], v[14:15]
	v_pk_mul_f32 v[30:31], v[40:41], v[12:13]
	v_mov_b32_e32 v37, v36
	v_cndmask_b32_e64 v12, v30, v31, s[8:9]
	v_cndmask_b32_e32 v12, v12, v14, vcc
	v_cndmask_b32_e64 v12, v12, v15, s[6:7]
	ds_bpermute_b32 v27, v94, v12
	v_pk_mul_f32 v[34:35], v[36:37], v[4:5]
	v_mov_b32_e32 v33, v32
	v_cndmask_b32_e64 v4, v34, v35, s[8:9]
	v_cmp_eq_u32_e64 s[16:17], 3, v82
	s_waitcnt lgkmcnt(0)
	v_cndmask_b32_e64 v13, v15, v27, s[6:7]
	v_cndmask_b32_e32 v14, v14, v27, vcc
	v_cndmask_b32_e64 v15, v31, v27, s[8:9]
	v_cndmask_b32_e64 v27, v30, v27, s[10:11]
	v_mov_b32_e32 v30, v36
	v_mov_b32_e32 v31, v36
	v_pk_mul_f32 v[6:7], v[30:31], v[6:7]
	v_mov_b32_e32 v29, v28
	v_cndmask_b32_e32 v4, v4, v6, vcc
	v_cndmask_b32_e64 v4, v4, v7, s[6:7]
	ds_bpermute_b32 v31, v94, v4
	v_cndmask_b32_e64 v12, v26, v19, s[12:13]
	v_cndmask_b32_e64 v4, v27, v15, s[12:13]
	;; [unrolled: 1-line block ×4, first 2 shown]
	s_waitcnt lgkmcnt(0)
	v_cndmask_b32_e64 v5, v7, v31, s[6:7]
	v_cndmask_b32_e32 v6, v6, v31, vcc
	v_cndmask_b32_e64 v30, v35, v31, s[8:9]
	v_cndmask_b32_e64 v31, v34, v31, s[10:11]
	v_mov_b32_e32 v34, v32
	v_mov_b32_e32 v35, v32
	v_pk_mul_f32 v[32:33], v[32:33], v[0:1]
	v_pk_mul_f32 v[34:35], v[34:35], v[2:3]
	v_cndmask_b32_e64 v0, v32, v33, s[8:9]
	v_cndmask_b32_e32 v0, v0, v34, vcc
	v_cndmask_b32_e64 v0, v0, v35, s[6:7]
	ds_bpermute_b32 v1, v94, v0
	v_cndmask_b32_e64 v0, v31, v30, s[12:13]
	v_cndmask_b32_e64 v0, v0, v6, s[14:15]
	v_cndmask_b32_e64 v0, v0, v5, s[16:17]
	ds_bpermute_b32 v2, v94, v0
	s_waitcnt lgkmcnt(1)
	v_cndmask_b32_e64 v3, v35, v1, s[6:7]
	v_cndmask_b32_e32 v7, v34, v1, vcc
	v_cndmask_b32_e64 v0, v33, v1, s[8:9]
	v_cndmask_b32_e64 v1, v32, v1, s[10:11]
	v_mov_b32_e32 v32, v28
	v_mov_b32_e32 v33, v28
	v_pk_mul_f32 v[10:11], v[32:33], v[10:11]
	v_pk_mul_f32 v[32:33], v[28:29], v[8:9]
	v_cvt_f16_f32_e32 v38, v61
	v_cndmask_b32_e64 v8, v32, v33, s[8:9]
	v_cndmask_b32_e32 v8, v8, v10, vcc
	v_cndmask_b32_e64 v8, v8, v11, s[6:7]
	ds_bpermute_b32 v29, v94, v8
	v_cndmask_b32_e64 v8, v1, v0, s[12:13]
	v_cndmask_b32_e64 v8, v8, v7, s[14:15]
	v_cvt_f16_f32_sdwa v42, v60 dst_sel:WORD_1 dst_unused:UNUSED_PAD src0_sel:DWORD
	v_cndmask_b32_e64 v16, v16, v22, s[16:17]
	s_waitcnt lgkmcnt(0)
	v_cndmask_b32_e32 v10, v10, v29, vcc
	v_cmp_ne_u32_e32 vcc, 0, v81
	v_cndmask_b32_e64 v9, v11, v29, s[6:7]
	v_cndmask_b32_e64 v12, v12, v17, s[16:17]
	v_cndmask_b32_e32 v28, v33, v29, vcc
	v_cndmask_b32_e64 v29, v32, v29, s[10:11]
	v_cndmask_b32_e64 v11, v29, v28, s[12:13]
	;; [unrolled: 1-line block ×6, first 2 shown]
	ds_bpermute_b32 v16, v94, v16
	ds_bpermute_b32 v12, v94, v12
	;; [unrolled: 1-line block ×5, first 2 shown]
	v_or_b32_e32 v32, v42, v38
	;;#ASMSTART
	global_atomic_pk_add_f16 v[20:21], v32, off
	
	;;#ASMEND
	v_add_u32_e32 v20, s71, v89
	v_cmp_gt_u32_e32 vcc, 32, v20
	s_and_b64 exec, exec, vcc
	s_cbranch_execz .LBB234_43
; %bb.41:                               ;   in Loop: Header=BB234_7 Depth=1
	v_cmp_eq_u32_e64 s[8:9], 1, v82
	v_cmp_eq_u32_e64 s[10:11], 0, v82
	v_cmp_eq_u32_e32 vcc, 3, v82
	s_waitcnt lgkmcnt(4)
	v_cndmask_b32_e64 v21, v24, v16, s[8:9]
	v_cndmask_b32_e64 v24, v25, v16, s[10:11]
	s_waitcnt lgkmcnt(3)
	v_cndmask_b32_e64 v19, v19, v12, s[8:9]
	v_cndmask_b32_e64 v25, v26, v12, s[10:11]
	v_cvt_f16_f32_e32 v33, v25
	v_cvt_f16_f32_sdwa v19, v19 dst_sel:WORD_1 dst_unused:UNUSED_PAD src0_sel:DWORD
	v_cvt_f16_f32_e32 v24, v24
	v_cvt_f16_f32_sdwa v21, v21 dst_sel:WORD_1 dst_unused:UNUSED_PAD src0_sel:DWORD
	s_waitcnt lgkmcnt(2)
	v_cndmask_b32_e64 v15, v15, v4, s[8:9]
	v_cndmask_b32_e64 v26, v27, v4, s[10:11]
	;; [unrolled: 1-line block ×4, first 2 shown]
	s_waitcnt lgkmcnt(1)
	v_cndmask_b32_e64 v31, v0, v8, s[8:9]
	v_cndmask_b32_e64 v32, v1, v8, s[10:11]
	v_lshl_add_u64 v[0:1], v[52:53], 1, s[54:55]
	v_or_b32_e32 v19, v19, v33
	v_or_b32_e32 v21, v21, v24
	;;#ASMSTART
	global_atomic_pk_add_f16 v[0:1], v21, off
	
	;;#ASMEND
	v_lshl_add_u64 v[24:25], v[0:1], 0, 32
	;;#ASMSTART
	global_atomic_pk_add_f16 v[24:25], v19, off
	
	;;#ASMEND
	v_cvt_f16_f32_e32 v19, v26
	v_cvt_f16_f32_sdwa v15, v15 dst_sel:WORD_1 dst_unused:UNUSED_PAD src0_sel:DWORD
	v_cvt_f16_f32_e32 v21, v30
	v_cvt_f16_f32_sdwa v26, v27 dst_sel:WORD_1 dst_unused:UNUSED_PAD src0_sel:DWORD
	v_lshl_add_u64 v[24:25], v[0:1], 0, 64
	v_or_b32_e32 v15, v15, v19
	;;#ASMSTART
	global_atomic_pk_add_f16 v[24:25], v15, off
	
	;;#ASMEND
	v_or_b32_e32 v15, v26, v21
	s_waitcnt lgkmcnt(0)
	v_cndmask_b32_e64 v28, v28, v11, s[8:9]
	v_cndmask_b32_e64 v29, v29, v11, s[10:11]
	v_lshl_add_u64 v[24:25], v[0:1], 0, s[30:31]
	;;#ASMSTART
	global_atomic_pk_add_f16 v[24:25], v15, off
	
	;;#ASMEND
	v_cvt_f16_f32_e32 v15, v32
	v_cvt_f16_f32_sdwa v19, v31 dst_sel:WORD_1 dst_unused:UNUSED_PAD src0_sel:DWORD
	v_cvt_f16_f32_e32 v21, v29
	v_cvt_f16_f32_sdwa v26, v28 dst_sel:WORD_1 dst_unused:UNUSED_PAD src0_sel:DWORD
	v_cmp_eq_u32_e64 s[6:7], 2, v82
	v_lshl_add_u64 v[24:25], v[0:1], 0, s[34:35]
	v_or_b32_e32 v15, v19, v15
	v_cmp_gt_u32_e64 s[8:9], 30, v20
	;;#ASMSTART
	global_atomic_pk_add_f16 v[24:25], v15, off
	
	;;#ASMEND
	v_lshl_add_u64 v[24:25], v[0:1], 0, s[44:45]
	v_or_b32_e32 v15, v26, v21
	;;#ASMSTART
	global_atomic_pk_add_f16 v[24:25], v15, off
	
	;;#ASMEND
	s_and_b64 exec, exec, s[8:9]
	s_cbranch_execz .LBB234_43
; %bb.42:                               ;   in Loop: Header=BB234_7 Depth=1
	v_cndmask_b32_e32 v15, v22, v16, vcc
	v_cndmask_b32_e64 v16, v23, v16, s[6:7]
	v_cndmask_b32_e32 v17, v17, v12, vcc
	v_cndmask_b32_e64 v12, v18, v12, s[6:7]
	;; [unrolled: 2-line block ×6, first 2 shown]
	v_cvt_f16_f32_e32 v2, v16
	v_cvt_f16_f32_sdwa v3, v15 dst_sel:WORD_1 dst_unused:UNUSED_PAD src0_sel:DWORD
	v_cvt_f16_f32_e32 v10, v12
	v_cvt_f16_f32_sdwa v11, v17 dst_sel:WORD_1 dst_unused:UNUSED_PAD src0_sel:DWORD
	v_lshl_add_u64 v[0:1], s[28:29], 2, v[0:1]
	v_or_b32_e32 v2, v3, v2
	;;#ASMSTART
	global_atomic_pk_add_f16 v[0:1], v2, off
	
	;;#ASMEND
	v_or_b32_e32 v10, v11, v10
	v_lshl_add_u64 v[2:3], v[0:1], 0, 32
	;;#ASMSTART
	global_atomic_pk_add_f16 v[2:3], v10, off
	
	;;#ASMEND
	v_cvt_f16_f32_e32 v4, v4
	v_cvt_f16_f32_sdwa v10, v13 dst_sel:WORD_1 dst_unused:UNUSED_PAD src0_sel:DWORD
	v_cvt_f16_f32_e32 v6, v6
	v_cvt_f16_f32_sdwa v5, v5 dst_sel:WORD_1 dst_unused:UNUSED_PAD src0_sel:DWORD
	v_lshl_add_u64 v[2:3], v[0:1], 0, 64
	v_or_b32_e32 v4, v10, v4
	;;#ASMSTART
	global_atomic_pk_add_f16 v[2:3], v4, off
	
	;;#ASMEND
	v_or_b32_e32 v4, v5, v6
	v_lshl_add_u64 v[2:3], v[0:1], 0, s[30:31]
	;;#ASMSTART
	global_atomic_pk_add_f16 v[2:3], v4, off
	
	;;#ASMEND
	v_cvt_f16_f32_e32 v4, v7
	v_cvt_f16_f32_sdwa v5, v14 dst_sel:WORD_1 dst_unused:UNUSED_PAD src0_sel:DWORD
	v_cvt_f16_f32_e32 v6, v9
	v_cvt_f16_f32_sdwa v7, v8 dst_sel:WORD_1 dst_unused:UNUSED_PAD src0_sel:DWORD
	v_lshl_add_u64 v[2:3], v[0:1], 0, s[34:35]
	v_or_b32_e32 v4, v5, v4
	;;#ASMSTART
	global_atomic_pk_add_f16 v[2:3], v4, off
	
	;;#ASMEND
	v_lshl_add_u64 v[0:1], v[0:1], 0, s[44:45]
	v_or_b32_e32 v2, v7, v6
	;;#ASMSTART
	global_atomic_pk_add_f16 v[0:1], v2, off
	
	;;#ASMEND
.LBB234_43:                             ;   in Loop: Header=BB234_7 Depth=1
	s_or_b64 exec, exec, s[18:19]
	v_subrev_u32_e32 v96, s72, v96
.LBB234_44:                             ;   in Loop: Header=BB234_7 Depth=1
	s_or_b64 exec, exec, s[52:53]
.LBB234_45:                             ;   in Loop: Header=BB234_7 Depth=1
	s_andn2_saveexec_b64 s[6:7], s[50:51]
	s_cbranch_execz .LBB234_54
; %bb.46:                               ;   in Loop: Header=BB234_7 Depth=1
	s_mul_i32 s16, s72, 6
	v_cmp_gt_i32_e32 vcc, s16, v96
	s_and_saveexec_b64 s[8:9], vcc
	s_cbranch_execz .LBB234_53
; %bb.47:                               ;   in Loop: Header=BB234_7 Depth=1
	s_mul_i32 s10, s48, s23
	s_ashr_i32 s11, s10, 31
	s_waitcnt lgkmcnt(0)
	s_add_u32 s10, s38, s10
	s_addc_u32 s11, s39, s11
	s_ashr_i32 s12, s70, 31
	s_add_u32 s10, s10, s70
	s_addc_u32 s11, s11, s12
	v_lshl_add_u64 v[0:1], s[10:11], 0, v[56:57]
	v_lshl_add_u64 v[8:9], v[0:1], 0, v[54:55]
	s_mov_b64 s[10:11], 0
	s_branch .LBB234_49
.LBB234_48:                             ;   in Loop: Header=BB234_49 Depth=2
	s_or_b64 exec, exec, s[12:13]
	v_lshl_or_b32 v12, v10, 11, v91
	;;#ASMSTART
	s_waitcnt vmcnt(1)
	;;#ASMEND
	ds_write2_b32 v12, v4, v5 offset1:32
	ds_write2_b32 v12, v6, v7 offset0:64 offset1:96
	v_add_u32_e32 v4, 0x400, v12
	v_add_u32_e32 v96, s26, v96
	;;#ASMSTART
	s_waitcnt vmcnt(0)
	;;#ASMEND
	ds_write2_b32 v4, v0, v1 offset1:32
	ds_write2_b32 v4, v2, v3 offset0:64 offset1:96
	v_add_u32_e32 v0, 1, v78
	v_add_u32_e32 v62, s26, v10
	v_cmp_le_i32_e32 vcc, s16, v96
	ds_write_b32 v11, v0 offset:24
	v_add_u32_e32 v0, 2, v78
	s_or_b64 s[10:11], vcc, s[10:11]
	v_cmp_lt_i32_e32 vcc, 17, v62
	s_nop 1
	v_cndmask_b32_e32 v78, v78, v0, vcc
	s_andn2_b64 exec, exec, s[10:11]
	s_cbranch_execz .LBB234_52
.LBB234_49:                             ;   Parent Loop BB234_7 Depth=1
                                        ; =>  This Loop Header: Depth=2
                                        ;       Child Loop BB234_51 Depth 3
	v_cmp_gt_i32_e32 vcc, 18, v62
	s_nop 1
	v_cndmask_b32_e64 v0, v95, 0, vcc
	v_add_u32_e32 v10, v0, v62
	v_mul_hi_i32 v0, v96, s58
	v_lshrrev_b32_e32 v1, 31, v0
	v_add_u32_e32 v0, v0, v1
	v_mul_lo_u32 v1, v0, 6
	v_sub_u32_e32 v2, v96, v1
	v_lshlrev_b32_e32 v0, 7, v0
	v_ashrrev_i32_e32 v1, 31, v0
	v_mul_lo_u32 v2, s62, v2
	v_lshl_add_u64 v[0:1], v[8:9], 0, v[0:1]
	v_ashrrev_i32_e32 v3, 31, v2
	v_lshl_add_u64 v[0:1], v[0:1], 0, v[2:3]
	v_lshlrev_b32_e32 v11, 2, v10
	;;#ASMSTART
	global_load_dwordx4 v[4:7], v[0:1], off offset:0   sc0 sc1 nt  
	global_load_dwordx4 v[0:3], v[0:1], off offset:64  sc0 sc1 nt  
	
	;;#ASMEND
	ds_read_b32 v12, v11 offset:49176
	v_add_u32_e32 v11, 0xc000, v11
	s_waitcnt lgkmcnt(0)
	v_cmp_ne_u32_e32 vcc, v12, v78
	s_and_saveexec_b64 s[12:13], vcc
	s_cbranch_execz .LBB234_48
; %bb.50:                               ;   in Loop: Header=BB234_49 Depth=2
	s_mov_b64 s[14:15], 0
.LBB234_51:                             ;   Parent Loop BB234_7 Depth=1
                                        ;     Parent Loop BB234_49 Depth=2
                                        ; =>    This Inner Loop Header: Depth=3
	;;#ASMSTART
	s_sleep 0
	;;#ASMEND
	ds_read_b32 v12, v11 offset:24
	s_waitcnt lgkmcnt(0)
	v_cmp_eq_u32_e32 vcc, v12, v78
	s_or_b64 s[14:15], vcc, s[14:15]
	s_andn2_b64 exec, exec, s[14:15]
	s_cbranch_execnz .LBB234_51
	s_branch .LBB234_48
.LBB234_52:                             ;   in Loop: Header=BB234_7 Depth=1
	s_or_b64 exec, exec, s[10:11]
.LBB234_53:                             ;   in Loop: Header=BB234_7 Depth=1
	s_or_b64 exec, exec, s[8:9]
	v_subrev_u32_e32 v96, s16, v96
.LBB234_54:                             ;   in Loop: Header=BB234_7 Depth=1
	s_or_b64 exec, exec, s[6:7]
.LBB234_55:                             ;   in Loop: Header=BB234_7 Depth=1
	s_andn2_saveexec_b64 s[6:7], s[46:47]
	s_cbranch_execz .LBB234_6
; %bb.56:                               ;   in Loop: Header=BB234_7 Depth=1
	s_lshl_b32 s16, s72, 1
	v_cmp_gt_i32_e32 vcc, s16, v96
	s_and_saveexec_b64 s[8:9], vcc
	s_cbranch_execz .LBB234_5
; %bb.57:                               ;   in Loop: Header=BB234_7 Depth=1
	s_mul_i32 s69, s69, s22
	s_ashr_i32 s10, s69, 31
	s_waitcnt lgkmcnt(0)
	s_add_u32 s11, s36, s69
	v_add_u32_e32 v2, s71, v90
	s_addc_u32 s12, s37, s10
	s_ashr_i32 s13, s70, 31
	v_cmp_gt_u32_e32 vcc, 32, v2
	s_add_u32 s10, s11, s70
	s_addc_u32 s11, s12, s13
	v_cndmask_b32_e32 v0, 0, v92, vcc
	v_ashrrev_i32_e32 v1, 31, v0
	v_lshl_add_u64 v[0:1], s[10:11], 0, v[0:1]
	v_lshl_add_u64 v[8:9], v[0:1], 0, v[54:55]
	v_sub_u32_e32 v10, 31, v2
	s_mov_b64 s[10:11], 0
	s_branch .LBB234_59
.LBB234_58:                             ;   in Loop: Header=BB234_59 Depth=2
	s_or_b64 exec, exec, s[12:13]
	v_lshl_add_u32 v13, v11, 11, v93
	;;#ASMSTART
	s_waitcnt vmcnt(1)
	;;#ASMEND
	ds_write2_b32 v13, v4, v5 offset1:32
	ds_write2_b32 v13, v6, v7 offset0:64 offset1:96
	v_add_u32_e32 v4, 0x400, v13
	v_add_u32_e32 v96, s25, v96
	;;#ASMSTART
	s_waitcnt vmcnt(0)
	;;#ASMEND
	ds_write2_b32 v4, v0, v1 offset1:32
	ds_write2_b32 v4, v2, v3 offset0:64 offset1:96
	v_add_u32_e32 v0, 1, v78
	v_add_u32_e32 v62, s25, v11
	v_cmp_le_i32_e32 vcc, s16, v96
	ds_write_b32 v12, v0
	v_add_u32_e32 v0, 2, v78
	s_or_b64 s[10:11], vcc, s[10:11]
	v_cmp_lt_i32_e32 vcc, 5, v62
	s_nop 1
	v_cndmask_b32_e32 v78, v78, v0, vcc
	s_andn2_b64 exec, exec, s[10:11]
	s_cbranch_execz .LBB234_4
.LBB234_59:                             ;   Parent Loop BB234_7 Depth=1
                                        ; =>  This Loop Header: Depth=2
                                        ;       Child Loop BB234_61 Depth 3
	v_cmp_gt_i32_e32 vcc, 6, v62
	s_nop 1
	v_cndmask_b32_e64 v0, -6, 0, vcc
	v_add_u32_e32 v11, v0, v62
	v_lshrrev_b32_e32 v0, 31, v96
	v_add_u32_e32 v0, v96, v0
	v_and_b32_e32 v1, 0xffffffe, v0
	v_sub_u32_e32 v1, v96, v1
	v_lshlrev_b32_e32 v1, 4, v1
	v_cmp_le_i32_e32 vcc, v1, v10
	v_lshlrev_b32_e32 v0, 6, v0
	v_and_b32_e32 v0, 0xffffff80, v0
	v_cndmask_b32_e32 v2, 0, v1, vcc
	v_ashrrev_i32_e32 v1, 31, v0
	v_mul_lo_u32 v2, v2, s22
	v_lshl_add_u64 v[0:1], v[8:9], 0, v[0:1]
	v_ashrrev_i32_e32 v3, 31, v2
	v_lshl_add_u64 v[0:1], v[0:1], 0, v[2:3]
	v_lshlrev_b32_e32 v12, 2, v11
	;;#ASMSTART
	global_load_dwordx4 v[4:7], v[0:1], off offset:0   
	global_load_dwordx4 v[0:3], v[0:1], off offset:64  
	
	;;#ASMEND
	ds_read_b32 v13, v12 offset:49152
	v_add_u32_e32 v12, 0xc000, v12
	s_waitcnt lgkmcnt(0)
	v_cmp_ne_u32_e32 vcc, v13, v78
	s_and_saveexec_b64 s[12:13], vcc
	s_cbranch_execz .LBB234_58
; %bb.60:                               ;   in Loop: Header=BB234_59 Depth=2
	s_mov_b64 s[14:15], 0
.LBB234_61:                             ;   Parent Loop BB234_7 Depth=1
                                        ;     Parent Loop BB234_59 Depth=2
                                        ; =>    This Inner Loop Header: Depth=3
	;;#ASMSTART
	s_sleep 0
	;;#ASMEND
	ds_read_b32 v13, v12
	s_waitcnt lgkmcnt(0)
	v_cmp_eq_u32_e32 vcc, v13, v78
	s_or_b64 s[14:15], vcc, s[14:15]
	s_andn2_b64 exec, exec, s[14:15]
	s_cbranch_execnz .LBB234_61
	s_branch .LBB234_58
.LBB234_62:
	s_endpgm
	.section	.rodata,"a",@progbits
	.p2align	6, 0x0
	.amdhsa_kernel _Z19_skinny_gemm_kernelILi2ELi6ELi3ELi16ELi4EEvPKhS1_P6__halfPKfiiiiiiii
		.amdhsa_group_segment_fixed_size 49248
		.amdhsa_private_segment_fixed_size 0
		.amdhsa_kernarg_size 64
		.amdhsa_user_sgpr_count 2
		.amdhsa_user_sgpr_dispatch_ptr 0
		.amdhsa_user_sgpr_queue_ptr 0
		.amdhsa_user_sgpr_kernarg_segment_ptr 1
		.amdhsa_user_sgpr_dispatch_id 0
		.amdhsa_user_sgpr_kernarg_preload_length 0
		.amdhsa_user_sgpr_kernarg_preload_offset 0
		.amdhsa_user_sgpr_private_segment_size 0
		.amdhsa_uses_dynamic_stack 0
		.amdhsa_enable_private_segment 0
		.amdhsa_system_sgpr_workgroup_id_x 1
		.amdhsa_system_sgpr_workgroup_id_y 0
		.amdhsa_system_sgpr_workgroup_id_z 0
		.amdhsa_system_sgpr_workgroup_info 0
		.amdhsa_system_vgpr_workitem_id 0
		.amdhsa_next_free_vgpr 108
		.amdhsa_next_free_sgpr 73
		.amdhsa_accum_offset 108
		.amdhsa_reserve_vcc 1
		.amdhsa_float_round_mode_32 0
		.amdhsa_float_round_mode_16_64 0
		.amdhsa_float_denorm_mode_32 3
		.amdhsa_float_denorm_mode_16_64 3
		.amdhsa_dx10_clamp 1
		.amdhsa_ieee_mode 1
		.amdhsa_fp16_overflow 0
		.amdhsa_tg_split 0
		.amdhsa_exception_fp_ieee_invalid_op 0
		.amdhsa_exception_fp_denorm_src 0
		.amdhsa_exception_fp_ieee_div_zero 0
		.amdhsa_exception_fp_ieee_overflow 0
		.amdhsa_exception_fp_ieee_underflow 0
		.amdhsa_exception_fp_ieee_inexact 0
		.amdhsa_exception_int_div_zero 0
	.end_amdhsa_kernel
	.section	.text._Z19_skinny_gemm_kernelILi2ELi6ELi3ELi16ELi4EEvPKhS1_P6__halfPKfiiiiiiii,"axG",@progbits,_Z19_skinny_gemm_kernelILi2ELi6ELi3ELi16ELi4EEvPKhS1_P6__halfPKfiiiiiiii,comdat
.Lfunc_end234:
	.size	_Z19_skinny_gemm_kernelILi2ELi6ELi3ELi16ELi4EEvPKhS1_P6__halfPKfiiiiiiii, .Lfunc_end234-_Z19_skinny_gemm_kernelILi2ELi6ELi3ELi16ELi4EEvPKhS1_P6__halfPKfiiiiiiii
                                        ; -- End function
	.set _Z19_skinny_gemm_kernelILi2ELi6ELi3ELi16ELi4EEvPKhS1_P6__halfPKfiiiiiiii.num_vgpr, 108
	.set _Z19_skinny_gemm_kernelILi2ELi6ELi3ELi16ELi4EEvPKhS1_P6__halfPKfiiiiiiii.num_agpr, 0
	.set _Z19_skinny_gemm_kernelILi2ELi6ELi3ELi16ELi4EEvPKhS1_P6__halfPKfiiiiiiii.numbered_sgpr, 73
	.set _Z19_skinny_gemm_kernelILi2ELi6ELi3ELi16ELi4EEvPKhS1_P6__halfPKfiiiiiiii.num_named_barrier, 0
	.set _Z19_skinny_gemm_kernelILi2ELi6ELi3ELi16ELi4EEvPKhS1_P6__halfPKfiiiiiiii.private_seg_size, 0
	.set _Z19_skinny_gemm_kernelILi2ELi6ELi3ELi16ELi4EEvPKhS1_P6__halfPKfiiiiiiii.uses_vcc, 1
	.set _Z19_skinny_gemm_kernelILi2ELi6ELi3ELi16ELi4EEvPKhS1_P6__halfPKfiiiiiiii.uses_flat_scratch, 0
	.set _Z19_skinny_gemm_kernelILi2ELi6ELi3ELi16ELi4EEvPKhS1_P6__halfPKfiiiiiiii.has_dyn_sized_stack, 0
	.set _Z19_skinny_gemm_kernelILi2ELi6ELi3ELi16ELi4EEvPKhS1_P6__halfPKfiiiiiiii.has_recursion, 0
	.set _Z19_skinny_gemm_kernelILi2ELi6ELi3ELi16ELi4EEvPKhS1_P6__halfPKfiiiiiiii.has_indirect_call, 0
	.section	.AMDGPU.csdata,"",@progbits
; Kernel info:
; codeLenInByte = 7104
; TotalNumSgprs: 79
; NumVgprs: 108
; NumAgprs: 0
; TotalNumVgprs: 108
; ScratchSize: 0
; MemoryBound: 0
; FloatMode: 240
; IeeeMode: 1
; LDSByteSize: 49248 bytes/workgroup (compile time only)
; SGPRBlocks: 9
; VGPRBlocks: 13
; NumSGPRsForWavesPerEU: 79
; NumVGPRsForWavesPerEU: 108
; AccumOffset: 108
; Occupancy: 4
; WaveLimiterHint : 0
; COMPUTE_PGM_RSRC2:SCRATCH_EN: 0
; COMPUTE_PGM_RSRC2:USER_SGPR: 2
; COMPUTE_PGM_RSRC2:TRAP_HANDLER: 0
; COMPUTE_PGM_RSRC2:TGID_X_EN: 1
; COMPUTE_PGM_RSRC2:TGID_Y_EN: 0
; COMPUTE_PGM_RSRC2:TGID_Z_EN: 0
; COMPUTE_PGM_RSRC2:TIDIG_COMP_CNT: 0
; COMPUTE_PGM_RSRC3_GFX90A:ACCUM_OFFSET: 26
; COMPUTE_PGM_RSRC3_GFX90A:TG_SPLIT: 0
	.section	.text._Z19_skinny_gemm_kernelILi2ELi6ELi3ELi32ELi4EEvPKhS1_P6__halfPKfiiiiiiii,"axG",@progbits,_Z19_skinny_gemm_kernelILi2ELi6ELi3ELi32ELi4EEvPKhS1_P6__halfPKfiiiiiiii,comdat
	.protected	_Z19_skinny_gemm_kernelILi2ELi6ELi3ELi32ELi4EEvPKhS1_P6__halfPKfiiiiiiii ; -- Begin function _Z19_skinny_gemm_kernelILi2ELi6ELi3ELi32ELi4EEvPKhS1_P6__halfPKfiiiiiiii
	.globl	_Z19_skinny_gemm_kernelILi2ELi6ELi3ELi32ELi4EEvPKhS1_P6__halfPKfiiiiiiii
	.p2align	8
	.type	_Z19_skinny_gemm_kernelILi2ELi6ELi3ELi32ELi4EEvPKhS1_P6__halfPKfiiiiiiii,@function
_Z19_skinny_gemm_kernelILi2ELi6ELi3ELi32ELi4EEvPKhS1_P6__halfPKfiiiiiiii: ; @_Z19_skinny_gemm_kernelILi2ELi6ELi3ELi32ELi4EEvPKhS1_P6__halfPKfiiiiiiii
; %bb.0:
	v_cmp_gt_u32_e32 vcc, 24, v0
	s_and_saveexec_b64 s[4:5], vcc
; %bb.1:
	v_lshlrev_b32_e32 v1, 2, v0
	v_mov_b32_e32 v2, 0
	ds_write_b32 v1, v2 offset:49152
; %bb.2:
	s_or_b64 exec, exec, s[4:5]
	s_load_dwordx8 s[52:59], s[0:1], 0x20
	s_waitcnt lgkmcnt(0)
	s_barrier
	s_add_i32 s3, s52, 63
	s_ashr_i32 s5, s3, 31
	s_add_i32 s4, s53, 0xbf
	s_lshr_b32 s5, s5, 26
	s_mul_hi_i32 s4, s4, 0x2aaaaaab
	s_add_i32 s3, s3, s5
	s_ashr_i32 s11, s3, 6
	s_lshr_b32 s3, s4, 31
	s_ashr_i32 s4, s4, 5
	s_add_i32 s12, s4, s3
	s_mul_i32 s3, s12, s11
	s_mul_i32 s3, s3, s56
	s_add_i32 s4, s3, 0x12f
	s_mul_hi_i32 s4, s4, 0x6bca1af3
	s_lshr_b32 s5, s4, 31
	s_ashr_i32 s4, s4, 7
	s_add_i32 s4, s4, s5
	s_add_i32 s5, s2, 1
	s_mul_i32 s5, s4, s5
	v_cvt_f64_i32_e32 v[2:3], s3
	v_cvt_f64_u32_e32 v[4:5], s5
	v_min_f64 v[2:3], v[2:3], v[4:5]
	v_cvt_i32_f64_e32 v14, v[2:3]
	s_mul_i32 s33, s4, s2
	v_cmp_ge_i32_e32 vcc, s33, v14
	s_cbranch_vccnz .LBB235_58
; %bb.3:
	s_load_dwordx8 s[16:23], s[0:1], 0x0
	v_lshrrev_b32_e32 v1, 6, v0
	s_add_i32 s0, s58, s57
	v_cmp_le_i32_e64 s[14:15], s0, v1
	v_mov_b32_e32 v2, s57
	v_cmp_le_i32_e64 s[24:25], s57, v1
	v_mov_b32_e32 v3, s58
	v_cndmask_b32_e64 v3, 0, v3, s[14:15]
	v_cndmask_b32_e64 v2, 0, v2, s[24:25]
	s_abs_i32 s1, s56
	v_add_u32_e32 v2, v2, v3
	v_cvt_f32_u32_e32 v3, s1
	v_sub_u32_e32 v104, v1, v2
	s_ashr_i32 s2, s54, 31
	s_lshr_b32 s2, s2, 26
	v_rcp_iflag_f32_e32 v2, v3
	s_sub_i32 s5, 0, s1
	s_add_i32 s2, s54, s2
	s_ashr_i32 s2, s2, 6
	v_mul_f32_e32 v2, 0x4f7ffffe, v2
	v_cvt_u32_f32_e32 v2, v2
	s_abs_i32 s4, s2
	s_xor_b32 s3, s2, s56
	s_ashr_i32 s3, s3, 31
	v_readfirstlane_b32 s6, v2
	s_mul_i32 s5, s5, s6
	s_mul_hi_u32 s5, s6, s5
	s_add_i32 s6, s6, s5
	s_mul_hi_u32 s5, s4, s6
	s_mul_i32 s6, s5, s1
	s_sub_i32 s4, s4, s6
	s_add_i32 s6, s5, 1
	s_sub_i32 s7, s4, s1
	s_cmp_ge_u32 s4, s1
	s_cselect_b32 s5, s6, s5
	s_cselect_b32 s4, s7, s4
	s_add_i32 s6, s5, 1
	s_cmp_ge_u32 s4, s1
	s_cselect_b32 s1, s6, s5
	s_add_i32 s0, s0, s59
	v_and_b32_e32 v120, 31, v0
	v_lshrrev_b32_e32 v2, 3, v0
	v_cmp_gt_i32_e64 s[28:29], s0, v1
	v_lshlrev_b32_e32 v1, 2, v120
	v_and_b32_e32 v3, 4, v2
	v_lshlrev_b32_e32 v2, 6, v3
	v_or_b32_e32 v4, 0x9000, v1
	v_and_b32_e32 v5, 1, v0
	v_or_b32_e32 v116, v4, v2
	v_or_b32_e32 v117, v1, v2
	v_lshlrev_b32_e32 v2, 1, v5
	v_sub_u32_e32 v2, v0, v2
	v_add_u32_e32 v2, 1, v2
	v_and_b32_e32 v6, 63, v2
	v_bitop3_b32 v2, v0, 1, v0 bitop3:0xc
	scratch_store_dword off, v2, off offset:48 ; 4-byte Folded Spill
	v_bitop3_b32 v2, v0, 3, 1 bitop3:0x6c
	scratch_store_dword off, v2, off offset:52 ; 4-byte Folded Spill
	;; [unrolled: 2-line block ×5, first 2 shown]
	v_bitop3_b32 v2, v0, 11, 1 bitop3:0x6c
	v_lshrrev_b32_e32 v7, 1, v0
	s_abs_i32 s30, s11
                                        ; implicit-def: $vgpr126 : SGPR spill to VGPR lane
	scratch_store_dword off, v2, off offset:68 ; 4-byte Folded Spill
	v_bitop3_b32 v2, v0, 13, 1 bitop3:0x6c
	v_and_b32_e32 v16, 16, v7
	v_cvt_f32_u32_e32 v7, s30
	v_writelane_b32 v126, s11, 0
	scratch_store_dword off, v2, off offset:72 ; 4-byte Folded Spill
	v_bitop3_b32 v2, v0, 15, 1 bitop3:0x6c
	v_writelane_b32 v126, s12, 1
	scratch_store_dword off, v2, off offset:76 ; 4-byte Folded Spill
	v_and_b32_e32 v2, 30, v0
	v_lshlrev_b32_e32 v0, 4, v0
	s_waitcnt lgkmcnt(0)
	v_writelane_b32 v126, s16, 2
	v_and_b32_e32 v0, 0x200, v0
	v_or_b32_e32 v15, v1, v0
	v_writelane_b32 v126, s17, 3
	v_rcp_iflag_f32_e32 v1, v7
	v_writelane_b32 v126, s18, 4
	v_writelane_b32 v126, s19, 5
	;; [unrolled: 1-line block ×3, first 2 shown]
	s_abs_i32 s34, s12
	v_writelane_b32 v126, s21, 7
	v_or_b32_e32 v124, v4, v0
	v_mul_f32_e32 v0, 0x4f7ffffe, v1
	v_cvt_f32_u32_e32 v1, s34
	v_writelane_b32 v126, s22, 8
	v_writelane_b32 v126, s23, 9
	v_cndmask_b32_e64 v111, 0, 1, s[14:15]
	v_writelane_b32 v126, s14, 10
	s_xor_b32 s1, s1, s3
	v_cvt_u32_f32_e32 v0, v0
	v_writelane_b32 v126, s15, 11
	v_rcp_iflag_f32_e32 v1, v1
	v_writelane_b32 v126, s24, 12
	s_sub_i32 s13, s1, s3
	s_add_i32 s26, s56, -1
	v_writelane_b32 v126, s25, 13
	s_mul_i32 s1, s13, s26
	v_writelane_b32 v126, s13, 14
	s_sub_i32 s27, s2, s1
	v_writelane_b32 v126, s26, 15
	v_readfirstlane_b32 s1, v0
	v_mul_f32_e32 v0, 0x4f7ffffe, v1
	v_writelane_b32 v126, s27, 16
	v_cvt_u32_f32_e32 v0, v0
	v_writelane_b32 v126, s28, 17
	s_sub_i32 s0, 0, s30
	s_lshl_b32 s31, s55, 5
	v_writelane_b32 v126, s29, 18
	s_mul_i32 s0, s0, s1
	v_writelane_b32 v126, s30, 19
	s_mul_hi_u32 s0, s1, s0
	v_writelane_b32 v126, s31, 20
	s_ashr_i32 s35, s11, 31
	s_add_i32 s36, s1, s0
	s_sub_i32 s0, 0, s34
	v_readfirstlane_b32 s1, v0
	v_writelane_b32 v126, s34, 21
	s_mul_i32 s0, s0, s1
	v_writelane_b32 v126, s35, 22
	s_ashr_i32 s37, s12, 31
	s_mul_hi_u32 s0, s1, s0
	v_writelane_b32 v126, s36, 23
	s_add_i32 s38, s1, s0
	v_writelane_b32 v126, s37, 24
	v_writelane_b32 v126, s38, 25
	v_mul_lo_u32 v8, s55, v120
	v_writelane_b32 v126, s52, 26
	v_mbcnt_lo_u32_b32 v0, -1, 0
	v_mbcnt_hi_u32_b32 v0, -1, v0
	v_writelane_b32 v126, s53, 27
	v_writelane_b32 v126, s54, 28
	;; [unrolled: 1-line block ×5, first 2 shown]
	v_mov_b32_e32 v119, 0
	v_and_or_b32 v0, v0, 64, v6
	v_writelane_b32 v126, s58, 32
	v_ashrrev_i32_e32 v9, 31, v8
	v_mov_b32_e32 v17, v119
	v_lshlrev_b32_e32 v118, 1, v2
	v_lshlrev_b32_e32 v0, 2, v0
	v_mov_b32_e32 v101, v104
	v_writelane_b32 v126, s59, 33
	scratch_store_dwordx2 off, v[8:9], off offset:88 ; 8-byte Folded Spill
	v_or_b32_e32 v100, v5, v3
	scratch_store_dword off, v0, off offset:104 ; 4-byte Folded Spill
	scratch_store_dword off, v14, off offset:32 ; 4-byte Folded Spill
	;; [unrolled: 1-line block ×5, first 2 shown]
	scratch_store_dwordx2 off, v[16:17], off offset:80 ; 8-byte Folded Spill
	scratch_store_dword off, v15, off offset:96 ; 4-byte Folded Spill
	scratch_store_dword off, v100, off offset:100 ; 4-byte Folded Spill
	s_branch .LBB235_7
.LBB235_4:                              ;   in Loop: Header=BB235_7 Depth=1
	s_or_b64 exec, exec, s[4:5]
.LBB235_5:                              ;   in Loop: Header=BB235_7 Depth=1
	s_or_b64 exec, exec, s[2:3]
	v_subrev_u32_e32 v101, s10, v101
.LBB235_6:                              ;   in Loop: Header=BB235_7 Depth=1
	s_or_b64 exec, exec, s[0:1]
	s_add_i32 s33, s33, 1
	s_waitcnt vmcnt(3)
	v_cmp_ge_i32_e32 vcc, s33, v14
	s_cbranch_vccnz .LBB235_58
.LBB235_7:                              ; =>This Loop Header: Depth=1
                                        ;     Child Loop BB235_13 Depth 2
                                        ;       Child Loop BB235_15 Depth 3
                                        ;       Child Loop BB235_18 Depth 3
	;; [unrolled: 1-line block ×7, first 2 shown]
                                        ;     Child Loop BB235_37 Depth 2
                                        ;     Child Loop BB235_45 Depth 2
                                        ;       Child Loop BB235_47 Depth 3
                                        ;     Child Loop BB235_55 Depth 2
                                        ;       Child Loop BB235_57 Depth 3
	s_abs_i32 s1, s33
	s_mul_hi_u32 s2, s1, s36
	s_mul_i32 s3, s2, s30
	s_ashr_i32 s0, s33, 31
	s_sub_i32 s1, s1, s3
	s_xor_b32 s0, s0, s35
	s_add_i32 s3, s2, 1
	s_sub_i32 s4, s1, s30
	s_cmp_ge_u32 s1, s30
	s_cselect_b32 s2, s3, s2
	s_cselect_b32 s1, s4, s1
	s_add_i32 s3, s2, 1
	s_cmp_ge_u32 s1, s30
	s_cselect_b32 s1, s3, s2
	s_xor_b32 s1, s1, s0
	s_sub_i32 s0, s1, s0
	s_abs_i32 s2, s0
	s_mul_i32 s1, s0, s11
	s_mul_hi_u32 s3, s2, s38
	s_sub_i32 s1, s33, s1
	s_mul_i32 s4, s3, s34
	s_lshl_b32 s39, s1, 6
	s_ashr_i32 s1, s0, 31
	s_sub_i32 s2, s2, s4
	s_xor_b32 s1, s1, s37
	s_add_i32 s4, s3, 1
	s_sub_i32 s5, s2, s34
	s_cmp_ge_u32 s2, s34
	s_cselect_b32 s3, s4, s3
	s_cselect_b32 s2, s5, s2
	s_add_i32 s4, s3, 1
	s_cmp_ge_u32 s2, s34
	s_cselect_b32 s2, s4, s3
	s_xor_b32 s2, s2, s1
	s_sub_i32 s1, s2, s1
	s_mul_i32 s2, s1, s13
	s_lshl_b32 s40, s2, 6
	s_cmp_eq_u32 s1, s26
	s_cselect_b32 s41, s27, s13
	s_sub_i32 s2, s39, s52
	s_add_i32 s2, s2, 64
	s_max_i32 s92, s2, 0
	s_and_saveexec_b64 s[2:3], s[24:25]
	s_xor_b64 s[42:43], exec, s[2:3]
	s_cbranch_execz .LBB235_51
; %bb.8:                                ;   in Loop: Header=BB235_7 Depth=1
	s_mul_i32 s1, s1, s12
	s_sub_i32 s0, s0, s1
	s_mulk_i32 s0, 0xc0
	s_sub_i32 s8, s0, s53
	s_addk_i32 s8, 0xc0
	s_max_i32 s1, s8, 0
	s_sub_i32 s44, s0, s1
	s_and_saveexec_b64 s[0:1], s[14:15]
	s_xor_b64 s[46:47], exec, s[0:1]
	s_cbranch_execz .LBB235_41
; %bb.9:                                ;   in Loop: Header=BB235_7 Depth=1
	s_and_saveexec_b64 s[48:49], s[28:29]
	s_cbranch_execz .LBB235_40
; %bb.10:                               ;   in Loop: Header=BB235_7 Depth=1
	global_load_dword v96, v119, s[22:23]
	v_mov_b32_e32 v95, 0
	v_cmp_gt_i32_e32 vcc, s41, v101
	v_mov_b32_e32 v94, v95
	v_mov_b32_e32 v93, v95
	;; [unrolled: 1-line block ×77, first 2 shown]
	s_waitcnt vmcnt(2)
	v_mov_b32_e32 v17, v95
	v_mov_b32_e32 v16, v95
	s_waitcnt vmcnt(1)
	v_mov_b32_e32 v15, v95
	v_mov_b32_e32 v14, v95
	;; [unrolled: 1-line block ×16, first 2 shown]
	s_and_saveexec_b64 s[0:1], vcc
	s_cbranch_execz .LBB235_35
; %bb.11:                               ;   in Loop: Header=BB235_7 Depth=1
	v_mov_b32_e32 v0, 0
	s_mov_b64 s[2:3], 0
	v_mov_b32_e32 v1, v0
	v_mov_b32_e32 v2, v0
	v_mov_b32_e32 v3, v0
	v_mov_b32_e32 v4, v0
	v_mov_b32_e32 v5, v0
	v_mov_b32_e32 v6, v0
	v_mov_b32_e32 v7, v0
	v_mov_b32_e32 v8, v0
	v_mov_b32_e32 v9, v0
	v_mov_b32_e32 v10, v0
	v_mov_b32_e32 v11, v0
	v_mov_b32_e32 v12, v0
	v_mov_b32_e32 v13, v0
	v_mov_b32_e32 v14, v0
	v_mov_b32_e32 v15, v0
	v_mov_b32_e32 v16, v0
	v_mov_b32_e32 v17, v0
	v_mov_b32_e32 v18, v0
	v_mov_b32_e32 v19, v0
	v_mov_b32_e32 v20, v0
	v_mov_b32_e32 v21, v0
	v_mov_b32_e32 v22, v0
	v_mov_b32_e32 v23, v0
	v_mov_b32_e32 v24, v0
	v_mov_b32_e32 v25, v0
	v_mov_b32_e32 v26, v0
	v_mov_b32_e32 v27, v0
	v_mov_b32_e32 v28, v0
	v_mov_b32_e32 v29, v0
	v_mov_b32_e32 v30, v0
	v_mov_b32_e32 v31, v0
	v_mov_b32_e32 v32, v0
	v_mov_b32_e32 v33, v0
	v_mov_b32_e32 v34, v0
	v_mov_b32_e32 v35, v0
	v_mov_b32_e32 v36, v0
	v_mov_b32_e32 v37, v0
	v_mov_b32_e32 v38, v0
	v_mov_b32_e32 v39, v0
	v_mov_b32_e32 v40, v0
	v_mov_b32_e32 v41, v0
	v_mov_b32_e32 v42, v0
	v_mov_b32_e32 v43, v0
	v_mov_b32_e32 v44, v0
	v_mov_b32_e32 v45, v0
	v_mov_b32_e32 v46, v0
	v_mov_b32_e32 v47, v0
	v_mov_b32_e32 v48, v0
	v_mov_b32_e32 v49, v0
	v_mov_b32_e32 v50, v0
	v_mov_b32_e32 v51, v0
	v_mov_b32_e32 v52, v0
	v_mov_b32_e32 v53, v0
	v_mov_b32_e32 v54, v0
	v_mov_b32_e32 v55, v0
	v_mov_b32_e32 v56, v0
	v_mov_b32_e32 v57, v0
	v_mov_b32_e32 v58, v0
	v_mov_b32_e32 v59, v0
	v_mov_b32_e32 v60, v0
	v_mov_b32_e32 v61, v0
	v_mov_b32_e32 v62, v0
	v_mov_b32_e32 v63, v0
	v_mov_b32_e32 v64, v0
	v_mov_b32_e32 v65, v0
	v_mov_b32_e32 v66, v0
	v_mov_b32_e32 v67, v0
	v_mov_b32_e32 v68, v0
	v_mov_b32_e32 v69, v0
	v_mov_b32_e32 v70, v0
	v_mov_b32_e32 v71, v0
	v_mov_b32_e32 v72, v0
	v_mov_b32_e32 v73, v0
	v_mov_b32_e32 v74, v0
	v_mov_b32_e32 v75, v0
	v_mov_b32_e32 v76, v0
	v_mov_b32_e32 v77, v0
	v_mov_b32_e32 v78, v0
	v_mov_b32_e32 v79, v0
	v_mov_b32_e32 v80, v0
	v_mov_b32_e32 v81, v0
	v_mov_b32_e32 v82, v0
	v_mov_b32_e32 v83, v0
	v_mov_b32_e32 v84, v0
	v_mov_b32_e32 v85, v0
	v_mov_b32_e32 v86, v0
	v_mov_b32_e32 v87, v0
	v_mov_b32_e32 v88, v0
	v_mov_b32_e32 v89, v0
	v_mov_b32_e32 v90, v0
	v_mov_b32_e32 v91, v0
	v_mov_b32_e32 v92, v0
	v_mov_b32_e32 v93, v0
	v_mov_b32_e32 v94, v0
	v_mov_b32_e32 v95, v0
	s_branch .LBB235_13
.LBB235_12:                             ;   in Loop: Header=BB235_13 Depth=2
	s_or_b64 exec, exec, s[4:5]
	v_add_u32_e32 v114, 0x2800, v110
	ds_read2_b32 v[112:113], v114 offset1:32
	v_add_u32_e32 v101, s59, v101
	s_waitcnt lgkmcnt(0)
	v_mfma_f32_32x32x16_fp8_fp8 v[0:15], v[108:109], v[112:113], v[0:15]
	ds_read2_b32 v[108:109], v114 offset0:128 offset1:160
	s_waitcnt lgkmcnt(0)
	v_mfma_f32_32x32x16_fp8_fp8 v[0:15], v[106:107], v[108:109], v[0:15]
	v_add_u32_e32 v108, 0x2c00, v110
	ds_read2_b32 v[106:107], v108 offset1:32
	ds_read2_b32 v[108:109], v108 offset0:128 offset1:160
	ds_write_b32 v98, v99 offset:49196
	s_waitcnt lgkmcnt(2)
	v_mfma_f32_32x32x16_fp8_fp8 v[0:15], v[104:105], v[106:107], v[0:15]
	v_add_u32_e32 v104, s59, v97
	v_add_u32_e32 v97, 2, v111
	v_cmp_lt_i32_e32 vcc, 2, v104
	s_nop 1
	v_cndmask_b32_e32 v111, v111, v97, vcc
	v_cmp_le_i32_e32 vcc, s41, v101
	s_waitcnt lgkmcnt(1)
	v_mfma_f32_32x32x16_fp8_fp8 v[0:15], v[102:103], v[108:109], v[0:15]
	s_or_b64 s[2:3], vcc, s[2:3]
	s_andn2_b64 exec, exec, s[2:3]
	s_cbranch_execz .LBB235_34
.LBB235_13:                             ;   Parent Loop BB235_7 Depth=1
                                        ; =>  This Loop Header: Depth=2
                                        ;       Child Loop BB235_15 Depth 3
                                        ;       Child Loop BB235_18 Depth 3
	;; [unrolled: 1-line block ×7, first 2 shown]
	v_cmp_gt_i32_e32 vcc, 3, v104
	s_nop 1
	v_cndmask_b32_e64 v97, -3, 0, vcc
	v_add_u32_e32 v97, v97, v104
	v_mul_lo_u32 v98, v97, 48
	ds_read_b32 v99, v98 offset:49152
	s_waitcnt lgkmcnt(0)
	v_cmp_ne_u32_e32 vcc, v99, v111
	s_and_saveexec_b64 s[4:5], vcc
	s_cbranch_execz .LBB235_16
; %bb.14:                               ;   in Loop: Header=BB235_13 Depth=2
	s_mov_b64 s[6:7], 0
.LBB235_15:                             ;   Parent Loop BB235_7 Depth=1
                                        ;     Parent Loop BB235_13 Depth=2
                                        ; =>    This Inner Loop Header: Depth=3
	;;#ASMSTART
	s_sleep 0
	;;#ASMEND
	ds_read_b32 v99, v98 offset:49152
	s_waitcnt lgkmcnt(0)
	v_cmp_eq_u32_e32 vcc, v99, v111
	s_or_b64 s[6:7], vcc, s[6:7]
	s_andn2_b64 exec, exec, s[6:7]
	s_cbranch_execnz .LBB235_15
.LBB235_16:                             ;   in Loop: Header=BB235_13 Depth=2
	s_or_b64 exec, exec, s[4:5]
	v_lshl_add_u32 v99, v97, 11, v116
	ds_read2_b32 v[108:109], v99 offset1:32
	ds_read2_b32 v[106:107], v99 offset0:128 offset1:160
	v_add_u32_e32 v99, 0x400, v99
	ds_read2_b32 v[104:105], v99 offset1:32
	ds_read_b32 v110, v98 offset:49156
	ds_read2_b32 v[102:103], v99 offset0:128 offset1:160
	v_add_u32_e32 v99, 1, v111
	ds_write_b32 v98, v99 offset:49152
	s_waitcnt lgkmcnt(2)
	v_cmp_ne_u32_e32 vcc, v110, v111
	s_and_saveexec_b64 s[4:5], vcc
	s_cbranch_execz .LBB235_19
; %bb.17:                               ;   in Loop: Header=BB235_13 Depth=2
	s_mov_b64 s[6:7], 0
.LBB235_18:                             ;   Parent Loop BB235_7 Depth=1
                                        ;     Parent Loop BB235_13 Depth=2
                                        ; =>    This Inner Loop Header: Depth=3
	;;#ASMSTART
	s_sleep 0
	;;#ASMEND
	ds_read_b32 v110, v98 offset:49156
	s_waitcnt lgkmcnt(0)
	v_cmp_eq_u32_e32 vcc, v110, v111
	s_or_b64 s[6:7], vcc, s[6:7]
	s_andn2_b64 exec, exec, s[6:7]
	s_cbranch_execnz .LBB235_18
.LBB235_19:                             ;   in Loop: Header=BB235_13 Depth=2
	s_or_b64 exec, exec, s[4:5]
	s_movk_i32 s4, 0x3000
	v_mul_lo_u32 v110, v97, s4
	v_or_b32_e32 v114, v117, v110
	ds_read2_b32 v[112:113], v114 offset1:32
	ds_write_b32 v98, v99 offset:49156
	s_waitcnt lgkmcnt(1)
	v_mfma_f32_32x32x16_fp8_fp8 v[80:95], v[108:109], v[112:113], v[80:95]
	ds_read2_b32 v[112:113], v114 offset0:128 offset1:160
	v_add_u32_e32 v114, 0x400, v114
	s_waitcnt lgkmcnt(0)
	v_mfma_f32_32x32x16_fp8_fp8 v[80:95], v[106:107], v[112:113], v[80:95]
	ds_read2_b32 v[112:113], v114 offset1:32
	s_waitcnt lgkmcnt(0)
	v_mfma_f32_32x32x16_fp8_fp8 v[80:95], v[104:105], v[112:113], v[80:95]
	ds_read2_b32 v[112:113], v114 offset0:128 offset1:160
	ds_read_b32 v114, v98 offset:49164
	s_waitcnt lgkmcnt(0)
	v_cmp_ne_u32_e32 vcc, v114, v111
	v_mfma_f32_32x32x16_fp8_fp8 v[80:95], v[102:103], v[112:113], v[80:95]
	s_and_saveexec_b64 s[4:5], vcc
	s_cbranch_execz .LBB235_22
; %bb.20:                               ;   in Loop: Header=BB235_13 Depth=2
	s_mov_b64 s[6:7], 0
.LBB235_21:                             ;   Parent Loop BB235_7 Depth=1
                                        ;     Parent Loop BB235_13 Depth=2
                                        ; =>    This Inner Loop Header: Depth=3
	;;#ASMSTART
	s_sleep 0
	;;#ASMEND
	ds_read_b32 v112, v98 offset:49164
	s_waitcnt lgkmcnt(0)
	v_cmp_eq_u32_e32 vcc, v112, v111
	s_or_b64 s[6:7], vcc, s[6:7]
	s_andn2_b64 exec, exec, s[6:7]
	s_cbranch_execnz .LBB235_21
.LBB235_22:                             ;   in Loop: Header=BB235_13 Depth=2
	s_or_b64 exec, exec, s[4:5]
	v_add_u32_e32 v110, v117, v110
	v_add_u32_e32 v114, 0x800, v110
	ds_read2_b32 v[112:113], v114 offset1:32
	ds_write_b32 v98, v99 offset:49164
	s_waitcnt lgkmcnt(1)
	v_mfma_f32_32x32x16_fp8_fp8 v[64:79], v[108:109], v[112:113], v[64:79]
	ds_read2_b32 v[112:113], v114 offset0:128 offset1:160
	v_add_u32_e32 v114, 0xc00, v110
	s_waitcnt lgkmcnt(0)
	v_mfma_f32_32x32x16_fp8_fp8 v[64:79], v[106:107], v[112:113], v[64:79]
	ds_read2_b32 v[112:113], v114 offset1:32
	s_waitcnt lgkmcnt(0)
	v_mfma_f32_32x32x16_fp8_fp8 v[64:79], v[104:105], v[112:113], v[64:79]
	ds_read2_b32 v[112:113], v114 offset0:128 offset1:160
	ds_read_b32 v114, v98 offset:49172
	s_waitcnt lgkmcnt(0)
	v_cmp_ne_u32_e32 vcc, v114, v111
	v_mfma_f32_32x32x16_fp8_fp8 v[64:79], v[102:103], v[112:113], v[64:79]
	s_and_saveexec_b64 s[4:5], vcc
	s_cbranch_execz .LBB235_25
; %bb.23:                               ;   in Loop: Header=BB235_13 Depth=2
	s_mov_b64 s[6:7], 0
.LBB235_24:                             ;   Parent Loop BB235_7 Depth=1
                                        ;     Parent Loop BB235_13 Depth=2
                                        ; =>    This Inner Loop Header: Depth=3
	;;#ASMSTART
	s_sleep 0
	;;#ASMEND
	ds_read_b32 v112, v98 offset:49172
	s_waitcnt lgkmcnt(0)
	v_cmp_eq_u32_e32 vcc, v112, v111
	s_or_b64 s[6:7], vcc, s[6:7]
	s_andn2_b64 exec, exec, s[6:7]
	s_cbranch_execnz .LBB235_24
.LBB235_25:                             ;   in Loop: Header=BB235_13 Depth=2
	s_or_b64 exec, exec, s[4:5]
	v_add_u32_e32 v114, 0x1000, v110
	ds_read2_b32 v[112:113], v114 offset1:32
	s_waitcnt lgkmcnt(0)
	v_mfma_f32_32x32x16_fp8_fp8 v[48:63], v[108:109], v[112:113], v[48:63]
	ds_read2_b32 v[112:113], v114 offset0:128 offset1:160
	v_add_u32_e32 v114, 0x1400, v110
	s_waitcnt lgkmcnt(0)
	v_mfma_f32_32x32x16_fp8_fp8 v[48:63], v[106:107], v[112:113], v[48:63]
	ds_read2_b32 v[112:113], v114 offset1:32
	s_waitcnt lgkmcnt(0)
	v_mfma_f32_32x32x16_fp8_fp8 v[48:63], v[104:105], v[112:113], v[48:63]
	ds_read_b32 v115, v98 offset:49180
	ds_read2_b32 v[112:113], v114 offset0:128 offset1:160
	ds_write_b32 v98, v99 offset:49172
	s_waitcnt lgkmcnt(2)
	v_cmp_ne_u32_e32 vcc, v115, v111
	s_waitcnt lgkmcnt(1)
	v_mfma_f32_32x32x16_fp8_fp8 v[48:63], v[102:103], v[112:113], v[48:63]
	s_and_saveexec_b64 s[4:5], vcc
	s_cbranch_execz .LBB235_28
; %bb.26:                               ;   in Loop: Header=BB235_13 Depth=2
	s_mov_b64 s[6:7], 0
.LBB235_27:                             ;   Parent Loop BB235_7 Depth=1
                                        ;     Parent Loop BB235_13 Depth=2
                                        ; =>    This Inner Loop Header: Depth=3
	;;#ASMSTART
	s_sleep 0
	;;#ASMEND
	ds_read_b32 v112, v98 offset:49180
	s_waitcnt lgkmcnt(0)
	v_cmp_eq_u32_e32 vcc, v112, v111
	s_or_b64 s[6:7], vcc, s[6:7]
	s_andn2_b64 exec, exec, s[6:7]
	s_cbranch_execnz .LBB235_27
.LBB235_28:                             ;   in Loop: Header=BB235_13 Depth=2
	s_or_b64 exec, exec, s[4:5]
	v_add_u32_e32 v114, 0x1800, v110
	ds_read2_b32 v[112:113], v114 offset1:32
	s_waitcnt lgkmcnt(0)
	v_mfma_f32_32x32x16_fp8_fp8 v[32:47], v[108:109], v[112:113], v[32:47]
	ds_read2_b32 v[112:113], v114 offset0:128 offset1:160
	v_add_u32_e32 v114, 0x1c00, v110
	s_waitcnt lgkmcnt(0)
	v_mfma_f32_32x32x16_fp8_fp8 v[32:47], v[106:107], v[112:113], v[32:47]
	ds_read2_b32 v[112:113], v114 offset1:32
	s_waitcnt lgkmcnt(0)
	v_mfma_f32_32x32x16_fp8_fp8 v[32:47], v[104:105], v[112:113], v[32:47]
	ds_read_b32 v115, v98 offset:49188
	ds_read2_b32 v[112:113], v114 offset0:128 offset1:160
	ds_write_b32 v98, v99 offset:49180
	s_waitcnt lgkmcnt(2)
	v_cmp_ne_u32_e32 vcc, v115, v111
	s_waitcnt lgkmcnt(1)
	;; [unrolled: 36-line block ×3, first 2 shown]
	v_mfma_f32_32x32x16_fp8_fp8 v[16:31], v[102:103], v[112:113], v[16:31]
	s_and_saveexec_b64 s[4:5], vcc
	s_cbranch_execz .LBB235_12
; %bb.32:                               ;   in Loop: Header=BB235_13 Depth=2
	s_mov_b64 s[6:7], 0
.LBB235_33:                             ;   Parent Loop BB235_7 Depth=1
                                        ;     Parent Loop BB235_13 Depth=2
                                        ; =>    This Inner Loop Header: Depth=3
	;;#ASMSTART
	s_sleep 0
	;;#ASMEND
	ds_read_b32 v112, v98 offset:49196
	s_waitcnt lgkmcnt(0)
	v_cmp_eq_u32_e32 vcc, v112, v111
	s_or_b64 s[6:7], vcc, s[6:7]
	s_andn2_b64 exec, exec, s[6:7]
	s_cbranch_execnz .LBB235_33
	s_branch .LBB235_12
.LBB235_34:                             ;   in Loop: Header=BB235_7 Depth=1
	s_or_b64 exec, exec, s[2:3]
.LBB235_35:                             ;   in Loop: Header=BB235_7 Depth=1
	v_writelane_b32 v126, s48, 34
	s_nop 1
	v_writelane_b32 v126, s49, 35
	v_writelane_b32 v126, s46, 36
	s_nop 1
	v_writelane_b32 v126, s47, 37
	;; [unrolled: 3-line block ×4, first 2 shown]
	v_writelane_b32 v126, s41, 42
	v_writelane_b32 v126, s40, 43
	;; [unrolled: 1-line block ×3, first 2 shown]
	s_or_b64 exec, exec, s[0:1]
	scratch_load_dword v100, off, off offset:48 ; 4-byte Folded Reload
	scratch_load_dword v108, off, off offset:104 ; 4-byte Folded Reload
	v_cmp_le_i32_e32 vcc, s8, v120
	v_or_b32_e32 v97, 32, v120
	scratch_store_dwordx2 off, v[118:119], off ; 8-byte Folded Spill
	s_waitcnt vmcnt(3)
	v_cndmask_b32_e32 v98, 0, v96, vcc
	v_cmp_le_i32_e32 vcc, s8, v97
	v_or_b32_e32 v97, 64, v120
	v_pk_mul_f32 v[118:119], v[98:99], v[94:95] op_sel_hi:[0,1]
	v_pk_mul_f32 v[92:93], v[98:99], v[92:93] op_sel_hi:[0,1]
	;; [unrolled: 1-line block ×8, first 2 shown]
	v_cndmask_b32_e32 v98, 0, v96, vcc
	v_cmp_le_i32_e32 vcc, s8, v97
	v_or_b32_e32 v97, 0x60, v120
	v_pk_mul_f32 v[102:103], v[98:99], v[66:67] op_sel_hi:[0,1]
	v_cndmask_b32_e32 v66, 0, v96, vcc
	v_cmp_le_i32_e32 vcc, s8, v97
	v_or_b32_e32 v97, 0x80, v120
	v_pk_mul_f32 v[116:117], v[66:67], v[48:49] op_sel_hi:[0,1]
	;; [unrolled: 4-line block ×3, first 2 shown]
	v_pk_mul_f32 v[44:45], v[48:49], v[44:45] op_sel_hi:[0,1]
	v_pk_mul_f32 v[42:43], v[48:49], v[42:43] op_sel_hi:[0,1]
	;; [unrolled: 1-line block ×7, first 2 shown]
	v_cndmask_b32_e32 v48, 0, v96, vcc
	v_cmp_le_i32_e32 vcc, s8, v97
	v_pk_mul_f32 v[30:31], v[48:49], v[30:31] op_sel_hi:[0,1]
	v_pk_mul_f32 v[28:29], v[48:49], v[28:29] op_sel_hi:[0,1]
	;; [unrolled: 1-line block ×8, first 2 shown]
	v_cndmask_b32_e32 v48, 0, v96, vcc
	v_pk_mul_f32 v[14:15], v[48:49], v[14:15] op_sel_hi:[0,1]
	v_pk_mul_f32 v[12:13], v[48:49], v[12:13] op_sel_hi:[0,1]
	;; [unrolled: 1-line block ×22, first 2 shown]
                                        ; implicit-def: $vgpr127 : SGPR spill to VGPR lane
	s_waitcnt vmcnt(2)
	v_cmp_eq_u32_e64 s[6:7], 1, v100
	s_nop 1
	v_cndmask_b32_e64 v48, v80, v81, s[6:7]
	v_cmp_eq_u32_e64 s[40:41], 2, v100
	v_cmp_eq_u32_e64 s[42:43], 3, v100
	v_cmp_eq_u32_e32 vcc, 4, v100
	v_cndmask_b32_e64 v48, v48, v82, s[40:41]
	v_cndmask_b32_e64 v48, v48, v83, s[42:43]
	v_cndmask_b32_e32 v48, v48, v84, vcc
	v_cmp_eq_u32_e64 s[0:1], 5, v100
	v_cmp_eq_u32_e64 s[2:3], 6, v100
	v_cmp_eq_u32_e64 s[30:31], 7, v100
	v_cndmask_b32_e64 v48, v48, v85, s[0:1]
	v_cndmask_b32_e64 v48, v48, v86, s[2:3]
	v_cndmask_b32_e64 v48, v48, v87, s[30:31]
	v_cmp_eq_u32_e64 s[26:27], 8, v100
	v_cmp_eq_u32_e64 s[24:25], 9, v100
	v_cmp_eq_u32_e64 s[22:23], 10, v100
	v_cndmask_b32_e64 v48, v48, v88, s[26:27]
	v_cndmask_b32_e64 v48, v48, v89, s[24:25]
	v_cndmask_b32_e64 v48, v48, v90, s[22:23]
	;; [unrolled: 6-line block ×3, first 2 shown]
	v_cmp_eq_u32_e64 s[12:13], 14, v100
	v_cmp_eq_u32_e64 s[10:11], 15, v100
	;; [unrolled: 1-line block ×3, first 2 shown]
	v_cndmask_b32_e64 v48, v48, v118, s[12:13]
	v_cndmask_b32_e64 v48, v48, v119, s[10:11]
	s_waitcnt vmcnt(1)
	ds_bpermute_b32 v48, v108, v48
	s_waitcnt lgkmcnt(0)
	v_cndmask_b32_e64 v75, v87, v48, s[30:31]
	scratch_load_dword v87, off, off offset:52 ; 4-byte Folded Reload
	v_cndmask_b32_e64 v50, v118, v48, s[12:13]
	v_cndmask_b32_e64 v81, v81, v48, s[6:7]
	;; [unrolled: 1-line block ×3, first 2 shown]
	scratch_load_dword v118, off, off offset:56 ; 4-byte Folded Reload
	v_cndmask_b32_e64 v49, v119, v48, s[10:11]
	v_cndmask_b32_e64 v51, v93, v48, s[14:15]
	v_cndmask_b32_e64 v66, v92, v48, s[18:19]
	v_cndmask_b32_e64 v67, v91, v48, s[20:21]
	v_cndmask_b32_e64 v68, v90, v48, s[22:23]
	v_cndmask_b32_e64 v69, v89, v48, s[24:25]
	v_cndmask_b32_e64 v74, v88, v48, s[26:27]
	v_cndmask_b32_e64 v77, v86, v48, s[2:3]
	v_cndmask_b32_e64 v85, v85, v48, s[0:1]
	v_cndmask_b32_e32 v84, v84, v48, vcc
	v_cndmask_b32_e64 v83, v83, v48, s[42:43]
	v_cndmask_b32_e64 v82, v82, v48, s[40:41]
	s_waitcnt vmcnt(1)
	v_cmp_eq_u32_e64 s[4:5], 1, v87
	s_nop 1
	v_cndmask_b32_e64 v48, v80, v81, s[4:5]
	v_cmp_eq_u32_e64 s[28:29], 2, v87
	v_cmp_eq_u32_e64 s[34:35], 3, v87
	v_cmp_eq_u32_e64 s[36:37], 4, v87
	v_cndmask_b32_e64 v48, v48, v82, s[28:29]
	v_cndmask_b32_e64 v48, v48, v83, s[34:35]
	v_cndmask_b32_e64 v48, v48, v84, s[36:37]
	v_cmp_eq_u32_e64 s[38:39], 5, v87
	v_cmp_eq_u32_e64 s[48:49], 6, v87
	v_cmp_eq_u32_e64 s[52:53], 7, v87
	v_cndmask_b32_e64 v48, v48, v85, s[38:39]
	v_cndmask_b32_e64 v48, v48, v77, s[48:49]
	;; [unrolled: 6-line block ×5, first 2 shown]
	ds_bpermute_b32 v86, v108, v48
	s_waitcnt vmcnt(0)
	v_cmp_eq_u32_e64 s[44:45], 1, v118
	v_cmp_eq_u32_e64 s[8:9], 3, v118
	s_waitcnt lgkmcnt(0)
	v_cndmask_b32_e64 v121, v50, v86, s[80:81]
	v_cndmask_b32_e64 v50, v94, v95, s[6:7]
	v_cndmask_b32_e64 v50, v50, v102, s[40:41]
	v_cndmask_b32_e64 v50, v50, v103, s[42:43]
	v_cndmask_b32_e32 v50, v50, v114, vcc
	v_cndmask_b32_e64 v50, v50, v115, s[0:1]
	v_cndmask_b32_e64 v50, v50, v70, s[2:3]
	;; [unrolled: 1-line block ×13, first 2 shown]
	ds_bpermute_b32 v82, v108, v50
	v_cndmask_b32_e64 v76, v74, v86, s[56:57]
	v_cndmask_b32_e64 v74, v75, v86, s[52:53]
	;; [unrolled: 1-line block ×4, first 2 shown]
	s_waitcnt lgkmcnt(0)
	v_cndmask_b32_e64 v77, v107, v82, s[14:15]
	v_cndmask_b32_e64 v107, v112, v82, s[22:23]
	;; [unrolled: 1-line block ×6, first 2 shown]
	v_cndmask_b32_e32 v70, v70, v52, vcc
	v_cndmask_b32_e64 v70, v70, v53, s[0:1]
	v_cndmask_b32_e64 v70, v70, v54, s[2:3]
	;; [unrolled: 1-line block ×11, first 2 shown]
	ds_bpermute_b32 v70, v108, v70
	v_cndmask_b32_e64 v119, v73, v82, s[24:25]
	v_cndmask_b32_e64 v123, v66, v86, s[72:73]
	;; [unrolled: 1-line block ×4, first 2 shown]
	s_waitcnt lgkmcnt(0)
	v_cndmask_b32_e32 v96, v52, v70, vcc
	v_cndmask_b32_e64 v52, v32, v33, s[6:7]
	v_cndmask_b32_e64 v52, v52, v34, s[40:41]
	;; [unrolled: 1-line block ×3, first 2 shown]
	v_cndmask_b32_e32 v52, v52, v36, vcc
	v_cndmask_b32_e64 v52, v52, v37, s[0:1]
	v_cndmask_b32_e64 v52, v52, v38, s[2:3]
	;; [unrolled: 1-line block ×12, first 2 shown]
	ds_bpermute_b32 v59, v108, v52
	v_cndmask_b32_e64 v67, v69, v86, s[60:61]
	v_cndmask_b32_e64 v68, v85, v86, s[38:39]
	v_cndmask_b32_e64 v69, v84, v86, s[36:37]
	v_cndmask_b32_e64 v48, v83, v86, s[34:35]
	s_waitcnt lgkmcnt(0)
	v_cndmask_b32_e64 v73, v33, v59, s[6:7]
	scratch_load_dword v33, off, off offset:60 ; 4-byte Folded Reload
	v_cndmask_b32_e64 v51, v81, v86, s[4:5]
	v_cndmask_b32_e64 v50, v80, v86, s[16:17]
	;; [unrolled: 1-line block ×9, first 2 shown]
	v_cndmask_b32_e32 v114, v114, v82, vcc
	v_cndmask_b32_e64 v85, v103, v82, s[42:43]
	v_cndmask_b32_e64 v86, v102, v82, s[40:41]
	;; [unrolled: 1-line block ×8, first 2 shown]
	v_cndmask_b32_e32 v35, v35, v20, vcc
	v_cndmask_b32_e64 v35, v35, v21, s[0:1]
	v_cndmask_b32_e64 v35, v35, v22, s[2:3]
	;; [unrolled: 1-line block ×11, first 2 shown]
	ds_bpermute_b32 v35, v108, v35
	v_cndmask_b32_e64 v102, v117, v70, s[6:7]
	v_cndmask_b32_e64 v72, v32, v59, s[46:47]
	;; [unrolled: 1-line block ×4, first 2 shown]
	s_waitcnt lgkmcnt(0)
	v_cndmask_b32_e64 v80, v16, v35, s[46:47]
	v_cndmask_b32_e64 v16, v0, v1, s[6:7]
	v_cndmask_b32_e64 v16, v16, v2, s[40:41]
	v_cndmask_b32_e64 v16, v16, v3, s[42:43]
	v_cndmask_b32_e32 v16, v16, v4, vcc
	v_cndmask_b32_e64 v16, v16, v5, s[0:1]
	v_cndmask_b32_e64 v16, v16, v6, s[2:3]
	;; [unrolled: 1-line block ×11, first 2 shown]
	ds_bpermute_b32 v16, v108, v16
	v_cndmask_b32_e64 v17, v17, v35, s[6:7]
	v_cmp_eq_u32_e64 s[6:7], 2, v118
	scratch_store_dword off, v17, off offset:28 ; 4-byte Folded Spill
	v_cndmask_b32_e64 v47, v47, v59, s[10:11]
	v_cndmask_b32_e64 v17, v32, v49, s[6:7]
	;; [unrolled: 1-line block ×4, first 2 shown]
	s_waitcnt lgkmcnt(0)
	v_cndmask_b32_e64 v15, v15, v16, s[10:11]
	v_cmp_eq_u32_e64 s[10:11], 4, v118
	v_cndmask_b32_e64 v90, v62, v70, s[12:13]
	v_cndmask_b32_e64 v46, v46, v59, s[12:13]
	;; [unrolled: 1-line block ×6, first 2 shown]
	v_cmp_eq_u32_e64 s[12:13], 5, v118
	v_cndmask_b32_e64 v91, v61, v70, s[14:15]
	v_cndmask_b32_e64 v45, v45, v59, s[14:15]
	scratch_store_dword off, v37, off offset:8 ; 4-byte Folded Spill
	v_cndmask_b32_e64 v37, v29, v35, s[14:15]
	v_cndmask_b32_e64 v17, v17, v68, s[12:13]
	;; [unrolled: 1-line block ×3, first 2 shown]
	v_cmp_eq_u32_e64 s[14:15], 6, v118
	v_cndmask_b32_e64 v92, v60, v70, s[18:19]
	v_cndmask_b32_e64 v99, v64, v70, s[40:41]
	;; [unrolled: 1-line block ×7, first 2 shown]
	v_cmp_eq_u32_e64 s[18:19], 7, v118
	v_cndmask_b32_e64 v95, v57, v70, s[24:25]
	v_cndmask_b32_e64 v57, v43, v59, s[20:21]
	;; [unrolled: 1-line block ×5, first 2 shown]
	v_cmp_eq_u32_e64 s[20:21], 8, v118
	v_cndmask_b32_e64 v94, v58, v70, s[22:23]
	v_cndmask_b32_e64 v58, v42, v59, s[22:23]
	;; [unrolled: 1-line block ×5, first 2 shown]
	v_cmp_eq_u32_e64 s[22:23], 9, v118
	v_cndmask_b32_e64 v52, v41, v59, s[24:25]
	v_cndmask_b32_e64 v60, v40, v59, s[26:27]
	;; [unrolled: 1-line block ×3, first 2 shown]
	v_cndmask_b32_e32 v36, v36, v59, vcc
	v_cndmask_b32_e64 v81, v34, v59, s[40:41]
	v_cndmask_b32_e64 v59, v25, v35, s[24:25]
	;; [unrolled: 1-line block ×4, first 2 shown]
	v_cmp_eq_u32_e64 s[24:25], 10, v118
	v_cndmask_b32_e64 v56, v56, v70, s[26:27]
	v_cndmask_b32_e64 v61, v24, v35, s[26:27]
	;; [unrolled: 1-line block ×4, first 2 shown]
	v_cmp_eq_u32_e64 s[26:27], 11, v118
	v_cndmask_b32_e64 v55, v55, v70, s[30:31]
	v_cndmask_b32_e64 v103, v116, v70, s[46:47]
	;; [unrolled: 1-line block ×5, first 2 shown]
	v_cmp_eq_u32_e64 s[30:31], 12, v118
	v_cndmask_b32_e64 v54, v54, v70, s[2:3]
	v_cndmask_b32_e64 v63, v22, v35, s[2:3]
	v_cndmask_b32_e64 v7, v8, v123, s[30:31]
	v_cndmask_b32_e64 v115, v6, v16, s[2:3]
	v_cmp_eq_u32_e64 s[2:3], 13, v118
	v_cndmask_b32_e64 v53, v53, v70, s[0:1]
	v_cndmask_b32_e64 v97, v65, v70, s[42:43]
	;; [unrolled: 1-line block ×5, first 2 shown]
	v_cmp_eq_u32_e64 s[0:1], 14, v118
	v_cndmask_b32_e32 v20, v20, v35, vcc
	v_cndmask_b32_e32 v4, v4, v16, vcc
	v_cndmask_b32_e64 v6, v6, v121, s[0:1]
	v_cmp_eq_u32_e32 vcc, 15, v118
	v_cndmask_b32_e64 v19, v19, v35, s[42:43]
	v_cndmask_b32_e64 v18, v18, v35, s[40:41]
	v_cndmask_b32_e32 v6, v6, v98, vcc
	ds_bpermute_b32 v7, v108, v6
	v_cndmask_b32_e64 v6, v3, v16, s[42:43]
	v_cmp_eq_u32_e64 s[42:43], 0, v118
	s_waitcnt vmcnt(2)
	v_cmp_eq_u32_e64 s[58:59], 1, v33
	v_cndmask_b32_e64 v71, v0, v16, s[46:47]
	s_waitcnt lgkmcnt(0)
	v_cndmask_b32_e32 v8, v98, v7, vcc
	v_cndmask_b32_e64 v27, v51, v7, s[44:45]
	v_writelane_b32 v126, s42, 45
	v_cndmask_b32_e64 v98, v2, v16, s[40:41]
	v_cmp_ne_u32_e64 s[40:41], 0, v100
	v_cndmask_b32_e64 v32, v50, v7, s[42:43]
	v_cndmask_b32_e64 v26, v49, v7, s[6:7]
	;; [unrolled: 1-line block ×4, first 2 shown]
	v_cmp_eq_u32_e64 s[40:41], 2, v33
	v_cndmask_b32_e64 v25, v48, v7, s[8:9]
	v_cmp_eq_u32_e64 s[46:47], 3, v33
	v_cndmask_b32_e64 v0, v1, v26, s[40:41]
	v_cndmask_b32_e64 v24, v69, v7, s[10:11]
	;; [unrolled: 1-line block ×3, first 2 shown]
	v_cmp_eq_u32_e64 s[50:51], 4, v33
	v_cndmask_b32_e64 v23, v68, v7, s[12:13]
	v_cmp_eq_u32_e64 s[54:55], 5, v33
	v_cndmask_b32_e64 v0, v0, v24, s[50:51]
	v_cndmask_b32_e64 v22, v75, v7, s[14:15]
	;; [unrolled: 1-line block ×3, first 2 shown]
	v_cmp_eq_u32_e64 s[62:63], 6, v33
	v_cndmask_b32_e64 v21, v74, v7, s[18:19]
	v_cmp_eq_u32_e64 s[66:67], 7, v33
	v_cndmask_b32_e64 v0, v0, v22, s[62:63]
	scratch_store_dword off, v20, off offset:16 ; 4-byte Folded Spill
	v_cndmask_b32_e64 v20, v76, v7, s[20:21]
	v_cndmask_b32_e64 v0, v0, v21, s[66:67]
	v_cmp_eq_u32_e64 s[70:71], 8, v33
	scratch_store_dword off, v19, off offset:20 ; 4-byte Folded Spill
	v_cndmask_b32_e64 v19, v67, v7, s[22:23]
	v_cndmask_b32_e64 v0, v0, v20, s[70:71]
	v_cmp_eq_u32_e64 s[74:75], 9, v33
	;; [unrolled: 4-line block ×3, first 2 shown]
	v_cndmask_b32_e64 v17, v125, v7, s[26:27]
	v_cmp_eq_u32_e64 s[82:83], 11, v33
	v_cndmask_b32_e64 v0, v0, v18, s[78:79]
	v_cndmask_b32_e64 v11, v123, v7, s[30:31]
	;; [unrolled: 1-line block ×3, first 2 shown]
	v_cmp_eq_u32_e64 s[86:87], 12, v33
	v_cndmask_b32_e64 v10, v122, v7, s[2:3]
	s_mov_b64 s[96:97], s[40:41]
	v_cndmask_b32_e64 v0, v0, v11, s[86:87]
	v_cmp_eq_u32_e64 s[40:41], 13, v33
	v_cndmask_b32_e64 v9, v121, v7, s[0:1]
	v_writelane_b32 v126, s43, 46
	v_cndmask_b32_e64 v0, v0, v10, s[40:41]
	v_cmp_eq_u32_e64 s[42:43], 14, v33
	v_cmp_eq_u32_e64 s[98:99], 15, v33
	v_writelane_b32 v126, s96, 47
	v_cndmask_b32_e64 v0, v0, v9, s[42:43]
	v_cndmask_b32_e64 v0, v0, v8, s[98:99]
	ds_bpermute_b32 v16, v108, v0
	v_writelane_b32 v126, s97, 48
	scratch_store_dword off, v36, off offset:12 ; 4-byte Folded Spill
	s_waitcnt lgkmcnt(0)
	v_cndmask_b32_e64 v2, v9, v16, s[42:43]
	v_cndmask_b32_e64 v9, v17, v16, s[82:83]
	v_cndmask_b32_e64 v17, v88, v87, s[4:5]
	v_cndmask_b32_e64 v50, v26, v16, s[96:97]
	v_cmp_eq_u32_e64 s[96:97], 0, v33
	v_cndmask_b32_e64 v1, v8, v16, s[98:99]
	v_cndmask_b32_e64 v7, v10, v16, s[40:41]
	;; [unrolled: 1-line block ×13, first 2 shown]
	v_writelane_b32 v126, s96, 49
	v_cndmask_b32_e64 v17, v17, v85, s[34:35]
	v_cndmask_b32_e64 v17, v17, v114, s[36:37]
	v_cndmask_b32_e64 v74, v32, v16, s[96:97]
	v_cndmask_b32_e64 v16, v103, v102, s[4:5]
	v_cndmask_b32_e64 v16, v16, v99, s[28:29]
	v_cndmask_b32_e64 v16, v16, v97, s[34:35]
	v_cndmask_b32_e64 v17, v17, v113, s[38:39]
	v_cndmask_b32_e64 v16, v16, v96, s[36:37]
	v_cndmask_b32_e64 v17, v17, v112, s[48:49]
	v_cndmask_b32_e64 v16, v16, v53, s[38:39]
	v_cndmask_b32_e64 v17, v17, v110, s[52:53]
	v_cndmask_b32_e64 v16, v16, v54, s[48:49]
	v_cndmask_b32_e64 v17, v17, v109, s[56:57]
	v_cndmask_b32_e64 v16, v16, v55, s[52:53]
	v_cndmask_b32_e64 v17, v17, v119, s[60:61]
	v_cndmask_b32_e64 v16, v16, v56, s[56:57]
	v_cndmask_b32_e64 v17, v17, v107, s[64:65]
	v_cndmask_b32_e64 v16, v16, v95, s[60:61]
	v_cndmask_b32_e64 v17, v17, v106, s[68:69]
	v_cndmask_b32_e64 v16, v16, v94, s[64:65]
	v_cndmask_b32_e64 v17, v17, v105, s[72:73]
	v_cndmask_b32_e64 v16, v16, v93, s[68:69]
	v_cndmask_b32_e64 v17, v17, v77, s[76:77]
	v_cndmask_b32_e64 v16, v16, v92, s[72:73]
	v_cndmask_b32_e64 v17, v17, v78, s[80:81]
	v_cndmask_b32_e64 v16, v16, v91, s[76:77]
	v_cndmask_b32_e64 v17, v17, v79, s[84:85]
	v_cndmask_b32_e64 v16, v16, v90, s[80:81]
	ds_bpermute_b32 v18, v108, v17
	v_cndmask_b32_e64 v16, v16, v89, s[84:85]
	ds_bpermute_b32 v42, v108, v16
	v_writelane_b32 v126, s97, 50
	s_waitcnt lgkmcnt(1)
	v_cndmask_b32_e64 v121, v88, v18, s[16:17]
	scratch_load_dword v88, off, off offset:12 ; 4-byte Folded Reload
	s_waitcnt lgkmcnt(0)
	v_cndmask_b32_e64 v122, v89, v42, s[84:85]
	v_cndmask_b32_e64 v32, v90, v42, s[80:81]
	;; [unrolled: 1-line block ×5, first 2 shown]
	scratch_load_dword v89, off, off offset:28 ; 4-byte Folded Reload
	scratch_load_dword v90, off, off offset:24 ; 4-byte Folded Reload
	;; [unrolled: 1-line block ×5, first 2 shown]
	v_cndmask_b32_e64 v21, v53, v42, s[38:39]
	v_cndmask_b32_e64 v53, v72, v73, s[4:5]
	;; [unrolled: 1-line block ×29, first 2 shown]
	s_waitcnt vmcnt(5)
	v_cndmask_b32_e64 v53, v53, v88, s[36:37]
	s_waitcnt vmcnt(0)
	v_cndmask_b32_e64 v53, v53, v93, s[38:39]
	v_cndmask_b32_e64 v53, v53, v64, s[48:49]
	;; [unrolled: 1-line block ×11, first 2 shown]
	ds_bpermute_b32 v85, v108, v53
	v_cndmask_b32_e64 v53, v80, v89, s[4:5]
	v_cndmask_b32_e64 v53, v53, v90, s[28:29]
	;; [unrolled: 1-line block ×15, first 2 shown]
	ds_bpermute_b32 v86, v108, v53
	v_cndmask_b32_e64 v53, v71, v3, s[4:5]
	v_cndmask_b32_e64 v53, v53, v98, s[28:29]
	;; [unrolled: 1-line block ×15, first 2 shown]
	ds_bpermute_b32 v87, v108, v53
	s_waitcnt lgkmcnt(1)
	v_cndmask_b32_e64 v55, v37, v86, s[76:77]
	v_cndmask_b32_e64 v56, v38, v86, s[72:73]
	v_cndmask_b32_e64 v38, v64, v85, s[48:49]
	v_cndmask_b32_e64 v37, v93, v85, s[38:39]
	s_waitcnt lgkmcnt(0)
	v_cndmask_b32_e64 v107, v13, v87, s[76:77]
	scratch_load_dword v13, off, off offset:64 ; 4-byte Folded Reload
	v_cndmask_b32_e64 v114, v116, v87, s[52:53]
	v_cndmask_b32_e64 v64, v65, v86, s[38:39]
	;; [unrolled: 1-line block ×40, first 2 shown]
	v_readlane_b32 s84, v126, 45
	v_cndmask_b32_e64 v52, v52, v85, s[60:61]
	v_cndmask_b32_e64 v59, v59, v86, s[60:61]
	;; [unrolled: 1-line block ×3, first 2 shown]
	v_readlane_b32 s85, v126, 46
	s_waitcnt vmcnt(0)
	v_cmp_eq_u32_e64 s[38:39], 1, v13
	s_nop 1
	v_cndmask_b32_e64 v12, v74, v51, s[38:39]
	v_cmp_eq_u32_e64 s[28:29], 2, v13
	v_cmp_eq_u32_e64 s[48:49], 3, v13
	v_cmp_eq_u32_e64 s[52:53], 4, v13
	v_cndmask_b32_e64 v12, v12, v50, s[28:29]
	v_cndmask_b32_e64 v12, v12, v49, s[48:49]
	v_cndmask_b32_e64 v12, v12, v48, s[52:53]
	v_cmp_eq_u32_e64 s[56:57], 5, v13
	v_cmp_eq_u32_e64 s[64:65], 6, v13
	v_cmp_eq_u32_e64 s[68:69], 7, v13
	v_cndmask_b32_e64 v12, v12, v68, s[56:57]
	v_cndmask_b32_e64 v12, v12, v70, s[64:65]
	;; [unrolled: 6-line block ×5, first 2 shown]
	ds_bpermute_b32 v12, v108, v12
	s_waitcnt lgkmcnt(0)
	v_cndmask_b32_e64 v81, v1, v12, s[4:5]
	v_cndmask_b32_e64 v1, v42, v41, s[44:45]
	;; [unrolled: 1-line block ×15, first 2 shown]
	v_cndmask_b32_e32 v1, v1, v122, vcc
	ds_bpermute_b32 v1, v108, v1
	v_cndmask_b32_e64 v90, v0, v12, s[72:73]
	v_cndmask_b32_e64 v0, v121, v27, s[44:45]
	;; [unrolled: 1-line block ×4, first 2 shown]
	s_waitcnt lgkmcnt(0)
	v_cndmask_b32_e64 v14, v35, v1, s[30:31]
	scratch_load_dword v35, off, off offset:68 ; 4-byte Folded Reload
	v_cndmask_b32_e64 v0, v0, v43, s[10:11]
	v_cndmask_b32_e64 v0, v0, v24, s[12:13]
	;; [unrolled: 1-line block ×11, first 2 shown]
	v_cndmask_b32_e32 v0, v0, v75, vcc
	ds_bpermute_b32 v0, v108, v0
	v_cndmask_b32_e64 v87, v9, v12, s[36:37]
	v_cndmask_b32_e64 v88, v10, v12, s[80:81]
	;; [unrolled: 1-line block ×6, first 2 shown]
	s_waitcnt lgkmcnt(0)
	v_cndmask_b32_e32 v68, v75, v0, vcc
	v_cndmask_b32_e64 v69, v76, v0, s[0:1]
	v_cndmask_b32_e64 v70, v77, v0, s[2:3]
	;; [unrolled: 1-line block ×29, first 2 shown]
	v_cndmask_b32_e32 v0, v0, v47, vcc
	v_cndmask_b32_e64 v82, v2, v12, s[96:97]
	v_cndmask_b32_e64 v83, v7, v12, s[34:35]
	;; [unrolled: 1-line block ×8, first 2 shown]
	v_cndmask_b32_e32 v11, v122, v1, vcc
	v_cndmask_b32_e64 v12, v32, v1, s[0:1]
	v_cndmask_b32_e64 v13, v33, v1, s[2:3]
	;; [unrolled: 1-line block ×14, first 2 shown]
	ds_bpermute_b32 v1, v108, v0
	v_cndmask_b32_e64 v0, v3, v103, s[44:45]
	v_cndmask_b32_e64 v0, v0, v102, s[6:7]
	;; [unrolled: 1-line block ×14, first 2 shown]
	v_cndmask_b32_e32 v0, v0, v53, vcc
	ds_bpermute_b32 v32, v108, v0
	v_cndmask_b32_e64 v0, v6, v120, s[44:45]
	v_cndmask_b32_e64 v0, v0, v118, s[6:7]
	;; [unrolled: 1-line block ×14, first 2 shown]
	v_cndmask_b32_e32 v0, v0, v105, vcc
	ds_bpermute_b32 v33, v108, v0
	s_waitcnt lgkmcnt(2)
	v_cndmask_b32_e64 v28, v31, v1, s[0:1]
	s_waitcnt lgkmcnt(1)
	v_cndmask_b32_e64 v41, v54, v32, s[0:1]
	v_cndmask_b32_e32 v27, v47, v1, vcc
	v_cndmask_b32_e64 v29, v30, v1, s[2:3]
	s_waitcnt lgkmcnt(0)
	v_cndmask_b32_e64 v54, v106, v33, s[0:1]
	s_waitcnt vmcnt(0)
	v_cmp_eq_u32_e64 s[0:1], 1, v35
	v_cndmask_b32_e64 v42, v55, v32, s[2:3]
	v_cndmask_b32_e64 v55, v107, v33, s[2:3]
	;; [unrolled: 1-line block ×9, first 2 shown]
	s_mov_b64 s[2:3], s[84:85]
	v_cndmask_b32_e64 v34, v80, v86, s[0:1]
	s_mov_b64 s[10:11], s[0:1]
	v_cmp_eq_u32_e64 s[0:1], 2, v35
	v_cndmask_b32_e32 v40, v53, v32, vcc
	v_cndmask_b32_e64 v30, v44, v1, s[30:31]
	v_cndmask_b32_e64 v43, v56, v32, s[30:31]
	v_cndmask_b32_e64 v31, v45, v1, s[26:27]
	v_cndmask_b32_e64 v44, v57, v32, s[26:27]
	v_cndmask_b32_e64 v57, v109, v33, s[26:27]
	v_cndmask_b32_e64 v106, v46, v1, s[24:25]
	v_cndmask_b32_e64 v45, v58, v32, s[24:25]
	v_cndmask_b32_e64 v107, v52, v1, s[22:23]
	v_cndmask_b32_e64 v46, v59, v32, s[22:23]
	v_cndmask_b32_e64 v109, v39, v1, s[18:19]
	v_cndmask_b32_e64 v48, v62, v32, s[18:19]
	v_cndmask_b32_e64 v49, v63, v32, s[14:15]
	v_cndmask_b32_e64 v39, v4, v1, s[8:9]
	v_cndmask_b32_e64 v52, v99, v32, s[8:9]
	v_cndmask_b32_e64 v7, v97, v1, s[6:7]
	v_cndmask_b32_e64 v8, v102, v32, s[6:7]
	v_cndmask_b32_e64 v4, v118, v33, s[6:7]
	v_cndmask_b32_e64 v2, v103, v32, s[44:45]
	v_cndmask_b32_e64 v3, v3, v32, s[2:3]
	v_cndmask_b32_e64 v32, v34, v85, s[0:1]
	s_mov_b64 s[6:7], s[0:1]
	v_cmp_eq_u32_e64 s[0:1], 3, v35
	v_cndmask_b32_e64 v37, v37, v1, s[12:13]
	v_cndmask_b32_e64 v63, v116, v33, s[12:13]
	;; [unrolled: 1-line block ×3, first 2 shown]
	s_mov_b64 s[12:13], s[0:1]
	v_cmp_eq_u32_e64 s[0:1], 4, v35
	v_cndmask_b32_e64 v62, v115, v33, s[14:15]
	s_mov_b64 s[14:15], s[0:1]
	v_cndmask_b32_e64 v32, v32, v94, s[0:1]
	v_cmp_eq_u32_e64 s[0:1], 5, v35
	s_mov_b64 s[18:19], s[0:1]
	v_cndmask_b32_e64 v56, v119, v33, s[30:31]
	v_cndmask_b32_e64 v32, v32, v93, s[0:1]
	v_cmp_eq_u32_e64 s[0:1], 6, v35
	v_cndmask_b32_e64 v119, v60, v1, s[20:21]
	v_cndmask_b32_e64 v60, v113, v33, s[20:21]
	;; [unrolled: 1-line block ×3, first 2 shown]
	s_mov_b64 s[20:21], s[0:1]
	v_cmp_eq_u32_e64 s[0:1], 7, v35
	v_cndmask_b32_e64 v59, v112, v33, s[22:23]
	s_mov_b64 s[22:23], s[0:1]
	v_cndmask_b32_e64 v32, v32, v91, s[0:1]
	v_cmp_eq_u32_e64 s[0:1], 8, v35
	v_cndmask_b32_e64 v58, v110, v33, s[24:25]
	s_mov_b64 s[24:25], s[0:1]
	v_cndmask_b32_e64 v32, v32, v90, s[0:1]
	v_cmp_eq_u32_e64 s[0:1], 9, v35
	s_mov_b64 s[26:27], s[0:1]
	v_cndmask_b32_e64 v0, v98, v1, s[44:45]
	v_cndmask_b32_e64 v32, v32, v89, s[0:1]
	v_cmp_eq_u32_e64 s[0:1], 10, v35
	s_mov_b64 s[30:31], s[0:1]
	v_cndmask_b32_e64 v5, v120, v33, s[44:45]
	v_cndmask_b32_e64 v32, v32, v88, s[0:1]
	v_cmp_eq_u32_e64 s[0:1], 11, v35
	s_mov_b64 s[44:45], s[0:1]
	v_writelane_b32 v126, s44, 51
	v_cndmask_b32_e64 v32, v32, v87, s[0:1]
	v_cmp_eq_u32_e64 s[0:1], 12, v35
	v_writelane_b32 v126, s45, 52
	s_mov_b64 s[84:85], s[0:1]
	v_writelane_b32 v126, s84, 53
	v_cndmask_b32_e64 v32, v32, v84, s[0:1]
	v_cmp_eq_u32_e64 s[0:1], 13, v35
	v_writelane_b32 v126, s85, 54
	v_cndmask_b32_e64 v1, v96, v1, s[2:3]
	v_writelane_b32 v126, s0, 55
	v_cndmask_b32_e64 v6, v6, v33, s[2:3]
	v_cmp_eq_u32_e64 s[2:3], 14, v35
	v_writelane_b32 v126, s1, 56
	v_cndmask_b32_e64 v32, v32, v83, s[0:1]
	;; [unrolled: 5-line block ×3, first 2 shown]
	v_writelane_b32 v126, s8, 57
	v_cndmask_b32_e32 v53, v105, v33, vcc
	v_cndmask_b32_e64 v33, v10, v9, s[58:59]
	v_cndmask_b32_e64 v32, v32, v81, s[8:9]
	ds_bpermute_b32 v32, v108, v32
	v_writelane_b32 v126, s9, 58
	s_waitcnt lgkmcnt(0)
	v_cndmask_b32_e64 v82, v82, v32, s[2:3]
	v_readlane_b32 s2, v126, 47
	v_readlane_b32 s3, v126, 48
	v_cndmask_b32_e64 v83, v83, v32, s[0:1]
	v_cmp_eq_u32_e64 s[0:1], 0, v35
	v_cndmask_b32_e64 v33, v33, v67, s[2:3]
	v_cndmask_b32_e64 v33, v33, v66, s[46:47]
	;; [unrolled: 1-line block ×4, first 2 shown]
	v_writelane_b32 v126, s0, 59
	v_cndmask_b32_e64 v81, v81, v32, s[8:9]
	v_cndmask_b32_e64 v84, v84, v32, s[84:85]
	;; [unrolled: 1-line block ×14, first 2 shown]
	v_writelane_b32 v126, s1, 60
	v_cndmask_b32_e64 v80, v80, v32, s[0:1]
	v_cndmask_b32_e64 v32, v26, v25, s[58:59]
	s_mov_b64 s[0:1], s[2:3]
	v_cndmask_b32_e64 v33, v33, v76, s[66:67]
	v_cndmask_b32_e64 v32, v32, v24, s[0:1]
	;; [unrolled: 1-line block ×18, first 2 shown]
	ds_bpermute_b32 v33, v108, v33
	v_cndmask_b32_e64 v32, v32, v15, s[82:83]
	v_cndmask_b32_e64 v32, v32, v14, s[86:87]
	;; [unrolled: 1-line block ×5, first 2 shown]
	s_waitcnt lgkmcnt(0)
	v_cndmask_b32_e64 v123, v73, v33, s[78:79]
	ds_bpermute_b32 v73, v108, v32
	v_cndmask_b32_e64 v32, v9, v33, s[58:59]
	v_cndmask_b32_e64 v9, v1, v0, s[58:59]
	;; [unrolled: 1-line block ×4, first 2 shown]
	s_waitcnt lgkmcnt(0)
	v_cndmask_b32_e64 v36, v19, v73, s[66:67]
	scratch_load_dword v19, off, off offset:72 ; 4-byte Folded Reload
	v_cndmask_b32_e64 v9, v9, v38, s[50:51]
	v_cndmask_b32_e64 v9, v9, v37, s[54:55]
	;; [unrolled: 1-line block ×10, first 2 shown]
	v_readlane_b32 s2, v126, 49
	v_cndmask_b32_e64 v9, v9, v28, s[42:43]
	v_readlane_b32 s3, v126, 50
	v_cndmask_b32_e64 v9, v9, v27, s[98:99]
	v_cndmask_b32_e64 v68, v68, v33, s[98:99]
	v_cndmask_b32_e64 v69, v69, v33, s[42:43]
	v_cndmask_b32_e64 v70, v70, v33, s[40:41]
	v_cndmask_b32_e64 v71, v71, v33, s[86:87]
	v_cndmask_b32_e64 v72, v72, v33, s[82:83]
	v_cndmask_b32_e64 v125, v74, v33, s[74:75]
	v_cndmask_b32_e64 v75, v75, v33, s[70:71]
	v_cndmask_b32_e64 v76, v76, v33, s[66:67]
	v_cndmask_b32_e64 v77, v77, v33, s[62:63]
	v_cndmask_b32_e64 v78, v78, v33, s[54:55]
	v_cndmask_b32_e64 v79, v79, v33, s[50:51]
	v_cndmask_b32_e64 v66, v66, v33, s[46:47]
	v_cndmask_b32_e64 v67, v67, v33, s[0:1]
	v_cndmask_b32_e64 v10, v10, v33, s[2:3]
	v_cndmask_b32_e64 v33, v16, v73, s[78:79]
	ds_bpermute_b32 v16, v108, v9
	v_cndmask_b32_e64 v9, v3, v2, s[58:59]
	v_cndmask_b32_e64 v9, v9, v8, s[0:1]
	v_cndmask_b32_e64 v9, v9, v52, s[46:47]
	v_cndmask_b32_e64 v9, v9, v51, s[50:51]
	v_cndmask_b32_e64 v9, v9, v50, s[54:55]
	v_cndmask_b32_e64 v9, v9, v49, s[62:63]
	v_cndmask_b32_e64 v9, v9, v48, s[66:67]
	v_cndmask_b32_e64 v9, v9, v47, s[70:71]
	v_cndmask_b32_e64 v9, v9, v46, s[74:75]
	v_cndmask_b32_e64 v9, v9, v45, s[78:79]
	v_cndmask_b32_e64 v9, v9, v44, s[82:83]
	v_cndmask_b32_e64 v9, v9, v43, s[86:87]
	v_cndmask_b32_e64 v9, v9, v42, s[40:41]
	v_cndmask_b32_e64 v9, v9, v41, s[42:43]
	v_cndmask_b32_e64 v9, v9, v40, s[98:99]
	v_cndmask_b32_e64 v34, v17, v73, s[74:75]
	ds_bpermute_b32 v17, v108, v9
	v_cndmask_b32_e64 v9, v6, v5, s[58:59]
	v_cndmask_b32_e64 v9, v9, v4, s[0:1]
	v_cndmask_b32_e64 v9, v9, v65, s[46:47]
	v_cndmask_b32_e64 v9, v9, v64, s[50:51]
	v_cndmask_b32_e64 v9, v9, v63, s[54:55]
	v_cndmask_b32_e64 v9, v9, v62, s[62:63]
	v_cndmask_b32_e64 v9, v9, v61, s[66:67]
	v_cndmask_b32_e64 v9, v9, v60, s[70:71]
	v_cndmask_b32_e64 v9, v9, v59, s[74:75]
	v_cndmask_b32_e64 v9, v9, v58, s[78:79]
	v_cndmask_b32_e64 v9, v9, v57, s[82:83]
	v_cndmask_b32_e64 v9, v9, v56, s[86:87]
	v_cndmask_b32_e64 v9, v9, v55, s[40:41]
	v_cndmask_b32_e64 v9, v9, v54, s[42:43]
	v_cndmask_b32_e64 v9, v9, v53, s[98:99]
	v_cndmask_b32_e64 v35, v18, v73, s[70:71]
	ds_bpermute_b32 v18, v108, v9
	v_cndmask_b32_e64 v24, v24, v73, s[0:1]
	s_waitcnt lgkmcnt(2)
	v_cndmask_b32_e64 v9, v7, v16, s[0:1]
	s_waitcnt lgkmcnt(1)
	v_cndmask_b32_e64 v8, v8, v17, s[0:1]
	v_cndmask_b32_e64 v7, v2, v17, s[58:59]
	s_waitcnt lgkmcnt(0)
	v_cndmask_b32_e64 v113, v56, v18, s[86:87]
	v_cndmask_b32_e64 v56, v109, v16, s[66:67]
	;; [unrolled: 1-line block ×4, first 2 shown]
	s_mov_b64 s[0:1], s[2:3]
	v_cndmask_b32_e64 v4, v0, v16, s[58:59]
	v_cndmask_b32_e64 v2, v1, v16, s[0:1]
	;; [unrolled: 1-line block ×6, first 2 shown]
	s_waitcnt vmcnt(0)
	v_cmp_eq_u32_e64 s[8:9], 1, v19
	v_cmp_eq_u32_e64 s[0:1], 2, v19
	v_cndmask_b32_e64 v122, v63, v18, s[54:55]
	v_cndmask_b32_e64 v0, v80, v86, s[8:9]
	;; [unrolled: 1-line block ×6, first 2 shown]
	s_mov_b64 s[50:51], s[0:1]
	v_cmp_eq_u32_e64 s[0:1], 3, v19
	v_cndmask_b32_e64 v21, v21, v73, s[54:55]
	v_cndmask_b32_e64 v117, v58, v18, s[78:79]
	;; [unrolled: 1-line block ×6, first 2 shown]
	s_mov_b64 s[54:55], s[0:1]
	v_cmp_eq_u32_e64 s[0:1], 4, v19
	v_cndmask_b32_e64 v25, v25, v73, s[58:59]
	v_cndmask_b32_e64 v5, v5, v18, s[58:59]
	;; [unrolled: 1-line block ×3, first 2 shown]
	s_mov_b64 s[58:59], s[0:1]
	v_cmp_eq_u32_e64 s[0:1], 5, v19
	v_cndmask_b32_e64 v20, v20, v73, s[62:63]
	v_cndmask_b32_e64 v116, v57, v18, s[82:83]
	;; [unrolled: 1-line block ×6, first 2 shown]
	s_mov_b64 s[62:63], s[0:1]
	v_cmp_eq_u32_e64 s[0:1], 6, v19
	s_mov_b64 s[66:67], s[0:1]
	v_cndmask_b32_e64 v112, v55, v18, s[40:41]
	v_cndmask_b32_e64 v0, v0, v92, s[0:1]
	v_cmp_eq_u32_e64 s[0:1], 7, v19
	v_cndmask_b32_e64 v55, v119, v16, s[70:71]
	v_cndmask_b32_e64 v119, v47, v17, s[70:71]
	v_cndmask_b32_e64 v118, v60, v18, s[70:71]
	v_cndmask_b32_e64 v0, v0, v91, s[0:1]
	s_mov_b64 s[70:71], s[0:1]
	v_cmp_eq_u32_e64 s[0:1], 8, v19
	v_cndmask_b32_e64 v110, v54, v18, s[42:43]
	v_cndmask_b32_e64 v54, v107, v16, s[74:75]
	v_cndmask_b32_e64 v107, v46, v17, s[74:75]
	v_cndmask_b32_e64 v0, v0, v90, s[0:1]
	s_mov_b64 s[74:75], s[0:1]
	;; [unrolled: 6-line block ×4, first 2 shown]
	v_cmp_eq_u32_e64 s[0:1], 11, v19
	s_mov_b64 s[84:85], s[0:1]
	v_cndmask_b32_e64 v14, v14, v73, s[86:87]
	v_cndmask_b32_e64 v0, v0, v87, s[0:1]
	v_cmp_eq_u32_e64 s[0:1], 12, v19
	v_cndmask_b32_e64 v30, v30, v16, s[86:87]
	v_cndmask_b32_e64 v103, v43, v17, s[86:87]
	v_cndmask_b32_e64 v0, v0, v84, s[0:1]
	s_mov_b64 s[86:87], s[0:1]
	v_cmp_eq_u32_e64 s[0:1], 13, v19
	v_cndmask_b32_e64 v11, v11, v73, s[98:99]
	v_cndmask_b32_e64 v27, v27, v16, s[98:99]
	;; [unrolled: 1-line block ×3, first 2 shown]
	v_writelane_b32 v126, s0, 47
	v_cmp_eq_u32_e64 s[98:99], 14, v19
	v_cndmask_b32_e64 v23, v23, v73, s[46:47]
	v_cndmask_b32_e64 v0, v0, v83, s[0:1]
	;; [unrolled: 1-line block ×5, first 2 shown]
	s_mov_b64 s[46:47], s[8:9]
	v_writelane_b32 v126, s1, 48
	v_cndmask_b32_e64 v0, v0, v82, s[98:99]
	v_cmp_eq_u32_e64 s[8:9], 15, v19
	v_cndmask_b32_e64 v28, v28, v16, s[42:43]
	v_cndmask_b32_e64 v29, v29, v16, s[40:41]
	v_writelane_b32 v126, s8, 49
	v_cndmask_b32_e64 v26, v26, v73, s[2:3]
	v_cndmask_b32_e64 v13, v13, v73, s[40:41]
	;; [unrolled: 1-line block ×3, first 2 shown]
	ds_bpermute_b32 v16, v108, v0
	v_cndmask_b32_e64 v0, v10, v32, s[38:39]
	v_cndmask_b32_e64 v0, v0, v67, s[28:29]
	v_cndmask_b32_e64 v0, v0, v66, s[48:49]
	v_cndmask_b32_e64 v0, v0, v79, s[52:53]
	v_cndmask_b32_e64 v0, v0, v78, s[56:57]
	v_cndmask_b32_e64 v0, v0, v77, s[64:65]
	v_cndmask_b32_e64 v0, v0, v76, s[68:69]
	v_cndmask_b32_e64 v0, v0, v75, s[72:73]
	v_cndmask_b32_e64 v0, v0, v125, s[76:77]
	v_cndmask_b32_e64 v0, v0, v123, s[80:81]
	v_cndmask_b32_e64 v0, v0, v72, s[36:37]
	v_cndmask_b32_e64 v0, v0, v71, s[16:17]
	v_cndmask_b32_e64 v0, v0, v70, s[34:35]
	v_cndmask_b32_e64 v0, v0, v69, s[96:97]
	v_writelane_b32 v126, s9, 50
	s_waitcnt lgkmcnt(0)
	v_cndmask_b32_e64 v83, v83, v16, s[0:1]
	v_cndmask_b32_e64 v0, v0, v68, s[4:5]
	v_cmp_eq_u32_e64 s[0:1], 0, v19
	v_cndmask_b32_e64 v81, v81, v16, s[8:9]
	v_cndmask_b32_e64 v82, v82, v16, s[98:99]
	;; [unrolled: 1-line block ×12, first 2 shown]
	ds_bpermute_b32 v37, v108, v0
	v_cndmask_b32_e64 v0, v85, v16, s[50:51]
	v_cndmask_b32_e64 v1, v86, v16, s[46:47]
	v_writelane_b32 v126, s0, 61
	v_cndmask_b32_e64 v12, v12, v73, s[42:43]
	v_cndmask_b32_e64 v102, v42, v17, s[40:41]
	;; [unrolled: 1-line block ×18, first 2 shown]
	ds_bpermute_b32 v49, v108, v16
	v_cndmask_b32_e64 v97, v41, v17, s[42:43]
	s_waitcnt lgkmcnt(1)
	v_cndmask_b32_e64 v74, v69, v37, s[96:97]
	v_cndmask_b32_e64 v69, v75, v37, s[72:73]
	;; [unrolled: 1-line block ×3, first 2 shown]
	s_waitcnt lgkmcnt(0)
	v_cndmask_b32_e64 v47, v11, v49, s[4:5]
	v_cndmask_b32_e64 v46, v12, v49, s[96:97]
	;; [unrolled: 1-line block ×32, first 2 shown]
	ds_bpermute_b32 v11, v108, v11
	ds_bpermute_b32 v12, v108, v12
	v_cndmask_b32_e64 v10, v2, v4, s[38:39]
	v_cndmask_b32_e64 v10, v10, v9, s[28:29]
	;; [unrolled: 1-line block ×3, first 2 shown]
	s_waitcnt lgkmcnt(1)
	v_cndmask_b32_e64 v80, v97, v11, s[96:97]
	s_waitcnt lgkmcnt(0)
	v_cndmask_b32_e64 v97, v112, v12, s[34:35]
	v_cndmask_b32_e64 v112, v100, v12, s[76:77]
	;; [unrolled: 1-line block ×3, first 2 shown]
	scratch_load_dword v119, off, off offset:76 ; 4-byte Folded Reload
	v_cndmask_b32_e64 v10, v10, v59, s[52:53]
	v_cndmask_b32_e64 v10, v10, v58, s[56:57]
	;; [unrolled: 1-line block ×12, first 2 shown]
	ds_bpermute_b32 v10, v108, v10
	v_cndmask_b32_e64 v45, v13, v49, s[34:35]
	v_cndmask_b32_e64 v13, v99, v12, s[4:5]
	;; [unrolled: 1-line block ×5, first 2 shown]
	scratch_store_dword off, v13, off offset:8 ; 4-byte Folded Spill
	v_cndmask_b32_e64 v13, v110, v12, s[96:97]
	v_cndmask_b32_e64 v110, v102, v11, s[34:35]
	s_waitcnt lgkmcnt(0)
	v_cndmask_b32_e64 v52, v31, v10, s[36:37]
	v_cndmask_b32_e64 v68, v105, v11, s[36:37]
	;; [unrolled: 1-line block ×58, first 2 shown]
	s_waitcnt vmcnt(1)
	v_cmp_eq_u32_e64 s[36:37], 1, v119
	v_cmp_eq_u32_e64 s[38:39], 2, v119
	v_cmp_eq_u32_e64 s[40:41], 3, v119
	v_cndmask_b32_e64 v2, v65, v1, s[36:37]
	v_cndmask_b32_e64 v2, v2, v0, s[38:39]
	v_cndmask_b32_e64 v2, v2, v114, s[40:41]
	v_cmp_eq_u32_e64 s[42:43], 4, v119
	v_cmp_eq_u32_e64 s[44:45], 5, v119
	v_cmp_eq_u32_e64 s[48:49], 6, v119
	v_cndmask_b32_e64 v2, v2, v94, s[42:43]
	v_cndmask_b32_e64 v2, v2, v93, s[44:45]
	v_cndmask_b32_e64 v2, v2, v92, s[48:49]
	;; [unrolled: 6-line block ×4, first 2 shown]
	v_cmp_eq_u32_e64 s[76:77], 13, v119
	v_cmp_eq_u32_e64 s[80:81], 14, v119
	v_cmp_eq_u32_e32 vcc, 15, v119
	v_cndmask_b32_e64 v2, v2, v83, s[76:77]
	v_cndmask_b32_e64 v2, v2, v82, s[80:81]
	v_cndmask_b32_e32 v2, v2, v81, vcc
	ds_bpermute_b32 v20, v108, v2
	s_mov_b64 s[16:17], s[10:11]
	s_mov_b64 s[8:9], s[6:7]
	v_cndmask_b32_e64 v61, v9, v10, s[28:29]
	v_cndmask_b32_e64 v77, v8, v11, s[28:29]
	s_waitcnt lgkmcnt(0)
	v_cndmask_b32_e64 v2, v0, v20, s[38:39]
	v_cndmask_b32_e64 v0, v75, v78, s[16:17]
	;; [unrolled: 1-line block ×3, first 2 shown]
	s_mov_b64 s[28:29], s[12:13]
	v_cndmask_b32_e64 v50, v29, v10, s[34:35]
	v_cndmask_b32_e64 v0, v0, v16, s[28:29]
	s_mov_b64 s[34:35], s[14:15]
	v_cndmask_b32_e64 v32, v28, v10, s[96:97]
	v_cndmask_b32_e64 v0, v0, v123, s[34:35]
	s_mov_b64 s[96:97], s[18:19]
	v_cndmask_b32_e64 v0, v0, v125, s[96:97]
	s_mov_b64 s[6:7], s[20:21]
	;; [unrolled: 2-line block ×4, first 2 shown]
	v_writelane_b32 v126, s1, 62
	v_cndmask_b32_e64 v0, v0, v69, s[12:13]
	s_mov_b64 s[14:15], s[26:27]
	v_cndmask_b32_e64 v0, v0, v70, s[14:15]
	s_mov_b64 s[18:19], s[30:31]
	v_readlane_b32 s20, v126, 51
	v_cndmask_b32_e64 v0, v0, v71, s[18:19]
	v_readlane_b32 s21, v126, 52
	v_readlane_b32 s22, v126, 53
	v_readlane_b32 s23, v126, 54
	v_cndmask_b32_e64 v0, v0, v72, s[20:21]
	v_readlane_b32 s88, v126, 55
	v_cndmask_b32_e64 v0, v0, v19, s[22:23]
	v_readlane_b32 s89, v126, 56
	v_readlane_b32 s26, v126, 45
	v_readlane_b32 s27, v126, 46
	v_cndmask_b32_e64 v0, v0, v73, s[88:89]
	;; [unrolled: 6-line block ×3, first 2 shown]
	ds_bpermute_b32 v0, v108, v0
	v_cndmask_b32_e64 v66, v27, v10, s[4:5]
	v_cndmask_b32_e64 v96, v96, v11, s[4:5]
	s_mov_b64 s[4:5], s[46:47]
	s_mov_b64 s[46:47], s[50:51]
	s_waitcnt lgkmcnt(0)
	v_cndmask_b32_e64 v18, v18, v0, s[30:31]
	v_cndmask_b32_e64 v21, v74, v0, s[26:27]
	;; [unrolled: 1-line block ×18, first 2 shown]
	s_mov_b64 s[50:51], s[54:55]
	v_cndmask_b32_e64 v69, v69, v16, s[50:51]
	s_mov_b64 s[54:55], s[58:59]
	v_cndmask_b32_e64 v69, v69, v30, s[54:55]
	;; [unrolled: 2-line block ×9, first 2 shown]
	s_mov_b64 s[84:85], s[86:87]
	v_readlane_b32 s86, v126, 47
	v_cndmask_b32_e64 v69, v69, v19, s[84:85]
	v_readlane_b32 s87, v126, 48
	v_readlane_b32 s0, v126, 49
	;; [unrolled: 1-line block ×3, first 2 shown]
	v_cndmask_b32_e64 v69, v69, v22, s[86:87]
	v_cndmask_b32_e64 v69, v69, v21, s[98:99]
	v_cndmask_b32_e64 v69, v69, v18, s[0:1]
	ds_bpermute_b32 v69, v108, v69
	s_mov_b64 s[24:25], s[18:19]
	s_mov_b64 s[18:19], s[10:11]
	v_readlane_b32 s10, v126, 61
	v_readlane_b32 s11, v126, 62
	s_waitcnt lgkmcnt(0)
	v_cndmask_b32_e64 v18, v18, v69, s[0:1]
	v_cndmask_b32_e64 v21, v21, v69, s[98:99]
	;; [unrolled: 1-line block ×30, first 2 shown]
	v_cndmask_b32_e32 v0, v0, v18, vcc
	ds_bpermute_b32 v78, v108, v0
	s_mov_b64 s[94:95], s[26:27]
	s_mov_b64 s[26:27], s[20:21]
	;; [unrolled: 1-line block ×4, first 2 shown]
	s_waitcnt lgkmcnt(0)
	v_cndmask_b32_e64 v28, v19, v78, s[72:73]
	v_cndmask_b32_e64 v19, v16, v78, s[40:41]
	;; [unrolled: 1-line block ×9, first 2 shown]
	s_mov_b64 s[90:91], s[30:31]
	s_mov_b64 s[30:31], s[22:23]
	s_mov_b64 s[22:23], s[14:15]
	v_cndmask_b32_e64 v16, v16, v42, s[20:21]
	v_cndmask_b32_e64 v16, v16, v41, s[22:23]
	;; [unrolled: 1-line block ×6, first 2 shown]
	s_mov_b64 s[14:15], s[94:95]
	v_cndmask_b32_e64 v16, v16, v46, s[14:15]
	s_mov_b64 s[94:95], s[90:91]
	v_cndmask_b32_e64 v16, v16, v47, s[94:95]
	ds_bpermute_b32 v16, v108, v16
	s_mov_b64 s[8:9], s[2:3]
	v_cmp_eq_u32_e64 s[0:1], 0, v119
	v_cndmask_b32_e64 v27, v23, v78, s[68:69]
	v_cndmask_b32_e64 v26, v24, v78, s[64:65]
	s_waitcnt lgkmcnt(0)
	v_cndmask_b32_e64 v47, v47, v16, s[94:95]
	v_cndmask_b32_e64 v46, v46, v16, s[14:15]
	;; [unrolled: 1-line block ×16, first 2 shown]
	s_mov_b64 s[2:3], s[4:5]
	v_cndmask_b32_e64 v49, v16, v33, s[2:3]
	v_cndmask_b32_e64 v49, v49, v34, s[46:47]
	v_cndmask_b32_e64 v49, v49, v35, s[50:51]
	v_cndmask_b32_e64 v49, v49, v36, s[54:55]
	v_cndmask_b32_e64 v49, v49, v37, s[58:59]
	v_cndmask_b32_e64 v49, v49, v44, s[62:63]
	v_cndmask_b32_e64 v49, v49, v43, s[66:67]
	v_cndmask_b32_e64 v49, v49, v42, s[70:71]
	v_cndmask_b32_e64 v49, v49, v41, s[74:75]
	v_cndmask_b32_e64 v49, v49, v40, s[78:79]
	v_cndmask_b32_e64 v49, v49, v39, s[82:83]
	v_cndmask_b32_e64 v49, v49, v38, s[84:85]
	v_cndmask_b32_e64 v49, v49, v45, s[86:87]
	v_readlane_b32 s4, v126, 49
	v_cndmask_b32_e64 v49, v49, v46, s[98:99]
	v_readlane_b32 s5, v126, 50
	s_mov_b64 s[14:15], s[6:7]
	s_mov_b64 s[6:7], s[10:11]
	v_cndmask_b32_e64 v49, v49, v47, s[4:5]
	ds_bpermute_b32 v49, v108, v49
	v_cndmask_b32_e64 v0, v65, v20, s[0:1]
	v_cndmask_b32_e64 v24, v70, v78, s[56:57]
	;; [unrolled: 1-line block ×3, first 2 shown]
	s_mov_b64 s[88:89], s[98:99]
	s_waitcnt lgkmcnt(0)
	v_cndmask_b32_e64 v47, v47, v49, s[4:5]
	v_cndmask_b32_e64 v46, v46, v49, s[98:99]
	;; [unrolled: 1-line block ×21, first 2 shown]
	s_mov_b64 s[98:99], s[86:87]
	s_mov_b64 s[86:87], s[84:85]
	;; [unrolled: 1-line block ×10, first 2 shown]
	v_cndmask_b32_e64 v16, v16, v71, s[48:49]
	s_mov_b64 s[54:55], s[52:53]
	v_cndmask_b32_e64 v16, v16, v70, s[54:55]
	v_cndmask_b32_e64 v16, v16, v65, s[56:57]
	;; [unrolled: 1-line block ×8, first 2 shown]
	v_cndmask_b32_e32 v15, v81, v20, vcc
	v_cndmask_b32_e32 v31, v18, v78, vcc
	v_writelane_b32 v126, vcc_lo, 63
	v_cndmask_b32_e64 v29, v22, v78, s[76:77]
	v_cndmask_b32_e64 v22, v72, v78, s[48:49]
	v_cndmask_b32_e32 v16, v16, v47, vcc
	ds_bpermute_b32 v72, v108, v16
	s_mov_b64 s[4:5], s[2:3]
	s_mov_b64 s[2:3], s[12:13]
	v_cndmask_b32_e64 v16, v69, v78, s[0:1]
	s_mov_b64 s[90:91], s[0:1]
	s_waitcnt lgkmcnt(0)
	v_cndmask_b32_e64 v42, v40, v72, s[64:65]
	v_cndmask_b32_e64 v40, v65, v72, s[56:57]
	;; [unrolled: 1-line block ×7, first 2 shown]
	s_mov_b64 s[0:1], s[14:15]
	v_cndmask_b32_e64 v65, v65, v57, s[0:1]
	s_mov_b64 s[10:11], s[18:19]
	v_cndmask_b32_e64 v65, v65, v56, s[10:11]
	;; [unrolled: 2-line block ×6, first 2 shown]
	s_mov_b64 s[22:23], s[30:31]
	v_readlane_b32 s24, v126, 55
	scratch_store_dword off, v13, off offset:12 ; 4-byte Folded Spill
	v_cndmask_b32_e64 v14, v82, v20, s[80:81]
	v_cndmask_b32_e64 v13, v83, v20, s[76:77]
	;; [unrolled: 1-line block ×19, first 2 shown]
	s_mov_b64 s[52:53], s[44:45]
	v_cndmask_b32_e64 v36, v36, v72, s[42:43]
	s_mov_b64 s[44:45], s[42:43]
	v_cndmask_b32_e64 v35, v35, v72, s[40:41]
	;; [unrolled: 2-line block ×5, first 2 shown]
	v_readlane_b32 s25, v126, 56
	v_readlane_b32 s36, v126, 45
	;; [unrolled: 1-line block ×3, first 2 shown]
	v_cndmask_b32_e64 v65, v65, v50, s[24:25]
	s_mov_b64 s[26:27], s[22:23]
	v_cndmask_b32_e64 v65, v65, v32, s[36:37]
	v_cndmask_b32_e64 v65, v65, v66, s[94:95]
	ds_bpermute_b32 v65, v108, v65
	v_cndmask_b32_e64 v25, v25, v78, s[60:61]
	v_cndmask_b32_e64 v44, v38, v72, s[72:73]
	;; [unrolled: 1-line block ×4, first 2 shown]
	s_waitcnt lgkmcnt(0)
	v_cndmask_b32_e64 v62, v62, v65, s[16:17]
	v_cndmask_b32_e64 v63, v63, v65, s[8:9]
	;; [unrolled: 1-line block ×28, first 2 shown]
	s_mov_b64 s[22:23], s[18:19]
	s_mov_b64 s[18:19], s[12:13]
	;; [unrolled: 1-line block ×4, first 2 shown]
	v_cndmask_b32_e64 v65, v65, v50, s[98:99]
	v_readlane_b32 s8, v126, 49
	v_cndmask_b32_e64 v65, v65, v32, s[88:89]
	v_readlane_b32 s9, v126, 50
	v_cndmask_b32_e64 v38, v71, v72, s[48:49]
	v_writelane_b32 v127, vcc_hi, 0
	v_cndmask_b32_e64 v65, v65, v66, s[8:9]
	ds_bpermute_b32 v65, v108, v65
	v_cndmask_b32_e32 v47, v47, v72, vcc
	v_cndmask_b32_e64 v46, v46, v72, s[80:81]
	s_mov_b64 vcc, s[80:81]
	v_cndmask_b32_e64 v45, v45, v72, s[76:77]
	s_waitcnt lgkmcnt(0)
	v_cndmask_b32_e64 v66, v66, v65, s[8:9]
	v_cndmask_b32_e64 v69, v32, v65, s[88:89]
	;; [unrolled: 1-line block ×22, first 2 shown]
	s_mov_b64 s[80:81], s[76:77]
	s_mov_b64 s[76:77], s[72:73]
	;; [unrolled: 1-line block ×4, first 2 shown]
	v_cndmask_b32_e64 v41, v41, v72, s[60:61]
	s_mov_b64 s[64:65], s[60:61]
	s_mov_b64 s[60:61], s[56:57]
	v_cndmask_b32_e64 v32, v32, v70, s[54:55]
	v_cndmask_b32_e64 v32, v32, v55, s[60:61]
	;; [unrolled: 1-line block ×7, first 2 shown]
	v_readlane_b32 s56, v126, 63
	v_cndmask_b32_e32 v32, v32, v69, vcc
	v_readlane_b32 s57, v127, 0
	s_mov_b64 s[30:31], s[24:25]
	s_mov_b64 s[24:25], s[20:21]
	v_cndmask_b32_e64 v32, v32, v66, s[56:57]
	ds_bpermute_b32 v82, v108, v32
	s_mov_b64 s[20:21], s[14:15]
	s_mov_b64 s[14:15], s[10:11]
	;; [unrolled: 1-line block ×4, first 2 shown]
	s_waitcnt lgkmcnt(0)
	v_cndmask_b32_e64 v63, v66, v82, s[56:57]
	v_cndmask_b32_e64 v66, v79, v48, s[16:17]
	;; [unrolled: 1-line block ×5, first 2 shown]
	s_mov_b64 s[6:7], s[90:91]
	s_mov_b64 s[90:91], s[56:57]
	v_cndmask_b32_e64 v66, v66, v121, s[96:97]
	s_mov_b64 s[56:57], s[12:13]
	v_cndmask_b32_e64 v66, v66, v120, s[56:57]
	;; [unrolled: 2-line block ×10, first 2 shown]
	v_cndmask_b32_e64 v66, v66, v96, s[94:95]
	ds_bpermute_b32 v66, v108, v66
	v_writelane_b32 v127, s6, 1
	v_cndmask_b32_e32 v62, v69, v82, vcc
	v_cndmask_b32_e64 v61, v50, v82, s[80:81]
	v_writelane_b32 v127, s7, 2
	v_cndmask_b32_e64 v32, v49, v72, s[6:7]
	v_cndmask_b32_e64 v60, v51, v82, s[76:77]
	;; [unrolled: 1-line block ×13, first 2 shown]
	s_waitcnt lgkmcnt(0)
	v_cndmask_b32_e64 v69, v96, v66, s[94:95]
	v_cndmask_b32_e64 v70, v80, v66, s[30:31]
	;; [unrolled: 1-line block ×16, first 2 shown]
	v_writelane_b32 v127, s4, 3
	s_mov_b64 s[0:1], s[88:89]
	scratch_load_dwordx2 v[118:119], off, off ; 8-byte Folded Reload
	v_writelane_b32 v127, s5, 4
	v_cndmask_b32_e64 v79, v66, v48, s[4:5]
	v_writelane_b32 v127, s46, 5
	v_readlane_b32 s36, v126, 23
	v_readlane_b32 s37, v126, 24
	v_cndmask_b32_e64 v79, v79, v77, s[46:47]
	v_cndmask_b32_e64 v79, v79, v76, s[50:51]
	;; [unrolled: 1-line block ×14, first 2 shown]
	ds_bpermute_b32 v79, v108, v79
	v_writelane_b32 v127, s47, 6
	s_waitcnt lgkmcnt(0)
	v_cndmask_b32_e64 v86, v80, v79, s[62:63]
	v_cndmask_b32_e64 v90, v48, v79, s[4:5]
	;; [unrolled: 1-line block ×10, first 2 shown]
	s_mov_b64 s[46:47], s[52:53]
	v_cndmask_b32_e64 v85, v78, v79, s[66:67]
	v_cndmask_b32_e64 v48, v48, v86, s[46:47]
	;; [unrolled: 1-line block ×19, first 2 shown]
	v_cndmask_b32_e32 v48, v48, v70, vcc
	v_cndmask_b32_e64 v48, v48, v69, s[90:91]
	ds_bpermute_b32 v81, v108, v48
	v_cndmask_b32_e64 v48, v65, v82, s[6:7]
	v_cndmask_b32_e64 v82, v115, v109, s[16:17]
	;; [unrolled: 1-line block ×4, first 2 shown]
	s_waitcnt lgkmcnt(0)
	v_cndmask_b32_e64 v77, v71, v81, s[80:81]
	v_cndmask_b32_e64 v71, v84, v81, s[54:55]
	scratch_load_dword v84, off, off offset:12 ; 4-byte Folded Reload
	v_cndmask_b32_e64 v74, v72, v81, s[68:69]
	v_cndmask_b32_e64 v72, v83, v81, s[60:61]
	scratch_load_dword v83, off, off offset:8 ; 4-byte Folded Reload
	scratch_load_dword v116, off, off offset:40 ; 4-byte Folded Reload
	;; [unrolled: 1-line block ×4, first 2 shown]
	v_cndmask_b32_e64 v82, v82, v95, s[34:35]
	v_cndmask_b32_e64 v82, v82, v107, s[96:97]
	;; [unrolled: 1-line block ×11, first 2 shown]
	v_cndmask_b32_e32 v78, v70, v81, vcc
	v_cndmask_b32_e64 v76, v67, v81, s[76:77]
	v_cndmask_b32_e64 v75, v68, v81, s[72:73]
	v_cndmask_b32_e64 v70, v85, v81, s[48:49]
	v_cndmask_b32_e64 v69, v86, v81, s[46:47]
	v_cndmask_b32_e64 v68, v87, v81, s[44:45]
	v_cndmask_b32_e64 v67, v88, v81, s[42:43]
	v_cndmask_b32_e64 v66, v89, v81, s[40:41]
	v_cndmask_b32_e64 v65, v90, v81, s[38:39]
	s_mov_b64 s[52:53], s[60:61]
	s_mov_b64 s[60:61], s[38:39]
	v_readlane_b32 s39, v126, 44
	v_cndmask_b32_e64 v73, v73, v81, s[64:65]
	s_mov_b32 s6, 0
	s_mov_b32 s7, 0
	v_readlane_b32 s38, v126, 25
	s_waitcnt vmcnt(4)
	v_cndmask_b32_e64 v82, v82, v84, s[30:31]
	s_waitcnt vmcnt(3)
	v_cndmask_b32_e64 v82, v82, v83, s[94:95]
	ds_bpermute_b32 v82, v108, v82
	s_waitcnt lgkmcnt(0)
	v_cndmask_b32_e64 v94, v95, v82, s[34:35]
	v_cndmask_b32_e64 v95, v98, v82, s[10:11]
	v_readlane_b32 s10, v126, 59
	v_cndmask_b32_e64 v91, v105, v82, s[12:13]
	v_readlane_b32 s11, v126, 60
	v_readlane_b32 s12, v127, 3
	v_cndmask_b32_e64 v83, v83, v82, s[94:95]
	v_cndmask_b32_e64 v84, v84, v82, s[30:31]
	v_cndmask_b32_e64 v85, v97, v82, s[26:27]
	v_cndmask_b32_e64 v86, v99, v82, s[24:25]
	v_cndmask_b32_e64 v87, v102, v82, s[22:23]
	v_cndmask_b32_e64 v88, v103, v82, s[20:21]
	v_cndmask_b32_e64 v89, v112, v82, s[18:19]
	v_cndmask_b32_e64 v90, v113, v82, s[14:15]
	v_cndmask_b32_e64 v92, v106, v82, s[56:57]
	v_cndmask_b32_e64 v93, v107, v82, s[96:97]
	v_cndmask_b32_e64 v64, v64, v82, s[28:29]
	v_cndmask_b32_e64 v96, v109, v82, s[16:17]
	v_cndmask_b32_e64 v82, v115, v82, s[10:11]
	v_readlane_b32 s13, v127, 4
	v_readlane_b32 s10, v127, 5
	;; [unrolled: 1-line block ×3, first 2 shown]
	v_cndmask_b32_e64 v97, v82, v96, s[12:13]
	v_readlane_b32 s16, v126, 2
	v_cndmask_b32_e64 v97, v97, v95, s[10:11]
	v_cndmask_b32_e64 v97, v97, v64, s[50:51]
	;; [unrolled: 1-line block ×14, first 2 shown]
	ds_bpermute_b32 v97, v108, v97
	v_readlane_b32 s20, v126, 6
	v_readlane_b32 s21, v126, 7
	v_readlane_b32 s14, v126, 10
	v_readlane_b32 s24, v126, 12
	s_waitcnt lgkmcnt(0)
	v_cndmask_b32_e64 v83, v83, v97, s[8:9]
	v_cndmask_b32_e64 v84, v84, v97, s[0:1]
	;; [unrolled: 1-line block ×29, first 2 shown]
	v_cndmask_b32_e32 v64, v64, v84, vcc
	v_cndmask_b32_e64 v64, v64, v83, s[90:91]
	ds_bpermute_b32 v108, v108, v64
	v_readlane_b32 s8, v127, 1
	v_readlane_b32 s9, v127, 2
	;; [unrolled: 1-line block ×4, first 2 shown]
	s_waitcnt lgkmcnt(0)
	v_cndmask_b32_e64 v91, v87, v108, s[72:73]
	v_cndmask_b32_e64 v90, v88, v108, s[68:69]
	;; [unrolled: 1-line block ×4, first 2 shown]
	v_readlane_b32 s52, v126, 26
	v_readlane_b32 s53, v126, 27
	s_mul_i32 s0, s39, s53
	s_ashr_i32 s1, s0, 31
	v_cndmask_b32_e32 v94, v84, v108, vcc
	v_cndmask_b32_e64 v84, v105, v108, s[44:45]
	s_lshl_b64 s[0:1], s[0:1], 1
	v_readlane_b32 s44, v126, 38
	s_add_u32 s2, s20, s0
	v_readlane_b32 s45, v126, 39
	s_addc_u32 s3, s21, s1
	s_ashr_i32 s45, s44, 31
	s_lshl_b64 s[0:1], s[44:45], 1
	s_add_u32 s0, s2, s0
	v_cndmask_b32_e64 v95, v83, v108, s[90:91]
	v_cndmask_b32_e64 v93, v85, v108, s[80:81]
	;; [unrolled: 1-line block ×7, first 2 shown]
	s_addc_u32 s1, s3, s1
	v_readlane_b32 s41, v126, 42
	v_readlane_b32 s42, v126, 40
	;; [unrolled: 1-line block ×4, first 2 shown]
	v_cndmask_b32_e64 v64, v80, v81, s[8:9]
	v_cndmask_b32_e64 v89, v89, v108, s[64:65]
	v_readlane_b32 s54, v126, 28
	v_readlane_b32 s55, v126, 29
	;; [unrolled: 1-line block ×9, first 2 shown]
	v_subrev_u32_e32 v101, s41, v101
	v_cndmask_b32_e64 v81, v96, v108, s[60:61]
	v_cndmask_b32_e64 v80, v97, v108, s[8:9]
	v_lshl_add_u64 v[102:103], s[0:1], 0, v[118:119]
	s_mov_b64 s[0:1], 0
	v_readlane_b32 s11, v126, 0
	v_readlane_b32 s12, v126, 1
	;; [unrolled: 1-line block ×17, first 2 shown]
                                        ; implicit-def: $sgpr2_sgpr3
	s_branch .LBB235_37
.LBB235_36:                             ;   in Loop: Header=BB235_37 Depth=2
	s_or_b64 exec, exec, s[4:5]
	s_and_b64 s[4:5], exec, s[2:3]
	s_or_b64 s[0:1], s[4:5], s[0:1]
	s_andn2_b64 exec, exec, s[0:1]
	s_cbranch_execz .LBB235_39
.LBB235_37:                             ;   Parent Loop BB235_7 Depth=1
                                        ; =>  This Inner Loop Header: Depth=2
	s_and_b32 s4, s7, 2
	s_and_b32 s5, s6, 24
	s_or_b32 s4, s5, s4
	s_waitcnt vmcnt(0)
	v_or_b32_e32 v96, s4, v100
	v_add_u32_e32 v97, s92, v96
	v_cmp_gt_u32_e32 vcc, 32, v97
	s_or_b64 s[2:3], s[2:3], exec
	s_and_saveexec_b64 s[4:5], vcc
	s_cbranch_execz .LBB235_36
; %bb.38:                               ;   in Loop: Header=BB235_37 Depth=2
	s_add_i32 s10, s7, 1
	s_set_gpr_idx_on s7, gpr_idx(SRC0)
	v_mov_b32_e32 v97, v0
	s_set_gpr_idx_off
	v_cvt_f16_f32_e32 v98, v97
	s_set_gpr_idx_on s10, gpr_idx(SRC0)
	v_mov_b32_e32 v97, v0
	s_set_gpr_idx_off
	v_cvt_f16_f32_sdwa v99, v97 dst_sel:WORD_1 dst_unused:UNUSED_PAD src0_sel:DWORD
	v_mul_lo_u32 v96, v96, s53
	v_ashrrev_i32_e32 v97, 31, v96
	v_lshl_add_u64 v[96:97], v[96:97], 1, v[102:103]
	v_or_b32_e32 v98, v99, v98
	;;#ASMSTART
	global_atomic_pk_add_f16 v[96:97], v98, off
	
	;;#ASMEND
	s_set_gpr_idx_on s7, gpr_idx(SRC0)
	v_mov_b32_e32 v98, v16
	s_set_gpr_idx_off
	v_cvt_f16_f32_e32 v105, v98
	s_set_gpr_idx_on s10, gpr_idx(SRC0)
	v_mov_b32_e32 v98, v16
	s_set_gpr_idx_off
	v_cvt_f16_f32_sdwa v106, v98 dst_sel:WORD_1 dst_unused:UNUSED_PAD src0_sel:DWORD
	v_lshl_add_u64 v[98:99], v[96:97], 0, 64
	s_mov_b64 s[8:9], 0x80
	s_add_i32 s6, s6, 4
	v_or_b32_e32 v105, v106, v105
	;;#ASMSTART
	global_atomic_pk_add_f16 v[98:99], v105, off
	
	;;#ASMEND
	s_set_gpr_idx_on s7, gpr_idx(SRC0)
	v_mov_b32_e32 v98, v32
	s_set_gpr_idx_off
	v_cvt_f16_f32_e32 v105, v98
	s_set_gpr_idx_on s10, gpr_idx(SRC0)
	v_mov_b32_e32 v98, v32
	s_set_gpr_idx_off
	v_cvt_f16_f32_sdwa v106, v98 dst_sel:WORD_1 dst_unused:UNUSED_PAD src0_sel:DWORD
	v_lshl_add_u64 v[98:99], v[96:97], 0, s[8:9]
	s_mov_b64 s[8:9], 0xc0
	v_or_b32_e32 v105, v106, v105
	;;#ASMSTART
	global_atomic_pk_add_f16 v[98:99], v105, off
	
	;;#ASMEND
	s_set_gpr_idx_on s7, gpr_idx(SRC0)
	v_mov_b32_e32 v98, v48
	s_set_gpr_idx_off
	v_cvt_f16_f32_e32 v105, v98
	s_set_gpr_idx_on s10, gpr_idx(SRC0)
	v_mov_b32_e32 v98, v48
	s_set_gpr_idx_off
	v_cvt_f16_f32_sdwa v106, v98 dst_sel:WORD_1 dst_unused:UNUSED_PAD src0_sel:DWORD
	v_lshl_add_u64 v[98:99], v[96:97], 0, s[8:9]
	s_mov_b64 s[8:9], 0x100
	;; [unrolled: 15-line block ×3, first 2 shown]
	v_lshl_add_u64 v[96:97], v[96:97], 0, s[8:9]
	v_or_b32_e32 v105, v106, v105
	;;#ASMSTART
	global_atomic_pk_add_f16 v[98:99], v105, off
	
	;;#ASMEND
	s_set_gpr_idx_on s7, gpr_idx(SRC0)
	v_mov_b32_e32 v98, v80
	s_set_gpr_idx_off
	v_cvt_f16_f32_e32 v98, v98
	s_set_gpr_idx_on s10, gpr_idx(SRC0)
	v_mov_b32_e32 v99, v80
	s_set_gpr_idx_off
	s_add_i32 s7, s7, 2
	v_cvt_f16_f32_sdwa v99, v99 dst_sel:WORD_1 dst_unused:UNUSED_PAD src0_sel:DWORD
	s_cmp_eq_u32 s7, 16
	s_cselect_b64 s[8:9], -1, 0
	s_andn2_b64 s[2:3], s[2:3], exec
	s_and_b64 s[8:9], s[8:9], exec
	s_or_b64 s[2:3], s[2:3], s[8:9]
	v_or_b32_e32 v98, v99, v98
	;;#ASMSTART
	global_atomic_pk_add_f16 v[96:97], v98, off
	
	;;#ASMEND
	s_branch .LBB235_36
.LBB235_39:                             ;   in Loop: Header=BB235_7 Depth=1
	s_or_b64 exec, exec, s[0:1]
	scratch_load_dword v14, off, off offset:32 ; 4-byte Folded Reload
	scratch_load_dword v120, off, off offset:36 ; 4-byte Folded Reload
	scratch_load_dwordx2 v[16:17], off, off offset:80 ; 8-byte Folded Reload
	scratch_load_dword v15, off, off offset:96 ; 4-byte Folded Reload
.LBB235_40:                             ;   in Loop: Header=BB235_7 Depth=1
	s_or_b64 exec, exec, s[48:49]
.LBB235_41:                             ;   in Loop: Header=BB235_7 Depth=1
	s_andn2_saveexec_b64 s[0:1], s[46:47]
	s_cbranch_execz .LBB235_50
; %bb.42:                               ;   in Loop: Header=BB235_7 Depth=1
	s_mul_i32 s10, s41, 6
	v_cmp_gt_i32_e32 vcc, s10, v101
	s_and_saveexec_b64 s[2:3], vcc
	s_cbranch_execz .LBB235_49
; %bb.43:                               ;   in Loop: Header=BB235_7 Depth=1
	scratch_load_dwordx2 v[0:1], off, off offset:88 ; 8-byte Folded Reload
	s_mul_i32 s4, s44, s55
	s_ashr_i32 s5, s4, 31
	s_add_u32 s4, s18, s4
	s_addc_u32 s5, s19, s5
	s_ashr_i32 s6, s40, 31
	s_add_u32 s4, s4, s40
	s_addc_u32 s5, s5, s6
	s_waitcnt vmcnt(0)
	v_lshl_add_u64 v[0:1], s[4:5], 0, v[0:1]
	v_lshl_add_u64 v[8:9], v[0:1], 0, v[16:17]
	s_mov_b64 s[4:5], 0
	s_branch .LBB235_45
.LBB235_44:                             ;   in Loop: Header=BB235_45 Depth=2
	s_or_b64 exec, exec, s[6:7]
	v_lshl_or_b32 v12, v10, 11, v15
	;;#ASMSTART
	s_waitcnt vmcnt(1)
	;;#ASMEND
	ds_write2_b32 v12, v4, v5 offset1:32
	ds_write2_b32 v12, v6, v7 offset0:64 offset1:96
	v_add_u32_e32 v4, 0x400, v12
	v_add_u32_e32 v101, s58, v101
	;;#ASMSTART
	s_waitcnt vmcnt(0)
	;;#ASMEND
	ds_write2_b32 v4, v0, v1 offset1:32
	ds_write2_b32 v4, v2, v3 offset0:64 offset1:96
	v_add_u32_e32 v0, 1, v111
	v_add_u32_e32 v104, s58, v10
	v_cmp_le_i32_e32 vcc, s10, v101
	ds_write_b32 v11, v0 offset:24
	v_add_u32_e32 v0, 2, v111
	s_or_b64 s[4:5], vcc, s[4:5]
	v_cmp_lt_i32_e32 vcc, 17, v104
	s_nop 1
	v_cndmask_b32_e32 v111, v111, v0, vcc
	s_andn2_b64 exec, exec, s[4:5]
	s_cbranch_execz .LBB235_48
.LBB235_45:                             ;   Parent Loop BB235_7 Depth=1
                                        ; =>  This Loop Header: Depth=2
                                        ;       Child Loop BB235_47 Depth 3
	v_not_b32_e32 v0, 17
	v_cmp_gt_i32_e32 vcc, 18, v104
	s_mov_b32 s6, 0x2aaaaaab
	s_nop 0
	v_cndmask_b32_e64 v0, v0, 0, vcc
	v_add_u32_e32 v10, v0, v104
	v_mul_hi_i32 v0, v101, s6
	v_lshrrev_b32_e32 v1, 31, v0
	v_add_u32_e32 v0, v0, v1
	v_mul_lo_u32 v1, v0, 6
	v_sub_u32_e32 v2, v101, v1
	v_lshlrev_b32_e32 v0, 6, v0
	v_ashrrev_i32_e32 v1, 31, v0
	v_mul_lo_u32 v2, s31, v2
	v_lshl_add_u64 v[0:1], v[8:9], 0, v[0:1]
	v_ashrrev_i32_e32 v3, 31, v2
	v_lshl_add_u64 v[0:1], v[0:1], 0, v[2:3]
	v_lshlrev_b32_e32 v11, 2, v10
	;;#ASMSTART
	global_load_dwordx4 v[4:7], v[0:1], off offset:0   sc0 sc1 nt  
	global_load_dwordx4 v[0:3], v[0:1], off offset:32  sc0 sc1 nt  
	
	;;#ASMEND
	ds_read_b32 v12, v11 offset:49176
	v_add_u32_e32 v11, 0xc000, v11
	s_waitcnt lgkmcnt(0)
	v_cmp_ne_u32_e32 vcc, v12, v111
	s_and_saveexec_b64 s[6:7], vcc
	s_cbranch_execz .LBB235_44
; %bb.46:                               ;   in Loop: Header=BB235_45 Depth=2
	s_mov_b64 s[8:9], 0
.LBB235_47:                             ;   Parent Loop BB235_7 Depth=1
                                        ;     Parent Loop BB235_45 Depth=2
                                        ; =>    This Inner Loop Header: Depth=3
	;;#ASMSTART
	s_sleep 0
	;;#ASMEND
	ds_read_b32 v12, v11 offset:24
	s_waitcnt lgkmcnt(0)
	v_cmp_eq_u32_e32 vcc, v12, v111
	s_or_b64 s[8:9], vcc, s[8:9]
	s_andn2_b64 exec, exec, s[8:9]
	s_cbranch_execnz .LBB235_47
	s_branch .LBB235_44
.LBB235_48:                             ;   in Loop: Header=BB235_7 Depth=1
	s_or_b64 exec, exec, s[4:5]
.LBB235_49:                             ;   in Loop: Header=BB235_7 Depth=1
	s_or_b64 exec, exec, s[2:3]
	v_subrev_u32_e32 v101, s10, v101
.LBB235_50:                             ;   in Loop: Header=BB235_7 Depth=1
	s_or_b64 exec, exec, s[0:1]
.LBB235_51:                             ;   in Loop: Header=BB235_7 Depth=1
	s_andn2_saveexec_b64 s[0:1], s[42:43]
	s_cbranch_execz .LBB235_6
; %bb.52:                               ;   in Loop: Header=BB235_7 Depth=1
	s_lshl_b32 s10, s41, 1
	v_cmp_gt_i32_e32 vcc, s10, v101
	s_and_saveexec_b64 s[2:3], vcc
	s_cbranch_execz .LBB235_5
; %bb.53:                               ;   in Loop: Header=BB235_7 Depth=1
	s_mul_i32 s4, s39, s54
	s_ashr_i32 s5, s4, 31
	s_add_u32 s4, s16, s4
	s_waitcnt vmcnt(2)
	v_add_u32_e32 v2, s92, v120
	s_addc_u32 s5, s17, s5
	s_ashr_i32 s6, s40, 31
	v_mul_lo_u32 v0, s54, v120
	v_cmp_gt_u32_e32 vcc, 64, v2
	s_add_u32 s4, s4, s40
	s_addc_u32 s5, s5, s6
	v_cndmask_b32_e32 v0, 0, v0, vcc
	v_ashrrev_i32_e32 v1, 31, v0
	v_lshl_add_u64 v[0:1], s[4:5], 0, v[0:1]
	s_waitcnt vmcnt(1)
	v_lshl_add_u64 v[8:9], v[0:1], 0, v[16:17]
	v_sub_u32_e32 v10, 63, v2
	s_mov_b64 s[4:5], 0
	s_branch .LBB235_55
.LBB235_54:                             ;   in Loop: Header=BB235_55 Depth=2
	s_or_b64 exec, exec, s[6:7]
	v_lshl_add_u32 v13, v11, 11, v124
	;;#ASMSTART
	s_waitcnt vmcnt(1)
	;;#ASMEND
	ds_write2_b32 v13, v4, v5 offset1:32
	ds_write2_b32 v13, v6, v7 offset0:64 offset1:96
	v_add_u32_e32 v4, 0x400, v13
	v_add_u32_e32 v101, s57, v101
	;;#ASMSTART
	s_waitcnt vmcnt(0)
	;;#ASMEND
	ds_write2_b32 v4, v0, v1 offset1:32
	ds_write2_b32 v4, v2, v3 offset0:64 offset1:96
	v_add_u32_e32 v0, 1, v111
	v_add_u32_e32 v104, s57, v11
	v_cmp_le_i32_e32 vcc, s10, v101
	ds_write_b32 v12, v0
	v_add_u32_e32 v0, 2, v111
	s_or_b64 s[4:5], vcc, s[4:5]
	v_cmp_lt_i32_e32 vcc, 5, v104
	s_nop 1
	v_cndmask_b32_e32 v111, v111, v0, vcc
	s_andn2_b64 exec, exec, s[4:5]
	s_cbranch_execz .LBB235_4
.LBB235_55:                             ;   Parent Loop BB235_7 Depth=1
                                        ; =>  This Loop Header: Depth=2
                                        ;       Child Loop BB235_57 Depth 3
	v_cmp_gt_i32_e32 vcc, 6, v104
	s_nop 1
	v_cndmask_b32_e64 v0, -6, 0, vcc
	v_add_u32_e32 v11, v0, v104
	v_lshrrev_b32_e32 v0, 31, v101
	v_add_u32_e32 v0, v101, v0
	v_and_b32_e32 v1, 0x7fffffe, v0
	v_sub_u32_e32 v1, v101, v1
	v_lshlrev_b32_e32 v1, 5, v1
	v_cmp_le_i32_e32 vcc, v1, v10
	v_lshlrev_b32_e32 v0, 5, v0
	v_and_b32_e32 v0, 0xffffffc0, v0
	v_cndmask_b32_e32 v2, 0, v1, vcc
	v_ashrrev_i32_e32 v1, 31, v0
	v_mul_lo_u32 v2, v2, s54
	v_lshl_add_u64 v[0:1], v[8:9], 0, v[0:1]
	v_ashrrev_i32_e32 v3, 31, v2
	v_lshl_add_u64 v[0:1], v[0:1], 0, v[2:3]
	v_lshlrev_b32_e32 v12, 2, v11
	;;#ASMSTART
	global_load_dwordx4 v[4:7], v[0:1], off offset:0   
	global_load_dwordx4 v[0:3], v[0:1], off offset:32  
	
	;;#ASMEND
	ds_read_b32 v13, v12 offset:49152
	v_add_u32_e32 v12, 0xc000, v12
	s_waitcnt lgkmcnt(0)
	v_cmp_ne_u32_e32 vcc, v13, v111
	s_and_saveexec_b64 s[6:7], vcc
	s_cbranch_execz .LBB235_54
; %bb.56:                               ;   in Loop: Header=BB235_55 Depth=2
	s_mov_b64 s[8:9], 0
.LBB235_57:                             ;   Parent Loop BB235_7 Depth=1
                                        ;     Parent Loop BB235_55 Depth=2
                                        ; =>    This Inner Loop Header: Depth=3
	;;#ASMSTART
	s_sleep 0
	;;#ASMEND
	ds_read_b32 v13, v12
	s_waitcnt lgkmcnt(0)
	v_cmp_eq_u32_e32 vcc, v13, v111
	s_or_b64 s[8:9], vcc, s[8:9]
	s_andn2_b64 exec, exec, s[8:9]
	s_cbranch_execnz .LBB235_57
	s_branch .LBB235_54
.LBB235_58:
	s_endpgm
	.section	.rodata,"a",@progbits
	.p2align	6, 0x0
	.amdhsa_kernel _Z19_skinny_gemm_kernelILi2ELi6ELi3ELi32ELi4EEvPKhS1_P6__halfPKfiiiiiiii
		.amdhsa_group_segment_fixed_size 49248
		.amdhsa_private_segment_fixed_size 112
		.amdhsa_kernarg_size 64
		.amdhsa_user_sgpr_count 2
		.amdhsa_user_sgpr_dispatch_ptr 0
		.amdhsa_user_sgpr_queue_ptr 0
		.amdhsa_user_sgpr_kernarg_segment_ptr 1
		.amdhsa_user_sgpr_dispatch_id 0
		.amdhsa_user_sgpr_kernarg_preload_length 0
		.amdhsa_user_sgpr_kernarg_preload_offset 0
		.amdhsa_user_sgpr_private_segment_size 0
		.amdhsa_uses_dynamic_stack 0
		.amdhsa_enable_private_segment 1
		.amdhsa_system_sgpr_workgroup_id_x 1
		.amdhsa_system_sgpr_workgroup_id_y 0
		.amdhsa_system_sgpr_workgroup_id_z 0
		.amdhsa_system_sgpr_workgroup_info 0
		.amdhsa_system_vgpr_workitem_id 0
		.amdhsa_next_free_vgpr 128
		.amdhsa_next_free_sgpr 100
		.amdhsa_accum_offset 128
		.amdhsa_reserve_vcc 1
		.amdhsa_float_round_mode_32 0
		.amdhsa_float_round_mode_16_64 0
		.amdhsa_float_denorm_mode_32 3
		.amdhsa_float_denorm_mode_16_64 3
		.amdhsa_dx10_clamp 1
		.amdhsa_ieee_mode 1
		.amdhsa_fp16_overflow 0
		.amdhsa_tg_split 0
		.amdhsa_exception_fp_ieee_invalid_op 0
		.amdhsa_exception_fp_denorm_src 0
		.amdhsa_exception_fp_ieee_div_zero 0
		.amdhsa_exception_fp_ieee_overflow 0
		.amdhsa_exception_fp_ieee_underflow 0
		.amdhsa_exception_fp_ieee_inexact 0
		.amdhsa_exception_int_div_zero 0
	.end_amdhsa_kernel
	.section	.text._Z19_skinny_gemm_kernelILi2ELi6ELi3ELi32ELi4EEvPKhS1_P6__halfPKfiiiiiiii,"axG",@progbits,_Z19_skinny_gemm_kernelILi2ELi6ELi3ELi32ELi4EEvPKhS1_P6__halfPKfiiiiiiii,comdat
.Lfunc_end235:
	.size	_Z19_skinny_gemm_kernelILi2ELi6ELi3ELi32ELi4EEvPKhS1_P6__halfPKfiiiiiiii, .Lfunc_end235-_Z19_skinny_gemm_kernelILi2ELi6ELi3ELi32ELi4EEvPKhS1_P6__halfPKfiiiiiiii
                                        ; -- End function
	.set _Z19_skinny_gemm_kernelILi2ELi6ELi3ELi32ELi4EEvPKhS1_P6__halfPKfiiiiiiii.num_vgpr, 128
	.set _Z19_skinny_gemm_kernelILi2ELi6ELi3ELi32ELi4EEvPKhS1_P6__halfPKfiiiiiiii.num_agpr, 0
	.set _Z19_skinny_gemm_kernelILi2ELi6ELi3ELi32ELi4EEvPKhS1_P6__halfPKfiiiiiiii.numbered_sgpr, 100
	.set _Z19_skinny_gemm_kernelILi2ELi6ELi3ELi32ELi4EEvPKhS1_P6__halfPKfiiiiiiii.num_named_barrier, 0
	.set _Z19_skinny_gemm_kernelILi2ELi6ELi3ELi32ELi4EEvPKhS1_P6__halfPKfiiiiiiii.private_seg_size, 112
	.set _Z19_skinny_gemm_kernelILi2ELi6ELi3ELi32ELi4EEvPKhS1_P6__halfPKfiiiiiiii.uses_vcc, 1
	.set _Z19_skinny_gemm_kernelILi2ELi6ELi3ELi32ELi4EEvPKhS1_P6__halfPKfiiiiiiii.uses_flat_scratch, 0
	.set _Z19_skinny_gemm_kernelILi2ELi6ELi3ELi32ELi4EEvPKhS1_P6__halfPKfiiiiiiii.has_dyn_sized_stack, 0
	.set _Z19_skinny_gemm_kernelILi2ELi6ELi3ELi32ELi4EEvPKhS1_P6__halfPKfiiiiiiii.has_recursion, 0
	.set _Z19_skinny_gemm_kernelILi2ELi6ELi3ELi32ELi4EEvPKhS1_P6__halfPKfiiiiiiii.has_indirect_call, 0
	.section	.AMDGPU.csdata,"",@progbits
; Kernel info:
; codeLenInByte = 20712
; TotalNumSgprs: 106
; NumVgprs: 128
; NumAgprs: 0
; TotalNumVgprs: 128
; ScratchSize: 112
; MemoryBound: 0
; FloatMode: 240
; IeeeMode: 1
; LDSByteSize: 49248 bytes/workgroup (compile time only)
; SGPRBlocks: 13
; VGPRBlocks: 15
; NumSGPRsForWavesPerEU: 106
; NumVGPRsForWavesPerEU: 128
; AccumOffset: 128
; Occupancy: 4
; WaveLimiterHint : 0
; COMPUTE_PGM_RSRC2:SCRATCH_EN: 1
; COMPUTE_PGM_RSRC2:USER_SGPR: 2
; COMPUTE_PGM_RSRC2:TRAP_HANDLER: 0
; COMPUTE_PGM_RSRC2:TGID_X_EN: 1
; COMPUTE_PGM_RSRC2:TGID_Y_EN: 0
; COMPUTE_PGM_RSRC2:TGID_Z_EN: 0
; COMPUTE_PGM_RSRC2:TIDIG_COMP_CNT: 0
; COMPUTE_PGM_RSRC3_GFX90A:ACCUM_OFFSET: 31
; COMPUTE_PGM_RSRC3_GFX90A:TG_SPLIT: 0
	.section	.text._Z19_skinny_gemm_kernelILi3ELi1ELi1ELi16ELi4EEvPKhS1_P6__halfPKfiiiiiiii,"axG",@progbits,_Z19_skinny_gemm_kernelILi3ELi1ELi1ELi16ELi4EEvPKhS1_P6__halfPKfiiiiiiii,comdat
	.protected	_Z19_skinny_gemm_kernelILi3ELi1ELi1ELi16ELi4EEvPKhS1_P6__halfPKfiiiiiiii ; -- Begin function _Z19_skinny_gemm_kernelILi3ELi1ELi1ELi16ELi4EEvPKhS1_P6__halfPKfiiiiiiii
	.globl	_Z19_skinny_gemm_kernelILi3ELi1ELi1ELi16ELi4EEvPKhS1_P6__halfPKfiiiiiiii
	.p2align	8
	.type	_Z19_skinny_gemm_kernelILi3ELi1ELi1ELi16ELi4EEvPKhS1_P6__halfPKfiiiiiiii,@function
_Z19_skinny_gemm_kernelILi3ELi1ELi1ELi16ELi4EEvPKhS1_P6__halfPKfiiiiiiii: ; @_Z19_skinny_gemm_kernelILi3ELi1ELi1ELi16ELi4EEvPKhS1_P6__halfPKfiiiiiiii
; %bb.0:
	v_cmp_gt_u32_e32 vcc, 4, v0
	v_lshlrev_b32_e32 v1, 2, v0
	s_and_saveexec_b64 s[4:5], vcc
; %bb.1:
	v_mov_b32_e32 v2, 0
	ds_write_b32 v1, v2 offset:8192
; %bb.2:
	s_or_b64 exec, exec, s[4:5]
	s_load_dwordx8 s[12:19], s[0:1], 0x20
	s_waitcnt lgkmcnt(0)
	s_barrier
	s_add_i32 s3, s12, 47
	s_add_i32 s4, s13, 15
	s_mul_hi_i32 s3, s3, 0x2aaaaaab
	s_lshr_b32 s5, s3, 31
	s_ashr_i32 s33, s3, 3
	s_ashr_i32 s3, s4, 31
	s_lshr_b32 s3, s3, 28
	s_add_i32 s4, s4, s3
	s_add_i32 s33, s33, s5
	s_ashr_i32 s42, s4, 4
	s_mul_i32 s3, s42, s33
	s_mul_i32 s3, s3, s16
	s_add_i32 s4, s3, 0x12f
	s_mul_hi_i32 s4, s4, 0x6bca1af3
	s_lshr_b32 s5, s4, 31
	s_ashr_i32 s4, s4, 7
	s_add_i32 s4, s4, s5
	s_add_i32 s5, s2, 1
	s_mul_i32 s5, s4, s5
	v_cvt_f64_i32_e32 v[2:3], s3
	v_cvt_f64_u32_e32 v[4:5], s5
	v_min_f64 v[2:3], v[2:3], v[4:5]
	v_cvt_i32_f64_e32 v13, v[2:3]
	s_mul_i32 s43, s4, s2
	v_cmp_ge_i32_e32 vcc, s43, v13
	s_cbranch_vccnz .LBB236_52
; %bb.3:
	v_lshrrev_b32_e32 v2, 6, v0
	s_add_i32 s4, s18, s17
	s_load_dwordx8 s[20:27], s[0:1], 0x0
	v_cmp_le_i32_e64 s[0:1], s4, v2
	v_mov_b32_e32 v3, s17
	v_cmp_le_i32_e64 s[2:3], s17, v2
	v_mov_b32_e32 v4, s18
	v_cndmask_b32_e64 v4, 0, v4, s[0:1]
	v_cndmask_b32_e64 v3, 0, v3, s[2:3]
	s_abs_i32 s5, s16
	v_add_u32_e32 v3, v3, v4
	v_cvt_f32_u32_e32 v4, s5
	v_sub_u32_e32 v28, v2, v3
	s_ashr_i32 s6, s14, 31
	s_lshr_b32 s6, s6, 25
	v_rcp_iflag_f32_e32 v3, v4
	s_sub_i32 s9, 0, s5
	s_add_i32 s6, s14, s6
	s_ashr_i32 s6, s6, 7
	v_mul_f32_e32 v3, 0x4f7ffffe, v3
	v_cvt_u32_f32_e32 v3, v3
	s_abs_i32 s8, s6
	s_xor_b32 s7, s6, s16
	s_ashr_i32 s7, s7, 31
	v_readfirstlane_b32 s10, v3
	s_mul_i32 s9, s9, s10
	s_mul_hi_u32 s9, s10, s9
	s_add_i32 s10, s10, s9
	s_mul_hi_u32 s9, s8, s10
	s_mul_i32 s10, s9, s5
	s_sub_i32 s8, s8, s10
	s_add_i32 s10, s9, 1
	s_sub_i32 s11, s8, s5
	s_cmp_ge_u32 s8, s5
	s_cselect_b32 s9, s10, s9
	s_cselect_b32 s8, s11, s8
	s_add_i32 s10, s9, 1
	s_cmp_ge_u32 s8, s5
	s_cselect_b32 s5, s10, s9
	s_xor_b32 s5, s5, s7
	s_sub_i32 s44, s5, s7
	s_add_i32 s16, s16, -1
	s_mul_i32 s5, s44, s16
	s_add_i32 s4, s4, s19
	s_sub_i32 s45, s6, s5
	v_cmp_gt_i32_e64 s[4:5], s4, v2
	v_lshlrev_b32_e32 v2, 1, v0
	v_lshlrev_b32_e32 v3, 4, v0
	v_and_b32_e32 v1, 60, v1
	v_and_b32_e32 v2, 64, v2
	;; [unrolled: 1-line block ×3, first 2 shown]
	v_or3_b32 v33, v1, v2, v4
	v_and_b32_e32 v1, 1, v0
	v_lshrrev_b32_e32 v4, 2, v0
	s_abs_i32 s47, s33
	v_and_or_b32 v37, v4, 12, v1
	v_cvt_f32_u32_e32 v4, s47
	v_lshlrev_b32_e32 v2, 1, v1
	v_and_b32_e32 v12, 14, v0
	v_sub_u32_e32 v2, v0, v2
	v_bitop3_b32 v35, v0, 1, v0 bitop3:0xc
	v_bitop3_b32 v36, v0, 3, 1 bitop3:0x6c
	v_and_b32_e32 v20, 48, v3
	v_bfe_u32 v40, v0, 2, 4
	v_and_b32_e32 v1, 60, v0
	v_lshlrev_b32_e32 v3, 8, v0
	v_lshlrev_b32_e32 v0, 6, v0
	v_and_b32_e32 v3, 0x200, v3
	v_and_b32_e32 v0, 64, v0
	v_rcp_iflag_f32_e32 v4, v4
	s_abs_i32 s48, s42
	v_or3_b32 v41, v1, v3, v0
	v_cvt_f32_u32_e32 v1, s48
	v_mul_f32_e32 v0, 0x4f7ffffe, v4
	v_cvt_u32_f32_e32 v0, v0
	v_mad_u64_u32 v[14:15], s[6:7], s13, v37, v[12:13]
	v_rcp_iflag_f32_e32 v1, v1
	s_lshl_b32 s6, s13, 4
	v_readfirstlane_b32 s7, v0
	v_add_u32_e32 v16, s6, v14
	v_mul_f32_e32 v0, 0x4f7ffffe, v1
	v_cvt_u32_f32_e32 v0, v0
	v_add_u32_e32 v18, s6, v16
	s_sub_i32 s6, 0, s47
	s_mul_i32 s6, s6, s7
	s_mul_hi_u32 s6, s7, s6
	v_add_u32_e32 v2, 1, v2
	s_add_i32 s50, s7, s6
	s_sub_i32 s6, 0, s48
	v_readfirstlane_b32 s7, v0
	v_mbcnt_lo_u32_b32 v0, -1, 0
	v_and_b32_e32 v2, 63, v2
	s_mul_i32 s6, s6, s7
	v_mbcnt_hi_u32_b32 v0, -1, v0
	v_mul_lo_u32 v22, s15, v40
	s_mul_hi_u32 s6, s7, s6
	v_and_or_b32 v0, v0, 64, v2
	v_cndmask_b32_e64 v32, 0, 1, s[0:1]
	s_movk_i32 s46, 0x1800
	v_or_b32_e32 v34, 0x1800, v33
	s_ashr_i32 s11, s13, 31
	s_mov_b32 s10, s13
	v_ashrrev_i32_e32 v15, 31, v14
	v_or_b32_e32 v38, 16, v37
	v_ashrrev_i32_e32 v17, 31, v16
	v_or_b32_e32 v39, 32, v37
	v_ashrrev_i32_e32 v19, 31, v18
	v_ashrrev_i32_e32 v23, 31, v22
	v_mov_b32_e32 v21, 0
	v_or_b32_e32 v42, 0x1800, v41
	v_mul_lo_u32 v43, s14, v40
	s_ashr_i32 s49, s33, 31
	s_ashr_i32 s51, s42, 31
	s_add_i32 s52, s7, s6
	s_mov_b32 s53, 0x55555556
	v_lshlrev_b32_e32 v44, 2, v0
	v_mov_b32_e32 v45, v28
	s_branch .LBB236_7
.LBB236_4:                              ;   in Loop: Header=BB236_7 Depth=1
	s_or_b64 exec, exec, s[28:29]
.LBB236_5:                              ;   in Loop: Header=BB236_7 Depth=1
	s_or_b64 exec, exec, s[8:9]
	v_subrev_u32_e32 v45, s57, v45
.LBB236_6:                              ;   in Loop: Header=BB236_7 Depth=1
	s_or_b64 exec, exec, s[6:7]
	s_add_i32 s43, s43, 1
	v_cmp_ge_i32_e32 vcc, s43, v13
	s_cbranch_vccnz .LBB236_52
.LBB236_7:                              ; =>This Loop Header: Depth=1
                                        ;     Child Loop BB236_13 Depth 2
                                        ;       Child Loop BB236_15 Depth 3
                                        ;       Child Loop BB236_18 Depth 3
	;; [unrolled: 1-line block ×4, first 2 shown]
                                        ;     Child Loop BB236_39 Depth 2
                                        ;       Child Loop BB236_41 Depth 3
                                        ;     Child Loop BB236_49 Depth 2
                                        ;       Child Loop BB236_51 Depth 3
	s_abs_i32 s7, s43
	s_mul_hi_u32 s8, s7, s50
	s_mul_i32 s9, s8, s47
	s_ashr_i32 s6, s43, 31
	s_sub_i32 s7, s7, s9
	s_xor_b32 s6, s6, s49
	s_add_i32 s9, s8, 1
	s_sub_i32 s28, s7, s47
	s_cmp_ge_u32 s7, s47
	s_cselect_b32 s8, s9, s8
	s_cselect_b32 s7, s28, s7
	s_add_i32 s9, s8, 1
	s_cmp_ge_u32 s7, s47
	s_cselect_b32 s7, s9, s8
	s_xor_b32 s7, s7, s6
	s_sub_i32 s6, s7, s6
	s_abs_i32 s8, s6
	s_mul_hi_u32 s9, s8, s52
	s_mul_i32 s7, s6, s33
	s_mul_i32 s28, s9, s48
	s_sub_i32 s54, s43, s7
	s_ashr_i32 s7, s6, 31
	s_sub_i32 s8, s8, s28
	s_xor_b32 s7, s7, s51
	s_add_i32 s28, s9, 1
	s_sub_i32 s29, s8, s48
	s_cmp_ge_u32 s8, s48
	s_cselect_b32 s9, s28, s9
	s_cselect_b32 s8, s29, s8
	s_add_i32 s28, s9, 1
	s_cmp_ge_u32 s8, s48
	s_cselect_b32 s8, s28, s9
	s_xor_b32 s8, s8, s7
	s_sub_i32 s7, s8, s7
	s_mul_i32 s8, s7, s44
	s_lshl_b32 s55, s8, 7
	s_mul_i32 s54, s54, 48
	s_cmp_eq_u32 s7, s16
	s_cselect_b32 s57, s45, s44
	s_sub_i32 s8, s54, s12
	s_add_i32 s8, s8, 48
	s_max_i32 s56, s8, 0
	s_and_saveexec_b64 s[8:9], s[2:3]
	s_xor_b64 s[28:29], exec, s[8:9]
	s_cbranch_execz .LBB236_45
; %bb.8:                                ;   in Loop: Header=BB236_7 Depth=1
	s_mul_i32 s7, s7, s42
	s_sub_i32 s6, s6, s7
	s_lshl_b32 s6, s6, 4
	s_sub_i32 s31, s6, s13
	s_add_i32 s31, s31, 16
	s_max_i32 s7, s31, 0
	s_sub_i32 s30, s6, s7
	s_and_saveexec_b64 s[6:7], s[0:1]
	s_xor_b64 s[34:35], exec, s[6:7]
	s_cbranch_execz .LBB236_35
; %bb.9:                                ;   in Loop: Header=BB236_7 Depth=1
	s_and_saveexec_b64 s[36:37], s[4:5]
	s_cbranch_execz .LBB236_34
; %bb.10:                               ;   in Loop: Header=BB236_7 Depth=1
	s_waitcnt lgkmcnt(0)
	global_load_dword v46, v21, s[26:27]
	v_mov_b32_e32 v11, 0
	v_cmp_gt_i32_e32 vcc, s57, v45
	v_mov_b32_e32 v10, v11
	v_mov_b32_e32 v9, v11
	;; [unrolled: 1-line block ×11, first 2 shown]
	s_and_saveexec_b64 s[6:7], vcc
	s_cbranch_execz .LBB236_26
; %bb.11:                               ;   in Loop: Header=BB236_7 Depth=1
	v_mov_b32_e32 v0, 0
	s_mov_b64 s[8:9], 0
	v_mov_b32_e32 v1, v0
	v_mov_b32_e32 v2, v0
	;; [unrolled: 1-line block ×11, first 2 shown]
	s_branch .LBB236_13
.LBB236_12:                             ;   in Loop: Header=BB236_13 Depth=2
	s_or_b64 exec, exec, s[38:39]
	v_add_u32_e32 v51, 0x1000, v50
	ds_read2_b32 v[52:53], v51 offset1:32
	ds_read2_b32 v[54:55], v51 offset0:128 offset1:160
	v_add_u32_e32 v56, 0x1400, v50
	ds_read2_b32 v[50:51], v56 offset1:32
	v_add_u32_e32 v45, s19, v45
	s_waitcnt lgkmcnt(2)
	v_mfma_f32_16x16x32_fp8_fp8 v[0:3], v[52:53], v[28:29], v[0:3]
	v_add_u32_e32 v28, s19, v47
	v_cmp_le_i32_e32 vcc, s57, v45
	v_add_u32_e32 v29, 2, v32
	s_waitcnt lgkmcnt(1)
	v_mfma_f32_16x16x32_fp8_fp8 v[0:3], v[54:55], v[30:31], v[0:3]
	ds_read2_b32 v[30:31], v56 offset0:128 offset1:160
	s_or_b64 s[8:9], vcc, s[8:9]
	v_cmp_lt_i32_e32 vcc, 0, v28
	s_waitcnt lgkmcnt(1)
	v_mfma_f32_16x16x32_fp8_fp8 v[0:3], v[50:51], v[26:27], v[0:3]
	;;#ASMSTART
	s_waitcnt lgkmcnt(0)
	;;#ASMEND
	ds_write_b32 v48, v49 offset:8200
	v_cndmask_b32_e32 v32, v32, v29, vcc
	s_waitcnt lgkmcnt(1)
	v_mfma_f32_16x16x32_fp8_fp8 v[0:3], v[30:31], v[24:25], v[0:3]
	s_andn2_b64 exec, exec, s[8:9]
	s_cbranch_execz .LBB236_25
.LBB236_13:                             ;   Parent Loop BB236_7 Depth=1
                                        ; =>  This Loop Header: Depth=2
                                        ;       Child Loop BB236_15 Depth 3
                                        ;       Child Loop BB236_18 Depth 3
	;; [unrolled: 1-line block ×4, first 2 shown]
	v_cmp_lt_i32_e32 vcc, 0, v28
	s_nop 1
	v_subbrev_co_u32_e32 v47, vcc, 0, v28, vcc
	v_lshlrev_b32_e32 v24, 2, v47
	ds_read_b32 v25, v24 offset:8204
	v_add_u32_e32 v50, 0x2000, v24
	s_waitcnt lgkmcnt(0)
	v_cmp_ne_u32_e32 vcc, v25, v32
	s_and_saveexec_b64 s[38:39], vcc
	s_cbranch_execz .LBB236_16
; %bb.14:                               ;   in Loop: Header=BB236_13 Depth=2
	s_mov_b64 s[40:41], 0
.LBB236_15:                             ;   Parent Loop BB236_7 Depth=1
                                        ;     Parent Loop BB236_13 Depth=2
                                        ; =>    This Inner Loop Header: Depth=3
	;;#ASMSTART
	s_sleep 0
	;;#ASMEND
	ds_read_b32 v24, v50 offset:12
	s_waitcnt lgkmcnt(0)
	v_cmp_eq_u32_e32 vcc, v24, v32
	s_or_b64 s[40:41], vcc, s[40:41]
	s_andn2_b64 exec, exec, s[40:41]
	s_cbranch_execnz .LBB236_15
.LBB236_16:                             ;   in Loop: Header=BB236_13 Depth=2
	s_or_b64 exec, exec, s[38:39]
	v_lshl_add_u32 v24, v47, 11, v34
	ds_read2_b32 v[28:29], v24 offset1:32
	ds_read2_b32 v[30:31], v24 offset0:128 offset1:160
	v_add_u32_e32 v24, 0x400, v24
	v_mul_lo_u32 v48, v47, 12
	ds_read2_b32 v[26:27], v24 offset1:32
	ds_read2_b32 v[24:25], v24 offset0:128 offset1:160
	;;#ASMSTART
	s_waitcnt lgkmcnt(0)
	;;#ASMEND
	ds_read_b32 v51, v48 offset:8192
	v_add_u32_e32 v49, 1, v32
	ds_write_b32 v50, v49 offset:12
	s_waitcnt lgkmcnt(1)
	v_cmp_ne_u32_e32 vcc, v51, v32
	s_and_saveexec_b64 s[38:39], vcc
	s_cbranch_execz .LBB236_19
; %bb.17:                               ;   in Loop: Header=BB236_13 Depth=2
	s_mov_b64 s[40:41], 0
.LBB236_18:                             ;   Parent Loop BB236_7 Depth=1
                                        ;     Parent Loop BB236_13 Depth=2
                                        ; =>    This Inner Loop Header: Depth=3
	;;#ASMSTART
	s_sleep 0
	;;#ASMEND
	ds_read_b32 v50, v48 offset:8192
	s_waitcnt lgkmcnt(0)
	v_cmp_eq_u32_e32 vcc, v50, v32
	s_or_b64 s[40:41], vcc, s[40:41]
	s_andn2_b64 exec, exec, s[40:41]
	s_cbranch_execnz .LBB236_18
.LBB236_19:                             ;   in Loop: Header=BB236_13 Depth=2
	s_or_b64 exec, exec, s[38:39]
	v_mul_lo_u32 v50, v47, s46
	v_or_b32_e32 v51, v33, v50
	ds_read2_b32 v[52:53], v51 offset1:32
	ds_read2_b32 v[54:55], v51 offset0:128 offset1:160
	v_add_u32_e32 v51, 0x400, v51
	s_waitcnt lgkmcnt(1)
	v_mfma_f32_16x16x32_fp8_fp8 v[8:11], v[52:53], v[28:29], v[8:11]
	ds_read2_b32 v[52:53], v51 offset1:32
	s_waitcnt lgkmcnt(1)
	v_mfma_f32_16x16x32_fp8_fp8 v[8:11], v[54:55], v[30:31], v[8:11]
	ds_read2_b32 v[54:55], v51 offset0:128 offset1:160
	;;#ASMSTART
	s_waitcnt lgkmcnt(0)
	;;#ASMEND
	ds_read_b32 v51, v48 offset:8196
	ds_write_b32 v48, v49 offset:8192
	s_waitcnt lgkmcnt(3)
	v_mfma_f32_16x16x32_fp8_fp8 v[8:11], v[52:53], v[26:27], v[8:11]
	s_waitcnt lgkmcnt(1)
	v_cmp_ne_u32_e32 vcc, v51, v32
	v_mfma_f32_16x16x32_fp8_fp8 v[8:11], v[54:55], v[24:25], v[8:11]
	s_and_saveexec_b64 s[38:39], vcc
	s_cbranch_execz .LBB236_22
; %bb.20:                               ;   in Loop: Header=BB236_13 Depth=2
	s_mov_b64 s[40:41], 0
.LBB236_21:                             ;   Parent Loop BB236_7 Depth=1
                                        ;     Parent Loop BB236_13 Depth=2
                                        ; =>    This Inner Loop Header: Depth=3
	;;#ASMSTART
	s_sleep 0
	;;#ASMEND
	ds_read_b32 v51, v48 offset:8196
	s_waitcnt lgkmcnt(0)
	v_cmp_eq_u32_e32 vcc, v51, v32
	s_or_b64 s[40:41], vcc, s[40:41]
	s_andn2_b64 exec, exec, s[40:41]
	s_cbranch_execnz .LBB236_21
.LBB236_22:                             ;   in Loop: Header=BB236_13 Depth=2
	s_or_b64 exec, exec, s[38:39]
	v_add_u32_e32 v50, v33, v50
	v_add_u32_e32 v51, 0x800, v50
	ds_read2_b32 v[52:53], v51 offset1:32
	ds_read2_b32 v[54:55], v51 offset0:128 offset1:160
	v_add_u32_e32 v51, 0xc00, v50
	s_waitcnt lgkmcnt(1)
	v_mfma_f32_16x16x32_fp8_fp8 v[4:7], v[52:53], v[28:29], v[4:7]
	ds_read2_b32 v[52:53], v51 offset1:32
	s_waitcnt lgkmcnt(1)
	v_mfma_f32_16x16x32_fp8_fp8 v[4:7], v[54:55], v[30:31], v[4:7]
	ds_read2_b32 v[54:55], v51 offset0:128 offset1:160
	;;#ASMSTART
	s_waitcnt lgkmcnt(0)
	;;#ASMEND
	ds_read_b32 v51, v48 offset:8200
	ds_write_b32 v48, v49 offset:8196
	s_waitcnt lgkmcnt(3)
	v_mfma_f32_16x16x32_fp8_fp8 v[4:7], v[52:53], v[26:27], v[4:7]
	s_waitcnt lgkmcnt(1)
	v_cmp_ne_u32_e32 vcc, v51, v32
	v_mfma_f32_16x16x32_fp8_fp8 v[4:7], v[54:55], v[24:25], v[4:7]
	s_and_saveexec_b64 s[38:39], vcc
	s_cbranch_execz .LBB236_12
; %bb.23:                               ;   in Loop: Header=BB236_13 Depth=2
	s_mov_b64 s[40:41], 0
.LBB236_24:                             ;   Parent Loop BB236_7 Depth=1
                                        ;     Parent Loop BB236_13 Depth=2
                                        ; =>    This Inner Loop Header: Depth=3
	;;#ASMSTART
	s_sleep 0
	;;#ASMEND
	ds_read_b32 v51, v48 offset:8200
	s_waitcnt lgkmcnt(0)
	v_cmp_eq_u32_e32 vcc, v51, v32
	s_or_b64 s[40:41], vcc, s[40:41]
	s_andn2_b64 exec, exec, s[40:41]
	s_cbranch_execnz .LBB236_24
	s_branch .LBB236_12
.LBB236_25:                             ;   in Loop: Header=BB236_7 Depth=1
	s_or_b64 exec, exec, s[8:9]
.LBB236_26:                             ;   in Loop: Header=BB236_7 Depth=1
	s_or_b64 exec, exec, s[6:7]
	v_cmp_le_i32_e32 vcc, s31, v12
	v_cmp_eq_u32_e64 s[6:7], 3, v35
	s_waitcnt vmcnt(0)
	v_cndmask_b32_e32 v24, 0, v46, vcc
	v_pk_mul_f32 v[30:31], v[24:25], v[8:9] op_sel_hi:[0,1]
	v_cmp_eq_u32_e32 vcc, 1, v35
	v_pk_mul_f32 v[10:11], v[24:25], v[10:11] op_sel_hi:[0,1]
	v_add_u32_e32 v25, s56, v37
	v_cndmask_b32_e32 v8, v30, v31, vcc
	v_cmp_eq_u32_e32 vcc, 2, v35
	s_nop 1
	v_cndmask_b32_e32 v8, v8, v10, vcc
	v_cndmask_b32_e64 v8, v8, v11, s[6:7]
	ds_bpermute_b32 v9, v44, v8
	s_waitcnt lgkmcnt(0)
	v_cndmask_b32_e32 v10, v10, v9, vcc
	v_cmp_ne_u32_e32 vcc, 0, v35
	v_cndmask_b32_e64 v26, v11, v9, s[6:7]
	s_nop 0
	v_cndmask_b32_e32 v8, v31, v9, vcc
	v_cmp_eq_u32_e32 vcc, 0, v35
	s_nop 1
	v_cndmask_b32_e32 v9, v30, v9, vcc
	v_cmp_eq_u32_e32 vcc, 1, v36
	;; [unrolled: 3-line block ×4, first 2 shown]
	s_nop 1
	v_cndmask_b32_e32 v11, v11, v26, vcc
	ds_bpermute_b32 v11, v44, v11
	v_cmp_gt_u32_e32 vcc, 48, v25
	s_and_saveexec_b64 s[38:39], vcc
	s_cbranch_execz .LBB236_33
; %bb.27:                               ;   in Loop: Header=BB236_7 Depth=1
	v_cmp_eq_u32_e64 s[8:9], 1, v36
	v_cmp_eq_u32_e64 s[6:7], 3, v36
	v_cmp_eq_u32_e32 vcc, 2, v36
	s_waitcnt lgkmcnt(0)
	v_cndmask_b32_e64 v8, v8, v11, s[8:9]
	v_cmp_eq_u32_e64 s[8:9], 0, v36
	v_cvt_f16_f32_sdwa v29, v8 dst_sel:WORD_1 dst_unused:UNUSED_PAD src0_sel:DWORD
	s_nop 0
	v_cndmask_b32_e64 v9, v9, v11, s[8:9]
	s_mul_i32 s8, s54, s13
	s_ashr_i32 s9, s8, 31
	s_lshl_b64 s[8:9], s[8:9], 1
	s_add_u32 s40, s24, s8
	s_addc_u32 s41, s25, s9
	s_ashr_i32 s31, s30, 31
	s_lshl_b64 s[8:9], s[30:31], 1
	v_cvt_f16_f32_e32 v27, v9
	s_add_u32 s40, s40, s8
	s_addc_u32 s41, s41, s9
	v_lshl_add_u64 v[8:9], v[14:15], 1, s[40:41]
	v_cmp_gt_u32_e64 s[8:9], 46, v25
	v_or_b32_e32 v27, v29, v27
	;;#ASMSTART
	global_atomic_pk_add_f16 v[8:9], v27, off
	
	;;#ASMEND
	s_and_b64 exec, exec, s[8:9]
	s_cbranch_execz .LBB236_33
; %bb.28:                               ;   in Loop: Header=BB236_7 Depth=1
	v_mov_b32_e32 v25, v24
	v_cndmask_b32_e64 v29, v26, v11, s[6:7]
	v_mov_b32_e32 v26, v24
	v_mov_b32_e32 v27, v24
	v_pk_mul_f32 v[6:7], v[26:27], v[6:7]
	v_pk_mul_f32 v[26:27], v[24:25], v[4:5]
	v_cmp_eq_u32_e64 s[6:7], 1, v35
	v_cmp_eq_u32_e64 s[8:9], 3, v35
	v_cvt_f16_f32_sdwa v29, v29 dst_sel:WORD_1 dst_unused:UNUSED_PAD src0_sel:DWORD
	v_cndmask_b32_e64 v4, v26, v27, s[6:7]
	v_cmp_eq_u32_e64 s[6:7], 2, v35
	s_nop 1
	v_cndmask_b32_e64 v4, v4, v6, s[6:7]
	v_cndmask_b32_e64 v4, v4, v7, s[8:9]
	ds_bpermute_b32 v5, v44, v4
	v_cndmask_b32_e32 v4, v10, v11, vcc
	v_cmp_ne_u32_e32 vcc, 0, v35
	v_lshl_add_u64 v[10:11], s[10:11], 2, v[8:9]
	v_cvt_f16_f32_e32 v9, v4
	s_waitcnt lgkmcnt(0)
	v_cndmask_b32_e32 v4, v27, v5, vcc
	v_cmp_eq_u32_e32 vcc, 0, v35
	v_cndmask_b32_e64 v8, v7, v5, s[8:9]
	v_cndmask_b32_e64 v6, v6, v5, s[6:7]
	v_cndmask_b32_e32 v5, v26, v5, vcc
	v_cmp_eq_u32_e32 vcc, 1, v36
	v_or_b32_e32 v9, v29, v9
	;;#ASMSTART
	global_atomic_pk_add_f16 v[10:11], v9, off
	
	;;#ASMEND
	v_add_u32_e32 v9, s56, v38
	v_cndmask_b32_e32 v7, v5, v4, vcc
	v_cmp_eq_u32_e32 vcc, 2, v36
	s_nop 1
	v_cndmask_b32_e32 v7, v7, v6, vcc
	v_cmp_eq_u32_e32 vcc, 3, v36
	s_nop 1
	v_cndmask_b32_e32 v7, v7, v8, vcc
	ds_bpermute_b32 v7, v44, v7
	v_cmp_gt_u32_e32 vcc, 48, v9
	s_and_b64 exec, exec, vcc
	s_cbranch_execz .LBB236_33
; %bb.29:                               ;   in Loop: Header=BB236_7 Depth=1
	v_cmp_eq_u32_e32 vcc, 1, v36
	v_cmp_eq_u32_e64 s[6:7], 3, v36
	v_cmp_gt_u32_e64 s[8:9], 46, v9
	s_waitcnt lgkmcnt(0)
	v_cndmask_b32_e32 v4, v4, v7, vcc
	v_cmp_eq_u32_e32 vcc, 0, v36
	v_cvt_f16_f32_sdwa v11, v4 dst_sel:WORD_1 dst_unused:UNUSED_PAD src0_sel:DWORD
	s_nop 0
	v_cndmask_b32_e32 v5, v5, v7, vcc
	v_cvt_f16_f32_e32 v10, v5
	v_cmp_eq_u32_e32 vcc, 2, v36
	v_lshl_add_u64 v[4:5], v[16:17], 1, s[40:41]
	v_or_b32_e32 v10, v11, v10
	;;#ASMSTART
	global_atomic_pk_add_f16 v[4:5], v10, off
	
	;;#ASMEND
	s_and_b64 exec, exec, s[8:9]
	s_cbranch_execz .LBB236_33
; %bb.30:                               ;   in Loop: Header=BB236_7 Depth=1
	v_cndmask_b32_e64 v26, v8, v7, s[6:7]
	v_mov_b32_e32 v8, v24
	v_mov_b32_e32 v9, v24
	v_pk_mul_f32 v[10:11], v[24:25], v[0:1]
	v_cmp_eq_u32_e64 s[6:7], 1, v35
	v_pk_mul_f32 v[8:9], v[8:9], v[2:3]
	v_cmp_eq_u32_e64 s[8:9], 3, v35
	v_cndmask_b32_e64 v0, v10, v11, s[6:7]
	v_cmp_eq_u32_e64 s[6:7], 2, v35
	v_cvt_f16_f32_sdwa v24, v26 dst_sel:WORD_1 dst_unused:UNUSED_PAD src0_sel:DWORD
	s_nop 0
	v_cndmask_b32_e64 v0, v0, v8, s[6:7]
	v_cndmask_b32_e64 v0, v0, v9, s[8:9]
	ds_bpermute_b32 v1, v44, v0
	v_cndmask_b32_e32 v0, v6, v7, vcc
	v_cmp_ne_u32_e32 vcc, 0, v35
	v_lshl_add_u64 v[6:7], s[10:11], 2, v[4:5]
	v_cvt_f16_f32_e32 v5, v0
	s_waitcnt lgkmcnt(0)
	v_cndmask_b32_e32 v0, v11, v1, vcc
	v_cmp_eq_u32_e32 vcc, 0, v35
	v_cndmask_b32_e64 v2, v9, v1, s[8:9]
	v_cndmask_b32_e64 v3, v8, v1, s[6:7]
	v_cndmask_b32_e32 v1, v10, v1, vcc
	v_cmp_eq_u32_e32 vcc, 1, v36
	v_or_b32_e32 v5, v24, v5
	;;#ASMSTART
	global_atomic_pk_add_f16 v[6:7], v5, off
	
	;;#ASMEND
	v_add_u32_e32 v5, s56, v39
	v_cndmask_b32_e32 v4, v1, v0, vcc
	v_cmp_eq_u32_e32 vcc, 2, v36
	s_nop 1
	v_cndmask_b32_e32 v4, v4, v3, vcc
	v_cmp_eq_u32_e32 vcc, 3, v36
	s_nop 1
	v_cndmask_b32_e32 v4, v4, v2, vcc
	ds_bpermute_b32 v4, v44, v4
	v_cmp_gt_u32_e32 vcc, 48, v5
	s_and_b64 exec, exec, vcc
	s_cbranch_execz .LBB236_33
; %bb.31:                               ;   in Loop: Header=BB236_7 Depth=1
	v_cmp_eq_u32_e32 vcc, 1, v36
	v_cmp_eq_u32_e64 s[6:7], 2, v36
	v_cmp_gt_u32_e64 s[8:9], 46, v5
	s_waitcnt lgkmcnt(0)
	v_cndmask_b32_e32 v0, v0, v4, vcc
	v_cmp_eq_u32_e32 vcc, 0, v36
	v_cvt_f16_f32_sdwa v7, v0 dst_sel:WORD_1 dst_unused:UNUSED_PAD src0_sel:DWORD
	s_nop 0
	v_cndmask_b32_e32 v1, v1, v4, vcc
	v_cvt_f16_f32_e32 v6, v1
	v_cmp_eq_u32_e32 vcc, 3, v36
	v_lshl_add_u64 v[0:1], v[18:19], 1, s[40:41]
	v_or_b32_e32 v6, v7, v6
	;;#ASMSTART
	global_atomic_pk_add_f16 v[0:1], v6, off
	
	;;#ASMEND
	s_and_b64 exec, exec, s[8:9]
	s_cbranch_execz .LBB236_33
; %bb.32:                               ;   in Loop: Header=BB236_7 Depth=1
	v_cndmask_b32_e32 v2, v2, v4, vcc
	v_cndmask_b32_e64 v3, v3, v4, s[6:7]
	v_cvt_f16_f32_sdwa v2, v2 dst_sel:WORD_1 dst_unused:UNUSED_PAD src0_sel:DWORD
	v_cvt_f16_f32_e32 v3, v3
	v_lshl_add_u64 v[0:1], s[10:11], 2, v[0:1]
	v_or_b32_e32 v2, v2, v3
	;;#ASMSTART
	global_atomic_pk_add_f16 v[0:1], v2, off
	
	;;#ASMEND
.LBB236_33:                             ;   in Loop: Header=BB236_7 Depth=1
	s_or_b64 exec, exec, s[38:39]
	v_subrev_u32_e32 v45, s57, v45
.LBB236_34:                             ;   in Loop: Header=BB236_7 Depth=1
	s_or_b64 exec, exec, s[36:37]
.LBB236_35:                             ;   in Loop: Header=BB236_7 Depth=1
	s_andn2_saveexec_b64 s[6:7], s[34:35]
	s_cbranch_execz .LBB236_44
; %bb.36:                               ;   in Loop: Header=BB236_7 Depth=1
	v_cmp_gt_i32_e32 vcc, s57, v45
	s_and_saveexec_b64 s[8:9], vcc
	s_cbranch_execz .LBB236_43
; %bb.37:                               ;   in Loop: Header=BB236_7 Depth=1
	s_mul_i32 s30, s30, s15
	s_ashr_i32 s31, s30, 31
	s_waitcnt lgkmcnt(0)
	s_add_u32 s30, s22, s30
	s_addc_u32 s31, s23, s31
	s_ashr_i32 s34, s55, 31
	s_add_u32 s30, s30, s55
	s_addc_u32 s31, s31, s34
	v_lshl_add_u64 v[0:1], s[30:31], 0, v[22:23]
	v_lshl_add_u64 v[8:9], v[0:1], 0, v[20:21]
	s_mov_b64 s[30:31], 0
	s_branch .LBB236_39
.LBB236_38:                             ;   in Loop: Header=BB236_39 Depth=2
	s_or_b64 exec, exec, s[34:35]
	v_lshl_add_u32 v24, v10, 11, v42
	;;#ASMSTART
	s_waitcnt vmcnt(1)
	;;#ASMEND
	ds_write2_b32 v24, v4, v5 offset1:32
	ds_write2_b32 v24, v6, v7 offset0:64 offset1:96
	v_add_u32_e32 v4, 0x400, v24
	v_add_u32_e32 v45, s18, v45
	;;#ASMSTART
	s_waitcnt vmcnt(0)
	;;#ASMEND
	ds_write2_b32 v4, v0, v1 offset1:32
	ds_write2_b32 v4, v2, v3 offset0:64 offset1:96
	v_add_u32_e32 v0, 1, v32
	v_add_u32_e32 v28, s18, v10
	v_cmp_le_i32_e32 vcc, s57, v45
	ds_write_b32 v11, v0 offset:12
	v_add_u32_e32 v0, 2, v32
	s_or_b64 s[30:31], vcc, s[30:31]
	v_cmp_lt_i32_e32 vcc, 0, v28
	s_nop 1
	v_cndmask_b32_e32 v32, v32, v0, vcc
	s_andn2_b64 exec, exec, s[30:31]
	s_cbranch_execz .LBB236_42
.LBB236_39:                             ;   Parent Loop BB236_7 Depth=1
                                        ; =>  This Loop Header: Depth=2
                                        ;       Child Loop BB236_41 Depth 3
	v_cmp_lt_i32_e32 vcc, 0, v28
	v_lshlrev_b32_e32 v0, 7, v45
	v_ashrrev_i32_e32 v1, 31, v0
	v_subbrev_co_u32_e32 v10, vcc, 0, v28, vcc
	v_lshl_add_u64 v[0:1], v[8:9], 0, v[0:1]
	v_lshlrev_b32_e32 v11, 2, v10
	;;#ASMSTART
	global_load_dwordx4 v[4:7], v[0:1], off offset:0   sc0 sc1 nt  
	global_load_dwordx4 v[0:3], v[0:1], off offset:64  sc0 sc1 nt  
	
	;;#ASMEND
	ds_read_b32 v24, v11 offset:8204
	v_add_u32_e32 v11, 0x2000, v11
	s_waitcnt lgkmcnt(0)
	v_cmp_ne_u32_e32 vcc, v24, v32
	s_and_saveexec_b64 s[34:35], vcc
	s_cbranch_execz .LBB236_38
; %bb.40:                               ;   in Loop: Header=BB236_39 Depth=2
	s_mov_b64 s[36:37], 0
.LBB236_41:                             ;   Parent Loop BB236_7 Depth=1
                                        ;     Parent Loop BB236_39 Depth=2
                                        ; =>    This Inner Loop Header: Depth=3
	;;#ASMSTART
	s_sleep 0
	;;#ASMEND
	ds_read_b32 v24, v11 offset:12
	s_waitcnt lgkmcnt(0)
	v_cmp_eq_u32_e32 vcc, v24, v32
	s_or_b64 s[36:37], vcc, s[36:37]
	s_andn2_b64 exec, exec, s[36:37]
	s_cbranch_execnz .LBB236_41
	s_branch .LBB236_38
.LBB236_42:                             ;   in Loop: Header=BB236_7 Depth=1
	s_or_b64 exec, exec, s[30:31]
.LBB236_43:                             ;   in Loop: Header=BB236_7 Depth=1
	s_or_b64 exec, exec, s[8:9]
	v_subrev_u32_e32 v45, s57, v45
.LBB236_44:                             ;   in Loop: Header=BB236_7 Depth=1
	s_or_b64 exec, exec, s[6:7]
.LBB236_45:                             ;   in Loop: Header=BB236_7 Depth=1
	s_andn2_saveexec_b64 s[6:7], s[28:29]
	s_cbranch_execz .LBB236_6
; %bb.46:                               ;   in Loop: Header=BB236_7 Depth=1
	s_mul_i32 s57, s57, 3
	v_cmp_gt_i32_e32 vcc, s57, v45
	s_and_saveexec_b64 s[8:9], vcc
	s_cbranch_execz .LBB236_5
; %bb.47:                               ;   in Loop: Header=BB236_7 Depth=1
	s_mul_i32 s54, s54, s14
	s_ashr_i32 s28, s54, 31
	s_waitcnt lgkmcnt(0)
	s_add_u32 s29, s20, s54
	v_add_u32_e32 v2, s56, v40
	s_addc_u32 s30, s21, s28
	s_ashr_i32 s31, s55, 31
	v_cmp_gt_u32_e32 vcc, 48, v2
	s_add_u32 s28, s29, s55
	s_addc_u32 s29, s30, s31
	v_cndmask_b32_e32 v0, 0, v43, vcc
	v_ashrrev_i32_e32 v1, 31, v0
	v_lshl_add_u64 v[0:1], s[28:29], 0, v[0:1]
	v_lshl_add_u64 v[8:9], v[0:1], 0, v[20:21]
	v_sub_u32_e32 v10, 47, v2
	s_mov_b64 s[28:29], 0
	s_branch .LBB236_49
.LBB236_48:                             ;   in Loop: Header=BB236_49 Depth=2
	s_or_b64 exec, exec, s[30:31]
	v_lshl_or_b32 v25, v11, 11, v41
	;;#ASMSTART
	s_waitcnt vmcnt(1)
	;;#ASMEND
	ds_write2_b32 v25, v4, v5 offset1:32
	ds_write2_b32 v25, v6, v7 offset0:64 offset1:96
	v_add_u32_e32 v4, 0x400, v25
	v_add_u32_e32 v45, s17, v45
	;;#ASMSTART
	s_waitcnt vmcnt(0)
	;;#ASMEND
	ds_write2_b32 v4, v0, v1 offset1:32
	ds_write2_b32 v4, v2, v3 offset0:64 offset1:96
	v_add_u32_e32 v0, 1, v32
	v_add_u32_e32 v28, s17, v11
	v_cmp_le_i32_e32 vcc, s57, v45
	ds_write_b32 v24, v0
	v_add_u32_e32 v0, 2, v32
	s_or_b64 s[28:29], vcc, s[28:29]
	v_cmp_lt_i32_e32 vcc, 2, v28
	s_nop 1
	v_cndmask_b32_e32 v32, v32, v0, vcc
	s_andn2_b64 exec, exec, s[28:29]
	s_cbranch_execz .LBB236_4
.LBB236_49:                             ;   Parent Loop BB236_7 Depth=1
                                        ; =>  This Loop Header: Depth=2
                                        ;       Child Loop BB236_51 Depth 3
	v_cmp_gt_i32_e32 vcc, 3, v28
	s_nop 1
	v_cndmask_b32_e64 v0, -3, 0, vcc
	v_add_u32_e32 v11, v0, v28
	v_mul_hi_i32 v0, v45, s53
	v_lshrrev_b32_e32 v1, 31, v0
	v_add_u32_e32 v0, v0, v1
	v_lshl_add_u32 v1, v0, 1, v0
	v_sub_u32_e32 v1, v45, v1
	v_lshlrev_b32_e32 v1, 4, v1
	v_cmp_le_i32_e32 vcc, v1, v10
	v_lshlrev_b32_e32 v0, 7, v0
	v_lshlrev_b32_e32 v24, 2, v11
	v_cndmask_b32_e32 v2, 0, v1, vcc
	v_ashrrev_i32_e32 v1, 31, v0
	v_mul_lo_u32 v2, v2, s14
	v_lshl_add_u64 v[0:1], v[8:9], 0, v[0:1]
	v_ashrrev_i32_e32 v3, 31, v2
	v_lshl_add_u64 v[0:1], v[0:1], 0, v[2:3]
	;;#ASMSTART
	global_load_dwordx4 v[4:7], v[0:1], off offset:0   
	global_load_dwordx4 v[0:3], v[0:1], off offset:64  
	
	;;#ASMEND
	ds_read_b32 v25, v24 offset:8192
	v_add_u32_e32 v24, 0x2000, v24
	s_waitcnt lgkmcnt(0)
	v_cmp_ne_u32_e32 vcc, v25, v32
	s_and_saveexec_b64 s[30:31], vcc
	s_cbranch_execz .LBB236_48
; %bb.50:                               ;   in Loop: Header=BB236_49 Depth=2
	s_mov_b64 s[34:35], 0
.LBB236_51:                             ;   Parent Loop BB236_7 Depth=1
                                        ;     Parent Loop BB236_49 Depth=2
                                        ; =>    This Inner Loop Header: Depth=3
	;;#ASMSTART
	s_sleep 0
	;;#ASMEND
	ds_read_b32 v25, v24
	s_waitcnt lgkmcnt(0)
	v_cmp_eq_u32_e32 vcc, v25, v32
	s_or_b64 s[34:35], vcc, s[34:35]
	s_andn2_b64 exec, exec, s[34:35]
	s_cbranch_execnz .LBB236_51
	s_branch .LBB236_48
.LBB236_52:
	s_endpgm
	.section	.rodata,"a",@progbits
	.p2align	6, 0x0
	.amdhsa_kernel _Z19_skinny_gemm_kernelILi3ELi1ELi1ELi16ELi4EEvPKhS1_P6__halfPKfiiiiiiii
		.amdhsa_group_segment_fixed_size 8208
		.amdhsa_private_segment_fixed_size 0
		.amdhsa_kernarg_size 64
		.amdhsa_user_sgpr_count 2
		.amdhsa_user_sgpr_dispatch_ptr 0
		.amdhsa_user_sgpr_queue_ptr 0
		.amdhsa_user_sgpr_kernarg_segment_ptr 1
		.amdhsa_user_sgpr_dispatch_id 0
		.amdhsa_user_sgpr_kernarg_preload_length 0
		.amdhsa_user_sgpr_kernarg_preload_offset 0
		.amdhsa_user_sgpr_private_segment_size 0
		.amdhsa_uses_dynamic_stack 0
		.amdhsa_enable_private_segment 0
		.amdhsa_system_sgpr_workgroup_id_x 1
		.amdhsa_system_sgpr_workgroup_id_y 0
		.amdhsa_system_sgpr_workgroup_id_z 0
		.amdhsa_system_sgpr_workgroup_info 0
		.amdhsa_system_vgpr_workitem_id 0
		.amdhsa_next_free_vgpr 57
		.amdhsa_next_free_sgpr 58
		.amdhsa_accum_offset 60
		.amdhsa_reserve_vcc 1
		.amdhsa_float_round_mode_32 0
		.amdhsa_float_round_mode_16_64 0
		.amdhsa_float_denorm_mode_32 3
		.amdhsa_float_denorm_mode_16_64 3
		.amdhsa_dx10_clamp 1
		.amdhsa_ieee_mode 1
		.amdhsa_fp16_overflow 0
		.amdhsa_tg_split 0
		.amdhsa_exception_fp_ieee_invalid_op 0
		.amdhsa_exception_fp_denorm_src 0
		.amdhsa_exception_fp_ieee_div_zero 0
		.amdhsa_exception_fp_ieee_overflow 0
		.amdhsa_exception_fp_ieee_underflow 0
		.amdhsa_exception_fp_ieee_inexact 0
		.amdhsa_exception_int_div_zero 0
	.end_amdhsa_kernel
	.section	.text._Z19_skinny_gemm_kernelILi3ELi1ELi1ELi16ELi4EEvPKhS1_P6__halfPKfiiiiiiii,"axG",@progbits,_Z19_skinny_gemm_kernelILi3ELi1ELi1ELi16ELi4EEvPKhS1_P6__halfPKfiiiiiiii,comdat
.Lfunc_end236:
	.size	_Z19_skinny_gemm_kernelILi3ELi1ELi1ELi16ELi4EEvPKhS1_P6__halfPKfiiiiiiii, .Lfunc_end236-_Z19_skinny_gemm_kernelILi3ELi1ELi1ELi16ELi4EEvPKhS1_P6__halfPKfiiiiiiii
                                        ; -- End function
	.set _Z19_skinny_gemm_kernelILi3ELi1ELi1ELi16ELi4EEvPKhS1_P6__halfPKfiiiiiiii.num_vgpr, 57
	.set _Z19_skinny_gemm_kernelILi3ELi1ELi1ELi16ELi4EEvPKhS1_P6__halfPKfiiiiiiii.num_agpr, 0
	.set _Z19_skinny_gemm_kernelILi3ELi1ELi1ELi16ELi4EEvPKhS1_P6__halfPKfiiiiiiii.numbered_sgpr, 58
	.set _Z19_skinny_gemm_kernelILi3ELi1ELi1ELi16ELi4EEvPKhS1_P6__halfPKfiiiiiiii.num_named_barrier, 0
	.set _Z19_skinny_gemm_kernelILi3ELi1ELi1ELi16ELi4EEvPKhS1_P6__halfPKfiiiiiiii.private_seg_size, 0
	.set _Z19_skinny_gemm_kernelILi3ELi1ELi1ELi16ELi4EEvPKhS1_P6__halfPKfiiiiiiii.uses_vcc, 1
	.set _Z19_skinny_gemm_kernelILi3ELi1ELi1ELi16ELi4EEvPKhS1_P6__halfPKfiiiiiiii.uses_flat_scratch, 0
	.set _Z19_skinny_gemm_kernelILi3ELi1ELi1ELi16ELi4EEvPKhS1_P6__halfPKfiiiiiiii.has_dyn_sized_stack, 0
	.set _Z19_skinny_gemm_kernelILi3ELi1ELi1ELi16ELi4EEvPKhS1_P6__halfPKfiiiiiiii.has_recursion, 0
	.set _Z19_skinny_gemm_kernelILi3ELi1ELi1ELi16ELi4EEvPKhS1_P6__halfPKfiiiiiiii.has_indirect_call, 0
	.section	.AMDGPU.csdata,"",@progbits
; Kernel info:
; codeLenInByte = 3800
; TotalNumSgprs: 64
; NumVgprs: 57
; NumAgprs: 0
; TotalNumVgprs: 57
; ScratchSize: 0
; MemoryBound: 0
; FloatMode: 240
; IeeeMode: 1
; LDSByteSize: 8208 bytes/workgroup (compile time only)
; SGPRBlocks: 7
; VGPRBlocks: 7
; NumSGPRsForWavesPerEU: 64
; NumVGPRsForWavesPerEU: 57
; AccumOffset: 60
; Occupancy: 8
; WaveLimiterHint : 0
; COMPUTE_PGM_RSRC2:SCRATCH_EN: 0
; COMPUTE_PGM_RSRC2:USER_SGPR: 2
; COMPUTE_PGM_RSRC2:TRAP_HANDLER: 0
; COMPUTE_PGM_RSRC2:TGID_X_EN: 1
; COMPUTE_PGM_RSRC2:TGID_Y_EN: 0
; COMPUTE_PGM_RSRC2:TGID_Z_EN: 0
; COMPUTE_PGM_RSRC2:TIDIG_COMP_CNT: 0
; COMPUTE_PGM_RSRC3_GFX90A:ACCUM_OFFSET: 14
; COMPUTE_PGM_RSRC3_GFX90A:TG_SPLIT: 0
	.section	.text._Z19_skinny_gemm_kernelILi3ELi1ELi1ELi16ELi8EEvPKhS1_P6__halfPKfiiiiiiii,"axG",@progbits,_Z19_skinny_gemm_kernelILi3ELi1ELi1ELi16ELi8EEvPKhS1_P6__halfPKfiiiiiiii,comdat
	.protected	_Z19_skinny_gemm_kernelILi3ELi1ELi1ELi16ELi8EEvPKhS1_P6__halfPKfiiiiiiii ; -- Begin function _Z19_skinny_gemm_kernelILi3ELi1ELi1ELi16ELi8EEvPKhS1_P6__halfPKfiiiiiiii
	.globl	_Z19_skinny_gemm_kernelILi3ELi1ELi1ELi16ELi8EEvPKhS1_P6__halfPKfiiiiiiii
	.p2align	8
	.type	_Z19_skinny_gemm_kernelILi3ELi1ELi1ELi16ELi8EEvPKhS1_P6__halfPKfiiiiiiii,@function
_Z19_skinny_gemm_kernelILi3ELi1ELi1ELi16ELi8EEvPKhS1_P6__halfPKfiiiiiiii: ; @_Z19_skinny_gemm_kernelILi3ELi1ELi1ELi16ELi8EEvPKhS1_P6__halfPKfiiiiiiii
; %bb.0:
	v_cmp_gt_u32_e32 vcc, 4, v0
	v_lshlrev_b32_e32 v1, 2, v0
	s_and_saveexec_b64 s[4:5], vcc
; %bb.1:
	v_mov_b32_e32 v2, 0
	ds_write_b32 v1, v2 offset:16384
; %bb.2:
	s_or_b64 exec, exec, s[4:5]
	s_load_dwordx8 s[12:19], s[0:1], 0x20
	s_waitcnt lgkmcnt(0)
	s_barrier
	s_add_i32 s3, s12, 47
	s_add_i32 s4, s13, 15
	s_mul_hi_i32 s3, s3, 0x2aaaaaab
	s_lshr_b32 s5, s3, 31
	s_ashr_i32 s33, s3, 3
	s_ashr_i32 s3, s4, 31
	s_lshr_b32 s3, s3, 28
	s_add_i32 s4, s4, s3
	s_add_i32 s33, s33, s5
	s_ashr_i32 s42, s4, 4
	s_mul_i32 s3, s42, s33
	s_mul_i32 s3, s3, s16
	s_add_i32 s4, s3, 0x12f
	s_mul_hi_i32 s4, s4, 0x6bca1af3
	s_lshr_b32 s5, s4, 31
	s_ashr_i32 s4, s4, 7
	s_add_i32 s4, s4, s5
	s_add_i32 s5, s2, 1
	s_mul_i32 s5, s4, s5
	v_cvt_f64_i32_e32 v[2:3], s3
	v_cvt_f64_u32_e32 v[4:5], s5
	v_min_f64 v[2:3], v[2:3], v[4:5]
	v_cvt_i32_f64_e32 v17, v[2:3]
	s_mul_i32 s43, s4, s2
	v_cmp_ge_i32_e32 vcc, s43, v17
	s_cbranch_vccnz .LBB237_52
; %bb.3:
	v_lshrrev_b32_e32 v2, 6, v0
	s_add_i32 s4, s18, s17
	s_load_dwordx8 s[20:27], s[0:1], 0x0
	v_cmp_le_i32_e64 s[0:1], s4, v2
	v_mov_b32_e32 v3, s17
	v_cmp_le_i32_e64 s[2:3], s17, v2
	v_mov_b32_e32 v4, s18
	v_cndmask_b32_e64 v4, 0, v4, s[0:1]
	v_cndmask_b32_e64 v3, 0, v3, s[2:3]
	s_abs_i32 s5, s16
	v_add_u32_e32 v3, v3, v4
	v_cvt_f32_u32_e32 v4, s5
	v_sub_u32_e32 v14, v2, v3
	s_ashr_i32 s6, s14, 31
	s_lshr_b32 s6, s6, 24
	v_rcp_iflag_f32_e32 v3, v4
	s_sub_i32 s9, 0, s5
	s_add_i32 s6, s14, s6
	s_ashr_i32 s6, s6, 8
	v_mul_f32_e32 v3, 0x4f7ffffe, v3
	v_cvt_u32_f32_e32 v3, v3
	s_abs_i32 s8, s6
	s_xor_b32 s7, s6, s16
	s_ashr_i32 s7, s7, 31
	v_readfirstlane_b32 s10, v3
	s_mul_i32 s9, s9, s10
	s_mul_hi_u32 s9, s10, s9
	s_add_i32 s10, s10, s9
	s_mul_hi_u32 s9, s8, s10
	s_mul_i32 s10, s9, s5
	s_sub_i32 s8, s8, s10
	s_add_i32 s10, s9, 1
	s_sub_i32 s11, s8, s5
	s_cmp_ge_u32 s8, s5
	s_cselect_b32 s9, s10, s9
	s_cselect_b32 s8, s11, s8
	s_add_i32 s10, s9, 1
	s_cmp_ge_u32 s8, s5
	s_cselect_b32 s5, s10, s9
	s_xor_b32 s5, s5, s7
	s_sub_i32 s44, s5, s7
	s_add_i32 s16, s16, -1
	s_mul_i32 s5, s44, s16
	s_add_i32 s4, s4, s19
	s_sub_i32 s45, s6, s5
	v_cmp_gt_i32_e64 s[4:5], s4, v2
	v_lshlrev_b32_e32 v2, 1, v0
	v_lshlrev_b32_e32 v3, 4, v0
	v_and_b32_e32 v1, 60, v1
	v_and_b32_e32 v2, 64, v2
	;; [unrolled: 1-line block ×3, first 2 shown]
	v_or3_b32 v41, v1, v2, v4
	v_and_b32_e32 v1, 1, v0
	v_lshrrev_b32_e32 v4, 2, v0
	s_abs_i32 s47, s33
	v_lshlrev_b32_e32 v2, 1, v1
	v_and_or_b32 v44, v4, 12, v1
	v_cvt_f32_u32_e32 v1, s47
	v_and_b32_e32 v16, 14, v0
	v_sub_u32_e32 v2, v0, v2
	v_bitop3_b32 v42, v0, 1, v0 bitop3:0xc
	v_rcp_iflag_f32_e32 v1, v1
	v_bitop3_b32 v43, v0, 3, 1 bitop3:0x6c
	v_and_b32_e32 v24, 48, v3
	v_bfe_u32 v45, v0, 2, 4
	v_and_b32_e32 v3, 60, v0
	v_lshlrev_b32_e32 v4, 8, v0
	v_lshlrev_b32_e32 v0, 6, v0
	v_and_b32_e32 v4, 0x200, v4
	v_and_b32_e32 v0, 64, v0
	s_abs_i32 s48, s42
	v_or3_b32 v46, v3, v4, v0
	v_mul_f32_e32 v0, 0x4f7ffffe, v1
	v_cvt_f32_u32_e32 v1, s48
	v_cvt_u32_f32_e32 v0, v0
	v_mad_u64_u32 v[18:19], s[6:7], s13, v44, v[16:17]
	v_rcp_iflag_f32_e32 v1, v1
	s_lshl_b32 s6, s13, 4
	v_readfirstlane_b32 s7, v0
	v_add_u32_e32 v20, s6, v18
	v_mul_f32_e32 v0, 0x4f7ffffe, v1
	v_cvt_u32_f32_e32 v0, v0
	v_add_u32_e32 v22, s6, v20
	s_sub_i32 s6, 0, s47
	s_mul_i32 s6, s6, s7
	s_mul_hi_u32 s6, s7, s6
	v_add_u32_e32 v2, 1, v2
	s_add_i32 s50, s7, s6
	s_sub_i32 s6, 0, s48
	v_readfirstlane_b32 s7, v0
	v_mbcnt_lo_u32_b32 v0, -1, 0
	v_and_b32_e32 v2, 63, v2
	s_mul_i32 s6, s6, s7
	v_mbcnt_hi_u32_b32 v0, -1, v0
	v_mul_lo_u32 v26, s15, v45
	s_mul_hi_u32 s6, s7, s6
	v_and_or_b32 v0, v0, 64, v2
	v_cndmask_b32_e64 v40, 0, 1, s[0:1]
	s_movk_i32 s46, 0x3000
	s_ashr_i32 s11, s13, 31
	s_mov_b32 s10, s13
	v_ashrrev_i32_e32 v19, 31, v18
	v_ashrrev_i32_e32 v21, 31, v20
	;; [unrolled: 1-line block ×4, first 2 shown]
	v_mov_b32_e32 v25, 0
	s_ashr_i32 s49, s33, 31
	s_ashr_i32 s51, s42, 31
	s_add_i32 s52, s7, s6
	s_mov_b32 s53, 0x55555556
	v_lshlrev_b32_e32 v47, 2, v0
	v_mov_b32_e32 v48, v14
	s_branch .LBB237_7
.LBB237_4:                              ;   in Loop: Header=BB237_7 Depth=1
	s_or_b64 exec, exec, s[28:29]
.LBB237_5:                              ;   in Loop: Header=BB237_7 Depth=1
	s_or_b64 exec, exec, s[8:9]
	v_subrev_u32_e32 v48, s57, v48
.LBB237_6:                              ;   in Loop: Header=BB237_7 Depth=1
	s_or_b64 exec, exec, s[6:7]
	s_add_i32 s43, s43, 1
	v_cmp_ge_i32_e32 vcc, s43, v17
	s_cbranch_vccnz .LBB237_52
.LBB237_7:                              ; =>This Loop Header: Depth=1
                                        ;     Child Loop BB237_13 Depth 2
                                        ;       Child Loop BB237_15 Depth 3
                                        ;       Child Loop BB237_18 Depth 3
	;; [unrolled: 1-line block ×4, first 2 shown]
                                        ;     Child Loop BB237_39 Depth 2
                                        ;       Child Loop BB237_41 Depth 3
                                        ;     Child Loop BB237_49 Depth 2
                                        ;       Child Loop BB237_51 Depth 3
	s_abs_i32 s7, s43
	s_mul_hi_u32 s8, s7, s50
	s_mul_i32 s9, s8, s47
	s_ashr_i32 s6, s43, 31
	s_sub_i32 s7, s7, s9
	s_xor_b32 s6, s6, s49
	s_add_i32 s9, s8, 1
	s_sub_i32 s28, s7, s47
	s_cmp_ge_u32 s7, s47
	s_cselect_b32 s8, s9, s8
	s_cselect_b32 s7, s28, s7
	s_add_i32 s9, s8, 1
	s_cmp_ge_u32 s7, s47
	s_cselect_b32 s7, s9, s8
	s_xor_b32 s7, s7, s6
	s_sub_i32 s6, s7, s6
	s_abs_i32 s8, s6
	s_mul_hi_u32 s9, s8, s52
	s_mul_i32 s7, s6, s33
	s_mul_i32 s28, s9, s48
	s_sub_i32 s54, s43, s7
	s_ashr_i32 s7, s6, 31
	s_sub_i32 s8, s8, s28
	s_xor_b32 s7, s7, s51
	s_add_i32 s28, s9, 1
	s_sub_i32 s29, s8, s48
	s_cmp_ge_u32 s8, s48
	s_cselect_b32 s9, s28, s9
	s_cselect_b32 s8, s29, s8
	s_add_i32 s28, s9, 1
	s_cmp_ge_u32 s8, s48
	s_cselect_b32 s8, s28, s9
	s_xor_b32 s8, s8, s7
	s_sub_i32 s7, s8, s7
	s_mul_i32 s8, s7, s44
	s_lshl_b32 s55, s8, 8
	s_mul_i32 s54, s54, 48
	s_cmp_eq_u32 s7, s16
	s_cselect_b32 s57, s45, s44
	s_sub_i32 s8, s54, s12
	s_add_i32 s8, s8, 48
	s_max_i32 s56, s8, 0
	s_and_saveexec_b64 s[8:9], s[2:3]
	s_xor_b64 s[28:29], exec, s[8:9]
	s_cbranch_execz .LBB237_45
; %bb.8:                                ;   in Loop: Header=BB237_7 Depth=1
	s_mul_i32 s7, s7, s42
	s_sub_i32 s6, s6, s7
	s_lshl_b32 s6, s6, 4
	s_sub_i32 s31, s6, s13
	s_add_i32 s31, s31, 16
	s_max_i32 s7, s31, 0
	s_sub_i32 s30, s6, s7
	s_and_saveexec_b64 s[6:7], s[0:1]
	s_xor_b64 s[34:35], exec, s[6:7]
	s_cbranch_execz .LBB237_35
; %bb.9:                                ;   in Loop: Header=BB237_7 Depth=1
	s_and_saveexec_b64 s[36:37], s[4:5]
	s_cbranch_execz .LBB237_34
; %bb.10:                               ;   in Loop: Header=BB237_7 Depth=1
	s_waitcnt lgkmcnt(0)
	global_load_dword v49, v25, s[26:27]
	v_mov_b32_e32 v11, 0
	v_cmp_gt_i32_e32 vcc, s57, v48
	v_mov_b32_e32 v10, v11
	v_mov_b32_e32 v9, v11
	;; [unrolled: 1-line block ×11, first 2 shown]
	s_and_saveexec_b64 s[6:7], vcc
	s_cbranch_execz .LBB237_26
; %bb.11:                               ;   in Loop: Header=BB237_7 Depth=1
	v_mov_b32_e32 v0, 0
	s_mov_b64 s[8:9], 0
	v_mov_b32_e32 v1, v0
	v_mov_b32_e32 v2, v0
	;; [unrolled: 1-line block ×11, first 2 shown]
	s_branch .LBB237_13
.LBB237_12:                             ;   in Loop: Header=BB237_13 Depth=2
	s_or_b64 exec, exec, s[38:39]
	v_add_u32_e32 v56, 0x2000, v53
	ds_read2_b32 v[54:55], v56 offset1:32
	ds_read2_b32 v[56:57], v56 offset0:128 offset1:160
	v_add_u32_e32 v58, 0x2400, v53
	v_add_u32_e32 v48, s19, v48
	v_cmp_le_i32_e32 vcc, s57, v48
	s_waitcnt lgkmcnt(1)
	v_mfma_f32_16x16x32_fp8_fp8 v[0:3], v[54:55], v[14:15], v[0:3]
	ds_read2_b32 v[14:15], v58 offset1:32
	v_add_u32_e32 v54, 0x2800, v53
	s_or_b64 s[8:9], vcc, s[8:9]
	s_waitcnt lgkmcnt(1)
	v_mfma_f32_16x16x32_fp8_fp8 v[0:3], v[56:57], v[28:29], v[0:3]
	ds_read2_b32 v[28:29], v58 offset0:128 offset1:160
	s_waitcnt lgkmcnt(1)
	v_mfma_f32_16x16x32_fp8_fp8 v[0:3], v[14:15], v[32:33], v[0:3]
	ds_read2_b32 v[14:15], v54 offset1:32
	s_waitcnt lgkmcnt(1)
	v_mfma_f32_16x16x32_fp8_fp8 v[0:3], v[28:29], v[34:35], v[0:3]
	ds_read2_b32 v[28:29], v54 offset0:128 offset1:160
	v_add_u32_e32 v34, 0x2c00, v53
	ds_read2_b32 v[32:33], v34 offset1:32
	s_waitcnt lgkmcnt(2)
	v_mfma_f32_16x16x32_fp8_fp8 v[0:3], v[14:15], v[36:37], v[0:3]
	v_add_u32_e32 v14, s19, v50
	v_add_u32_e32 v15, 2, v40
	v_cmp_lt_i32_e32 vcc, 0, v14
	s_waitcnt lgkmcnt(1)
	v_mfma_f32_16x16x32_fp8_fp8 v[0:3], v[28:29], v[38:39], v[0:3]
	ds_read2_b32 v[28:29], v34 offset0:128 offset1:160
	v_cndmask_b32_e32 v40, v40, v15, vcc
	;;#ASMSTART
	s_waitcnt lgkmcnt(0)
	;;#ASMEND
	s_waitcnt lgkmcnt(1)
	v_mfma_f32_16x16x32_fp8_fp8 v[0:3], v[32:33], v[30:31], v[0:3]
	ds_write_b32 v51, v52 offset:16392
	s_waitcnt lgkmcnt(1)
	v_mfma_f32_16x16x32_fp8_fp8 v[0:3], v[28:29], v[12:13], v[0:3]
	s_andn2_b64 exec, exec, s[8:9]
	s_cbranch_execz .LBB237_25
.LBB237_13:                             ;   Parent Loop BB237_7 Depth=1
                                        ; =>  This Loop Header: Depth=2
                                        ;       Child Loop BB237_15 Depth 3
                                        ;       Child Loop BB237_18 Depth 3
	;; [unrolled: 1-line block ×4, first 2 shown]
	v_cmp_lt_i32_e32 vcc, 0, v14
	s_nop 1
	v_subbrev_co_u32_e32 v50, vcc, 0, v14, vcc
	v_lshlrev_b32_e32 v12, 2, v50
	ds_read_b32 v13, v12 offset:16396
	v_add_u32_e32 v53, 0x4000, v12
	s_waitcnt lgkmcnt(0)
	v_cmp_ne_u32_e32 vcc, v13, v40
	s_and_saveexec_b64 s[38:39], vcc
	s_cbranch_execz .LBB237_16
; %bb.14:                               ;   in Loop: Header=BB237_13 Depth=2
	s_mov_b64 s[40:41], 0
.LBB237_15:                             ;   Parent Loop BB237_7 Depth=1
                                        ;     Parent Loop BB237_13 Depth=2
                                        ; =>    This Inner Loop Header: Depth=3
	;;#ASMSTART
	s_sleep 0
	;;#ASMEND
	ds_read_b32 v12, v53 offset:12
	s_waitcnt lgkmcnt(0)
	v_cmp_eq_u32_e32 vcc, v12, v40
	s_or_b64 s[40:41], vcc, s[40:41]
	s_andn2_b64 exec, exec, s[40:41]
	s_cbranch_execnz .LBB237_15
.LBB237_16:                             ;   in Loop: Header=BB237_13 Depth=2
	s_or_b64 exec, exec, s[38:39]
	v_or_b32_e32 v12, 0x3000, v41
	v_lshl_add_u32 v12, v50, 12, v12
	v_add_u32_e32 v13, 0x400, v12
	ds_read2_b32 v[14:15], v12 offset1:32
	ds_read2_b32 v[28:29], v12 offset0:128 offset1:160
	ds_read2_b32 v[32:33], v13 offset1:32
	ds_read2_b32 v[34:35], v13 offset0:128 offset1:160
	v_add_u32_e32 v13, 0x800, v12
	v_add_u32_e32 v12, 0xc00, v12
	v_mul_lo_u32 v51, v50, 12
	ds_read2_b32 v[36:37], v13 offset1:32
	ds_read2_b32 v[38:39], v13 offset0:128 offset1:160
	ds_read2_b32 v[30:31], v12 offset1:32
	ds_read2_b32 v[12:13], v12 offset0:128 offset1:160
	;;#ASMSTART
	s_waitcnt lgkmcnt(0)
	;;#ASMEND
	ds_read_b32 v54, v51 offset:16384
	v_add_u32_e32 v52, 1, v40
	ds_write_b32 v53, v52 offset:12
	s_waitcnt lgkmcnt(1)
	v_cmp_ne_u32_e32 vcc, v54, v40
	s_and_saveexec_b64 s[38:39], vcc
	s_cbranch_execz .LBB237_19
; %bb.17:                               ;   in Loop: Header=BB237_13 Depth=2
	s_mov_b64 s[40:41], 0
.LBB237_18:                             ;   Parent Loop BB237_7 Depth=1
                                        ;     Parent Loop BB237_13 Depth=2
                                        ; =>    This Inner Loop Header: Depth=3
	;;#ASMSTART
	s_sleep 0
	;;#ASMEND
	ds_read_b32 v53, v51 offset:16384
	s_waitcnt lgkmcnt(0)
	v_cmp_eq_u32_e32 vcc, v53, v40
	s_or_b64 s[40:41], vcc, s[40:41]
	s_andn2_b64 exec, exec, s[40:41]
	s_cbranch_execnz .LBB237_18
.LBB237_19:                             ;   in Loop: Header=BB237_13 Depth=2
	s_or_b64 exec, exec, s[38:39]
	v_mul_lo_u32 v53, v50, s46
	v_or_b32_e32 v58, v41, v53
	ds_read2_b32 v[54:55], v58 offset1:32
	ds_read2_b32 v[56:57], v58 offset0:128 offset1:160
	v_add_u32_e32 v59, 0x400, v58
	s_waitcnt lgkmcnt(1)
	v_mfma_f32_16x16x32_fp8_fp8 v[8:11], v[54:55], v[14:15], v[8:11]
	ds_read2_b32 v[54:55], v59 offset1:32
	s_waitcnt lgkmcnt(1)
	v_mfma_f32_16x16x32_fp8_fp8 v[8:11], v[56:57], v[28:29], v[8:11]
	ds_read2_b32 v[56:57], v59 offset0:128 offset1:160
	v_add_u32_e32 v59, 0x800, v58
	v_add_u32_e32 v58, 0xc00, v58
	s_waitcnt lgkmcnt(1)
	v_mfma_f32_16x16x32_fp8_fp8 v[8:11], v[54:55], v[32:33], v[8:11]
	ds_read2_b32 v[54:55], v59 offset1:32
	s_waitcnt lgkmcnt(1)
	v_mfma_f32_16x16x32_fp8_fp8 v[8:11], v[56:57], v[34:35], v[8:11]
	ds_read2_b32 v[56:57], v59 offset0:128 offset1:160
	s_waitcnt lgkmcnt(1)
	v_mfma_f32_16x16x32_fp8_fp8 v[8:11], v[54:55], v[36:37], v[8:11]
	ds_read2_b32 v[54:55], v58 offset1:32
	s_waitcnt lgkmcnt(1)
	v_mfma_f32_16x16x32_fp8_fp8 v[8:11], v[56:57], v[38:39], v[8:11]
	ds_read2_b32 v[56:57], v58 offset0:128 offset1:160
	;;#ASMSTART
	s_waitcnt lgkmcnt(0)
	;;#ASMEND
	ds_write_b32 v51, v52 offset:16384
	s_waitcnt lgkmcnt(2)
	v_mfma_f32_16x16x32_fp8_fp8 v[8:11], v[54:55], v[30:31], v[8:11]
	ds_read_b32 v54, v51 offset:16388
	s_waitcnt lgkmcnt(0)
	v_cmp_ne_u32_e32 vcc, v54, v40
	v_mfma_f32_16x16x32_fp8_fp8 v[8:11], v[56:57], v[12:13], v[8:11]
	s_and_saveexec_b64 s[38:39], vcc
	s_cbranch_execz .LBB237_22
; %bb.20:                               ;   in Loop: Header=BB237_13 Depth=2
	s_mov_b64 s[40:41], 0
.LBB237_21:                             ;   Parent Loop BB237_7 Depth=1
                                        ;     Parent Loop BB237_13 Depth=2
                                        ; =>    This Inner Loop Header: Depth=3
	;;#ASMSTART
	s_sleep 0
	;;#ASMEND
	ds_read_b32 v54, v51 offset:16388
	s_waitcnt lgkmcnt(0)
	v_cmp_eq_u32_e32 vcc, v54, v40
	s_or_b64 s[40:41], vcc, s[40:41]
	s_andn2_b64 exec, exec, s[40:41]
	s_cbranch_execnz .LBB237_21
.LBB237_22:                             ;   in Loop: Header=BB237_13 Depth=2
	s_or_b64 exec, exec, s[38:39]
	v_add_u32_e32 v53, v41, v53
	v_add_u32_e32 v56, 0x1000, v53
	ds_read2_b32 v[54:55], v56 offset1:32
	ds_read2_b32 v[56:57], v56 offset0:128 offset1:160
	v_add_u32_e32 v58, 0x1400, v53
	s_waitcnt lgkmcnt(1)
	v_mfma_f32_16x16x32_fp8_fp8 v[4:7], v[54:55], v[14:15], v[4:7]
	ds_read2_b32 v[54:55], v58 offset1:32
	s_waitcnt lgkmcnt(1)
	v_mfma_f32_16x16x32_fp8_fp8 v[4:7], v[56:57], v[28:29], v[4:7]
	ds_read2_b32 v[56:57], v58 offset0:128 offset1:160
	v_add_u32_e32 v58, 0x1800, v53
	s_waitcnt lgkmcnt(1)
	v_mfma_f32_16x16x32_fp8_fp8 v[4:7], v[54:55], v[32:33], v[4:7]
	ds_read2_b32 v[54:55], v58 offset1:32
	s_waitcnt lgkmcnt(1)
	v_mfma_f32_16x16x32_fp8_fp8 v[4:7], v[56:57], v[34:35], v[4:7]
	;; [unrolled: 7-line block ×3, first 2 shown]
	ds_read2_b32 v[56:57], v58 offset0:128 offset1:160
	;;#ASMSTART
	s_waitcnt lgkmcnt(0)
	;;#ASMEND
	ds_write_b32 v51, v52 offset:16388
	s_waitcnt lgkmcnt(2)
	v_mfma_f32_16x16x32_fp8_fp8 v[4:7], v[54:55], v[30:31], v[4:7]
	ds_read_b32 v54, v51 offset:16392
	s_waitcnt lgkmcnt(0)
	v_cmp_ne_u32_e32 vcc, v54, v40
	v_mfma_f32_16x16x32_fp8_fp8 v[4:7], v[56:57], v[12:13], v[4:7]
	s_and_saveexec_b64 s[38:39], vcc
	s_cbranch_execz .LBB237_12
; %bb.23:                               ;   in Loop: Header=BB237_13 Depth=2
	s_mov_b64 s[40:41], 0
.LBB237_24:                             ;   Parent Loop BB237_7 Depth=1
                                        ;     Parent Loop BB237_13 Depth=2
                                        ; =>    This Inner Loop Header: Depth=3
	;;#ASMSTART
	s_sleep 0
	;;#ASMEND
	ds_read_b32 v54, v51 offset:16392
	s_waitcnt lgkmcnt(0)
	v_cmp_eq_u32_e32 vcc, v54, v40
	s_or_b64 s[40:41], vcc, s[40:41]
	s_andn2_b64 exec, exec, s[40:41]
	s_cbranch_execnz .LBB237_24
	s_branch .LBB237_12
.LBB237_25:                             ;   in Loop: Header=BB237_7 Depth=1
	s_or_b64 exec, exec, s[8:9]
.LBB237_26:                             ;   in Loop: Header=BB237_7 Depth=1
	s_or_b64 exec, exec, s[6:7]
	v_cmp_le_i32_e32 vcc, s31, v16
	v_cmp_eq_u32_e64 s[6:7], 3, v42
	s_waitcnt vmcnt(0)
	v_cndmask_b32_e32 v12, 0, v49, vcc
	v_pk_mul_f32 v[28:29], v[12:13], v[8:9] op_sel_hi:[0,1]
	v_cmp_eq_u32_e32 vcc, 1, v42
	v_pk_mul_f32 v[10:11], v[12:13], v[10:11] op_sel_hi:[0,1]
	v_add_u32_e32 v13, s56, v44
	v_cndmask_b32_e32 v8, v28, v29, vcc
	v_cmp_eq_u32_e32 vcc, 2, v42
	s_nop 1
	v_cndmask_b32_e32 v8, v8, v10, vcc
	v_cndmask_b32_e64 v8, v8, v11, s[6:7]
	ds_bpermute_b32 v9, v47, v8
	s_waitcnt lgkmcnt(0)
	v_cndmask_b32_e32 v10, v10, v9, vcc
	v_cmp_ne_u32_e32 vcc, 0, v42
	v_cndmask_b32_e64 v15, v11, v9, s[6:7]
	s_nop 0
	v_cndmask_b32_e32 v8, v29, v9, vcc
	v_cmp_eq_u32_e32 vcc, 0, v42
	s_nop 1
	v_cndmask_b32_e32 v9, v28, v9, vcc
	v_cmp_eq_u32_e32 vcc, 1, v43
	;; [unrolled: 3-line block ×4, first 2 shown]
	s_nop 1
	v_cndmask_b32_e32 v11, v11, v15, vcc
	ds_bpermute_b32 v11, v47, v11
	v_cmp_gt_u32_e32 vcc, 48, v13
	s_and_saveexec_b64 s[38:39], vcc
	s_cbranch_execz .LBB237_33
; %bb.27:                               ;   in Loop: Header=BB237_7 Depth=1
	v_cmp_eq_u32_e64 s[8:9], 1, v43
	v_cmp_eq_u32_e64 s[6:7], 3, v43
	v_cmp_eq_u32_e32 vcc, 2, v43
	s_waitcnt lgkmcnt(0)
	v_cndmask_b32_e64 v8, v8, v11, s[8:9]
	v_cmp_eq_u32_e64 s[8:9], 0, v43
	v_cvt_f16_f32_sdwa v29, v8 dst_sel:WORD_1 dst_unused:UNUSED_PAD src0_sel:DWORD
	s_nop 0
	v_cndmask_b32_e64 v9, v9, v11, s[8:9]
	s_mul_i32 s8, s54, s13
	s_ashr_i32 s9, s8, 31
	s_lshl_b64 s[8:9], s[8:9], 1
	s_add_u32 s40, s24, s8
	s_addc_u32 s41, s25, s9
	s_ashr_i32 s31, s30, 31
	s_lshl_b64 s[8:9], s[30:31], 1
	v_cvt_f16_f32_e32 v28, v9
	s_add_u32 s40, s40, s8
	s_addc_u32 s41, s41, s9
	v_lshl_add_u64 v[8:9], v[18:19], 1, s[40:41]
	v_cmp_gt_u32_e64 s[8:9], 46, v13
	v_or_b32_e32 v28, v29, v28
	;;#ASMSTART
	global_atomic_pk_add_f16 v[8:9], v28, off
	
	;;#ASMEND
	s_and_b64 exec, exec, s[8:9]
	s_cbranch_execz .LBB237_33
; %bb.28:                               ;   in Loop: Header=BB237_7 Depth=1
	v_mov_b32_e32 v13, v12
	v_mov_b32_e32 v28, v12
	;; [unrolled: 1-line block ×3, first 2 shown]
	v_cndmask_b32_e64 v15, v15, v11, s[6:7]
	v_pk_mul_f32 v[6:7], v[28:29], v[6:7]
	v_pk_mul_f32 v[28:29], v[12:13], v[4:5]
	v_cmp_eq_u32_e64 s[6:7], 1, v42
	v_cmp_eq_u32_e64 s[8:9], 3, v42
	v_cvt_f16_f32_sdwa v15, v15 dst_sel:WORD_1 dst_unused:UNUSED_PAD src0_sel:DWORD
	v_cndmask_b32_e64 v4, v28, v29, s[6:7]
	v_cmp_eq_u32_e64 s[6:7], 2, v42
	s_nop 1
	v_cndmask_b32_e64 v4, v4, v6, s[6:7]
	v_cndmask_b32_e64 v4, v4, v7, s[8:9]
	ds_bpermute_b32 v5, v47, v4
	v_cndmask_b32_e32 v4, v10, v11, vcc
	v_cmp_ne_u32_e32 vcc, 0, v42
	v_lshl_add_u64 v[10:11], s[10:11], 2, v[8:9]
	v_cvt_f16_f32_e32 v9, v4
	s_waitcnt lgkmcnt(0)
	v_cndmask_b32_e32 v4, v29, v5, vcc
	v_cmp_eq_u32_e32 vcc, 0, v42
	v_cndmask_b32_e64 v8, v7, v5, s[8:9]
	v_cndmask_b32_e64 v6, v6, v5, s[6:7]
	v_cndmask_b32_e32 v5, v28, v5, vcc
	v_cmp_eq_u32_e32 vcc, 1, v43
	v_or_b32_e32 v9, v15, v9
	;;#ASMSTART
	global_atomic_pk_add_f16 v[10:11], v9, off
	
	;;#ASMEND
	v_or_b32_e32 v9, 16, v44
	v_cndmask_b32_e32 v7, v5, v4, vcc
	v_cmp_eq_u32_e32 vcc, 2, v43
	v_add_u32_e32 v9, s56, v9
	s_nop 0
	v_cndmask_b32_e32 v7, v7, v6, vcc
	v_cmp_eq_u32_e32 vcc, 3, v43
	s_nop 1
	v_cndmask_b32_e32 v7, v7, v8, vcc
	ds_bpermute_b32 v7, v47, v7
	v_cmp_gt_u32_e32 vcc, 48, v9
	s_and_b64 exec, exec, vcc
	s_cbranch_execz .LBB237_33
; %bb.29:                               ;   in Loop: Header=BB237_7 Depth=1
	v_cmp_eq_u32_e32 vcc, 1, v43
	v_cmp_eq_u32_e64 s[6:7], 3, v43
	v_cmp_gt_u32_e64 s[8:9], 46, v9
	s_waitcnt lgkmcnt(0)
	v_cndmask_b32_e32 v4, v4, v7, vcc
	v_cmp_eq_u32_e32 vcc, 0, v43
	v_cvt_f16_f32_sdwa v11, v4 dst_sel:WORD_1 dst_unused:UNUSED_PAD src0_sel:DWORD
	s_nop 0
	v_cndmask_b32_e32 v5, v5, v7, vcc
	v_cvt_f16_f32_e32 v10, v5
	v_cmp_eq_u32_e32 vcc, 2, v43
	v_lshl_add_u64 v[4:5], v[20:21], 1, s[40:41]
	v_or_b32_e32 v10, v11, v10
	;;#ASMSTART
	global_atomic_pk_add_f16 v[4:5], v10, off
	
	;;#ASMEND
	s_and_b64 exec, exec, s[8:9]
	s_cbranch_execz .LBB237_33
; %bb.30:                               ;   in Loop: Header=BB237_7 Depth=1
	v_cndmask_b32_e64 v15, v8, v7, s[6:7]
	v_mov_b32_e32 v8, v12
	v_mov_b32_e32 v9, v12
	v_pk_mul_f32 v[10:11], v[12:13], v[0:1]
	v_cmp_eq_u32_e64 s[6:7], 1, v42
	v_pk_mul_f32 v[8:9], v[8:9], v[2:3]
	v_cmp_eq_u32_e64 s[8:9], 3, v42
	v_cndmask_b32_e64 v0, v10, v11, s[6:7]
	v_cmp_eq_u32_e64 s[6:7], 2, v42
	v_cvt_f16_f32_sdwa v12, v15 dst_sel:WORD_1 dst_unused:UNUSED_PAD src0_sel:DWORD
	s_nop 0
	v_cndmask_b32_e64 v0, v0, v8, s[6:7]
	v_cndmask_b32_e64 v0, v0, v9, s[8:9]
	ds_bpermute_b32 v1, v47, v0
	v_cndmask_b32_e32 v0, v6, v7, vcc
	v_cmp_ne_u32_e32 vcc, 0, v42
	v_lshl_add_u64 v[6:7], s[10:11], 2, v[4:5]
	v_cvt_f16_f32_e32 v5, v0
	s_waitcnt lgkmcnt(0)
	v_cndmask_b32_e32 v0, v11, v1, vcc
	v_cmp_eq_u32_e32 vcc, 0, v42
	v_cndmask_b32_e64 v2, v9, v1, s[8:9]
	v_cndmask_b32_e64 v3, v8, v1, s[6:7]
	v_cndmask_b32_e32 v1, v10, v1, vcc
	v_cmp_eq_u32_e32 vcc, 1, v43
	v_or_b32_e32 v5, v12, v5
	;;#ASMSTART
	global_atomic_pk_add_f16 v[6:7], v5, off
	
	;;#ASMEND
	v_or_b32_e32 v5, 32, v44
	v_cndmask_b32_e32 v4, v1, v0, vcc
	v_cmp_eq_u32_e32 vcc, 2, v43
	v_add_u32_e32 v5, s56, v5
	s_nop 0
	v_cndmask_b32_e32 v4, v4, v3, vcc
	v_cmp_eq_u32_e32 vcc, 3, v43
	s_nop 1
	v_cndmask_b32_e32 v4, v4, v2, vcc
	ds_bpermute_b32 v4, v47, v4
	v_cmp_gt_u32_e32 vcc, 48, v5
	s_and_b64 exec, exec, vcc
	s_cbranch_execz .LBB237_33
; %bb.31:                               ;   in Loop: Header=BB237_7 Depth=1
	v_cmp_eq_u32_e32 vcc, 1, v43
	v_cmp_eq_u32_e64 s[6:7], 2, v43
	v_cmp_gt_u32_e64 s[8:9], 46, v5
	s_waitcnt lgkmcnt(0)
	v_cndmask_b32_e32 v0, v0, v4, vcc
	v_cmp_eq_u32_e32 vcc, 0, v43
	v_cvt_f16_f32_sdwa v7, v0 dst_sel:WORD_1 dst_unused:UNUSED_PAD src0_sel:DWORD
	s_nop 0
	v_cndmask_b32_e32 v1, v1, v4, vcc
	v_cvt_f16_f32_e32 v6, v1
	v_cmp_eq_u32_e32 vcc, 3, v43
	v_lshl_add_u64 v[0:1], v[22:23], 1, s[40:41]
	v_or_b32_e32 v6, v7, v6
	;;#ASMSTART
	global_atomic_pk_add_f16 v[0:1], v6, off
	
	;;#ASMEND
	s_and_b64 exec, exec, s[8:9]
	s_cbranch_execz .LBB237_33
; %bb.32:                               ;   in Loop: Header=BB237_7 Depth=1
	v_cndmask_b32_e32 v2, v2, v4, vcc
	v_cndmask_b32_e64 v3, v3, v4, s[6:7]
	v_cvt_f16_f32_sdwa v2, v2 dst_sel:WORD_1 dst_unused:UNUSED_PAD src0_sel:DWORD
	v_cvt_f16_f32_e32 v3, v3
	v_lshl_add_u64 v[0:1], s[10:11], 2, v[0:1]
	v_or_b32_e32 v2, v2, v3
	;;#ASMSTART
	global_atomic_pk_add_f16 v[0:1], v2, off
	
	;;#ASMEND
.LBB237_33:                             ;   in Loop: Header=BB237_7 Depth=1
	s_or_b64 exec, exec, s[38:39]
	v_subrev_u32_e32 v48, s57, v48
.LBB237_34:                             ;   in Loop: Header=BB237_7 Depth=1
	s_or_b64 exec, exec, s[36:37]
.LBB237_35:                             ;   in Loop: Header=BB237_7 Depth=1
	s_andn2_saveexec_b64 s[6:7], s[34:35]
	s_cbranch_execz .LBB237_44
; %bb.36:                               ;   in Loop: Header=BB237_7 Depth=1
	v_cmp_gt_i32_e32 vcc, s57, v48
	s_and_saveexec_b64 s[8:9], vcc
	s_cbranch_execz .LBB237_43
; %bb.37:                               ;   in Loop: Header=BB237_7 Depth=1
	s_mul_i32 s30, s30, s15
	s_ashr_i32 s31, s30, 31
	s_waitcnt lgkmcnt(0)
	s_add_u32 s30, s22, s30
	s_addc_u32 s31, s23, s31
	s_ashr_i32 s34, s55, 31
	s_add_u32 s30, s30, s55
	s_addc_u32 s31, s31, s34
	v_lshl_add_u64 v[0:1], s[30:31], 0, v[26:27]
	v_lshl_add_u64 v[28:29], v[0:1], 0, v[24:25]
	s_mov_b64 s[30:31], 0
	s_branch .LBB237_39
.LBB237_38:                             ;   in Loop: Header=BB237_39 Depth=2
	s_or_b64 exec, exec, s[34:35]
	v_or_b32_e32 v32, 0x3000, v46
	v_lshl_add_u32 v32, v30, 12, v32
	;;#ASMSTART
	s_waitcnt vmcnt(3)
	;;#ASMEND
	ds_write2_b32 v32, v12, v13 offset1:32
	ds_write2_b32 v32, v14, v15 offset0:64 offset1:96
	v_add_u32_e32 v12, 0x400, v32
	;;#ASMSTART
	s_waitcnt vmcnt(2)
	;;#ASMEND
	ds_write2_b32 v12, v8, v9 offset1:32
	ds_write2_b32 v12, v10, v11 offset0:64 offset1:96
	v_add_u32_e32 v8, 0x800, v32
	;; [unrolled: 6-line block ×3, first 2 shown]
	v_add_u32_e32 v48, s18, v48
	;;#ASMSTART
	s_waitcnt vmcnt(0)
	;;#ASMEND
	ds_write2_b32 v4, v0, v1 offset1:32
	ds_write2_b32 v4, v2, v3 offset0:64 offset1:96
	v_add_u32_e32 v0, 1, v40
	v_add_u32_e32 v14, s18, v30
	v_cmp_le_i32_e32 vcc, s57, v48
	ds_write_b32 v31, v0 offset:12
	v_add_u32_e32 v0, 2, v40
	s_or_b64 s[30:31], vcc, s[30:31]
	v_cmp_lt_i32_e32 vcc, 0, v14
	s_nop 1
	v_cndmask_b32_e32 v40, v40, v0, vcc
	s_andn2_b64 exec, exec, s[30:31]
	s_cbranch_execz .LBB237_42
.LBB237_39:                             ;   Parent Loop BB237_7 Depth=1
                                        ; =>  This Loop Header: Depth=2
                                        ;       Child Loop BB237_41 Depth 3
	v_cmp_lt_i32_e32 vcc, 0, v14
	v_lshlrev_b32_e32 v0, 8, v48
	v_ashrrev_i32_e32 v1, 31, v0
	v_subbrev_co_u32_e32 v30, vcc, 0, v14, vcc
	v_lshl_add_u64 v[0:1], v[28:29], 0, v[0:1]
	v_lshlrev_b32_e32 v31, 2, v30
	;;#ASMSTART
	global_load_dwordx4 v[12:15], v[0:1], off offset:0    sc0 sc1 nt  
	global_load_dwordx4 v[8:11], v[0:1], off offset:64   sc0 sc1 nt  
	global_load_dwordx4 v[4:7], v[0:1], off offset:128  sc0 sc1 nt  
	global_load_dwordx4 v[0:3], v[0:1], off offset:192  sc0 sc1 nt  
	
	;;#ASMEND
	ds_read_b32 v32, v31 offset:16396
	v_add_u32_e32 v31, 0x4000, v31
	s_waitcnt lgkmcnt(0)
	v_cmp_ne_u32_e32 vcc, v32, v40
	s_and_saveexec_b64 s[34:35], vcc
	s_cbranch_execz .LBB237_38
; %bb.40:                               ;   in Loop: Header=BB237_39 Depth=2
	s_mov_b64 s[36:37], 0
.LBB237_41:                             ;   Parent Loop BB237_7 Depth=1
                                        ;     Parent Loop BB237_39 Depth=2
                                        ; =>    This Inner Loop Header: Depth=3
	;;#ASMSTART
	s_sleep 0
	;;#ASMEND
	ds_read_b32 v32, v31 offset:12
	s_waitcnt lgkmcnt(0)
	v_cmp_eq_u32_e32 vcc, v32, v40
	s_or_b64 s[36:37], vcc, s[36:37]
	s_andn2_b64 exec, exec, s[36:37]
	s_cbranch_execnz .LBB237_41
	s_branch .LBB237_38
.LBB237_42:                             ;   in Loop: Header=BB237_7 Depth=1
	s_or_b64 exec, exec, s[30:31]
.LBB237_43:                             ;   in Loop: Header=BB237_7 Depth=1
	s_or_b64 exec, exec, s[8:9]
	v_subrev_u32_e32 v48, s57, v48
.LBB237_44:                             ;   in Loop: Header=BB237_7 Depth=1
	s_or_b64 exec, exec, s[6:7]
.LBB237_45:                             ;   in Loop: Header=BB237_7 Depth=1
	s_andn2_saveexec_b64 s[6:7], s[28:29]
	s_cbranch_execz .LBB237_6
; %bb.46:                               ;   in Loop: Header=BB237_7 Depth=1
	s_mul_i32 s57, s57, 3
	v_cmp_gt_i32_e32 vcc, s57, v48
	s_and_saveexec_b64 s[8:9], vcc
	s_cbranch_execz .LBB237_5
; %bb.47:                               ;   in Loop: Header=BB237_7 Depth=1
	s_mul_i32 s54, s54, s14
	s_ashr_i32 s28, s54, 31
	s_waitcnt lgkmcnt(0)
	s_add_u32 s29, s20, s54
	v_add_u32_e32 v2, s56, v45
	s_addc_u32 s30, s21, s28
	s_ashr_i32 s31, s55, 31
	v_mul_lo_u32 v0, s14, v45
	v_cmp_gt_u32_e32 vcc, 48, v2
	s_add_u32 s28, s29, s55
	s_addc_u32 s29, s30, s31
	v_cndmask_b32_e32 v0, 0, v0, vcc
	v_ashrrev_i32_e32 v1, 31, v0
	v_lshl_add_u64 v[0:1], s[28:29], 0, v[0:1]
	v_lshl_add_u64 v[28:29], v[0:1], 0, v[24:25]
	v_sub_u32_e32 v30, 47, v2
	s_mov_b64 s[28:29], 0
	s_branch .LBB237_49
.LBB237_48:                             ;   in Loop: Header=BB237_49 Depth=2
	s_or_b64 exec, exec, s[30:31]
	v_lshl_or_b32 v33, v31, 12, v46
	;;#ASMSTART
	s_waitcnt vmcnt(3)
	;;#ASMEND
	ds_write2_b32 v33, v12, v13 offset1:32
	ds_write2_b32 v33, v14, v15 offset0:64 offset1:96
	v_add_u32_e32 v12, 0x400, v33
	;;#ASMSTART
	s_waitcnt vmcnt(2)
	;;#ASMEND
	ds_write2_b32 v12, v8, v9 offset1:32
	ds_write2_b32 v12, v10, v11 offset0:64 offset1:96
	v_add_u32_e32 v8, 0x800, v33
	;; [unrolled: 6-line block ×3, first 2 shown]
	v_add_u32_e32 v48, s17, v48
	;;#ASMSTART
	s_waitcnt vmcnt(0)
	;;#ASMEND
	ds_write2_b32 v4, v0, v1 offset1:32
	ds_write2_b32 v4, v2, v3 offset0:64 offset1:96
	v_add_u32_e32 v0, 1, v40
	v_add_u32_e32 v14, s17, v31
	v_cmp_le_i32_e32 vcc, s57, v48
	ds_write_b32 v32, v0
	v_add_u32_e32 v0, 2, v40
	s_or_b64 s[28:29], vcc, s[28:29]
	v_cmp_lt_i32_e32 vcc, 2, v14
	s_nop 1
	v_cndmask_b32_e32 v40, v40, v0, vcc
	s_andn2_b64 exec, exec, s[28:29]
	s_cbranch_execz .LBB237_4
.LBB237_49:                             ;   Parent Loop BB237_7 Depth=1
                                        ; =>  This Loop Header: Depth=2
                                        ;       Child Loop BB237_51 Depth 3
	v_cmp_gt_i32_e32 vcc, 3, v14
	s_nop 1
	v_cndmask_b32_e64 v0, -3, 0, vcc
	v_add_u32_e32 v31, v0, v14
	v_mul_hi_i32 v0, v48, s53
	v_lshrrev_b32_e32 v1, 31, v0
	v_add_u32_e32 v0, v0, v1
	v_lshl_add_u32 v1, v0, 1, v0
	v_sub_u32_e32 v1, v48, v1
	v_lshlrev_b32_e32 v1, 4, v1
	v_cmp_le_i32_e32 vcc, v1, v30
	v_lshlrev_b32_e32 v0, 8, v0
	v_lshlrev_b32_e32 v32, 2, v31
	v_cndmask_b32_e32 v2, 0, v1, vcc
	v_ashrrev_i32_e32 v1, 31, v0
	v_mul_lo_u32 v2, v2, s14
	v_lshl_add_u64 v[0:1], v[28:29], 0, v[0:1]
	v_ashrrev_i32_e32 v3, 31, v2
	v_lshl_add_u64 v[0:1], v[0:1], 0, v[2:3]
	;;#ASMSTART
	global_load_dwordx4 v[12:15], v[0:1], off offset:0    
	global_load_dwordx4 v[8:11], v[0:1], off offset:64   
	;; [unrolled: 1-line block ×4, first 2 shown]
	
	;;#ASMEND
	ds_read_b32 v33, v32 offset:16384
	v_add_u32_e32 v32, 0x4000, v32
	s_waitcnt lgkmcnt(0)
	v_cmp_ne_u32_e32 vcc, v33, v40
	s_and_saveexec_b64 s[30:31], vcc
	s_cbranch_execz .LBB237_48
; %bb.50:                               ;   in Loop: Header=BB237_49 Depth=2
	s_mov_b64 s[34:35], 0
.LBB237_51:                             ;   Parent Loop BB237_7 Depth=1
                                        ;     Parent Loop BB237_49 Depth=2
                                        ; =>    This Inner Loop Header: Depth=3
	;;#ASMSTART
	s_sleep 0
	;;#ASMEND
	ds_read_b32 v33, v32
	s_waitcnt lgkmcnt(0)
	v_cmp_eq_u32_e32 vcc, v33, v40
	s_or_b64 s[34:35], vcc, s[34:35]
	s_andn2_b64 exec, exec, s[34:35]
	s_cbranch_execnz .LBB237_51
	s_branch .LBB237_48
.LBB237_52:
	s_endpgm
	.section	.rodata,"a",@progbits
	.p2align	6, 0x0
	.amdhsa_kernel _Z19_skinny_gemm_kernelILi3ELi1ELi1ELi16ELi8EEvPKhS1_P6__halfPKfiiiiiiii
		.amdhsa_group_segment_fixed_size 16400
		.amdhsa_private_segment_fixed_size 0
		.amdhsa_kernarg_size 64
		.amdhsa_user_sgpr_count 2
		.amdhsa_user_sgpr_dispatch_ptr 0
		.amdhsa_user_sgpr_queue_ptr 0
		.amdhsa_user_sgpr_kernarg_segment_ptr 1
		.amdhsa_user_sgpr_dispatch_id 0
		.amdhsa_user_sgpr_kernarg_preload_length 0
		.amdhsa_user_sgpr_kernarg_preload_offset 0
		.amdhsa_user_sgpr_private_segment_size 0
		.amdhsa_uses_dynamic_stack 0
		.amdhsa_enable_private_segment 0
		.amdhsa_system_sgpr_workgroup_id_x 1
		.amdhsa_system_sgpr_workgroup_id_y 0
		.amdhsa_system_sgpr_workgroup_id_z 0
		.amdhsa_system_sgpr_workgroup_info 0
		.amdhsa_system_vgpr_workitem_id 0
		.amdhsa_next_free_vgpr 60
		.amdhsa_next_free_sgpr 58
		.amdhsa_accum_offset 60
		.amdhsa_reserve_vcc 1
		.amdhsa_float_round_mode_32 0
		.amdhsa_float_round_mode_16_64 0
		.amdhsa_float_denorm_mode_32 3
		.amdhsa_float_denorm_mode_16_64 3
		.amdhsa_dx10_clamp 1
		.amdhsa_ieee_mode 1
		.amdhsa_fp16_overflow 0
		.amdhsa_tg_split 0
		.amdhsa_exception_fp_ieee_invalid_op 0
		.amdhsa_exception_fp_denorm_src 0
		.amdhsa_exception_fp_ieee_div_zero 0
		.amdhsa_exception_fp_ieee_overflow 0
		.amdhsa_exception_fp_ieee_underflow 0
		.amdhsa_exception_fp_ieee_inexact 0
		.amdhsa_exception_int_div_zero 0
	.end_amdhsa_kernel
	.section	.text._Z19_skinny_gemm_kernelILi3ELi1ELi1ELi16ELi8EEvPKhS1_P6__halfPKfiiiiiiii,"axG",@progbits,_Z19_skinny_gemm_kernelILi3ELi1ELi1ELi16ELi8EEvPKhS1_P6__halfPKfiiiiiiii,comdat
.Lfunc_end237:
	.size	_Z19_skinny_gemm_kernelILi3ELi1ELi1ELi16ELi8EEvPKhS1_P6__halfPKfiiiiiiii, .Lfunc_end237-_Z19_skinny_gemm_kernelILi3ELi1ELi1ELi16ELi8EEvPKhS1_P6__halfPKfiiiiiiii
                                        ; -- End function
	.set _Z19_skinny_gemm_kernelILi3ELi1ELi1ELi16ELi8EEvPKhS1_P6__halfPKfiiiiiiii.num_vgpr, 60
	.set _Z19_skinny_gemm_kernelILi3ELi1ELi1ELi16ELi8EEvPKhS1_P6__halfPKfiiiiiiii.num_agpr, 0
	.set _Z19_skinny_gemm_kernelILi3ELi1ELi1ELi16ELi8EEvPKhS1_P6__halfPKfiiiiiiii.numbered_sgpr, 58
	.set _Z19_skinny_gemm_kernelILi3ELi1ELi1ELi16ELi8EEvPKhS1_P6__halfPKfiiiiiiii.num_named_barrier, 0
	.set _Z19_skinny_gemm_kernelILi3ELi1ELi1ELi16ELi8EEvPKhS1_P6__halfPKfiiiiiiii.private_seg_size, 0
	.set _Z19_skinny_gemm_kernelILi3ELi1ELi1ELi16ELi8EEvPKhS1_P6__halfPKfiiiiiiii.uses_vcc, 1
	.set _Z19_skinny_gemm_kernelILi3ELi1ELi1ELi16ELi8EEvPKhS1_P6__halfPKfiiiiiiii.uses_flat_scratch, 0
	.set _Z19_skinny_gemm_kernelILi3ELi1ELi1ELi16ELi8EEvPKhS1_P6__halfPKfiiiiiiii.has_dyn_sized_stack, 0
	.set _Z19_skinny_gemm_kernelILi3ELi1ELi1ELi16ELi8EEvPKhS1_P6__halfPKfiiiiiiii.has_recursion, 0
	.set _Z19_skinny_gemm_kernelILi3ELi1ELi1ELi16ELi8EEvPKhS1_P6__halfPKfiiiiiiii.has_indirect_call, 0
	.section	.AMDGPU.csdata,"",@progbits
; Kernel info:
; codeLenInByte = 4360
; TotalNumSgprs: 64
; NumVgprs: 60
; NumAgprs: 0
; TotalNumVgprs: 60
; ScratchSize: 0
; MemoryBound: 0
; FloatMode: 240
; IeeeMode: 1
; LDSByteSize: 16400 bytes/workgroup (compile time only)
; SGPRBlocks: 7
; VGPRBlocks: 7
; NumSGPRsForWavesPerEU: 64
; NumVGPRsForWavesPerEU: 60
; AccumOffset: 60
; Occupancy: 8
; WaveLimiterHint : 0
; COMPUTE_PGM_RSRC2:SCRATCH_EN: 0
; COMPUTE_PGM_RSRC2:USER_SGPR: 2
; COMPUTE_PGM_RSRC2:TRAP_HANDLER: 0
; COMPUTE_PGM_RSRC2:TGID_X_EN: 1
; COMPUTE_PGM_RSRC2:TGID_Y_EN: 0
; COMPUTE_PGM_RSRC2:TGID_Z_EN: 0
; COMPUTE_PGM_RSRC2:TIDIG_COMP_CNT: 0
; COMPUTE_PGM_RSRC3_GFX90A:ACCUM_OFFSET: 14
; COMPUTE_PGM_RSRC3_GFX90A:TG_SPLIT: 0
	.section	.text._Z19_skinny_gemm_kernelILi3ELi1ELi1ELi32ELi4EEvPKhS1_P6__halfPKfiiiiiiii,"axG",@progbits,_Z19_skinny_gemm_kernelILi3ELi1ELi1ELi32ELi4EEvPKhS1_P6__halfPKfiiiiiiii,comdat
	.protected	_Z19_skinny_gemm_kernelILi3ELi1ELi1ELi32ELi4EEvPKhS1_P6__halfPKfiiiiiiii ; -- Begin function _Z19_skinny_gemm_kernelILi3ELi1ELi1ELi32ELi4EEvPKhS1_P6__halfPKfiiiiiiii
	.globl	_Z19_skinny_gemm_kernelILi3ELi1ELi1ELi32ELi4EEvPKhS1_P6__halfPKfiiiiiiii
	.p2align	8
	.type	_Z19_skinny_gemm_kernelILi3ELi1ELi1ELi32ELi4EEvPKhS1_P6__halfPKfiiiiiiii,@function
_Z19_skinny_gemm_kernelILi3ELi1ELi1ELi32ELi4EEvPKhS1_P6__halfPKfiiiiiiii: ; @_Z19_skinny_gemm_kernelILi3ELi1ELi1ELi32ELi4EEvPKhS1_P6__halfPKfiiiiiiii
; %bb.0:
	v_cmp_gt_u32_e32 vcc, 4, v0
	s_and_saveexec_b64 s[4:5], vcc
; %bb.1:
	v_lshlrev_b32_e32 v1, 2, v0
	v_mov_b32_e32 v2, 0
	ds_write_b32 v1, v2 offset:8192
; %bb.2:
	s_or_b64 exec, exec, s[4:5]
	s_load_dwordx8 s[36:43], s[0:1], 0x20
	s_waitcnt lgkmcnt(0)
	s_barrier
	s_add_i32 s3, s36, 0x5f
	s_add_i32 s4, s37, 31
	s_mul_hi_i32 s3, s3, 0x2aaaaaab
	s_lshr_b32 s5, s3, 31
	s_ashr_i32 s33, s3, 4
	s_ashr_i32 s3, s4, 31
	s_lshr_b32 s3, s3, 27
	s_add_i32 s4, s4, s3
	s_add_i32 s33, s33, s5
	s_ashr_i32 s62, s4, 5
	s_mul_i32 s3, s62, s33
	s_mul_i32 s3, s3, s40
	s_add_i32 s4, s3, 0x12f
	s_mul_hi_i32 s4, s4, 0x6bca1af3
	s_lshr_b32 s5, s4, 31
	s_ashr_i32 s4, s4, 7
	s_add_i32 s4, s4, s5
	s_add_i32 s5, s2, 1
	s_mul_i32 s5, s4, s5
	v_cvt_f64_i32_e32 v[2:3], s3
	v_cvt_f64_u32_e32 v[4:5], s5
	v_min_f64 v[2:3], v[2:3], v[4:5]
	v_cvt_i32_f64_e32 v46, v[2:3]
	s_mul_i32 s63, s4, s2
	v_cmp_ge_i32_e32 vcc, s63, v46
	s_cbranch_vccnz .LBB238_48
; %bb.3:
	v_lshrrev_b32_e32 v1, 6, v0
	s_add_i32 s4, s42, s41
	s_load_dwordx8 s[44:51], s[0:1], 0x0
	v_cmp_le_i32_e64 s[0:1], s4, v1
	v_mov_b32_e32 v2, s41
	v_cmp_le_i32_e64 s[2:3], s41, v1
	v_mov_b32_e32 v3, s42
	v_cndmask_b32_e64 v3, 0, v3, s[0:1]
	v_cndmask_b32_e64 v2, 0, v2, s[2:3]
	s_abs_i32 s5, s40
	v_add_u32_e32 v2, v2, v3
	v_cvt_f32_u32_e32 v3, s5
	v_sub_u32_e32 v40, v1, v2
	s_ashr_i32 s6, s38, 31
	s_lshr_b32 s6, s6, 26
	v_rcp_iflag_f32_e32 v2, v3
	s_sub_i32 s9, 0, s5
	s_add_i32 s6, s38, s6
	s_ashr_i32 s6, s6, 6
	v_mul_f32_e32 v2, 0x4f7ffffe, v2
	v_cvt_u32_f32_e32 v2, v2
	s_abs_i32 s8, s6
	s_xor_b32 s7, s6, s40
	s_ashr_i32 s7, s7, 31
	v_readfirstlane_b32 s10, v2
	s_mul_i32 s9, s9, s10
	s_mul_hi_u32 s9, s10, s9
	s_add_i32 s10, s10, s9
	s_mul_hi_u32 s9, s8, s10
	s_mul_i32 s10, s9, s5
	s_sub_i32 s8, s8, s10
	s_add_i32 s10, s9, 1
	s_sub_i32 s11, s8, s5
	s_cmp_ge_u32 s8, s5
	s_cselect_b32 s9, s10, s9
	s_cselect_b32 s8, s11, s8
	s_add_i32 s10, s9, 1
	s_cmp_ge_u32 s8, s5
	s_cselect_b32 s5, s10, s9
	s_xor_b32 s5, s5, s7
	s_sub_i32 s64, s5, s7
	s_add_i32 s40, s40, -1
	s_mul_i32 s5, s64, s40
	s_add_i32 s4, s4, s43
	v_and_b32_e32 v48, 31, v0
	v_lshrrev_b32_e32 v2, 3, v0
	s_sub_i32 s65, s6, s5
	v_cmp_gt_i32_e64 s[4:5], s4, v1
	v_lshlrev_b32_e32 v1, 2, v48
	v_and_b32_e32 v3, 4, v2
	v_and_b32_e32 v5, 1, v0
	v_lshlrev_b32_e32 v2, 6, v3
	v_or_b32_e32 v4, 0x1800, v1
	v_or_b32_e32 v3, v3, v5
	;; [unrolled: 1-line block ×4, first 2 shown]
	v_lshlrev_b32_e32 v2, 1, v5
	v_or_b32_e32 v5, 2, v3
	v_sub_u32_e32 v60, 32, v5
	v_or_b32_e32 v5, 8, v3
	v_sub_u32_e32 v61, 32, v5
	;; [unrolled: 2-line block ×5, first 2 shown]
	v_mul_lo_u32 v18, s37, v3
	v_sub_u32_e32 v64, 32, v5
	v_or_b32_e32 v5, 24, v3
	v_or_b32_e32 v3, 26, v3
	v_sub_u32_e32 v66, 32, v3
	v_lshrrev_b32_e32 v3, 1, v0
	s_abs_i32 s66, s33
	v_and_b32_e32 v34, 16, v3
	v_cvt_f32_u32_e32 v3, s66
	v_sub_u32_e32 v2, v0, v2
	v_add_u32_e32 v2, 1, v2
	v_and_b32_e32 v6, 63, v2
	v_bitop3_b32 v51, v0, 1, v0 bitop3:0xc
	v_bitop3_b32 v52, v0, 3, 1 bitop3:0x6c
	;; [unrolled: 1-line block ×8, first 2 shown]
	v_and_b32_e32 v2, 30, v0
	v_lshlrev_b32_e32 v0, 4, v0
	v_and_b32_e32 v0, 0x200, v0
	v_rcp_iflag_f32_e32 v3, v3
	s_abs_i32 s67, s62
	v_or_b32_e32 v69, v1, v0
	v_cvt_f32_u32_e32 v1, s67
	s_lshl_b32 s6, s37, 1
	v_add_u32_e32 v20, s6, v18
	s_mul_i32 s7, s37, 6
	v_or_b32_e32 v67, v4, v0
	v_mul_f32_e32 v0, 0x4f7ffffe, v3
	v_add_u32_e32 v22, s7, v20
	v_cvt_u32_f32_e32 v0, v0
	v_rcp_iflag_f32_e32 v1, v1
	v_add_u32_e32 v24, s6, v22
	v_add_u32_e32 v26, s7, v24
	;; [unrolled: 1-line block ×4, first 2 shown]
	v_readfirstlane_b32 s7, v0
	v_mul_f32_e32 v0, 0x4f7ffffe, v1
	v_cvt_u32_f32_e32 v0, v0
	v_add_u32_e32 v32, s6, v30
	s_sub_i32 s6, 0, s66
	s_mul_i32 s6, s6, s7
	s_mul_hi_u32 s6, s7, s6
	s_add_i32 s69, s7, s6
	s_sub_i32 s6, 0, s67
	v_readfirstlane_b32 s7, v0
	v_mbcnt_lo_u32_b32 v0, -1, 0
	s_mul_i32 s6, s6, s7
	v_mbcnt_hi_u32_b32 v0, -1, v0
	v_mov_b32_e32 v17, 0
	v_mul_lo_u32 v36, s39, v48
	s_mul_hi_u32 s6, s7, s6
	v_and_or_b32 v0, v0, 64, v6
	v_cndmask_b32_e64 v47, 0, 1, s[0:1]
	v_ashrrev_i32_e32 v19, 31, v18
	v_ashrrev_i32_e32 v21, 31, v20
	;; [unrolled: 1-line block ×6, first 2 shown]
	v_sub_u32_e32 v65, 32, v5
	v_ashrrev_i32_e32 v31, 31, v30
	v_ashrrev_i32_e32 v33, 31, v32
	;; [unrolled: 1-line block ×3, first 2 shown]
	v_mov_b32_e32 v35, v17
	v_mul_lo_u32 v68, s38, v48
	s_ashr_i32 s68, s33, 31
	s_ashr_i32 s70, s62, 31
	s_add_i32 s71, s7, s6
	s_movk_i32 s72, 0x60
	v_lshlrev_b32_e32 v16, 1, v2
	s_mov_b32 s73, 0x55555556
	v_lshlrev_b32_e32 v70, 2, v0
	v_mov_b32_e32 v71, v40
	s_branch .LBB238_7
.LBB238_4:                              ;   in Loop: Header=BB238_7 Depth=1
	s_or_b64 exec, exec, s[10:11]
.LBB238_5:                              ;   in Loop: Header=BB238_7 Depth=1
	s_or_b64 exec, exec, s[8:9]
	v_subrev_u32_e32 v71, s77, v71
.LBB238_6:                              ;   in Loop: Header=BB238_7 Depth=1
	s_or_b64 exec, exec, s[6:7]
	s_add_i32 s63, s63, 1
	v_cmp_ge_i32_e32 vcc, s63, v46
	s_cbranch_vccnz .LBB238_48
.LBB238_7:                              ; =>This Loop Header: Depth=1
                                        ;     Child Loop BB238_13 Depth 2
                                        ;       Child Loop BB238_15 Depth 3
                                        ;       Child Loop BB238_18 Depth 3
                                        ;     Child Loop BB238_35 Depth 2
                                        ;       Child Loop BB238_37 Depth 3
                                        ;     Child Loop BB238_45 Depth 2
                                        ;       Child Loop BB238_47 Depth 3
	s_abs_i32 s7, s63
	s_mul_hi_u32 s8, s7, s69
	s_mul_i32 s9, s8, s66
	s_ashr_i32 s6, s63, 31
	s_sub_i32 s7, s7, s9
	s_xor_b32 s6, s6, s68
	s_add_i32 s9, s8, 1
	s_sub_i32 s10, s7, s66
	s_cmp_ge_u32 s7, s66
	s_cselect_b32 s8, s9, s8
	s_cselect_b32 s7, s10, s7
	s_add_i32 s9, s8, 1
	s_cmp_ge_u32 s7, s66
	s_cselect_b32 s7, s9, s8
	s_xor_b32 s7, s7, s6
	s_sub_i32 s6, s7, s6
	s_abs_i32 s8, s6
	s_mul_hi_u32 s9, s8, s71
	s_mul_i32 s7, s6, s33
	s_mul_i32 s10, s9, s67
	s_sub_i32 s74, s63, s7
	s_ashr_i32 s7, s6, 31
	s_sub_i32 s8, s8, s10
	s_xor_b32 s7, s7, s70
	s_add_i32 s10, s9, 1
	s_sub_i32 s11, s8, s67
	s_cmp_ge_u32 s8, s67
	s_cselect_b32 s9, s10, s9
	s_cselect_b32 s8, s11, s8
	s_add_i32 s10, s9, 1
	s_cmp_ge_u32 s8, s67
	s_cselect_b32 s8, s10, s9
	s_xor_b32 s8, s8, s7
	s_sub_i32 s7, s8, s7
	s_mul_i32 s8, s7, s64
	s_lshl_b32 s75, s8, 6
	s_mulk_i32 s74, 0x60
	s_cmp_eq_u32 s7, s40
	s_cselect_b32 s77, s65, s64
	s_sub_i32 s76, s74, s36
	s_addk_i32 s76, 0x60
	s_and_saveexec_b64 s[8:9], s[2:3]
	s_xor_b64 s[52:53], exec, s[8:9]
	s_cbranch_execz .LBB238_41
; %bb.8:                                ;   in Loop: Header=BB238_7 Depth=1
	s_mul_i32 s7, s7, s62
	s_sub_i32 s6, s6, s7
	s_lshl_b32 s6, s6, 5
	s_sub_i32 s14, s6, s37
	s_add_i32 s14, s14, 32
	s_max_i32 s7, s14, 0
	s_sub_i32 s54, s6, s7
	s_and_saveexec_b64 s[6:7], s[0:1]
	s_xor_b64 s[56:57], exec, s[6:7]
	s_cbranch_execz .LBB238_31
; %bb.9:                                ;   in Loop: Header=BB238_7 Depth=1
	s_and_saveexec_b64 s[58:59], s[4:5]
	s_cbranch_execz .LBB238_30
; %bb.10:                               ;   in Loop: Header=BB238_7 Depth=1
	s_waitcnt lgkmcnt(0)
	global_load_dword v72, v17, s[50:51]
	v_mov_b32_e32 v15, 0
	v_cmp_gt_i32_e32 vcc, s77, v71
	v_mov_b32_e32 v14, v15
	v_mov_b32_e32 v13, v15
	;; [unrolled: 1-line block ×15, first 2 shown]
	s_and_saveexec_b64 s[6:7], vcc
	s_cbranch_execz .LBB238_20
; %bb.11:                               ;   in Loop: Header=BB238_7 Depth=1
	v_mov_b32_e32 v0, 0
	s_mov_b64 s[8:9], 0
	v_mov_b32_e32 v1, v0
	v_mov_b32_e32 v2, v0
	v_mov_b32_e32 v3, v0
	v_mov_b32_e32 v4, v0
	v_mov_b32_e32 v5, v0
	v_mov_b32_e32 v6, v0
	v_mov_b32_e32 v7, v0
	v_mov_b32_e32 v8, v0
	v_mov_b32_e32 v9, v0
	v_mov_b32_e32 v10, v0
	v_mov_b32_e32 v11, v0
	v_mov_b32_e32 v12, v0
	v_mov_b32_e32 v13, v0
	v_mov_b32_e32 v14, v0
	v_mov_b32_e32 v15, v0
	s_branch .LBB238_13
.LBB238_12:                             ;   in Loop: Header=BB238_13 Depth=2
	s_or_b64 exec, exec, s[10:11]
	v_add_u32_e32 v78, v50, v76
	ds_read2_b32 v[76:77], v78 offset1:32
	v_add_u32_e32 v71, s43, v71
	s_waitcnt lgkmcnt(0)
	v_mfma_f32_32x32x16_fp8_fp8 v[0:15], v[44:45], v[76:77], v[0:15]
	ds_read2_b32 v[44:45], v78 offset0:128 offset1:160
	s_waitcnt lgkmcnt(0)
	v_mfma_f32_32x32x16_fp8_fp8 v[0:15], v[42:43], v[44:45], v[0:15]
	v_add_u32_e32 v44, 0x400, v78
	ds_read2_b32 v[42:43], v44 offset1:32
	ds_read2_b32 v[44:45], v44 offset0:128 offset1:160
	ds_write_b32 v74, v75 offset:8196
	s_waitcnt lgkmcnt(2)
	v_mfma_f32_32x32x16_fp8_fp8 v[0:15], v[40:41], v[42:43], v[0:15]
	v_add_u32_e32 v40, s43, v73
	v_add_u32_e32 v41, 2, v47
	v_cmp_lt_i32_e32 vcc, 0, v40
	s_nop 1
	v_cndmask_b32_e32 v47, v47, v41, vcc
	v_cmp_le_i32_e32 vcc, s77, v71
	s_waitcnt lgkmcnt(1)
	v_mfma_f32_32x32x16_fp8_fp8 v[0:15], v[38:39], v[44:45], v[0:15]
	s_or_b64 s[8:9], vcc, s[8:9]
	s_andn2_b64 exec, exec, s[8:9]
	s_cbranch_execz .LBB238_19
.LBB238_13:                             ;   Parent Loop BB238_7 Depth=1
                                        ; =>  This Loop Header: Depth=2
                                        ;       Child Loop BB238_15 Depth 3
                                        ;       Child Loop BB238_18 Depth 3
	v_cmp_lt_i32_e32 vcc, 0, v40
	s_nop 1
	v_subbrev_co_u32_e32 v73, vcc, 0, v40, vcc
	v_lshlrev_b32_e32 v74, 3, v73
	ds_read_b32 v38, v74 offset:8192
	s_waitcnt lgkmcnt(0)
	v_cmp_ne_u32_e32 vcc, v38, v47
	s_and_saveexec_b64 s[10:11], vcc
	s_cbranch_execz .LBB238_16
; %bb.14:                               ;   in Loop: Header=BB238_13 Depth=2
	s_mov_b64 s[12:13], 0
.LBB238_15:                             ;   Parent Loop BB238_7 Depth=1
                                        ;     Parent Loop BB238_13 Depth=2
                                        ; =>    This Inner Loop Header: Depth=3
	;;#ASMSTART
	s_sleep 0
	;;#ASMEND
	ds_read_b32 v38, v74 offset:8192
	s_waitcnt lgkmcnt(0)
	v_cmp_eq_u32_e32 vcc, v38, v47
	s_or_b64 s[12:13], vcc, s[12:13]
	s_andn2_b64 exec, exec, s[12:13]
	s_cbranch_execnz .LBB238_15
.LBB238_16:                             ;   in Loop: Header=BB238_13 Depth=2
	s_or_b64 exec, exec, s[10:11]
	v_lshlrev_b32_e32 v76, 11, v73
	v_or_b32_e32 v38, v49, v76
	ds_read2_b32 v[44:45], v38 offset1:32
	ds_read2_b32 v[42:43], v38 offset0:128 offset1:160
	v_add_u32_e32 v38, 0x400, v38
	ds_read2_b32 v[40:41], v38 offset1:32
	ds_read_b32 v77, v74 offset:8196
	ds_read2_b32 v[38:39], v38 offset0:128 offset1:160
	v_add_u32_e32 v75, 1, v47
	ds_write_b32 v74, v75 offset:8192
	s_waitcnt lgkmcnt(2)
	v_cmp_ne_u32_e32 vcc, v77, v47
	s_and_saveexec_b64 s[10:11], vcc
	s_cbranch_execz .LBB238_12
; %bb.17:                               ;   in Loop: Header=BB238_13 Depth=2
	s_mov_b64 s[12:13], 0
.LBB238_18:                             ;   Parent Loop BB238_7 Depth=1
                                        ;     Parent Loop BB238_13 Depth=2
                                        ; =>    This Inner Loop Header: Depth=3
	;;#ASMSTART
	s_sleep 0
	;;#ASMEND
	ds_read_b32 v77, v74 offset:8196
	s_waitcnt lgkmcnt(0)
	v_cmp_eq_u32_e32 vcc, v77, v47
	s_or_b64 s[12:13], vcc, s[12:13]
	s_andn2_b64 exec, exec, s[12:13]
	s_cbranch_execnz .LBB238_18
	s_branch .LBB238_12
.LBB238_19:                             ;   in Loop: Header=BB238_7 Depth=1
	s_or_b64 exec, exec, s[8:9]
.LBB238_20:                             ;   in Loop: Header=BB238_7 Depth=1
	s_or_b64 exec, exec, s[6:7]
	v_cmp_le_i32_e32 vcc, s14, v48
	v_cmp_eq_u32_e64 s[6:7], 3, v51
	v_cmp_eq_u32_e64 s[8:9], 4, v51
	s_waitcnt vmcnt(0)
	v_cndmask_b32_e32 v38, 0, v72, vcc
	s_nop 1
	v_pk_mul_f32 v[0:1], v[38:39], v[0:1] op_sel_hi:[0,1]
	v_cmp_eq_u32_e32 vcc, 1, v51
	v_pk_mul_f32 v[14:15], v[38:39], v[14:15] op_sel_hi:[0,1]
	v_pk_mul_f32 v[12:13], v[38:39], v[12:13] op_sel_hi:[0,1]
	;; [unrolled: 1-line block ×7, first 2 shown]
	v_cndmask_b32_e32 v38, v0, v1, vcc
	v_cmp_eq_u32_e32 vcc, 2, v51
	v_cmp_eq_u32_e64 s[10:11], 5, v51
	v_cmp_eq_u32_e64 s[12:13], 6, v51
	v_cndmask_b32_e32 v38, v38, v2, vcc
	v_cndmask_b32_e64 v38, v38, v3, s[6:7]
	v_cndmask_b32_e64 v38, v38, v4, s[8:9]
	;; [unrolled: 1-line block ×4, first 2 shown]
	v_cmp_eq_u32_e64 s[14:15], 7, v51
	v_cmp_eq_u32_e64 s[16:17], 8, v51
	v_cmp_eq_u32_e64 s[18:19], 9, v51
	v_cndmask_b32_e64 v38, v38, v7, s[14:15]
	v_cndmask_b32_e64 v38, v38, v8, s[16:17]
	v_cndmask_b32_e64 v38, v38, v9, s[18:19]
	v_cmp_eq_u32_e64 s[20:21], 10, v51
	v_cmp_eq_u32_e64 s[22:23], 11, v51
	v_cmp_eq_u32_e64 s[24:25], 12, v51
	v_cndmask_b32_e64 v38, v38, v10, s[20:21]
	v_cndmask_b32_e64 v38, v38, v11, s[22:23]
	v_cndmask_b32_e64 v38, v38, v12, s[24:25]
	;; [unrolled: 6-line block ×3, first 2 shown]
	ds_bpermute_b32 v38, v70, v38
	v_cmp_eq_u32_e64 s[34:35], 15, v52
	s_waitcnt lgkmcnt(0)
	v_cndmask_b32_e32 v2, v2, v38, vcc
	v_cmp_ne_u32_e32 vcc, 0, v51
	v_cndmask_b32_e64 v15, v15, v38, s[30:31]
	v_cndmask_b32_e64 v14, v14, v38, s[28:29]
	v_cndmask_b32_e32 v1, v1, v38, vcc
	v_cmp_eq_u32_e32 vcc, 0, v51
	v_cndmask_b32_e64 v13, v13, v38, s[26:27]
	v_cndmask_b32_e64 v12, v12, v38, s[24:25]
	v_cndmask_b32_e32 v0, v0, v38, vcc
	v_cmp_eq_u32_e32 vcc, 1, v52
	v_cndmask_b32_e64 v11, v11, v38, s[22:23]
	v_cndmask_b32_e64 v10, v10, v38, s[20:21]
	v_cndmask_b32_e64 v9, v9, v38, s[18:19]
	v_cndmask_b32_e64 v8, v8, v38, s[16:17]
	v_cndmask_b32_e64 v7, v7, v38, s[14:15]
	v_cndmask_b32_e64 v6, v6, v38, s[12:13]
	v_cndmask_b32_e64 v5, v5, v38, s[10:11]
	v_cndmask_b32_e64 v4, v4, v38, s[8:9]
	v_cndmask_b32_e64 v3, v3, v38, s[6:7]
	v_cndmask_b32_e32 v38, v0, v1, vcc
	v_cmp_eq_u32_e64 s[6:7], 2, v52
	v_cmp_eq_u32_e64 s[8:9], 3, v52
	v_cmp_eq_u32_e64 s[10:11], 4, v52
	v_cndmask_b32_e64 v38, v38, v2, s[6:7]
	v_cndmask_b32_e64 v38, v38, v3, s[8:9]
	v_cndmask_b32_e64 v38, v38, v4, s[10:11]
	v_cmp_eq_u32_e64 s[12:13], 5, v52
	v_cmp_eq_u32_e64 s[14:15], 6, v52
	v_cmp_eq_u32_e64 s[16:17], 7, v52
	v_cndmask_b32_e64 v38, v38, v5, s[12:13]
	v_cndmask_b32_e64 v38, v38, v6, s[14:15]
	v_cndmask_b32_e64 v38, v38, v7, s[16:17]
	;; [unrolled: 6-line block ×4, first 2 shown]
	v_cmp_eq_u32_e64 s[30:31], 14, v52
	s_nop 1
	v_cndmask_b32_e64 v38, v38, v14, s[30:31]
	v_cndmask_b32_e64 v38, v38, v15, s[34:35]
	ds_bpermute_b32 v38, v70, v38
	s_waitcnt lgkmcnt(0)
	v_cndmask_b32_e32 v1, v1, v38, vcc
	v_cmp_eq_u32_e32 vcc, 0, v52
	v_cndmask_b32_e64 v15, v15, v38, s[34:35]
	v_cndmask_b32_e64 v14, v14, v38, s[30:31]
	v_cndmask_b32_e32 v0, v0, v38, vcc
	v_cmp_eq_u32_e32 vcc, 1, v53
	v_cndmask_b32_e64 v13, v13, v38, s[28:29]
	v_cndmask_b32_e64 v12, v12, v38, s[26:27]
	v_cndmask_b32_e64 v11, v11, v38, s[24:25]
	v_cndmask_b32_e64 v10, v10, v38, s[22:23]
	v_cndmask_b32_e64 v9, v9, v38, s[20:21]
	v_cndmask_b32_e64 v8, v8, v38, s[18:19]
	v_cndmask_b32_e64 v7, v7, v38, s[16:17]
	v_cndmask_b32_e64 v6, v6, v38, s[14:15]
	v_cndmask_b32_e64 v5, v5, v38, s[12:13]
	v_cndmask_b32_e64 v4, v4, v38, s[10:11]
	v_cndmask_b32_e64 v3, v3, v38, s[8:9]
	v_cndmask_b32_e64 v2, v2, v38, s[6:7]
	v_cndmask_b32_e32 v38, v0, v1, vcc
	v_cmp_eq_u32_e64 s[6:7], 2, v53
	v_cmp_eq_u32_e64 s[8:9], 3, v53
	v_cmp_eq_u32_e64 s[10:11], 4, v53
	v_cndmask_b32_e64 v38, v38, v2, s[6:7]
	v_cndmask_b32_e64 v38, v38, v3, s[8:9]
	v_cndmask_b32_e64 v38, v38, v4, s[10:11]
	v_cmp_eq_u32_e64 s[12:13], 5, v53
	v_cmp_eq_u32_e64 s[14:15], 6, v53
	v_cmp_eq_u32_e64 s[16:17], 7, v53
	v_cndmask_b32_e64 v38, v38, v5, s[12:13]
	v_cndmask_b32_e64 v38, v38, v6, s[14:15]
	v_cndmask_b32_e64 v38, v38, v7, s[16:17]
	v_cmp_eq_u32_e64 s[18:19], 8, v53
	v_cmp_eq_u32_e64 s[20:21], 9, v53
	v_cmp_eq_u32_e64 s[22:23], 10, v53
	v_cndmask_b32_e64 v38, v38, v8, s[18:19]
	v_cndmask_b32_e64 v38, v38, v9, s[20:21]
	v_cndmask_b32_e64 v38, v38, v10, s[22:23]
	v_cmp_eq_u32_e64 s[24:25], 11, v53
	v_cmp_eq_u32_e64 s[26:27], 12, v53
	v_cmp_eq_u32_e64 s[28:29], 13, v53
	v_cndmask_b32_e64 v38, v38, v11, s[24:25]
	v_cndmask_b32_e64 v38, v38, v12, s[26:27]
	v_cndmask_b32_e64 v38, v38, v13, s[28:29]
	v_cmp_eq_u32_e64 s[30:31], 14, v53
	v_cmp_eq_u32_e64 s[34:35], 15, v53
	s_nop 0
	v_cndmask_b32_e64 v38, v38, v14, s[30:31]
	v_cndmask_b32_e64 v38, v38, v15, s[34:35]
	ds_bpermute_b32 v38, v70, v38
	s_waitcnt lgkmcnt(0)
	v_cndmask_b32_e32 v1, v1, v38, vcc
	v_cmp_eq_u32_e32 vcc, 0, v53
	v_cndmask_b32_e64 v15, v15, v38, s[34:35]
	v_cndmask_b32_e64 v14, v14, v38, s[30:31]
	v_cndmask_b32_e32 v0, v0, v38, vcc
	v_cmp_eq_u32_e32 vcc, 1, v54
	v_cndmask_b32_e64 v13, v13, v38, s[28:29]
	v_cndmask_b32_e64 v12, v12, v38, s[26:27]
	v_cndmask_b32_e64 v11, v11, v38, s[24:25]
	v_cndmask_b32_e64 v10, v10, v38, s[22:23]
	v_cndmask_b32_e64 v9, v9, v38, s[20:21]
	v_cndmask_b32_e64 v8, v8, v38, s[18:19]
	v_cndmask_b32_e64 v7, v7, v38, s[16:17]
	v_cndmask_b32_e64 v6, v6, v38, s[14:15]
	v_cndmask_b32_e64 v5, v5, v38, s[12:13]
	v_cndmask_b32_e64 v4, v4, v38, s[10:11]
	v_cndmask_b32_e64 v3, v3, v38, s[8:9]
	v_cndmask_b32_e64 v2, v2, v38, s[6:7]
	v_cndmask_b32_e32 v38, v0, v1, vcc
	v_cmp_eq_u32_e64 s[6:7], 2, v54
	v_cmp_eq_u32_e64 s[8:9], 3, v54
	v_cmp_eq_u32_e64 s[10:11], 4, v54
	v_cndmask_b32_e64 v38, v38, v2, s[6:7]
	v_cndmask_b32_e64 v38, v38, v3, s[8:9]
	v_cndmask_b32_e64 v38, v38, v4, s[10:11]
	v_cmp_eq_u32_e64 s[12:13], 5, v54
	v_cmp_eq_u32_e64 s[14:15], 6, v54
	v_cmp_eq_u32_e64 s[16:17], 7, v54
	v_cndmask_b32_e64 v38, v38, v5, s[12:13]
	v_cndmask_b32_e64 v38, v38, v6, s[14:15]
	v_cndmask_b32_e64 v38, v38, v7, s[16:17]
	v_cmp_eq_u32_e64 s[18:19], 8, v54
	v_cmp_eq_u32_e64 s[20:21], 9, v54
	v_cmp_eq_u32_e64 s[22:23], 10, v54
	v_cndmask_b32_e64 v38, v38, v8, s[18:19]
	v_cndmask_b32_e64 v38, v38, v9, s[20:21]
	v_cndmask_b32_e64 v38, v38, v10, s[22:23]
	v_cmp_eq_u32_e64 s[24:25], 11, v54
	v_cmp_eq_u32_e64 s[26:27], 12, v54
	v_cmp_eq_u32_e64 s[28:29], 13, v54
	v_cndmask_b32_e64 v38, v38, v11, s[24:25]
	v_cndmask_b32_e64 v38, v38, v12, s[26:27]
	v_cndmask_b32_e64 v38, v38, v13, s[28:29]
	v_cmp_eq_u32_e64 s[30:31], 14, v54
	;; [unrolled: 50-line block ×4, first 2 shown]
	v_cmp_eq_u32_e64 s[34:35], 15, v56
	s_nop 0
	v_cndmask_b32_e64 v38, v38, v14, s[30:31]
	v_cndmask_b32_e64 v38, v38, v15, s[34:35]
	ds_bpermute_b32 v38, v70, v38
	s_waitcnt lgkmcnt(0)
	v_cndmask_b32_e32 v1, v1, v38, vcc
	v_cmp_eq_u32_e32 vcc, 0, v56
	v_cndmask_b32_e64 v15, v15, v38, s[34:35]
	v_cndmask_b32_e64 v14, v14, v38, s[30:31]
	v_cndmask_b32_e64 v13, v13, v38, s[28:29]
	v_cndmask_b32_e64 v12, v12, v38, s[26:27]
	v_cndmask_b32_e64 v11, v11, v38, s[24:25]
	v_cndmask_b32_e64 v10, v10, v38, s[22:23]
	v_cndmask_b32_e64 v39, v9, v38, s[20:21]
	v_cndmask_b32_e64 v41, v8, v38, s[18:19]
	v_cndmask_b32_e64 v42, v7, v38, s[16:17]
	v_cndmask_b32_e64 v43, v6, v38, s[14:15]
	v_cndmask_b32_e64 v44, v5, v38, s[12:13]
	v_cndmask_b32_e64 v45, v4, v38, s[10:11]
	v_cndmask_b32_e64 v72, v3, v38, s[8:9]
	v_cndmask_b32_e64 v73, v2, v38, s[6:7]
	v_cndmask_b32_e32 v38, v0, v38, vcc
	v_cmp_eq_u32_e32 vcc, 1, v57
	v_cmp_eq_u32_e64 s[6:7], 2, v57
	v_cmp_eq_u32_e64 s[8:9], 3, v57
	v_cndmask_b32_e32 v0, v38, v1, vcc
	v_cndmask_b32_e64 v0, v0, v73, s[6:7]
	v_cndmask_b32_e64 v0, v0, v72, s[8:9]
	v_cmp_eq_u32_e64 s[10:11], 4, v57
	v_cmp_eq_u32_e64 s[12:13], 5, v57
	v_cmp_eq_u32_e64 s[14:15], 6, v57
	v_cndmask_b32_e64 v0, v0, v45, s[10:11]
	v_cndmask_b32_e64 v0, v0, v44, s[12:13]
	v_cndmask_b32_e64 v0, v0, v43, s[14:15]
	v_cmp_eq_u32_e64 s[16:17], 7, v57
	v_cmp_eq_u32_e64 s[18:19], 8, v57
	v_cmp_eq_u32_e64 s[20:21], 9, v57
	v_cndmask_b32_e64 v0, v0, v42, s[16:17]
	;; [unrolled: 6-line block ×4, first 2 shown]
	v_cndmask_b32_e64 v0, v0, v14, s[30:31]
	v_cndmask_b32_e64 v0, v0, v15, s[34:35]
	ds_bpermute_b32 v74, v70, v0
	s_waitcnt lgkmcnt(0)
	v_cndmask_b32_e32 v0, v1, v74, vcc
	v_cmp_eq_u32_e32 vcc, 0, v57
	v_cndmask_b32_e64 v4, v15, v74, s[34:35]
	v_cndmask_b32_e64 v15, v73, v74, s[6:7]
	v_cndmask_b32_e32 v1, v38, v74, vcc
	v_cmp_eq_u32_e32 vcc, 1, v58
	v_cndmask_b32_e64 v5, v14, v74, s[30:31]
	v_cndmask_b32_e64 v14, v72, v74, s[8:9]
	;; [unrolled: 4-line block ×7, first 2 shown]
	v_cndmask_b32_e32 v38, v38, v13, vcc
	v_cmp_eq_u32_e32 vcc, 7, v58
	s_nop 1
	v_cndmask_b32_e32 v38, v38, v12, vcc
	v_cmp_eq_u32_e32 vcc, 8, v58
	s_nop 1
	;; [unrolled: 3-line block ×9, first 2 shown]
	v_cndmask_b32_e32 v38, v38, v4, vcc
	ds_bpermute_b32 v38, v70, v38
	v_cmp_lt_i32_e32 vcc, s76, v59
	s_and_saveexec_b64 s[60:61], vcc
	s_cbranch_execz .LBB238_29
; %bb.21:                               ;   in Loop: Header=BB238_7 Depth=1
	s_mul_i32 s6, s74, s37
	s_ashr_i32 s7, s6, 31
	s_lshl_b64 s[6:7], s[6:7], 1
	v_cmp_eq_u32_e64 s[30:31], 1, v58
	s_add_u32 s8, s48, s6
	s_addc_u32 s9, s49, s7
	s_waitcnt lgkmcnt(0)
	v_cndmask_b32_e64 v0, v0, v38, s[30:31]
	v_cmp_eq_u32_e64 s[30:31], 0, v58
	s_ashr_i32 s55, s54, 31
	s_lshl_b64 s[6:7], s[54:55], 1
	v_cndmask_b32_e64 v1, v1, v38, s[30:31]
	v_cvt_f16_f32_e32 v39, v1
	v_cvt_f16_f32_sdwa v41, v0 dst_sel:WORD_1 dst_unused:UNUSED_PAD src0_sel:DWORD
	s_add_u32 s34, s8, s6
	s_addc_u32 s35, s9, s7
	v_cmp_eq_u32_e64 s[8:9], 15, v58
	v_cmp_eq_u32_e64 s[10:11], 14, v58
	;; [unrolled: 1-line block ×10, first 2 shown]
	v_cmp_eq_u32_e32 vcc, 5, v58
	v_cmp_eq_u32_e64 s[6:7], 4, v58
	v_cmp_eq_u32_e64 s[28:29], 3, v58
	;; [unrolled: 1-line block ×3, first 2 shown]
	v_lshl_add_u64 v[0:1], s[34:35], 0, v[16:17]
	v_cmp_lt_i32_e64 s[34:35], s76, v60
	v_lshl_add_u64 v[42:43], v[18:19], 1, v[0:1]
	v_or_b32_e32 v39, v41, v39
	;;#ASMSTART
	global_atomic_pk_add_f16 v[42:43], v39, off
	
	;;#ASMEND
	s_and_b64 exec, exec, s[34:35]
	s_cbranch_execz .LBB238_29
; %bb.22:                               ;   in Loop: Header=BB238_7 Depth=1
	v_cndmask_b32_e64 v14, v14, v38, s[28:29]
	v_cndmask_b32_e64 v15, v15, v38, s[30:31]
	v_cvt_f16_f32_e32 v39, v15
	v_cvt_f16_f32_sdwa v41, v14 dst_sel:WORD_1 dst_unused:UNUSED_PAD src0_sel:DWORD
	v_cndmask_b32_e64 v4, v4, v38, s[8:9]
	v_cndmask_b32_e64 v5, v5, v38, s[10:11]
	;; [unrolled: 1-line block ×10, first 2 shown]
	v_cndmask_b32_e32 v2, v2, v38, vcc
	v_cndmask_b32_e64 v3, v3, v38, s[6:7]
	v_cmp_lt_i32_e32 vcc, s76, v61
	v_lshl_add_u64 v[14:15], v[20:21], 1, v[0:1]
	v_or_b32_e32 v38, v41, v39
	;;#ASMSTART
	global_atomic_pk_add_f16 v[14:15], v38, off
	
	;;#ASMEND
	s_and_b64 exec, exec, vcc
	s_cbranch_execz .LBB238_29
; %bb.23:                               ;   in Loop: Header=BB238_7 Depth=1
	v_cvt_f16_f32_e32 v14, v3
	v_cvt_f16_f32_sdwa v15, v2 dst_sel:WORD_1 dst_unused:UNUSED_PAD src0_sel:DWORD
	v_cmp_lt_i32_e32 vcc, s76, v62
	v_lshl_add_u64 v[2:3], v[22:23], 1, v[0:1]
	v_or_b32_e32 v14, v15, v14
	;;#ASMSTART
	global_atomic_pk_add_f16 v[2:3], v14, off
	
	;;#ASMEND
	s_and_b64 exec, exec, vcc
	s_cbranch_execz .LBB238_29
; %bb.24:                               ;   in Loop: Header=BB238_7 Depth=1
	v_cvt_f16_f32_e32 v13, v13
	v_cvt_f16_f32_sdwa v12, v12 dst_sel:WORD_1 dst_unused:UNUSED_PAD src0_sel:DWORD
	;; [unrolled: 12-line block ×6, first 2 shown]
	v_lshl_add_u64 v[0:1], v[32:33], 1, v[0:1]
	v_or_b32_e32 v2, v3, v2
	;;#ASMSTART
	global_atomic_pk_add_f16 v[0:1], v2, off
	
	;;#ASMEND
.LBB238_29:                             ;   in Loop: Header=BB238_7 Depth=1
	s_or_b64 exec, exec, s[60:61]
	v_subrev_u32_e32 v71, s77, v71
.LBB238_30:                             ;   in Loop: Header=BB238_7 Depth=1
	s_or_b64 exec, exec, s[58:59]
.LBB238_31:                             ;   in Loop: Header=BB238_7 Depth=1
	s_andn2_saveexec_b64 s[6:7], s[56:57]
	s_cbranch_execz .LBB238_40
; %bb.32:                               ;   in Loop: Header=BB238_7 Depth=1
	v_cmp_gt_i32_e32 vcc, s77, v71
	s_and_saveexec_b64 s[8:9], vcc
	s_cbranch_execz .LBB238_39
; %bb.33:                               ;   in Loop: Header=BB238_7 Depth=1
	s_mul_i32 s10, s54, s39
	s_ashr_i32 s11, s10, 31
	s_waitcnt lgkmcnt(0)
	s_add_u32 s10, s46, s10
	s_addc_u32 s11, s47, s11
	s_ashr_i32 s12, s75, 31
	s_add_u32 s10, s10, s75
	s_addc_u32 s11, s11, s12
	v_lshl_add_u64 v[0:1], s[10:11], 0, v[36:37]
	v_lshl_add_u64 v[8:9], v[0:1], 0, v[34:35]
	s_mov_b64 s[10:11], 0
	s_branch .LBB238_35
.LBB238_34:                             ;   in Loop: Header=BB238_35 Depth=2
	s_or_b64 exec, exec, s[12:13]
	v_lshl_add_u32 v12, v10, 11, v67
	;;#ASMSTART
	s_waitcnt vmcnt(1)
	;;#ASMEND
	ds_write2_b32 v12, v4, v5 offset1:32
	ds_write2_b32 v12, v6, v7 offset0:64 offset1:96
	v_add_u32_e32 v4, 0x400, v12
	v_add_u32_e32 v71, s42, v71
	;;#ASMSTART
	s_waitcnt vmcnt(0)
	;;#ASMEND
	ds_write2_b32 v4, v0, v1 offset1:32
	ds_write2_b32 v4, v2, v3 offset0:64 offset1:96
	v_add_u32_e32 v0, 1, v47
	v_add_u32_e32 v40, s42, v10
	v_cmp_le_i32_e32 vcc, s77, v71
	ds_write_b32 v11, v0 offset:12
	v_add_u32_e32 v0, 2, v47
	s_or_b64 s[10:11], vcc, s[10:11]
	v_cmp_lt_i32_e32 vcc, 0, v40
	s_nop 1
	v_cndmask_b32_e32 v47, v47, v0, vcc
	s_andn2_b64 exec, exec, s[10:11]
	s_cbranch_execz .LBB238_38
.LBB238_35:                             ;   Parent Loop BB238_7 Depth=1
                                        ; =>  This Loop Header: Depth=2
                                        ;       Child Loop BB238_37 Depth 3
	v_cmp_lt_i32_e32 vcc, 0, v40
	v_lshlrev_b32_e32 v0, 6, v71
	v_ashrrev_i32_e32 v1, 31, v0
	v_subbrev_co_u32_e32 v10, vcc, 0, v40, vcc
	v_lshl_add_u64 v[0:1], v[8:9], 0, v[0:1]
	v_lshlrev_b32_e32 v11, 2, v10
	;;#ASMSTART
	global_load_dwordx4 v[4:7], v[0:1], off offset:0   sc0 sc1 nt  
	global_load_dwordx4 v[0:3], v[0:1], off offset:32  sc0 sc1 nt  
	
	;;#ASMEND
	ds_read_b32 v12, v11 offset:8204
	v_add_u32_e32 v11, 0x2000, v11
	s_waitcnt lgkmcnt(0)
	v_cmp_ne_u32_e32 vcc, v12, v47
	s_and_saveexec_b64 s[12:13], vcc
	s_cbranch_execz .LBB238_34
; %bb.36:                               ;   in Loop: Header=BB238_35 Depth=2
	s_mov_b64 s[14:15], 0
.LBB238_37:                             ;   Parent Loop BB238_7 Depth=1
                                        ;     Parent Loop BB238_35 Depth=2
                                        ; =>    This Inner Loop Header: Depth=3
	;;#ASMSTART
	s_sleep 0
	;;#ASMEND
	ds_read_b32 v12, v11 offset:12
	s_waitcnt lgkmcnt(0)
	v_cmp_eq_u32_e32 vcc, v12, v47
	s_or_b64 s[14:15], vcc, s[14:15]
	s_andn2_b64 exec, exec, s[14:15]
	s_cbranch_execnz .LBB238_37
	s_branch .LBB238_34
.LBB238_38:                             ;   in Loop: Header=BB238_7 Depth=1
	s_or_b64 exec, exec, s[10:11]
.LBB238_39:                             ;   in Loop: Header=BB238_7 Depth=1
	s_or_b64 exec, exec, s[8:9]
	v_subrev_u32_e32 v71, s77, v71
.LBB238_40:                             ;   in Loop: Header=BB238_7 Depth=1
	s_or_b64 exec, exec, s[6:7]
.LBB238_41:                             ;   in Loop: Header=BB238_7 Depth=1
	s_andn2_saveexec_b64 s[6:7], s[52:53]
	s_cbranch_execz .LBB238_6
; %bb.42:                               ;   in Loop: Header=BB238_7 Depth=1
	s_mul_i32 s77, s77, 3
	v_cmp_gt_i32_e32 vcc, s77, v71
	s_and_saveexec_b64 s[8:9], vcc
	s_cbranch_execz .LBB238_5
; %bb.43:                               ;   in Loop: Header=BB238_7 Depth=1
	s_mul_i32 s74, s74, s38
	s_max_i32 s12, s76, 0
	s_ashr_i32 s10, s74, 31
	s_waitcnt lgkmcnt(0)
	s_add_u32 s11, s44, s74
	v_add_u32_e32 v2, s12, v48
	s_addc_u32 s13, s45, s10
	s_ashr_i32 s14, s75, 31
	v_cmp_gt_u32_e32 vcc, s72, v2
	s_add_u32 s10, s11, s75
	s_addc_u32 s11, s13, s14
	v_cndmask_b32_e32 v0, 0, v68, vcc
	v_ashrrev_i32_e32 v1, 31, v0
	v_lshl_add_u64 v[0:1], s[10:11], 0, v[0:1]
	v_lshl_add_u64 v[8:9], v[0:1], 0, v[34:35]
	v_sub_u32_e32 v10, 0x5f, v2
	s_mov_b64 s[10:11], 0
	s_branch .LBB238_45
.LBB238_44:                             ;   in Loop: Header=BB238_45 Depth=2
	s_or_b64 exec, exec, s[12:13]
	v_lshl_or_b32 v13, v11, 11, v69
	;;#ASMSTART
	s_waitcnt vmcnt(1)
	;;#ASMEND
	ds_write2_b32 v13, v4, v5 offset1:32
	ds_write2_b32 v13, v6, v7 offset0:64 offset1:96
	v_add_u32_e32 v4, 0x400, v13
	v_add_u32_e32 v71, s41, v71
	;;#ASMSTART
	s_waitcnt vmcnt(0)
	;;#ASMEND
	ds_write2_b32 v4, v0, v1 offset1:32
	ds_write2_b32 v4, v2, v3 offset0:64 offset1:96
	v_add_u32_e32 v0, 1, v47
	v_add_u32_e32 v40, s41, v11
	v_cmp_le_i32_e32 vcc, s77, v71
	ds_write_b32 v12, v0
	v_add_u32_e32 v0, 2, v47
	s_or_b64 s[10:11], vcc, s[10:11]
	v_cmp_lt_i32_e32 vcc, 2, v40
	s_nop 1
	v_cndmask_b32_e32 v47, v47, v0, vcc
	s_andn2_b64 exec, exec, s[10:11]
	s_cbranch_execz .LBB238_4
.LBB238_45:                             ;   Parent Loop BB238_7 Depth=1
                                        ; =>  This Loop Header: Depth=2
                                        ;       Child Loop BB238_47 Depth 3
	v_cmp_gt_i32_e32 vcc, 3, v40
	s_nop 1
	v_cndmask_b32_e64 v0, -3, 0, vcc
	v_add_u32_e32 v11, v0, v40
	v_mul_hi_i32 v0, v71, s73
	v_lshrrev_b32_e32 v1, 31, v0
	v_add_u32_e32 v0, v0, v1
	v_lshl_add_u32 v1, v0, 1, v0
	v_sub_u32_e32 v1, v71, v1
	v_lshlrev_b32_e32 v1, 5, v1
	v_cmp_le_i32_e32 vcc, v1, v10
	v_lshlrev_b32_e32 v0, 6, v0
	v_lshlrev_b32_e32 v12, 2, v11
	v_cndmask_b32_e32 v2, 0, v1, vcc
	v_ashrrev_i32_e32 v1, 31, v0
	v_mul_lo_u32 v2, v2, s38
	v_lshl_add_u64 v[0:1], v[8:9], 0, v[0:1]
	v_ashrrev_i32_e32 v3, 31, v2
	v_lshl_add_u64 v[0:1], v[0:1], 0, v[2:3]
	;;#ASMSTART
	global_load_dwordx4 v[4:7], v[0:1], off offset:0   
	global_load_dwordx4 v[0:3], v[0:1], off offset:32  
	
	;;#ASMEND
	ds_read_b32 v13, v12 offset:8192
	v_add_u32_e32 v12, 0x2000, v12
	s_waitcnt lgkmcnt(0)
	v_cmp_ne_u32_e32 vcc, v13, v47
	s_and_saveexec_b64 s[12:13], vcc
	s_cbranch_execz .LBB238_44
; %bb.46:                               ;   in Loop: Header=BB238_45 Depth=2
	s_mov_b64 s[14:15], 0
.LBB238_47:                             ;   Parent Loop BB238_7 Depth=1
                                        ;     Parent Loop BB238_45 Depth=2
                                        ; =>    This Inner Loop Header: Depth=3
	;;#ASMSTART
	s_sleep 0
	;;#ASMEND
	ds_read_b32 v13, v12
	s_waitcnt lgkmcnt(0)
	v_cmp_eq_u32_e32 vcc, v13, v47
	s_or_b64 s[14:15], vcc, s[14:15]
	s_andn2_b64 exec, exec, s[14:15]
	s_cbranch_execnz .LBB238_47
	s_branch .LBB238_44
.LBB238_48:
	s_endpgm
	.section	.rodata,"a",@progbits
	.p2align	6, 0x0
	.amdhsa_kernel _Z19_skinny_gemm_kernelILi3ELi1ELi1ELi32ELi4EEvPKhS1_P6__halfPKfiiiiiiii
		.amdhsa_group_segment_fixed_size 8208
		.amdhsa_private_segment_fixed_size 0
		.amdhsa_kernarg_size 64
		.amdhsa_user_sgpr_count 2
		.amdhsa_user_sgpr_dispatch_ptr 0
		.amdhsa_user_sgpr_queue_ptr 0
		.amdhsa_user_sgpr_kernarg_segment_ptr 1
		.amdhsa_user_sgpr_dispatch_id 0
		.amdhsa_user_sgpr_kernarg_preload_length 0
		.amdhsa_user_sgpr_kernarg_preload_offset 0
		.amdhsa_user_sgpr_private_segment_size 0
		.amdhsa_uses_dynamic_stack 0
		.amdhsa_enable_private_segment 0
		.amdhsa_system_sgpr_workgroup_id_x 1
		.amdhsa_system_sgpr_workgroup_id_y 0
		.amdhsa_system_sgpr_workgroup_id_z 0
		.amdhsa_system_sgpr_workgroup_info 0
		.amdhsa_system_vgpr_workitem_id 0
		.amdhsa_next_free_vgpr 79
		.amdhsa_next_free_sgpr 78
		.amdhsa_accum_offset 80
		.amdhsa_reserve_vcc 1
		.amdhsa_float_round_mode_32 0
		.amdhsa_float_round_mode_16_64 0
		.amdhsa_float_denorm_mode_32 3
		.amdhsa_float_denorm_mode_16_64 3
		.amdhsa_dx10_clamp 1
		.amdhsa_ieee_mode 1
		.amdhsa_fp16_overflow 0
		.amdhsa_tg_split 0
		.amdhsa_exception_fp_ieee_invalid_op 0
		.amdhsa_exception_fp_denorm_src 0
		.amdhsa_exception_fp_ieee_div_zero 0
		.amdhsa_exception_fp_ieee_overflow 0
		.amdhsa_exception_fp_ieee_underflow 0
		.amdhsa_exception_fp_ieee_inexact 0
		.amdhsa_exception_int_div_zero 0
	.end_amdhsa_kernel
	.section	.text._Z19_skinny_gemm_kernelILi3ELi1ELi1ELi32ELi4EEvPKhS1_P6__halfPKfiiiiiiii,"axG",@progbits,_Z19_skinny_gemm_kernelILi3ELi1ELi1ELi32ELi4EEvPKhS1_P6__halfPKfiiiiiiii,comdat
.Lfunc_end238:
	.size	_Z19_skinny_gemm_kernelILi3ELi1ELi1ELi32ELi4EEvPKhS1_P6__halfPKfiiiiiiii, .Lfunc_end238-_Z19_skinny_gemm_kernelILi3ELi1ELi1ELi32ELi4EEvPKhS1_P6__halfPKfiiiiiiii
                                        ; -- End function
	.set _Z19_skinny_gemm_kernelILi3ELi1ELi1ELi32ELi4EEvPKhS1_P6__halfPKfiiiiiiii.num_vgpr, 79
	.set _Z19_skinny_gemm_kernelILi3ELi1ELi1ELi32ELi4EEvPKhS1_P6__halfPKfiiiiiiii.num_agpr, 0
	.set _Z19_skinny_gemm_kernelILi3ELi1ELi1ELi32ELi4EEvPKhS1_P6__halfPKfiiiiiiii.numbered_sgpr, 78
	.set _Z19_skinny_gemm_kernelILi3ELi1ELi1ELi32ELi4EEvPKhS1_P6__halfPKfiiiiiiii.num_named_barrier, 0
	.set _Z19_skinny_gemm_kernelILi3ELi1ELi1ELi32ELi4EEvPKhS1_P6__halfPKfiiiiiiii.private_seg_size, 0
	.set _Z19_skinny_gemm_kernelILi3ELi1ELi1ELi32ELi4EEvPKhS1_P6__halfPKfiiiiiiii.uses_vcc, 1
	.set _Z19_skinny_gemm_kernelILi3ELi1ELi1ELi32ELi4EEvPKhS1_P6__halfPKfiiiiiiii.uses_flat_scratch, 0
	.set _Z19_skinny_gemm_kernelILi3ELi1ELi1ELi32ELi4EEvPKhS1_P6__halfPKfiiiiiiii.has_dyn_sized_stack, 0
	.set _Z19_skinny_gemm_kernelILi3ELi1ELi1ELi32ELi4EEvPKhS1_P6__halfPKfiiiiiiii.has_recursion, 0
	.set _Z19_skinny_gemm_kernelILi3ELi1ELi1ELi32ELi4EEvPKhS1_P6__halfPKfiiiiiiii.has_indirect_call, 0
	.section	.AMDGPU.csdata,"",@progbits
; Kernel info:
; codeLenInByte = 6044
; TotalNumSgprs: 84
; NumVgprs: 79
; NumAgprs: 0
; TotalNumVgprs: 79
; ScratchSize: 0
; MemoryBound: 0
; FloatMode: 240
; IeeeMode: 1
; LDSByteSize: 8208 bytes/workgroup (compile time only)
; SGPRBlocks: 10
; VGPRBlocks: 9
; NumSGPRsForWavesPerEU: 84
; NumVGPRsForWavesPerEU: 79
; AccumOffset: 80
; Occupancy: 6
; WaveLimiterHint : 0
; COMPUTE_PGM_RSRC2:SCRATCH_EN: 0
; COMPUTE_PGM_RSRC2:USER_SGPR: 2
; COMPUTE_PGM_RSRC2:TRAP_HANDLER: 0
; COMPUTE_PGM_RSRC2:TGID_X_EN: 1
; COMPUTE_PGM_RSRC2:TGID_Y_EN: 0
; COMPUTE_PGM_RSRC2:TGID_Z_EN: 0
; COMPUTE_PGM_RSRC2:TIDIG_COMP_CNT: 0
; COMPUTE_PGM_RSRC3_GFX90A:ACCUM_OFFSET: 19
; COMPUTE_PGM_RSRC3_GFX90A:TG_SPLIT: 0
	.section	.text._Z19_skinny_gemm_kernelILi3ELi1ELi1ELi32ELi8EEvPKhS1_P6__halfPKfiiiiiiii,"axG",@progbits,_Z19_skinny_gemm_kernelILi3ELi1ELi1ELi32ELi8EEvPKhS1_P6__halfPKfiiiiiiii,comdat
	.protected	_Z19_skinny_gemm_kernelILi3ELi1ELi1ELi32ELi8EEvPKhS1_P6__halfPKfiiiiiiii ; -- Begin function _Z19_skinny_gemm_kernelILi3ELi1ELi1ELi32ELi8EEvPKhS1_P6__halfPKfiiiiiiii
	.globl	_Z19_skinny_gemm_kernelILi3ELi1ELi1ELi32ELi8EEvPKhS1_P6__halfPKfiiiiiiii
	.p2align	8
	.type	_Z19_skinny_gemm_kernelILi3ELi1ELi1ELi32ELi8EEvPKhS1_P6__halfPKfiiiiiiii,@function
_Z19_skinny_gemm_kernelILi3ELi1ELi1ELi32ELi8EEvPKhS1_P6__halfPKfiiiiiiii: ; @_Z19_skinny_gemm_kernelILi3ELi1ELi1ELi32ELi8EEvPKhS1_P6__halfPKfiiiiiiii
; %bb.0:
	v_cmp_gt_u32_e32 vcc, 4, v0
	s_and_saveexec_b64 s[4:5], vcc
; %bb.1:
	v_lshlrev_b32_e32 v1, 2, v0
	v_mov_b32_e32 v2, 0
	ds_write_b32 v1, v2 offset:16384
; %bb.2:
	s_or_b64 exec, exec, s[4:5]
	s_load_dwordx8 s[36:43], s[0:1], 0x20
	s_waitcnt lgkmcnt(0)
	s_barrier
	s_add_i32 s3, s36, 0x5f
	s_add_i32 s4, s37, 31
	s_mul_hi_i32 s3, s3, 0x2aaaaaab
	s_lshr_b32 s5, s3, 31
	s_ashr_i32 s33, s3, 4
	s_ashr_i32 s3, s4, 31
	s_lshr_b32 s3, s3, 27
	s_add_i32 s4, s4, s3
	s_add_i32 s33, s33, s5
	s_ashr_i32 s62, s4, 5
	s_mul_i32 s3, s62, s33
	s_mul_i32 s3, s3, s40
	s_add_i32 s4, s3, 0x12f
	s_mul_hi_i32 s4, s4, 0x6bca1af3
	s_lshr_b32 s5, s4, 31
	s_ashr_i32 s4, s4, 7
	s_add_i32 s4, s4, s5
	s_add_i32 s5, s2, 1
	s_mul_i32 s5, s4, s5
	v_cvt_f64_i32_e32 v[2:3], s3
	v_cvt_f64_u32_e32 v[4:5], s5
	v_min_f64 v[2:3], v[2:3], v[4:5]
	v_cvt_i32_f64_e32 v54, v[2:3]
	s_mul_i32 s63, s4, s2
	v_cmp_ge_i32_e32 vcc, s63, v54
	s_cbranch_vccnz .LBB239_48
; %bb.3:
	v_lshrrev_b32_e32 v1, 6, v0
	s_add_i32 s4, s42, s41
	s_load_dwordx8 s[44:51], s[0:1], 0x0
	v_cmp_le_i32_e64 s[0:1], s4, v1
	v_mov_b32_e32 v2, s41
	v_cmp_le_i32_e64 s[2:3], s41, v1
	v_mov_b32_e32 v3, s42
	v_cndmask_b32_e64 v3, 0, v3, s[0:1]
	v_cndmask_b32_e64 v2, 0, v2, s[2:3]
	s_abs_i32 s5, s40
	v_add_u32_e32 v2, v2, v3
	v_cvt_f32_u32_e32 v3, s5
	v_sub_u32_e32 v40, v1, v2
	s_ashr_i32 s6, s38, 31
	s_lshr_b32 s6, s6, 25
	v_rcp_iflag_f32_e32 v2, v3
	s_sub_i32 s9, 0, s5
	s_add_i32 s6, s38, s6
	s_ashr_i32 s6, s6, 7
	v_mul_f32_e32 v2, 0x4f7ffffe, v2
	v_cvt_u32_f32_e32 v2, v2
	s_abs_i32 s8, s6
	s_xor_b32 s7, s6, s40
	s_ashr_i32 s7, s7, 31
	v_readfirstlane_b32 s10, v2
	s_mul_i32 s9, s9, s10
	s_mul_hi_u32 s9, s10, s9
	s_add_i32 s10, s10, s9
	s_mul_hi_u32 s9, s8, s10
	s_mul_i32 s10, s9, s5
	s_sub_i32 s8, s8, s10
	s_add_i32 s10, s9, 1
	s_sub_i32 s11, s8, s5
	s_cmp_ge_u32 s8, s5
	s_cselect_b32 s9, s10, s9
	s_cselect_b32 s8, s11, s8
	s_add_i32 s10, s9, 1
	s_cmp_ge_u32 s8, s5
	s_cselect_b32 s5, s10, s9
	s_xor_b32 s5, s5, s7
	s_sub_i32 s64, s5, s7
	s_add_i32 s40, s40, -1
	s_mul_i32 s5, s64, s40
	s_add_i32 s4, s4, s43
	v_and_b32_e32 v56, 31, v0
	v_lshrrev_b32_e32 v2, 3, v0
	s_sub_i32 s65, s6, s5
	v_cmp_gt_i32_e64 s[4:5], s4, v1
	v_lshlrev_b32_e32 v1, 2, v56
	v_and_b32_e32 v3, 4, v2
	v_and_b32_e32 v5, 1, v0
	v_lshlrev_b32_e32 v2, 6, v3
	v_or_b32_e32 v4, 0x3000, v1
	v_or_b32_e32 v3, v3, v5
	;; [unrolled: 1-line block ×4, first 2 shown]
	v_lshlrev_b32_e32 v2, 1, v5
	v_or_b32_e32 v5, 2, v3
	v_sub_u32_e32 v68, 32, v5
	v_or_b32_e32 v5, 8, v3
	v_sub_u32_e32 v69, 32, v5
	;; [unrolled: 2-line block ×5, first 2 shown]
	v_mul_lo_u32 v18, s37, v3
	v_sub_u32_e32 v72, 32, v5
	v_or_b32_e32 v5, 24, v3
	v_or_b32_e32 v3, 26, v3
	v_sub_u32_e32 v74, 32, v3
	v_lshrrev_b32_e32 v3, 1, v0
	s_abs_i32 s66, s33
	v_and_b32_e32 v34, 16, v3
	v_cvt_f32_u32_e32 v3, s66
	v_sub_u32_e32 v2, v0, v2
	v_add_u32_e32 v2, 1, v2
	v_and_b32_e32 v6, 63, v2
	v_bitop3_b32 v59, v0, 1, v0 bitop3:0xc
	v_bitop3_b32 v60, v0, 3, 1 bitop3:0x6c
	;; [unrolled: 1-line block ×8, first 2 shown]
	v_and_b32_e32 v2, 30, v0
	v_lshlrev_b32_e32 v0, 4, v0
	v_and_b32_e32 v0, 0x200, v0
	v_rcp_iflag_f32_e32 v3, v3
	s_abs_i32 s67, s62
	v_or_b32_e32 v77, v1, v0
	v_cvt_f32_u32_e32 v1, s67
	s_lshl_b32 s6, s37, 1
	v_add_u32_e32 v20, s6, v18
	s_mul_i32 s7, s37, 6
	v_or_b32_e32 v75, v4, v0
	v_mul_f32_e32 v0, 0x4f7ffffe, v3
	v_add_u32_e32 v22, s7, v20
	v_cvt_u32_f32_e32 v0, v0
	v_rcp_iflag_f32_e32 v1, v1
	v_add_u32_e32 v24, s6, v22
	v_add_u32_e32 v26, s7, v24
	;; [unrolled: 1-line block ×4, first 2 shown]
	v_readfirstlane_b32 s7, v0
	v_mul_f32_e32 v0, 0x4f7ffffe, v1
	v_cvt_u32_f32_e32 v0, v0
	v_add_u32_e32 v32, s6, v30
	s_sub_i32 s6, 0, s66
	s_mul_i32 s6, s6, s7
	s_mul_hi_u32 s6, s7, s6
	s_add_i32 s69, s7, s6
	s_sub_i32 s6, 0, s67
	v_readfirstlane_b32 s7, v0
	v_mbcnt_lo_u32_b32 v0, -1, 0
	s_mul_i32 s6, s6, s7
	v_mbcnt_hi_u32_b32 v0, -1, v0
	v_mov_b32_e32 v17, 0
	v_mul_lo_u32 v36, s39, v56
	s_mul_hi_u32 s6, s7, s6
	v_and_or_b32 v0, v0, 64, v6
	v_cndmask_b32_e64 v55, 0, 1, s[0:1]
	v_ashrrev_i32_e32 v19, 31, v18
	v_ashrrev_i32_e32 v21, 31, v20
	;; [unrolled: 1-line block ×6, first 2 shown]
	v_sub_u32_e32 v73, 32, v5
	v_ashrrev_i32_e32 v31, 31, v30
	v_ashrrev_i32_e32 v33, 31, v32
	;; [unrolled: 1-line block ×3, first 2 shown]
	v_mov_b32_e32 v35, v17
	v_mul_lo_u32 v76, s38, v56
	s_ashr_i32 s68, s33, 31
	s_ashr_i32 s70, s62, 31
	s_add_i32 s71, s7, s6
	s_movk_i32 s72, 0x60
	v_lshlrev_b32_e32 v16, 1, v2
	s_mov_b32 s73, 0x55555556
	v_lshlrev_b32_e32 v78, 2, v0
	v_mov_b32_e32 v79, v40
	s_branch .LBB239_7
.LBB239_4:                              ;   in Loop: Header=BB239_7 Depth=1
	s_or_b64 exec, exec, s[10:11]
.LBB239_5:                              ;   in Loop: Header=BB239_7 Depth=1
	s_or_b64 exec, exec, s[8:9]
	v_subrev_u32_e32 v79, s77, v79
.LBB239_6:                              ;   in Loop: Header=BB239_7 Depth=1
	s_or_b64 exec, exec, s[6:7]
	s_add_i32 s63, s63, 1
	v_cmp_ge_i32_e32 vcc, s63, v54
	s_cbranch_vccnz .LBB239_48
.LBB239_7:                              ; =>This Loop Header: Depth=1
                                        ;     Child Loop BB239_13 Depth 2
                                        ;       Child Loop BB239_15 Depth 3
                                        ;       Child Loop BB239_18 Depth 3
                                        ;     Child Loop BB239_35 Depth 2
                                        ;       Child Loop BB239_37 Depth 3
                                        ;     Child Loop BB239_45 Depth 2
                                        ;       Child Loop BB239_47 Depth 3
	s_abs_i32 s7, s63
	s_mul_hi_u32 s8, s7, s69
	s_mul_i32 s9, s8, s66
	s_ashr_i32 s6, s63, 31
	s_sub_i32 s7, s7, s9
	s_xor_b32 s6, s6, s68
	s_add_i32 s9, s8, 1
	s_sub_i32 s10, s7, s66
	s_cmp_ge_u32 s7, s66
	s_cselect_b32 s8, s9, s8
	s_cselect_b32 s7, s10, s7
	s_add_i32 s9, s8, 1
	s_cmp_ge_u32 s7, s66
	s_cselect_b32 s7, s9, s8
	s_xor_b32 s7, s7, s6
	s_sub_i32 s6, s7, s6
	s_abs_i32 s8, s6
	s_mul_hi_u32 s9, s8, s71
	s_mul_i32 s7, s6, s33
	s_mul_i32 s10, s9, s67
	s_sub_i32 s74, s63, s7
	s_ashr_i32 s7, s6, 31
	s_sub_i32 s8, s8, s10
	s_xor_b32 s7, s7, s70
	s_add_i32 s10, s9, 1
	s_sub_i32 s11, s8, s67
	s_cmp_ge_u32 s8, s67
	s_cselect_b32 s9, s10, s9
	s_cselect_b32 s8, s11, s8
	s_add_i32 s10, s9, 1
	s_cmp_ge_u32 s8, s67
	s_cselect_b32 s8, s10, s9
	s_xor_b32 s8, s8, s7
	s_sub_i32 s7, s8, s7
	s_mul_i32 s8, s7, s64
	s_lshl_b32 s75, s8, 7
	s_mulk_i32 s74, 0x60
	s_cmp_eq_u32 s7, s40
	s_cselect_b32 s77, s65, s64
	s_sub_i32 s76, s74, s36
	s_addk_i32 s76, 0x60
	s_and_saveexec_b64 s[8:9], s[2:3]
	s_xor_b64 s[52:53], exec, s[8:9]
	s_cbranch_execz .LBB239_41
; %bb.8:                                ;   in Loop: Header=BB239_7 Depth=1
	s_mul_i32 s7, s7, s62
	s_sub_i32 s6, s6, s7
	s_lshl_b32 s6, s6, 5
	s_sub_i32 s14, s6, s37
	s_add_i32 s14, s14, 32
	s_max_i32 s7, s14, 0
	s_sub_i32 s54, s6, s7
	s_and_saveexec_b64 s[6:7], s[0:1]
	s_xor_b64 s[56:57], exec, s[6:7]
	s_cbranch_execz .LBB239_31
; %bb.9:                                ;   in Loop: Header=BB239_7 Depth=1
	s_and_saveexec_b64 s[58:59], s[4:5]
	s_cbranch_execz .LBB239_30
; %bb.10:                               ;   in Loop: Header=BB239_7 Depth=1
	s_waitcnt lgkmcnt(0)
	global_load_dword v80, v17, s[50:51]
	v_mov_b32_e32 v15, 0
	v_cmp_gt_i32_e32 vcc, s77, v79
	v_mov_b32_e32 v14, v15
	v_mov_b32_e32 v13, v15
	;; [unrolled: 1-line block ×15, first 2 shown]
	s_and_saveexec_b64 s[6:7], vcc
	s_cbranch_execz .LBB239_20
; %bb.11:                               ;   in Loop: Header=BB239_7 Depth=1
	v_mov_b32_e32 v0, 0
	s_mov_b64 s[8:9], 0
	v_mov_b32_e32 v1, v0
	v_mov_b32_e32 v2, v0
	;; [unrolled: 1-line block ×15, first 2 shown]
	s_branch .LBB239_13
.LBB239_12:                             ;   in Loop: Header=BB239_13 Depth=2
	s_or_b64 exec, exec, s[10:11]
	v_add_u32_e32 v86, v58, v84
	ds_read2_b32 v[84:85], v86 offset1:32
	v_add_u32_e32 v79, s43, v79
	s_waitcnt lgkmcnt(0)
	v_mfma_f32_32x32x16_fp8_fp8 v[0:15], v[52:53], v[84:85], v[0:15]
	ds_read2_b32 v[52:53], v86 offset0:128 offset1:160
	s_waitcnt lgkmcnt(0)
	v_mfma_f32_32x32x16_fp8_fp8 v[0:15], v[50:51], v[52:53], v[0:15]
	v_add_u32_e32 v52, 0x400, v86
	ds_read2_b32 v[50:51], v52 offset1:32
	s_waitcnt lgkmcnt(0)
	v_mfma_f32_32x32x16_fp8_fp8 v[0:15], v[48:49], v[50:51], v[0:15]
	ds_read2_b32 v[48:49], v52 offset0:128 offset1:160
	s_waitcnt lgkmcnt(0)
	v_mfma_f32_32x32x16_fp8_fp8 v[0:15], v[46:47], v[48:49], v[0:15]
	v_add_u32_e32 v48, 0x800, v86
	ds_read2_b32 v[46:47], v48 offset1:32
	;; [unrolled: 7-line block ×3, first 2 shown]
	ds_read2_b32 v[44:45], v44 offset0:128 offset1:160
	ds_write_b32 v82, v83 offset:16388
	s_waitcnt lgkmcnt(2)
	v_mfma_f32_32x32x16_fp8_fp8 v[0:15], v[40:41], v[42:43], v[0:15]
	v_add_u32_e32 v40, s43, v81
	v_add_u32_e32 v41, 2, v55
	v_cmp_lt_i32_e32 vcc, 0, v40
	s_nop 1
	v_cndmask_b32_e32 v55, v55, v41, vcc
	v_cmp_le_i32_e32 vcc, s77, v79
	s_waitcnt lgkmcnt(1)
	v_mfma_f32_32x32x16_fp8_fp8 v[0:15], v[38:39], v[44:45], v[0:15]
	s_or_b64 s[8:9], vcc, s[8:9]
	s_andn2_b64 exec, exec, s[8:9]
	s_cbranch_execz .LBB239_19
.LBB239_13:                             ;   Parent Loop BB239_7 Depth=1
                                        ; =>  This Loop Header: Depth=2
                                        ;       Child Loop BB239_15 Depth 3
                                        ;       Child Loop BB239_18 Depth 3
	v_cmp_lt_i32_e32 vcc, 0, v40
	s_nop 1
	v_subbrev_co_u32_e32 v81, vcc, 0, v40, vcc
	v_lshlrev_b32_e32 v82, 3, v81
	ds_read_b32 v38, v82 offset:16384
	s_waitcnt lgkmcnt(0)
	v_cmp_ne_u32_e32 vcc, v38, v55
	s_and_saveexec_b64 s[10:11], vcc
	s_cbranch_execz .LBB239_16
; %bb.14:                               ;   in Loop: Header=BB239_13 Depth=2
	s_mov_b64 s[12:13], 0
.LBB239_15:                             ;   Parent Loop BB239_7 Depth=1
                                        ;     Parent Loop BB239_13 Depth=2
                                        ; =>    This Inner Loop Header: Depth=3
	;;#ASMSTART
	s_sleep 0
	;;#ASMEND
	ds_read_b32 v38, v82 offset:16384
	s_waitcnt lgkmcnt(0)
	v_cmp_eq_u32_e32 vcc, v38, v55
	s_or_b64 s[12:13], vcc, s[12:13]
	s_andn2_b64 exec, exec, s[12:13]
	s_cbranch_execnz .LBB239_15
.LBB239_16:                             ;   in Loop: Header=BB239_13 Depth=2
	s_or_b64 exec, exec, s[10:11]
	v_lshlrev_b32_e32 v84, 12, v81
	v_or_b32_e32 v38, v57, v84
	v_add_u32_e32 v39, 0x400, v38
	ds_read2_b32 v[52:53], v38 offset1:32
	ds_read2_b32 v[50:51], v38 offset0:128 offset1:160
	ds_read2_b32 v[48:49], v39 offset1:32
	ds_read2_b32 v[46:47], v39 offset0:128 offset1:160
	v_add_u32_e32 v39, 0x800, v38
	v_add_u32_e32 v38, 0xc00, v38
	ds_read2_b32 v[44:45], v39 offset1:32
	ds_read2_b32 v[42:43], v39 offset0:128 offset1:160
	ds_read2_b32 v[40:41], v38 offset1:32
	ds_read_b32 v85, v82 offset:16388
	ds_read2_b32 v[38:39], v38 offset0:128 offset1:160
	v_add_u32_e32 v83, 1, v55
	ds_write_b32 v82, v83 offset:16384
	s_waitcnt lgkmcnt(2)
	v_cmp_ne_u32_e32 vcc, v85, v55
	s_and_saveexec_b64 s[10:11], vcc
	s_cbranch_execz .LBB239_12
; %bb.17:                               ;   in Loop: Header=BB239_13 Depth=2
	s_mov_b64 s[12:13], 0
.LBB239_18:                             ;   Parent Loop BB239_7 Depth=1
                                        ;     Parent Loop BB239_13 Depth=2
                                        ; =>    This Inner Loop Header: Depth=3
	;;#ASMSTART
	s_sleep 0
	;;#ASMEND
	ds_read_b32 v85, v82 offset:16388
	s_waitcnt lgkmcnt(0)
	v_cmp_eq_u32_e32 vcc, v85, v55
	s_or_b64 s[12:13], vcc, s[12:13]
	s_andn2_b64 exec, exec, s[12:13]
	s_cbranch_execnz .LBB239_18
	s_branch .LBB239_12
.LBB239_19:                             ;   in Loop: Header=BB239_7 Depth=1
	s_or_b64 exec, exec, s[8:9]
.LBB239_20:                             ;   in Loop: Header=BB239_7 Depth=1
	s_or_b64 exec, exec, s[6:7]
	v_cmp_le_i32_e32 vcc, s14, v56
	v_cmp_eq_u32_e64 s[6:7], 3, v59
	v_cmp_eq_u32_e64 s[8:9], 4, v59
	s_waitcnt vmcnt(0)
	v_cndmask_b32_e32 v38, 0, v80, vcc
	s_nop 1
	v_pk_mul_f32 v[0:1], v[38:39], v[0:1] op_sel_hi:[0,1]
	v_cmp_eq_u32_e32 vcc, 1, v59
	v_pk_mul_f32 v[14:15], v[38:39], v[14:15] op_sel_hi:[0,1]
	v_pk_mul_f32 v[12:13], v[38:39], v[12:13] op_sel_hi:[0,1]
	v_pk_mul_f32 v[10:11], v[38:39], v[10:11] op_sel_hi:[0,1]
	v_pk_mul_f32 v[8:9], v[38:39], v[8:9] op_sel_hi:[0,1]
	v_pk_mul_f32 v[6:7], v[38:39], v[6:7] op_sel_hi:[0,1]
	v_pk_mul_f32 v[4:5], v[38:39], v[4:5] op_sel_hi:[0,1]
	v_pk_mul_f32 v[2:3], v[38:39], v[2:3] op_sel_hi:[0,1]
	v_cndmask_b32_e32 v38, v0, v1, vcc
	v_cmp_eq_u32_e32 vcc, 2, v59
	v_cmp_eq_u32_e64 s[10:11], 5, v59
	v_cmp_eq_u32_e64 s[12:13], 6, v59
	v_cndmask_b32_e32 v38, v38, v2, vcc
	v_cndmask_b32_e64 v38, v38, v3, s[6:7]
	v_cndmask_b32_e64 v38, v38, v4, s[8:9]
	;; [unrolled: 1-line block ×4, first 2 shown]
	v_cmp_eq_u32_e64 s[14:15], 7, v59
	v_cmp_eq_u32_e64 s[16:17], 8, v59
	v_cmp_eq_u32_e64 s[18:19], 9, v59
	v_cndmask_b32_e64 v38, v38, v7, s[14:15]
	v_cndmask_b32_e64 v38, v38, v8, s[16:17]
	v_cndmask_b32_e64 v38, v38, v9, s[18:19]
	v_cmp_eq_u32_e64 s[20:21], 10, v59
	v_cmp_eq_u32_e64 s[22:23], 11, v59
	v_cmp_eq_u32_e64 s[24:25], 12, v59
	v_cndmask_b32_e64 v38, v38, v10, s[20:21]
	v_cndmask_b32_e64 v38, v38, v11, s[22:23]
	v_cndmask_b32_e64 v38, v38, v12, s[24:25]
	;; [unrolled: 6-line block ×3, first 2 shown]
	ds_bpermute_b32 v38, v78, v38
	v_cmp_eq_u32_e64 s[34:35], 15, v60
	s_waitcnt lgkmcnt(0)
	v_cndmask_b32_e32 v2, v2, v38, vcc
	v_cmp_ne_u32_e32 vcc, 0, v59
	v_cndmask_b32_e64 v15, v15, v38, s[30:31]
	v_cndmask_b32_e64 v14, v14, v38, s[28:29]
	v_cndmask_b32_e32 v1, v1, v38, vcc
	v_cmp_eq_u32_e32 vcc, 0, v59
	v_cndmask_b32_e64 v13, v13, v38, s[26:27]
	v_cndmask_b32_e64 v12, v12, v38, s[24:25]
	v_cndmask_b32_e32 v0, v0, v38, vcc
	v_cmp_eq_u32_e32 vcc, 1, v60
	v_cndmask_b32_e64 v11, v11, v38, s[22:23]
	v_cndmask_b32_e64 v10, v10, v38, s[20:21]
	;; [unrolled: 1-line block ×9, first 2 shown]
	v_cndmask_b32_e32 v38, v0, v1, vcc
	v_cmp_eq_u32_e64 s[6:7], 2, v60
	v_cmp_eq_u32_e64 s[8:9], 3, v60
	v_cmp_eq_u32_e64 s[10:11], 4, v60
	v_cndmask_b32_e64 v38, v38, v2, s[6:7]
	v_cndmask_b32_e64 v38, v38, v3, s[8:9]
	v_cndmask_b32_e64 v38, v38, v4, s[10:11]
	v_cmp_eq_u32_e64 s[12:13], 5, v60
	v_cmp_eq_u32_e64 s[14:15], 6, v60
	v_cmp_eq_u32_e64 s[16:17], 7, v60
	v_cndmask_b32_e64 v38, v38, v5, s[12:13]
	v_cndmask_b32_e64 v38, v38, v6, s[14:15]
	v_cndmask_b32_e64 v38, v38, v7, s[16:17]
	;; [unrolled: 6-line block ×4, first 2 shown]
	v_cmp_eq_u32_e64 s[30:31], 14, v60
	s_nop 1
	v_cndmask_b32_e64 v38, v38, v14, s[30:31]
	v_cndmask_b32_e64 v38, v38, v15, s[34:35]
	ds_bpermute_b32 v38, v78, v38
	s_waitcnt lgkmcnt(0)
	v_cndmask_b32_e32 v1, v1, v38, vcc
	v_cmp_eq_u32_e32 vcc, 0, v60
	v_cndmask_b32_e64 v15, v15, v38, s[34:35]
	v_cndmask_b32_e64 v14, v14, v38, s[30:31]
	v_cndmask_b32_e32 v0, v0, v38, vcc
	v_cmp_eq_u32_e32 vcc, 1, v61
	v_cndmask_b32_e64 v13, v13, v38, s[28:29]
	v_cndmask_b32_e64 v12, v12, v38, s[26:27]
	v_cndmask_b32_e64 v11, v11, v38, s[24:25]
	v_cndmask_b32_e64 v10, v10, v38, s[22:23]
	v_cndmask_b32_e64 v9, v9, v38, s[20:21]
	v_cndmask_b32_e64 v8, v8, v38, s[18:19]
	v_cndmask_b32_e64 v7, v7, v38, s[16:17]
	v_cndmask_b32_e64 v6, v6, v38, s[14:15]
	v_cndmask_b32_e64 v5, v5, v38, s[12:13]
	v_cndmask_b32_e64 v4, v4, v38, s[10:11]
	v_cndmask_b32_e64 v3, v3, v38, s[8:9]
	v_cndmask_b32_e64 v2, v2, v38, s[6:7]
	v_cndmask_b32_e32 v38, v0, v1, vcc
	v_cmp_eq_u32_e64 s[6:7], 2, v61
	v_cmp_eq_u32_e64 s[8:9], 3, v61
	v_cmp_eq_u32_e64 s[10:11], 4, v61
	v_cndmask_b32_e64 v38, v38, v2, s[6:7]
	v_cndmask_b32_e64 v38, v38, v3, s[8:9]
	v_cndmask_b32_e64 v38, v38, v4, s[10:11]
	v_cmp_eq_u32_e64 s[12:13], 5, v61
	v_cmp_eq_u32_e64 s[14:15], 6, v61
	v_cmp_eq_u32_e64 s[16:17], 7, v61
	v_cndmask_b32_e64 v38, v38, v5, s[12:13]
	v_cndmask_b32_e64 v38, v38, v6, s[14:15]
	v_cndmask_b32_e64 v38, v38, v7, s[16:17]
	v_cmp_eq_u32_e64 s[18:19], 8, v61
	v_cmp_eq_u32_e64 s[20:21], 9, v61
	v_cmp_eq_u32_e64 s[22:23], 10, v61
	v_cndmask_b32_e64 v38, v38, v8, s[18:19]
	v_cndmask_b32_e64 v38, v38, v9, s[20:21]
	v_cndmask_b32_e64 v38, v38, v10, s[22:23]
	v_cmp_eq_u32_e64 s[24:25], 11, v61
	v_cmp_eq_u32_e64 s[26:27], 12, v61
	v_cmp_eq_u32_e64 s[28:29], 13, v61
	v_cndmask_b32_e64 v38, v38, v11, s[24:25]
	v_cndmask_b32_e64 v38, v38, v12, s[26:27]
	v_cndmask_b32_e64 v38, v38, v13, s[28:29]
	v_cmp_eq_u32_e64 s[30:31], 14, v61
	v_cmp_eq_u32_e64 s[34:35], 15, v61
	s_nop 0
	v_cndmask_b32_e64 v38, v38, v14, s[30:31]
	v_cndmask_b32_e64 v38, v38, v15, s[34:35]
	ds_bpermute_b32 v38, v78, v38
	s_waitcnt lgkmcnt(0)
	v_cndmask_b32_e32 v1, v1, v38, vcc
	v_cmp_eq_u32_e32 vcc, 0, v61
	v_cndmask_b32_e64 v15, v15, v38, s[34:35]
	v_cndmask_b32_e64 v14, v14, v38, s[30:31]
	v_cndmask_b32_e32 v0, v0, v38, vcc
	v_cmp_eq_u32_e32 vcc, 1, v62
	v_cndmask_b32_e64 v13, v13, v38, s[28:29]
	v_cndmask_b32_e64 v12, v12, v38, s[26:27]
	v_cndmask_b32_e64 v11, v11, v38, s[24:25]
	v_cndmask_b32_e64 v10, v10, v38, s[22:23]
	v_cndmask_b32_e64 v9, v9, v38, s[20:21]
	v_cndmask_b32_e64 v8, v8, v38, s[18:19]
	v_cndmask_b32_e64 v7, v7, v38, s[16:17]
	v_cndmask_b32_e64 v6, v6, v38, s[14:15]
	v_cndmask_b32_e64 v5, v5, v38, s[12:13]
	v_cndmask_b32_e64 v4, v4, v38, s[10:11]
	v_cndmask_b32_e64 v3, v3, v38, s[8:9]
	v_cndmask_b32_e64 v2, v2, v38, s[6:7]
	v_cndmask_b32_e32 v38, v0, v1, vcc
	v_cmp_eq_u32_e64 s[6:7], 2, v62
	v_cmp_eq_u32_e64 s[8:9], 3, v62
	v_cmp_eq_u32_e64 s[10:11], 4, v62
	v_cndmask_b32_e64 v38, v38, v2, s[6:7]
	v_cndmask_b32_e64 v38, v38, v3, s[8:9]
	v_cndmask_b32_e64 v38, v38, v4, s[10:11]
	v_cmp_eq_u32_e64 s[12:13], 5, v62
	v_cmp_eq_u32_e64 s[14:15], 6, v62
	v_cmp_eq_u32_e64 s[16:17], 7, v62
	v_cndmask_b32_e64 v38, v38, v5, s[12:13]
	v_cndmask_b32_e64 v38, v38, v6, s[14:15]
	v_cndmask_b32_e64 v38, v38, v7, s[16:17]
	v_cmp_eq_u32_e64 s[18:19], 8, v62
	v_cmp_eq_u32_e64 s[20:21], 9, v62
	v_cmp_eq_u32_e64 s[22:23], 10, v62
	v_cndmask_b32_e64 v38, v38, v8, s[18:19]
	v_cndmask_b32_e64 v38, v38, v9, s[20:21]
	v_cndmask_b32_e64 v38, v38, v10, s[22:23]
	v_cmp_eq_u32_e64 s[24:25], 11, v62
	v_cmp_eq_u32_e64 s[26:27], 12, v62
	v_cmp_eq_u32_e64 s[28:29], 13, v62
	v_cndmask_b32_e64 v38, v38, v11, s[24:25]
	v_cndmask_b32_e64 v38, v38, v12, s[26:27]
	v_cndmask_b32_e64 v38, v38, v13, s[28:29]
	v_cmp_eq_u32_e64 s[30:31], 14, v62
	;; [unrolled: 50-line block ×4, first 2 shown]
	v_cmp_eq_u32_e64 s[34:35], 15, v64
	s_nop 0
	v_cndmask_b32_e64 v38, v38, v14, s[30:31]
	v_cndmask_b32_e64 v38, v38, v15, s[34:35]
	ds_bpermute_b32 v38, v78, v38
	s_waitcnt lgkmcnt(0)
	v_cndmask_b32_e32 v1, v1, v38, vcc
	v_cmp_eq_u32_e32 vcc, 0, v64
	v_cndmask_b32_e64 v15, v15, v38, s[34:35]
	v_cndmask_b32_e64 v14, v14, v38, s[30:31]
	;; [unrolled: 1-line block ×14, first 2 shown]
	v_cndmask_b32_e32 v38, v0, v38, vcc
	v_cmp_eq_u32_e32 vcc, 1, v65
	v_cmp_eq_u32_e64 s[6:7], 2, v65
	v_cmp_eq_u32_e64 s[8:9], 3, v65
	v_cndmask_b32_e32 v0, v38, v1, vcc
	v_cndmask_b32_e64 v0, v0, v47, s[6:7]
	v_cndmask_b32_e64 v0, v0, v46, s[8:9]
	v_cmp_eq_u32_e64 s[10:11], 4, v65
	v_cmp_eq_u32_e64 s[12:13], 5, v65
	v_cmp_eq_u32_e64 s[14:15], 6, v65
	v_cndmask_b32_e64 v0, v0, v45, s[10:11]
	v_cndmask_b32_e64 v0, v0, v44, s[12:13]
	v_cndmask_b32_e64 v0, v0, v43, s[14:15]
	v_cmp_eq_u32_e64 s[16:17], 7, v65
	v_cmp_eq_u32_e64 s[18:19], 8, v65
	v_cmp_eq_u32_e64 s[20:21], 9, v65
	v_cndmask_b32_e64 v0, v0, v42, s[16:17]
	;; [unrolled: 6-line block ×4, first 2 shown]
	v_cndmask_b32_e64 v0, v0, v14, s[30:31]
	v_cndmask_b32_e64 v0, v0, v15, s[34:35]
	ds_bpermute_b32 v48, v78, v0
	s_waitcnt lgkmcnt(0)
	v_cndmask_b32_e32 v0, v1, v48, vcc
	v_cmp_eq_u32_e32 vcc, 0, v65
	v_cndmask_b32_e64 v4, v15, v48, s[34:35]
	v_cndmask_b32_e64 v15, v47, v48, s[6:7]
	v_cndmask_b32_e32 v1, v38, v48, vcc
	v_cmp_eq_u32_e32 vcc, 1, v66
	v_cndmask_b32_e64 v5, v14, v48, s[30:31]
	v_cndmask_b32_e64 v14, v46, v48, s[8:9]
	;; [unrolled: 4-line block ×7, first 2 shown]
	v_cndmask_b32_e32 v38, v38, v13, vcc
	v_cmp_eq_u32_e32 vcc, 7, v66
	s_nop 1
	v_cndmask_b32_e32 v38, v38, v12, vcc
	v_cmp_eq_u32_e32 vcc, 8, v66
	s_nop 1
	;; [unrolled: 3-line block ×9, first 2 shown]
	v_cndmask_b32_e32 v38, v38, v4, vcc
	ds_bpermute_b32 v38, v78, v38
	v_cmp_lt_i32_e32 vcc, s76, v67
	s_and_saveexec_b64 s[60:61], vcc
	s_cbranch_execz .LBB239_29
; %bb.21:                               ;   in Loop: Header=BB239_7 Depth=1
	s_mul_i32 s6, s74, s37
	s_ashr_i32 s7, s6, 31
	s_lshl_b64 s[6:7], s[6:7], 1
	v_cmp_eq_u32_e64 s[30:31], 1, v66
	s_add_u32 s8, s48, s6
	s_addc_u32 s9, s49, s7
	s_waitcnt lgkmcnt(0)
	v_cndmask_b32_e64 v0, v0, v38, s[30:31]
	v_cmp_eq_u32_e64 s[30:31], 0, v66
	s_ashr_i32 s55, s54, 31
	s_lshl_b64 s[6:7], s[54:55], 1
	v_cndmask_b32_e64 v1, v1, v38, s[30:31]
	v_cvt_f16_f32_e32 v39, v1
	v_cvt_f16_f32_sdwa v41, v0 dst_sel:WORD_1 dst_unused:UNUSED_PAD src0_sel:DWORD
	s_add_u32 s34, s8, s6
	s_addc_u32 s35, s9, s7
	v_cmp_eq_u32_e64 s[8:9], 15, v66
	v_cmp_eq_u32_e64 s[10:11], 14, v66
	;; [unrolled: 1-line block ×10, first 2 shown]
	v_cmp_eq_u32_e32 vcc, 5, v66
	v_cmp_eq_u32_e64 s[6:7], 4, v66
	v_cmp_eq_u32_e64 s[28:29], 3, v66
	;; [unrolled: 1-line block ×3, first 2 shown]
	v_lshl_add_u64 v[0:1], s[34:35], 0, v[16:17]
	v_cmp_lt_i32_e64 s[34:35], s76, v68
	v_lshl_add_u64 v[42:43], v[18:19], 1, v[0:1]
	v_or_b32_e32 v39, v41, v39
	;;#ASMSTART
	global_atomic_pk_add_f16 v[42:43], v39, off
	
	;;#ASMEND
	s_and_b64 exec, exec, s[34:35]
	s_cbranch_execz .LBB239_29
; %bb.22:                               ;   in Loop: Header=BB239_7 Depth=1
	v_cndmask_b32_e64 v14, v14, v38, s[28:29]
	v_cndmask_b32_e64 v15, v15, v38, s[30:31]
	v_cvt_f16_f32_e32 v39, v15
	v_cvt_f16_f32_sdwa v41, v14 dst_sel:WORD_1 dst_unused:UNUSED_PAD src0_sel:DWORD
	v_cndmask_b32_e64 v4, v4, v38, s[8:9]
	v_cndmask_b32_e64 v5, v5, v38, s[10:11]
	;; [unrolled: 1-line block ×10, first 2 shown]
	v_cndmask_b32_e32 v2, v2, v38, vcc
	v_cndmask_b32_e64 v3, v3, v38, s[6:7]
	v_cmp_lt_i32_e32 vcc, s76, v69
	v_lshl_add_u64 v[14:15], v[20:21], 1, v[0:1]
	v_or_b32_e32 v38, v41, v39
	;;#ASMSTART
	global_atomic_pk_add_f16 v[14:15], v38, off
	
	;;#ASMEND
	s_and_b64 exec, exec, vcc
	s_cbranch_execz .LBB239_29
; %bb.23:                               ;   in Loop: Header=BB239_7 Depth=1
	v_cvt_f16_f32_e32 v14, v3
	v_cvt_f16_f32_sdwa v15, v2 dst_sel:WORD_1 dst_unused:UNUSED_PAD src0_sel:DWORD
	v_cmp_lt_i32_e32 vcc, s76, v70
	v_lshl_add_u64 v[2:3], v[22:23], 1, v[0:1]
	v_or_b32_e32 v14, v15, v14
	;;#ASMSTART
	global_atomic_pk_add_f16 v[2:3], v14, off
	
	;;#ASMEND
	s_and_b64 exec, exec, vcc
	s_cbranch_execz .LBB239_29
; %bb.24:                               ;   in Loop: Header=BB239_7 Depth=1
	v_cvt_f16_f32_e32 v13, v13
	v_cvt_f16_f32_sdwa v12, v12 dst_sel:WORD_1 dst_unused:UNUSED_PAD src0_sel:DWORD
	;; [unrolled: 12-line block ×6, first 2 shown]
	v_lshl_add_u64 v[0:1], v[32:33], 1, v[0:1]
	v_or_b32_e32 v2, v3, v2
	;;#ASMSTART
	global_atomic_pk_add_f16 v[0:1], v2, off
	
	;;#ASMEND
.LBB239_29:                             ;   in Loop: Header=BB239_7 Depth=1
	s_or_b64 exec, exec, s[60:61]
	v_subrev_u32_e32 v79, s77, v79
.LBB239_30:                             ;   in Loop: Header=BB239_7 Depth=1
	s_or_b64 exec, exec, s[58:59]
.LBB239_31:                             ;   in Loop: Header=BB239_7 Depth=1
	s_andn2_saveexec_b64 s[6:7], s[56:57]
	s_cbranch_execz .LBB239_40
; %bb.32:                               ;   in Loop: Header=BB239_7 Depth=1
	v_cmp_gt_i32_e32 vcc, s77, v79
	s_and_saveexec_b64 s[8:9], vcc
	s_cbranch_execz .LBB239_39
; %bb.33:                               ;   in Loop: Header=BB239_7 Depth=1
	s_mul_i32 s10, s54, s39
	s_ashr_i32 s11, s10, 31
	s_waitcnt lgkmcnt(0)
	s_add_u32 s10, s46, s10
	s_addc_u32 s11, s47, s11
	s_ashr_i32 s12, s75, 31
	s_add_u32 s10, s10, s75
	s_addc_u32 s11, s11, s12
	v_lshl_add_u64 v[0:1], s[10:11], 0, v[36:37]
	v_lshl_add_u64 v[38:39], v[0:1], 0, v[34:35]
	s_mov_b64 s[10:11], 0
	s_branch .LBB239_35
.LBB239_34:                             ;   in Loop: Header=BB239_35 Depth=2
	s_or_b64 exec, exec, s[12:13]
	v_lshl_add_u32 v42, v40, 12, v75
	;;#ASMSTART
	s_waitcnt vmcnt(3)
	;;#ASMEND
	ds_write2_b32 v42, v12, v13 offset1:32
	ds_write2_b32 v42, v14, v15 offset0:64 offset1:96
	v_add_u32_e32 v12, 0x400, v42
	;;#ASMSTART
	s_waitcnt vmcnt(2)
	;;#ASMEND
	ds_write2_b32 v12, v8, v9 offset1:32
	ds_write2_b32 v12, v10, v11 offset0:64 offset1:96
	v_add_u32_e32 v8, 0x800, v42
	;; [unrolled: 6-line block ×3, first 2 shown]
	v_add_u32_e32 v79, s42, v79
	;;#ASMSTART
	s_waitcnt vmcnt(0)
	;;#ASMEND
	ds_write2_b32 v4, v0, v1 offset1:32
	ds_write2_b32 v4, v2, v3 offset0:64 offset1:96
	v_add_u32_e32 v0, 1, v55
	v_add_u32_e32 v40, s42, v40
	v_cmp_le_i32_e32 vcc, s77, v79
	ds_write_b32 v41, v0 offset:12
	v_add_u32_e32 v0, 2, v55
	s_or_b64 s[10:11], vcc, s[10:11]
	v_cmp_lt_i32_e32 vcc, 0, v40
	s_nop 1
	v_cndmask_b32_e32 v55, v55, v0, vcc
	s_andn2_b64 exec, exec, s[10:11]
	s_cbranch_execz .LBB239_38
.LBB239_35:                             ;   Parent Loop BB239_7 Depth=1
                                        ; =>  This Loop Header: Depth=2
                                        ;       Child Loop BB239_37 Depth 3
	v_cmp_lt_i32_e32 vcc, 0, v40
	v_lshlrev_b32_e32 v0, 7, v79
	v_ashrrev_i32_e32 v1, 31, v0
	v_subbrev_co_u32_e32 v40, vcc, 0, v40, vcc
	v_lshl_add_u64 v[0:1], v[38:39], 0, v[0:1]
	v_lshlrev_b32_e32 v41, 2, v40
	;;#ASMSTART
	global_load_dwordx4 v[12:15], v[0:1], off offset:0   sc0 sc1 nt  
	global_load_dwordx4 v[8:11], v[0:1], off offset:32  sc0 sc1 nt  
	global_load_dwordx4 v[4:7], v[0:1], off offset:64  sc0 sc1 nt  
	;; [unrolled: 1-line block ×3, first 2 shown]
	
	;;#ASMEND
	ds_read_b32 v42, v41 offset:16396
	v_add_u32_e32 v41, 0x4000, v41
	s_waitcnt lgkmcnt(0)
	v_cmp_ne_u32_e32 vcc, v42, v55
	s_and_saveexec_b64 s[12:13], vcc
	s_cbranch_execz .LBB239_34
; %bb.36:                               ;   in Loop: Header=BB239_35 Depth=2
	s_mov_b64 s[14:15], 0
.LBB239_37:                             ;   Parent Loop BB239_7 Depth=1
                                        ;     Parent Loop BB239_35 Depth=2
                                        ; =>    This Inner Loop Header: Depth=3
	;;#ASMSTART
	s_sleep 0
	;;#ASMEND
	ds_read_b32 v42, v41 offset:12
	s_waitcnt lgkmcnt(0)
	v_cmp_eq_u32_e32 vcc, v42, v55
	s_or_b64 s[14:15], vcc, s[14:15]
	s_andn2_b64 exec, exec, s[14:15]
	s_cbranch_execnz .LBB239_37
	s_branch .LBB239_34
.LBB239_38:                             ;   in Loop: Header=BB239_7 Depth=1
	s_or_b64 exec, exec, s[10:11]
.LBB239_39:                             ;   in Loop: Header=BB239_7 Depth=1
	s_or_b64 exec, exec, s[8:9]
	v_subrev_u32_e32 v79, s77, v79
.LBB239_40:                             ;   in Loop: Header=BB239_7 Depth=1
	s_or_b64 exec, exec, s[6:7]
.LBB239_41:                             ;   in Loop: Header=BB239_7 Depth=1
	s_andn2_saveexec_b64 s[6:7], s[52:53]
	s_cbranch_execz .LBB239_6
; %bb.42:                               ;   in Loop: Header=BB239_7 Depth=1
	s_mul_i32 s77, s77, 3
	v_cmp_gt_i32_e32 vcc, s77, v79
	s_and_saveexec_b64 s[8:9], vcc
	s_cbranch_execz .LBB239_5
; %bb.43:                               ;   in Loop: Header=BB239_7 Depth=1
	s_mul_i32 s74, s74, s38
	s_max_i32 s12, s76, 0
	s_ashr_i32 s10, s74, 31
	s_waitcnt lgkmcnt(0)
	s_add_u32 s11, s44, s74
	v_add_u32_e32 v2, s12, v56
	s_addc_u32 s13, s45, s10
	s_ashr_i32 s14, s75, 31
	v_cmp_gt_u32_e32 vcc, s72, v2
	s_add_u32 s10, s11, s75
	s_addc_u32 s11, s13, s14
	v_cndmask_b32_e32 v0, 0, v76, vcc
	v_ashrrev_i32_e32 v1, 31, v0
	v_lshl_add_u64 v[0:1], s[10:11], 0, v[0:1]
	v_lshl_add_u64 v[38:39], v[0:1], 0, v[34:35]
	v_sub_u32_e32 v41, 0x5f, v2
	s_mov_b64 s[10:11], 0
	s_branch .LBB239_45
.LBB239_44:                             ;   in Loop: Header=BB239_45 Depth=2
	s_or_b64 exec, exec, s[12:13]
	v_lshl_or_b32 v43, v40, 12, v77
	;;#ASMSTART
	s_waitcnt vmcnt(3)
	;;#ASMEND
	ds_write2_b32 v43, v12, v13 offset1:32
	ds_write2_b32 v43, v14, v15 offset0:64 offset1:96
	v_add_u32_e32 v12, 0x400, v43
	;;#ASMSTART
	s_waitcnt vmcnt(2)
	;;#ASMEND
	ds_write2_b32 v12, v8, v9 offset1:32
	ds_write2_b32 v12, v10, v11 offset0:64 offset1:96
	v_add_u32_e32 v8, 0x800, v43
	;;#ASMSTART
	s_waitcnt vmcnt(1)
	;;#ASMEND
	ds_write2_b32 v8, v4, v5 offset1:32
	ds_write2_b32 v8, v6, v7 offset0:64 offset1:96
	v_add_u32_e32 v4, 0xc00, v43
	v_add_u32_e32 v79, s41, v79
	;;#ASMSTART
	s_waitcnt vmcnt(0)
	;;#ASMEND
	ds_write2_b32 v4, v0, v1 offset1:32
	ds_write2_b32 v4, v2, v3 offset0:64 offset1:96
	v_add_u32_e32 v0, 1, v55
	v_add_u32_e32 v40, s41, v40
	v_cmp_le_i32_e32 vcc, s77, v79
	ds_write_b32 v42, v0
	v_add_u32_e32 v0, 2, v55
	s_or_b64 s[10:11], vcc, s[10:11]
	v_cmp_lt_i32_e32 vcc, 2, v40
	s_nop 1
	v_cndmask_b32_e32 v55, v55, v0, vcc
	s_andn2_b64 exec, exec, s[10:11]
	s_cbranch_execz .LBB239_4
.LBB239_45:                             ;   Parent Loop BB239_7 Depth=1
                                        ; =>  This Loop Header: Depth=2
                                        ;       Child Loop BB239_47 Depth 3
	v_cmp_gt_i32_e32 vcc, 3, v40
	s_nop 1
	v_cndmask_b32_e64 v0, -3, 0, vcc
	v_add_u32_e32 v40, v0, v40
	v_mul_hi_i32 v0, v79, s73
	v_lshrrev_b32_e32 v1, 31, v0
	v_add_u32_e32 v0, v0, v1
	v_lshl_add_u32 v1, v0, 1, v0
	v_sub_u32_e32 v1, v79, v1
	v_lshlrev_b32_e32 v1, 5, v1
	v_cmp_le_i32_e32 vcc, v1, v41
	v_lshlrev_b32_e32 v0, 7, v0
	v_lshlrev_b32_e32 v42, 2, v40
	v_cndmask_b32_e32 v2, 0, v1, vcc
	v_ashrrev_i32_e32 v1, 31, v0
	v_mul_lo_u32 v2, v2, s38
	v_lshl_add_u64 v[0:1], v[38:39], 0, v[0:1]
	v_ashrrev_i32_e32 v3, 31, v2
	v_lshl_add_u64 v[0:1], v[0:1], 0, v[2:3]
	;;#ASMSTART
	global_load_dwordx4 v[12:15], v[0:1], off offset:0   
	global_load_dwordx4 v[8:11], v[0:1], off offset:32  
	;; [unrolled: 1-line block ×4, first 2 shown]
	
	;;#ASMEND
	ds_read_b32 v43, v42 offset:16384
	v_add_u32_e32 v42, 0x4000, v42
	s_waitcnt lgkmcnt(0)
	v_cmp_ne_u32_e32 vcc, v43, v55
	s_and_saveexec_b64 s[12:13], vcc
	s_cbranch_execz .LBB239_44
; %bb.46:                               ;   in Loop: Header=BB239_45 Depth=2
	s_mov_b64 s[14:15], 0
.LBB239_47:                             ;   Parent Loop BB239_7 Depth=1
                                        ;     Parent Loop BB239_45 Depth=2
                                        ; =>    This Inner Loop Header: Depth=3
	;;#ASMSTART
	s_sleep 0
	;;#ASMEND
	ds_read_b32 v43, v42
	s_waitcnt lgkmcnt(0)
	v_cmp_eq_u32_e32 vcc, v43, v55
	s_or_b64 s[14:15], vcc, s[14:15]
	s_andn2_b64 exec, exec, s[14:15]
	s_cbranch_execnz .LBB239_47
	s_branch .LBB239_44
.LBB239_48:
	s_endpgm
	.section	.rodata,"a",@progbits
	.p2align	6, 0x0
	.amdhsa_kernel _Z19_skinny_gemm_kernelILi3ELi1ELi1ELi32ELi8EEvPKhS1_P6__halfPKfiiiiiiii
		.amdhsa_group_segment_fixed_size 16400
		.amdhsa_private_segment_fixed_size 0
		.amdhsa_kernarg_size 64
		.amdhsa_user_sgpr_count 2
		.amdhsa_user_sgpr_dispatch_ptr 0
		.amdhsa_user_sgpr_queue_ptr 0
		.amdhsa_user_sgpr_kernarg_segment_ptr 1
		.amdhsa_user_sgpr_dispatch_id 0
		.amdhsa_user_sgpr_kernarg_preload_length 0
		.amdhsa_user_sgpr_kernarg_preload_offset 0
		.amdhsa_user_sgpr_private_segment_size 0
		.amdhsa_uses_dynamic_stack 0
		.amdhsa_enable_private_segment 0
		.amdhsa_system_sgpr_workgroup_id_x 1
		.amdhsa_system_sgpr_workgroup_id_y 0
		.amdhsa_system_sgpr_workgroup_id_z 0
		.amdhsa_system_sgpr_workgroup_info 0
		.amdhsa_system_vgpr_workitem_id 0
		.amdhsa_next_free_vgpr 87
		.amdhsa_next_free_sgpr 78
		.amdhsa_accum_offset 88
		.amdhsa_reserve_vcc 1
		.amdhsa_float_round_mode_32 0
		.amdhsa_float_round_mode_16_64 0
		.amdhsa_float_denorm_mode_32 3
		.amdhsa_float_denorm_mode_16_64 3
		.amdhsa_dx10_clamp 1
		.amdhsa_ieee_mode 1
		.amdhsa_fp16_overflow 0
		.amdhsa_tg_split 0
		.amdhsa_exception_fp_ieee_invalid_op 0
		.amdhsa_exception_fp_denorm_src 0
		.amdhsa_exception_fp_ieee_div_zero 0
		.amdhsa_exception_fp_ieee_overflow 0
		.amdhsa_exception_fp_ieee_underflow 0
		.amdhsa_exception_fp_ieee_inexact 0
		.amdhsa_exception_int_div_zero 0
	.end_amdhsa_kernel
	.section	.text._Z19_skinny_gemm_kernelILi3ELi1ELi1ELi32ELi8EEvPKhS1_P6__halfPKfiiiiiiii,"axG",@progbits,_Z19_skinny_gemm_kernelILi3ELi1ELi1ELi32ELi8EEvPKhS1_P6__halfPKfiiiiiiii,comdat
.Lfunc_end239:
	.size	_Z19_skinny_gemm_kernelILi3ELi1ELi1ELi32ELi8EEvPKhS1_P6__halfPKfiiiiiiii, .Lfunc_end239-_Z19_skinny_gemm_kernelILi3ELi1ELi1ELi32ELi8EEvPKhS1_P6__halfPKfiiiiiiii
                                        ; -- End function
	.set _Z19_skinny_gemm_kernelILi3ELi1ELi1ELi32ELi8EEvPKhS1_P6__halfPKfiiiiiiii.num_vgpr, 87
	.set _Z19_skinny_gemm_kernelILi3ELi1ELi1ELi32ELi8EEvPKhS1_P6__halfPKfiiiiiiii.num_agpr, 0
	.set _Z19_skinny_gemm_kernelILi3ELi1ELi1ELi32ELi8EEvPKhS1_P6__halfPKfiiiiiiii.numbered_sgpr, 78
	.set _Z19_skinny_gemm_kernelILi3ELi1ELi1ELi32ELi8EEvPKhS1_P6__halfPKfiiiiiiii.num_named_barrier, 0
	.set _Z19_skinny_gemm_kernelILi3ELi1ELi1ELi32ELi8EEvPKhS1_P6__halfPKfiiiiiiii.private_seg_size, 0
	.set _Z19_skinny_gemm_kernelILi3ELi1ELi1ELi32ELi8EEvPKhS1_P6__halfPKfiiiiiiii.uses_vcc, 1
	.set _Z19_skinny_gemm_kernelILi3ELi1ELi1ELi32ELi8EEvPKhS1_P6__halfPKfiiiiiiii.uses_flat_scratch, 0
	.set _Z19_skinny_gemm_kernelILi3ELi1ELi1ELi32ELi8EEvPKhS1_P6__halfPKfiiiiiiii.has_dyn_sized_stack, 0
	.set _Z19_skinny_gemm_kernelILi3ELi1ELi1ELi32ELi8EEvPKhS1_P6__halfPKfiiiiiiii.has_recursion, 0
	.set _Z19_skinny_gemm_kernelILi3ELi1ELi1ELi32ELi8EEvPKhS1_P6__halfPKfiiiiiiii.has_indirect_call, 0
	.section	.AMDGPU.csdata,"",@progbits
; Kernel info:
; codeLenInByte = 6412
; TotalNumSgprs: 84
; NumVgprs: 87
; NumAgprs: 0
; TotalNumVgprs: 87
; ScratchSize: 0
; MemoryBound: 0
; FloatMode: 240
; IeeeMode: 1
; LDSByteSize: 16400 bytes/workgroup (compile time only)
; SGPRBlocks: 10
; VGPRBlocks: 10
; NumSGPRsForWavesPerEU: 84
; NumVGPRsForWavesPerEU: 87
; AccumOffset: 88
; Occupancy: 5
; WaveLimiterHint : 0
; COMPUTE_PGM_RSRC2:SCRATCH_EN: 0
; COMPUTE_PGM_RSRC2:USER_SGPR: 2
; COMPUTE_PGM_RSRC2:TRAP_HANDLER: 0
; COMPUTE_PGM_RSRC2:TGID_X_EN: 1
; COMPUTE_PGM_RSRC2:TGID_Y_EN: 0
; COMPUTE_PGM_RSRC2:TGID_Z_EN: 0
; COMPUTE_PGM_RSRC2:TIDIG_COMP_CNT: 0
; COMPUTE_PGM_RSRC3_GFX90A:ACCUM_OFFSET: 21
; COMPUTE_PGM_RSRC3_GFX90A:TG_SPLIT: 0
	.section	.text._Z19_skinny_gemm_kernelILi3ELi1ELi2ELi16ELi4EEvPKhS1_P6__halfPKfiiiiiiii,"axG",@progbits,_Z19_skinny_gemm_kernelILi3ELi1ELi2ELi16ELi4EEvPKhS1_P6__halfPKfiiiiiiii,comdat
	.protected	_Z19_skinny_gemm_kernelILi3ELi1ELi2ELi16ELi4EEvPKhS1_P6__halfPKfiiiiiiii ; -- Begin function _Z19_skinny_gemm_kernelILi3ELi1ELi2ELi16ELi4EEvPKhS1_P6__halfPKfiiiiiiii
	.globl	_Z19_skinny_gemm_kernelILi3ELi1ELi2ELi16ELi4EEvPKhS1_P6__halfPKfiiiiiiii
	.p2align	8
	.type	_Z19_skinny_gemm_kernelILi3ELi1ELi2ELi16ELi4EEvPKhS1_P6__halfPKfiiiiiiii,@function
_Z19_skinny_gemm_kernelILi3ELi1ELi2ELi16ELi4EEvPKhS1_P6__halfPKfiiiiiiii: ; @_Z19_skinny_gemm_kernelILi3ELi1ELi2ELi16ELi4EEvPKhS1_P6__halfPKfiiiiiiii
; %bb.0:
	v_cmp_gt_u32_e32 vcc, 8, v0
	v_lshlrev_b32_e32 v1, 2, v0
	s_and_saveexec_b64 s[4:5], vcc
; %bb.1:
	v_mov_b32_e32 v2, 0
	ds_write_b32 v1, v2 offset:16384
; %bb.2:
	s_or_b64 exec, exec, s[4:5]
	s_load_dwordx8 s[12:19], s[0:1], 0x20
	s_waitcnt lgkmcnt(0)
	s_barrier
	s_add_i32 s3, s12, 47
	s_add_i32 s4, s13, 15
	s_mul_hi_i32 s3, s3, 0x2aaaaaab
	s_lshr_b32 s5, s3, 31
	s_ashr_i32 s33, s3, 3
	s_ashr_i32 s3, s4, 31
	s_lshr_b32 s3, s3, 28
	s_add_i32 s4, s4, s3
	s_add_i32 s33, s33, s5
	s_ashr_i32 s42, s4, 4
	s_mul_i32 s3, s42, s33
	s_mul_i32 s3, s3, s16
	s_add_i32 s4, s3, 0x12f
	s_mul_hi_i32 s4, s4, 0x6bca1af3
	s_lshr_b32 s5, s4, 31
	s_ashr_i32 s4, s4, 7
	s_add_i32 s4, s4, s5
	s_add_i32 s5, s2, 1
	s_mul_i32 s5, s4, s5
	v_cvt_f64_i32_e32 v[2:3], s3
	v_cvt_f64_u32_e32 v[4:5], s5
	v_min_f64 v[2:3], v[2:3], v[4:5]
	v_cvt_i32_f64_e32 v13, v[2:3]
	s_mul_i32 s43, s4, s2
	v_cmp_ge_i32_e32 vcc, s43, v13
	s_cbranch_vccnz .LBB240_52
; %bb.3:
	v_lshrrev_b32_e32 v2, 6, v0
	s_add_i32 s4, s18, s17
	s_load_dwordx8 s[20:27], s[0:1], 0x0
	v_cmp_le_i32_e64 s[0:1], s4, v2
	v_mov_b32_e32 v3, s17
	v_cmp_le_i32_e64 s[2:3], s17, v2
	v_mov_b32_e32 v4, s18
	v_cndmask_b32_e64 v4, 0, v4, s[0:1]
	v_cndmask_b32_e64 v3, 0, v3, s[2:3]
	s_abs_i32 s5, s16
	v_add_u32_e32 v3, v3, v4
	v_cvt_f32_u32_e32 v4, s5
	v_sub_u32_e32 v28, v2, v3
	s_ashr_i32 s6, s14, 31
	s_lshr_b32 s6, s6, 25
	v_rcp_iflag_f32_e32 v3, v4
	s_sub_i32 s9, 0, s5
	s_add_i32 s6, s14, s6
	s_ashr_i32 s6, s6, 7
	v_mul_f32_e32 v3, 0x4f7ffffe, v3
	v_cvt_u32_f32_e32 v3, v3
	s_abs_i32 s8, s6
	s_xor_b32 s7, s6, s16
	s_ashr_i32 s7, s7, 31
	v_readfirstlane_b32 s10, v3
	s_mul_i32 s9, s9, s10
	s_mul_hi_u32 s9, s10, s9
	s_add_i32 s10, s10, s9
	s_mul_hi_u32 s9, s8, s10
	s_mul_i32 s10, s9, s5
	s_sub_i32 s8, s8, s10
	s_add_i32 s10, s9, 1
	s_sub_i32 s11, s8, s5
	s_cmp_ge_u32 s8, s5
	s_cselect_b32 s9, s10, s9
	s_cselect_b32 s8, s11, s8
	s_add_i32 s10, s9, 1
	s_cmp_ge_u32 s8, s5
	s_cselect_b32 s5, s10, s9
	s_xor_b32 s5, s5, s7
	s_sub_i32 s44, s5, s7
	s_add_i32 s16, s16, -1
	s_mul_i32 s5, s44, s16
	s_add_i32 s4, s4, s19
	s_sub_i32 s45, s6, s5
	v_cmp_gt_i32_e64 s[4:5], s4, v2
	v_lshlrev_b32_e32 v2, 1, v0
	v_lshlrev_b32_e32 v3, 4, v0
	v_and_b32_e32 v1, 60, v1
	v_and_b32_e32 v2, 64, v2
	;; [unrolled: 1-line block ×3, first 2 shown]
	v_or3_b32 v33, v1, v2, v4
	v_and_b32_e32 v1, 1, v0
	v_lshrrev_b32_e32 v4, 2, v0
	s_abs_i32 s46, s33
	v_and_or_b32 v37, v4, 12, v1
	v_cvt_f32_u32_e32 v4, s46
	v_lshlrev_b32_e32 v2, 1, v1
	v_and_b32_e32 v12, 14, v0
	v_sub_u32_e32 v2, v0, v2
	v_bitop3_b32 v35, v0, 1, v0 bitop3:0xc
	v_bitop3_b32 v36, v0, 3, 1 bitop3:0x6c
	v_and_b32_e32 v20, 48, v3
	v_bfe_u32 v40, v0, 2, 4
	v_and_b32_e32 v1, 60, v0
	v_lshlrev_b32_e32 v3, 8, v0
	v_lshlrev_b32_e32 v0, 6, v0
	v_and_b32_e32 v3, 0x200, v3
	v_and_b32_e32 v0, 64, v0
	v_rcp_iflag_f32_e32 v4, v4
	s_abs_i32 s47, s42
	v_or3_b32 v41, v1, v3, v0
	v_cvt_f32_u32_e32 v1, s47
	v_mul_f32_e32 v0, 0x4f7ffffe, v4
	v_cvt_u32_f32_e32 v0, v0
	v_mad_u64_u32 v[14:15], s[6:7], s13, v37, v[12:13]
	v_rcp_iflag_f32_e32 v1, v1
	s_lshl_b32 s6, s13, 4
	v_readfirstlane_b32 s7, v0
	v_add_u32_e32 v16, s6, v14
	v_mul_f32_e32 v0, 0x4f7ffffe, v1
	v_cvt_u32_f32_e32 v0, v0
	v_add_u32_e32 v18, s6, v16
	s_sub_i32 s6, 0, s46
	s_mul_i32 s6, s6, s7
	s_mul_hi_u32 s6, s7, s6
	v_add_u32_e32 v2, 1, v2
	s_add_i32 s49, s7, s6
	s_sub_i32 s6, 0, s47
	v_readfirstlane_b32 s7, v0
	v_mbcnt_lo_u32_b32 v0, -1, 0
	v_and_b32_e32 v2, 63, v2
	s_mul_i32 s6, s6, s7
	v_mbcnt_hi_u32_b32 v0, -1, v0
	v_mul_lo_u32 v22, s15, v40
	s_mul_hi_u32 s6, s7, s6
	v_and_or_b32 v0, v0, 64, v2
	v_cndmask_b32_e64 v32, 0, 1, s[0:1]
	v_or_b32_e32 v34, 0x3000, v33
	s_ashr_i32 s11, s13, 31
	s_mov_b32 s10, s13
	v_ashrrev_i32_e32 v15, 31, v14
	v_or_b32_e32 v38, 16, v37
	v_ashrrev_i32_e32 v17, 31, v16
	v_or_b32_e32 v39, 32, v37
	v_ashrrev_i32_e32 v19, 31, v18
	v_ashrrev_i32_e32 v23, 31, v22
	v_mov_b32_e32 v21, 0
	v_or_b32_e32 v42, 0x3000, v41
	v_mul_lo_u32 v43, s14, v40
	s_ashr_i32 s48, s33, 31
	s_ashr_i32 s50, s42, 31
	s_add_i32 s51, s7, s6
	s_movk_i32 s52, 0x1800
	s_mov_b32 s53, 0x55555556
	v_lshlrev_b32_e32 v44, 2, v0
	v_mov_b32_e32 v45, v28
	s_branch .LBB240_7
.LBB240_4:                              ;   in Loop: Header=BB240_7 Depth=1
	s_or_b64 exec, exec, s[28:29]
.LBB240_5:                              ;   in Loop: Header=BB240_7 Depth=1
	s_or_b64 exec, exec, s[8:9]
	v_subrev_u32_e32 v45, s57, v45
.LBB240_6:                              ;   in Loop: Header=BB240_7 Depth=1
	s_or_b64 exec, exec, s[6:7]
	s_add_i32 s43, s43, 1
	v_cmp_ge_i32_e32 vcc, s43, v13
	s_cbranch_vccnz .LBB240_52
.LBB240_7:                              ; =>This Loop Header: Depth=1
                                        ;     Child Loop BB240_13 Depth 2
                                        ;       Child Loop BB240_15 Depth 3
                                        ;       Child Loop BB240_18 Depth 3
	;; [unrolled: 1-line block ×4, first 2 shown]
                                        ;     Child Loop BB240_39 Depth 2
                                        ;       Child Loop BB240_41 Depth 3
                                        ;     Child Loop BB240_49 Depth 2
                                        ;       Child Loop BB240_51 Depth 3
	s_abs_i32 s7, s43
	s_mul_hi_u32 s8, s7, s49
	s_mul_i32 s9, s8, s46
	s_ashr_i32 s6, s43, 31
	s_sub_i32 s7, s7, s9
	s_xor_b32 s6, s6, s48
	s_add_i32 s9, s8, 1
	s_sub_i32 s28, s7, s46
	s_cmp_ge_u32 s7, s46
	s_cselect_b32 s8, s9, s8
	s_cselect_b32 s7, s28, s7
	s_add_i32 s9, s8, 1
	s_cmp_ge_u32 s7, s46
	s_cselect_b32 s7, s9, s8
	s_xor_b32 s7, s7, s6
	s_sub_i32 s6, s7, s6
	s_abs_i32 s8, s6
	s_mul_hi_u32 s9, s8, s51
	s_mul_i32 s7, s6, s33
	s_mul_i32 s28, s9, s47
	s_sub_i32 s54, s43, s7
	s_ashr_i32 s7, s6, 31
	s_sub_i32 s8, s8, s28
	s_xor_b32 s7, s7, s50
	s_add_i32 s28, s9, 1
	s_sub_i32 s29, s8, s47
	s_cmp_ge_u32 s8, s47
	s_cselect_b32 s9, s28, s9
	s_cselect_b32 s8, s29, s8
	s_add_i32 s28, s9, 1
	s_cmp_ge_u32 s8, s47
	s_cselect_b32 s8, s28, s9
	s_xor_b32 s8, s8, s7
	s_sub_i32 s7, s8, s7
	s_mul_i32 s8, s7, s44
	s_lshl_b32 s55, s8, 7
	s_mul_i32 s54, s54, 48
	s_cmp_eq_u32 s7, s16
	s_cselect_b32 s57, s45, s44
	s_sub_i32 s8, s54, s12
	s_add_i32 s8, s8, 48
	s_max_i32 s56, s8, 0
	s_and_saveexec_b64 s[8:9], s[2:3]
	s_xor_b64 s[28:29], exec, s[8:9]
	s_cbranch_execz .LBB240_45
; %bb.8:                                ;   in Loop: Header=BB240_7 Depth=1
	s_mul_i32 s7, s7, s42
	s_sub_i32 s6, s6, s7
	s_lshl_b32 s6, s6, 4
	s_sub_i32 s31, s6, s13
	s_add_i32 s31, s31, 16
	s_max_i32 s7, s31, 0
	s_sub_i32 s30, s6, s7
	s_and_saveexec_b64 s[6:7], s[0:1]
	s_xor_b64 s[34:35], exec, s[6:7]
	s_cbranch_execz .LBB240_35
; %bb.9:                                ;   in Loop: Header=BB240_7 Depth=1
	s_and_saveexec_b64 s[36:37], s[4:5]
	s_cbranch_execz .LBB240_34
; %bb.10:                               ;   in Loop: Header=BB240_7 Depth=1
	s_waitcnt lgkmcnt(0)
	global_load_dword v46, v21, s[26:27]
	v_mov_b32_e32 v11, 0
	v_cmp_gt_i32_e32 vcc, s57, v45
	v_mov_b32_e32 v10, v11
	v_mov_b32_e32 v9, v11
	;; [unrolled: 1-line block ×11, first 2 shown]
	s_and_saveexec_b64 s[6:7], vcc
	s_cbranch_execz .LBB240_26
; %bb.11:                               ;   in Loop: Header=BB240_7 Depth=1
	v_mov_b32_e32 v0, 0
	s_mov_b64 s[8:9], 0
	v_mov_b32_e32 v1, v0
	v_mov_b32_e32 v2, v0
	;; [unrolled: 1-line block ×11, first 2 shown]
	s_branch .LBB240_13
.LBB240_12:                             ;   in Loop: Header=BB240_13 Depth=2
	s_or_b64 exec, exec, s[38:39]
	v_add_u32_e32 v51, 0x1000, v50
	ds_read2_b32 v[52:53], v51 offset1:32
	ds_read2_b32 v[54:55], v51 offset0:128 offset1:160
	v_add_u32_e32 v56, 0x1400, v50
	ds_read2_b32 v[50:51], v56 offset1:32
	v_add_u32_e32 v45, s19, v45
	s_waitcnt lgkmcnt(2)
	v_mfma_f32_16x16x32_fp8_fp8 v[0:3], v[52:53], v[28:29], v[0:3]
	v_add_u32_e32 v28, s19, v47
	v_cmp_le_i32_e32 vcc, s57, v45
	v_add_u32_e32 v29, 2, v32
	s_waitcnt lgkmcnt(1)
	v_mfma_f32_16x16x32_fp8_fp8 v[0:3], v[54:55], v[30:31], v[0:3]
	ds_read2_b32 v[30:31], v56 offset0:128 offset1:160
	s_or_b64 s[8:9], vcc, s[8:9]
	v_cmp_lt_i32_e32 vcc, 1, v28
	s_waitcnt lgkmcnt(1)
	v_mfma_f32_16x16x32_fp8_fp8 v[0:3], v[50:51], v[26:27], v[0:3]
	;;#ASMSTART
	s_waitcnt lgkmcnt(0)
	;;#ASMEND
	ds_write_b32 v49, v48 offset:16392
	v_cndmask_b32_e32 v32, v32, v29, vcc
	s_waitcnt lgkmcnt(1)
	v_mfma_f32_16x16x32_fp8_fp8 v[0:3], v[30:31], v[24:25], v[0:3]
	s_andn2_b64 exec, exec, s[8:9]
	s_cbranch_execz .LBB240_25
.LBB240_13:                             ;   Parent Loop BB240_7 Depth=1
                                        ; =>  This Loop Header: Depth=2
                                        ;       Child Loop BB240_15 Depth 3
                                        ;       Child Loop BB240_18 Depth 3
	;; [unrolled: 1-line block ×4, first 2 shown]
	v_cmp_gt_i32_e32 vcc, 2, v28
	s_nop 1
	v_cndmask_b32_e64 v24, -2, 0, vcc
	v_add_u32_e32 v47, v24, v28
	v_lshlrev_b32_e32 v24, 2, v47
	ds_read_b32 v25, v24 offset:16408
	v_add_u32_e32 v49, 0x4000, v24
	s_waitcnt lgkmcnt(0)
	v_cmp_ne_u32_e32 vcc, v25, v32
	s_and_saveexec_b64 s[38:39], vcc
	s_cbranch_execz .LBB240_16
; %bb.14:                               ;   in Loop: Header=BB240_13 Depth=2
	s_mov_b64 s[40:41], 0
.LBB240_15:                             ;   Parent Loop BB240_7 Depth=1
                                        ;     Parent Loop BB240_13 Depth=2
                                        ; =>    This Inner Loop Header: Depth=3
	;;#ASMSTART
	s_sleep 0
	;;#ASMEND
	ds_read_b32 v24, v49 offset:24
	s_waitcnt lgkmcnt(0)
	v_cmp_eq_u32_e32 vcc, v24, v32
	s_or_b64 s[40:41], vcc, s[40:41]
	s_andn2_b64 exec, exec, s[40:41]
	s_cbranch_execnz .LBB240_15
.LBB240_16:                             ;   in Loop: Header=BB240_13 Depth=2
	s_or_b64 exec, exec, s[38:39]
	v_lshl_add_u32 v24, v47, 11, v34
	ds_read2_b32 v[28:29], v24 offset1:32
	ds_read2_b32 v[30:31], v24 offset0:128 offset1:160
	v_add_u32_e32 v24, 0x400, v24
	v_add_u32_e32 v48, 1, v32
	ds_read2_b32 v[26:27], v24 offset1:32
	ds_read2_b32 v[24:25], v24 offset0:128 offset1:160
	;;#ASMSTART
	s_waitcnt lgkmcnt(0)
	;;#ASMEND
	ds_write_b32 v49, v48 offset:24
	v_mul_lo_u32 v49, v47, 12
	ds_read_b32 v50, v49 offset:16384
	s_waitcnt lgkmcnt(0)
	v_cmp_ne_u32_e32 vcc, v50, v32
	s_and_saveexec_b64 s[38:39], vcc
	s_cbranch_execz .LBB240_19
; %bb.17:                               ;   in Loop: Header=BB240_13 Depth=2
	s_mov_b64 s[40:41], 0
.LBB240_18:                             ;   Parent Loop BB240_7 Depth=1
                                        ;     Parent Loop BB240_13 Depth=2
                                        ; =>    This Inner Loop Header: Depth=3
	;;#ASMSTART
	s_sleep 0
	;;#ASMEND
	ds_read_b32 v50, v49 offset:16384
	s_waitcnt lgkmcnt(0)
	v_cmp_eq_u32_e32 vcc, v50, v32
	s_or_b64 s[40:41], vcc, s[40:41]
	s_andn2_b64 exec, exec, s[40:41]
	s_cbranch_execnz .LBB240_18
.LBB240_19:                             ;   in Loop: Header=BB240_13 Depth=2
	s_or_b64 exec, exec, s[38:39]
	v_mul_lo_u32 v50, v47, s52
	v_or_b32_e32 v51, v33, v50
	ds_read2_b32 v[52:53], v51 offset1:32
	ds_read2_b32 v[54:55], v51 offset0:128 offset1:160
	v_add_u32_e32 v51, 0x400, v51
	s_waitcnt lgkmcnt(1)
	v_mfma_f32_16x16x32_fp8_fp8 v[8:11], v[52:53], v[28:29], v[8:11]
	ds_read2_b32 v[52:53], v51 offset1:32
	s_waitcnt lgkmcnt(1)
	v_mfma_f32_16x16x32_fp8_fp8 v[8:11], v[54:55], v[30:31], v[8:11]
	ds_read2_b32 v[54:55], v51 offset0:128 offset1:160
	;;#ASMSTART
	s_waitcnt lgkmcnt(0)
	;;#ASMEND
	ds_read_b32 v51, v49 offset:16388
	ds_write_b32 v49, v48 offset:16384
	s_waitcnt lgkmcnt(3)
	v_mfma_f32_16x16x32_fp8_fp8 v[8:11], v[52:53], v[26:27], v[8:11]
	s_waitcnt lgkmcnt(1)
	v_cmp_ne_u32_e32 vcc, v51, v32
	v_mfma_f32_16x16x32_fp8_fp8 v[8:11], v[54:55], v[24:25], v[8:11]
	s_and_saveexec_b64 s[38:39], vcc
	s_cbranch_execz .LBB240_22
; %bb.20:                               ;   in Loop: Header=BB240_13 Depth=2
	s_mov_b64 s[40:41], 0
.LBB240_21:                             ;   Parent Loop BB240_7 Depth=1
                                        ;     Parent Loop BB240_13 Depth=2
                                        ; =>    This Inner Loop Header: Depth=3
	;;#ASMSTART
	s_sleep 0
	;;#ASMEND
	ds_read_b32 v51, v49 offset:16388
	s_waitcnt lgkmcnt(0)
	v_cmp_eq_u32_e32 vcc, v51, v32
	s_or_b64 s[40:41], vcc, s[40:41]
	s_andn2_b64 exec, exec, s[40:41]
	s_cbranch_execnz .LBB240_21
.LBB240_22:                             ;   in Loop: Header=BB240_13 Depth=2
	s_or_b64 exec, exec, s[38:39]
	v_add_u32_e32 v50, v33, v50
	v_add_u32_e32 v51, 0x800, v50
	ds_read2_b32 v[52:53], v51 offset1:32
	ds_read2_b32 v[54:55], v51 offset0:128 offset1:160
	v_add_u32_e32 v51, 0xc00, v50
	s_waitcnt lgkmcnt(1)
	v_mfma_f32_16x16x32_fp8_fp8 v[4:7], v[52:53], v[28:29], v[4:7]
	ds_read2_b32 v[52:53], v51 offset1:32
	s_waitcnt lgkmcnt(1)
	v_mfma_f32_16x16x32_fp8_fp8 v[4:7], v[54:55], v[30:31], v[4:7]
	ds_read2_b32 v[54:55], v51 offset0:128 offset1:160
	;;#ASMSTART
	s_waitcnt lgkmcnt(0)
	;;#ASMEND
	ds_read_b32 v51, v49 offset:16392
	ds_write_b32 v49, v48 offset:16388
	s_waitcnt lgkmcnt(3)
	v_mfma_f32_16x16x32_fp8_fp8 v[4:7], v[52:53], v[26:27], v[4:7]
	s_waitcnt lgkmcnt(1)
	v_cmp_ne_u32_e32 vcc, v51, v32
	v_mfma_f32_16x16x32_fp8_fp8 v[4:7], v[54:55], v[24:25], v[4:7]
	s_and_saveexec_b64 s[38:39], vcc
	s_cbranch_execz .LBB240_12
; %bb.23:                               ;   in Loop: Header=BB240_13 Depth=2
	s_mov_b64 s[40:41], 0
.LBB240_24:                             ;   Parent Loop BB240_7 Depth=1
                                        ;     Parent Loop BB240_13 Depth=2
                                        ; =>    This Inner Loop Header: Depth=3
	;;#ASMSTART
	s_sleep 0
	;;#ASMEND
	ds_read_b32 v51, v49 offset:16392
	s_waitcnt lgkmcnt(0)
	v_cmp_eq_u32_e32 vcc, v51, v32
	s_or_b64 s[40:41], vcc, s[40:41]
	s_andn2_b64 exec, exec, s[40:41]
	s_cbranch_execnz .LBB240_24
	s_branch .LBB240_12
.LBB240_25:                             ;   in Loop: Header=BB240_7 Depth=1
	s_or_b64 exec, exec, s[8:9]
.LBB240_26:                             ;   in Loop: Header=BB240_7 Depth=1
	s_or_b64 exec, exec, s[6:7]
	v_cmp_le_i32_e32 vcc, s31, v12
	v_cmp_eq_u32_e64 s[6:7], 3, v35
	s_waitcnt vmcnt(0)
	v_cndmask_b32_e32 v24, 0, v46, vcc
	v_pk_mul_f32 v[30:31], v[24:25], v[8:9] op_sel_hi:[0,1]
	v_cmp_eq_u32_e32 vcc, 1, v35
	v_pk_mul_f32 v[10:11], v[24:25], v[10:11] op_sel_hi:[0,1]
	v_add_u32_e32 v25, s56, v37
	v_cndmask_b32_e32 v8, v30, v31, vcc
	v_cmp_eq_u32_e32 vcc, 2, v35
	s_nop 1
	v_cndmask_b32_e32 v8, v8, v10, vcc
	v_cndmask_b32_e64 v8, v8, v11, s[6:7]
	ds_bpermute_b32 v9, v44, v8
	s_waitcnt lgkmcnt(0)
	v_cndmask_b32_e32 v10, v10, v9, vcc
	v_cmp_ne_u32_e32 vcc, 0, v35
	v_cndmask_b32_e64 v26, v11, v9, s[6:7]
	s_nop 0
	v_cndmask_b32_e32 v8, v31, v9, vcc
	v_cmp_eq_u32_e32 vcc, 0, v35
	s_nop 1
	v_cndmask_b32_e32 v9, v30, v9, vcc
	v_cmp_eq_u32_e32 vcc, 1, v36
	;; [unrolled: 3-line block ×4, first 2 shown]
	s_nop 1
	v_cndmask_b32_e32 v11, v11, v26, vcc
	ds_bpermute_b32 v11, v44, v11
	v_cmp_gt_u32_e32 vcc, 48, v25
	s_and_saveexec_b64 s[38:39], vcc
	s_cbranch_execz .LBB240_33
; %bb.27:                               ;   in Loop: Header=BB240_7 Depth=1
	v_cmp_eq_u32_e64 s[8:9], 1, v36
	v_cmp_eq_u32_e64 s[6:7], 3, v36
	v_cmp_eq_u32_e32 vcc, 2, v36
	s_waitcnt lgkmcnt(0)
	v_cndmask_b32_e64 v8, v8, v11, s[8:9]
	v_cmp_eq_u32_e64 s[8:9], 0, v36
	v_cvt_f16_f32_sdwa v29, v8 dst_sel:WORD_1 dst_unused:UNUSED_PAD src0_sel:DWORD
	s_nop 0
	v_cndmask_b32_e64 v9, v9, v11, s[8:9]
	s_mul_i32 s8, s54, s13
	s_ashr_i32 s9, s8, 31
	s_lshl_b64 s[8:9], s[8:9], 1
	s_add_u32 s40, s24, s8
	s_addc_u32 s41, s25, s9
	s_ashr_i32 s31, s30, 31
	s_lshl_b64 s[8:9], s[30:31], 1
	v_cvt_f16_f32_e32 v27, v9
	s_add_u32 s40, s40, s8
	s_addc_u32 s41, s41, s9
	v_lshl_add_u64 v[8:9], v[14:15], 1, s[40:41]
	v_cmp_gt_u32_e64 s[8:9], 46, v25
	v_or_b32_e32 v27, v29, v27
	;;#ASMSTART
	global_atomic_pk_add_f16 v[8:9], v27, off
	
	;;#ASMEND
	s_and_b64 exec, exec, s[8:9]
	s_cbranch_execz .LBB240_33
; %bb.28:                               ;   in Loop: Header=BB240_7 Depth=1
	v_mov_b32_e32 v25, v24
	v_cndmask_b32_e64 v29, v26, v11, s[6:7]
	v_mov_b32_e32 v26, v24
	v_mov_b32_e32 v27, v24
	v_pk_mul_f32 v[6:7], v[26:27], v[6:7]
	v_pk_mul_f32 v[26:27], v[24:25], v[4:5]
	v_cmp_eq_u32_e64 s[6:7], 1, v35
	v_cmp_eq_u32_e64 s[8:9], 3, v35
	v_cvt_f16_f32_sdwa v29, v29 dst_sel:WORD_1 dst_unused:UNUSED_PAD src0_sel:DWORD
	v_cndmask_b32_e64 v4, v26, v27, s[6:7]
	v_cmp_eq_u32_e64 s[6:7], 2, v35
	s_nop 1
	v_cndmask_b32_e64 v4, v4, v6, s[6:7]
	v_cndmask_b32_e64 v4, v4, v7, s[8:9]
	ds_bpermute_b32 v5, v44, v4
	v_cndmask_b32_e32 v4, v10, v11, vcc
	v_cmp_ne_u32_e32 vcc, 0, v35
	v_lshl_add_u64 v[10:11], s[10:11], 2, v[8:9]
	v_cvt_f16_f32_e32 v9, v4
	s_waitcnt lgkmcnt(0)
	v_cndmask_b32_e32 v4, v27, v5, vcc
	v_cmp_eq_u32_e32 vcc, 0, v35
	v_cndmask_b32_e64 v8, v7, v5, s[8:9]
	v_cndmask_b32_e64 v6, v6, v5, s[6:7]
	v_cndmask_b32_e32 v5, v26, v5, vcc
	v_cmp_eq_u32_e32 vcc, 1, v36
	v_or_b32_e32 v9, v29, v9
	;;#ASMSTART
	global_atomic_pk_add_f16 v[10:11], v9, off
	
	;;#ASMEND
	v_add_u32_e32 v9, s56, v38
	v_cndmask_b32_e32 v7, v5, v4, vcc
	v_cmp_eq_u32_e32 vcc, 2, v36
	s_nop 1
	v_cndmask_b32_e32 v7, v7, v6, vcc
	v_cmp_eq_u32_e32 vcc, 3, v36
	s_nop 1
	v_cndmask_b32_e32 v7, v7, v8, vcc
	ds_bpermute_b32 v7, v44, v7
	v_cmp_gt_u32_e32 vcc, 48, v9
	s_and_b64 exec, exec, vcc
	s_cbranch_execz .LBB240_33
; %bb.29:                               ;   in Loop: Header=BB240_7 Depth=1
	v_cmp_eq_u32_e32 vcc, 1, v36
	v_cmp_eq_u32_e64 s[6:7], 3, v36
	v_cmp_gt_u32_e64 s[8:9], 46, v9
	s_waitcnt lgkmcnt(0)
	v_cndmask_b32_e32 v4, v4, v7, vcc
	v_cmp_eq_u32_e32 vcc, 0, v36
	v_cvt_f16_f32_sdwa v11, v4 dst_sel:WORD_1 dst_unused:UNUSED_PAD src0_sel:DWORD
	s_nop 0
	v_cndmask_b32_e32 v5, v5, v7, vcc
	v_cvt_f16_f32_e32 v10, v5
	v_cmp_eq_u32_e32 vcc, 2, v36
	v_lshl_add_u64 v[4:5], v[16:17], 1, s[40:41]
	v_or_b32_e32 v10, v11, v10
	;;#ASMSTART
	global_atomic_pk_add_f16 v[4:5], v10, off
	
	;;#ASMEND
	s_and_b64 exec, exec, s[8:9]
	s_cbranch_execz .LBB240_33
; %bb.30:                               ;   in Loop: Header=BB240_7 Depth=1
	v_cndmask_b32_e64 v26, v8, v7, s[6:7]
	v_mov_b32_e32 v8, v24
	v_mov_b32_e32 v9, v24
	v_pk_mul_f32 v[10:11], v[24:25], v[0:1]
	v_cmp_eq_u32_e64 s[6:7], 1, v35
	v_pk_mul_f32 v[8:9], v[8:9], v[2:3]
	v_cmp_eq_u32_e64 s[8:9], 3, v35
	v_cndmask_b32_e64 v0, v10, v11, s[6:7]
	v_cmp_eq_u32_e64 s[6:7], 2, v35
	v_cvt_f16_f32_sdwa v24, v26 dst_sel:WORD_1 dst_unused:UNUSED_PAD src0_sel:DWORD
	s_nop 0
	v_cndmask_b32_e64 v0, v0, v8, s[6:7]
	v_cndmask_b32_e64 v0, v0, v9, s[8:9]
	ds_bpermute_b32 v1, v44, v0
	v_cndmask_b32_e32 v0, v6, v7, vcc
	v_cmp_ne_u32_e32 vcc, 0, v35
	v_lshl_add_u64 v[6:7], s[10:11], 2, v[4:5]
	v_cvt_f16_f32_e32 v5, v0
	s_waitcnt lgkmcnt(0)
	v_cndmask_b32_e32 v0, v11, v1, vcc
	v_cmp_eq_u32_e32 vcc, 0, v35
	v_cndmask_b32_e64 v2, v9, v1, s[8:9]
	v_cndmask_b32_e64 v3, v8, v1, s[6:7]
	v_cndmask_b32_e32 v1, v10, v1, vcc
	v_cmp_eq_u32_e32 vcc, 1, v36
	v_or_b32_e32 v5, v24, v5
	;;#ASMSTART
	global_atomic_pk_add_f16 v[6:7], v5, off
	
	;;#ASMEND
	v_add_u32_e32 v5, s56, v39
	v_cndmask_b32_e32 v4, v1, v0, vcc
	v_cmp_eq_u32_e32 vcc, 2, v36
	s_nop 1
	v_cndmask_b32_e32 v4, v4, v3, vcc
	v_cmp_eq_u32_e32 vcc, 3, v36
	s_nop 1
	v_cndmask_b32_e32 v4, v4, v2, vcc
	ds_bpermute_b32 v4, v44, v4
	v_cmp_gt_u32_e32 vcc, 48, v5
	s_and_b64 exec, exec, vcc
	s_cbranch_execz .LBB240_33
; %bb.31:                               ;   in Loop: Header=BB240_7 Depth=1
	v_cmp_eq_u32_e32 vcc, 1, v36
	v_cmp_eq_u32_e64 s[6:7], 2, v36
	v_cmp_gt_u32_e64 s[8:9], 46, v5
	s_waitcnt lgkmcnt(0)
	v_cndmask_b32_e32 v0, v0, v4, vcc
	v_cmp_eq_u32_e32 vcc, 0, v36
	v_cvt_f16_f32_sdwa v7, v0 dst_sel:WORD_1 dst_unused:UNUSED_PAD src0_sel:DWORD
	s_nop 0
	v_cndmask_b32_e32 v1, v1, v4, vcc
	v_cvt_f16_f32_e32 v6, v1
	v_cmp_eq_u32_e32 vcc, 3, v36
	v_lshl_add_u64 v[0:1], v[18:19], 1, s[40:41]
	v_or_b32_e32 v6, v7, v6
	;;#ASMSTART
	global_atomic_pk_add_f16 v[0:1], v6, off
	
	;;#ASMEND
	s_and_b64 exec, exec, s[8:9]
	s_cbranch_execz .LBB240_33
; %bb.32:                               ;   in Loop: Header=BB240_7 Depth=1
	v_cndmask_b32_e32 v2, v2, v4, vcc
	v_cndmask_b32_e64 v3, v3, v4, s[6:7]
	v_cvt_f16_f32_sdwa v2, v2 dst_sel:WORD_1 dst_unused:UNUSED_PAD src0_sel:DWORD
	v_cvt_f16_f32_e32 v3, v3
	v_lshl_add_u64 v[0:1], s[10:11], 2, v[0:1]
	v_or_b32_e32 v2, v2, v3
	;;#ASMSTART
	global_atomic_pk_add_f16 v[0:1], v2, off
	
	;;#ASMEND
.LBB240_33:                             ;   in Loop: Header=BB240_7 Depth=1
	s_or_b64 exec, exec, s[38:39]
	v_subrev_u32_e32 v45, s57, v45
.LBB240_34:                             ;   in Loop: Header=BB240_7 Depth=1
	s_or_b64 exec, exec, s[36:37]
.LBB240_35:                             ;   in Loop: Header=BB240_7 Depth=1
	s_andn2_saveexec_b64 s[6:7], s[34:35]
	s_cbranch_execz .LBB240_44
; %bb.36:                               ;   in Loop: Header=BB240_7 Depth=1
	v_cmp_gt_i32_e32 vcc, s57, v45
	s_and_saveexec_b64 s[8:9], vcc
	s_cbranch_execz .LBB240_43
; %bb.37:                               ;   in Loop: Header=BB240_7 Depth=1
	s_mul_i32 s30, s30, s15
	s_ashr_i32 s31, s30, 31
	s_waitcnt lgkmcnt(0)
	s_add_u32 s30, s22, s30
	s_addc_u32 s31, s23, s31
	s_ashr_i32 s34, s55, 31
	s_add_u32 s30, s30, s55
	s_addc_u32 s31, s31, s34
	v_lshl_add_u64 v[0:1], s[30:31], 0, v[22:23]
	v_lshl_add_u64 v[8:9], v[0:1], 0, v[20:21]
	s_mov_b64 s[30:31], 0
	s_branch .LBB240_39
.LBB240_38:                             ;   in Loop: Header=BB240_39 Depth=2
	s_or_b64 exec, exec, s[34:35]
	v_lshl_add_u32 v24, v10, 11, v42
	;;#ASMSTART
	s_waitcnt vmcnt(1)
	;;#ASMEND
	ds_write2_b32 v24, v4, v5 offset1:32
	ds_write2_b32 v24, v6, v7 offset0:64 offset1:96
	v_add_u32_e32 v4, 0x400, v24
	v_add_u32_e32 v45, s18, v45
	;;#ASMSTART
	s_waitcnt vmcnt(0)
	;;#ASMEND
	ds_write2_b32 v4, v0, v1 offset1:32
	ds_write2_b32 v4, v2, v3 offset0:64 offset1:96
	v_add_u32_e32 v0, 1, v32
	v_add_u32_e32 v28, s18, v10
	v_cmp_le_i32_e32 vcc, s57, v45
	ds_write_b32 v11, v0 offset:24
	v_add_u32_e32 v0, 2, v32
	s_or_b64 s[30:31], vcc, s[30:31]
	v_cmp_lt_i32_e32 vcc, 1, v28
	s_nop 1
	v_cndmask_b32_e32 v32, v32, v0, vcc
	s_andn2_b64 exec, exec, s[30:31]
	s_cbranch_execz .LBB240_42
.LBB240_39:                             ;   Parent Loop BB240_7 Depth=1
                                        ; =>  This Loop Header: Depth=2
                                        ;       Child Loop BB240_41 Depth 3
	v_cmp_gt_i32_e32 vcc, 2, v28
	s_nop 1
	v_cndmask_b32_e64 v0, -2, 0, vcc
	v_add_u32_e32 v10, v0, v28
	v_lshlrev_b32_e32 v0, 7, v45
	v_ashrrev_i32_e32 v1, 31, v0
	v_lshl_add_u64 v[0:1], v[8:9], 0, v[0:1]
	v_lshlrev_b32_e32 v11, 2, v10
	;;#ASMSTART
	global_load_dwordx4 v[4:7], v[0:1], off offset:0   sc0 sc1 nt  
	global_load_dwordx4 v[0:3], v[0:1], off offset:64  sc0 sc1 nt  
	
	;;#ASMEND
	ds_read_b32 v24, v11 offset:16408
	v_add_u32_e32 v11, 0x4000, v11
	s_waitcnt lgkmcnt(0)
	v_cmp_ne_u32_e32 vcc, v24, v32
	s_and_saveexec_b64 s[34:35], vcc
	s_cbranch_execz .LBB240_38
; %bb.40:                               ;   in Loop: Header=BB240_39 Depth=2
	s_mov_b64 s[36:37], 0
.LBB240_41:                             ;   Parent Loop BB240_7 Depth=1
                                        ;     Parent Loop BB240_39 Depth=2
                                        ; =>    This Inner Loop Header: Depth=3
	;;#ASMSTART
	s_sleep 0
	;;#ASMEND
	ds_read_b32 v24, v11 offset:24
	s_waitcnt lgkmcnt(0)
	v_cmp_eq_u32_e32 vcc, v24, v32
	s_or_b64 s[36:37], vcc, s[36:37]
	s_andn2_b64 exec, exec, s[36:37]
	s_cbranch_execnz .LBB240_41
	s_branch .LBB240_38
.LBB240_42:                             ;   in Loop: Header=BB240_7 Depth=1
	s_or_b64 exec, exec, s[30:31]
.LBB240_43:                             ;   in Loop: Header=BB240_7 Depth=1
	s_or_b64 exec, exec, s[8:9]
	v_subrev_u32_e32 v45, s57, v45
.LBB240_44:                             ;   in Loop: Header=BB240_7 Depth=1
	s_or_b64 exec, exec, s[6:7]
.LBB240_45:                             ;   in Loop: Header=BB240_7 Depth=1
	s_andn2_saveexec_b64 s[6:7], s[28:29]
	s_cbranch_execz .LBB240_6
; %bb.46:                               ;   in Loop: Header=BB240_7 Depth=1
	s_mul_i32 s57, s57, 3
	v_cmp_gt_i32_e32 vcc, s57, v45
	s_and_saveexec_b64 s[8:9], vcc
	s_cbranch_execz .LBB240_5
; %bb.47:                               ;   in Loop: Header=BB240_7 Depth=1
	s_mul_i32 s54, s54, s14
	s_ashr_i32 s28, s54, 31
	s_waitcnt lgkmcnt(0)
	s_add_u32 s29, s20, s54
	v_add_u32_e32 v2, s56, v40
	s_addc_u32 s30, s21, s28
	s_ashr_i32 s31, s55, 31
	v_cmp_gt_u32_e32 vcc, 48, v2
	s_add_u32 s28, s29, s55
	s_addc_u32 s29, s30, s31
	v_cndmask_b32_e32 v0, 0, v43, vcc
	v_ashrrev_i32_e32 v1, 31, v0
	v_lshl_add_u64 v[0:1], s[28:29], 0, v[0:1]
	v_lshl_add_u64 v[8:9], v[0:1], 0, v[20:21]
	v_sub_u32_e32 v10, 47, v2
	s_mov_b64 s[28:29], 0
	s_branch .LBB240_49
.LBB240_48:                             ;   in Loop: Header=BB240_49 Depth=2
	s_or_b64 exec, exec, s[30:31]
	v_lshl_or_b32 v25, v11, 11, v41
	;;#ASMSTART
	s_waitcnt vmcnt(1)
	;;#ASMEND
	ds_write2_b32 v25, v4, v5 offset1:32
	ds_write2_b32 v25, v6, v7 offset0:64 offset1:96
	v_add_u32_e32 v4, 0x400, v25
	v_add_u32_e32 v45, s17, v45
	;;#ASMSTART
	s_waitcnt vmcnt(0)
	;;#ASMEND
	ds_write2_b32 v4, v0, v1 offset1:32
	ds_write2_b32 v4, v2, v3 offset0:64 offset1:96
	v_add_u32_e32 v0, 1, v32
	v_add_u32_e32 v28, s17, v11
	v_cmp_le_i32_e32 vcc, s57, v45
	ds_write_b32 v24, v0
	v_add_u32_e32 v0, 2, v32
	s_or_b64 s[28:29], vcc, s[28:29]
	v_cmp_lt_i32_e32 vcc, 5, v28
	s_nop 1
	v_cndmask_b32_e32 v32, v32, v0, vcc
	s_andn2_b64 exec, exec, s[28:29]
	s_cbranch_execz .LBB240_4
.LBB240_49:                             ;   Parent Loop BB240_7 Depth=1
                                        ; =>  This Loop Header: Depth=2
                                        ;       Child Loop BB240_51 Depth 3
	v_cmp_gt_i32_e32 vcc, 6, v28
	s_nop 1
	v_cndmask_b32_e64 v0, -6, 0, vcc
	v_add_u32_e32 v11, v0, v28
	v_mul_hi_i32 v0, v45, s53
	v_lshrrev_b32_e32 v1, 31, v0
	v_add_u32_e32 v0, v0, v1
	v_lshl_add_u32 v1, v0, 1, v0
	v_sub_u32_e32 v1, v45, v1
	v_lshlrev_b32_e32 v1, 4, v1
	v_cmp_le_i32_e32 vcc, v1, v10
	v_lshlrev_b32_e32 v0, 7, v0
	v_lshlrev_b32_e32 v24, 2, v11
	v_cndmask_b32_e32 v2, 0, v1, vcc
	v_ashrrev_i32_e32 v1, 31, v0
	v_mul_lo_u32 v2, v2, s14
	v_lshl_add_u64 v[0:1], v[8:9], 0, v[0:1]
	v_ashrrev_i32_e32 v3, 31, v2
	v_lshl_add_u64 v[0:1], v[0:1], 0, v[2:3]
	;;#ASMSTART
	global_load_dwordx4 v[4:7], v[0:1], off offset:0   
	global_load_dwordx4 v[0:3], v[0:1], off offset:64  
	
	;;#ASMEND
	ds_read_b32 v25, v24 offset:16384
	v_add_u32_e32 v24, 0x4000, v24
	s_waitcnt lgkmcnt(0)
	v_cmp_ne_u32_e32 vcc, v25, v32
	s_and_saveexec_b64 s[30:31], vcc
	s_cbranch_execz .LBB240_48
; %bb.50:                               ;   in Loop: Header=BB240_49 Depth=2
	s_mov_b64 s[34:35], 0
.LBB240_51:                             ;   Parent Loop BB240_7 Depth=1
                                        ;     Parent Loop BB240_49 Depth=2
                                        ; =>    This Inner Loop Header: Depth=3
	;;#ASMSTART
	s_sleep 0
	;;#ASMEND
	ds_read_b32 v25, v24
	s_waitcnt lgkmcnt(0)
	v_cmp_eq_u32_e32 vcc, v25, v32
	s_or_b64 s[34:35], vcc, s[34:35]
	s_andn2_b64 exec, exec, s[34:35]
	s_cbranch_execnz .LBB240_51
	s_branch .LBB240_48
.LBB240_52:
	s_endpgm
	.section	.rodata,"a",@progbits
	.p2align	6, 0x0
	.amdhsa_kernel _Z19_skinny_gemm_kernelILi3ELi1ELi2ELi16ELi4EEvPKhS1_P6__halfPKfiiiiiiii
		.amdhsa_group_segment_fixed_size 16416
		.amdhsa_private_segment_fixed_size 0
		.amdhsa_kernarg_size 64
		.amdhsa_user_sgpr_count 2
		.amdhsa_user_sgpr_dispatch_ptr 0
		.amdhsa_user_sgpr_queue_ptr 0
		.amdhsa_user_sgpr_kernarg_segment_ptr 1
		.amdhsa_user_sgpr_dispatch_id 0
		.amdhsa_user_sgpr_kernarg_preload_length 0
		.amdhsa_user_sgpr_kernarg_preload_offset 0
		.amdhsa_user_sgpr_private_segment_size 0
		.amdhsa_uses_dynamic_stack 0
		.amdhsa_enable_private_segment 0
		.amdhsa_system_sgpr_workgroup_id_x 1
		.amdhsa_system_sgpr_workgroup_id_y 0
		.amdhsa_system_sgpr_workgroup_id_z 0
		.amdhsa_system_sgpr_workgroup_info 0
		.amdhsa_system_vgpr_workitem_id 0
		.amdhsa_next_free_vgpr 57
		.amdhsa_next_free_sgpr 58
		.amdhsa_accum_offset 60
		.amdhsa_reserve_vcc 1
		.amdhsa_float_round_mode_32 0
		.amdhsa_float_round_mode_16_64 0
		.amdhsa_float_denorm_mode_32 3
		.amdhsa_float_denorm_mode_16_64 3
		.amdhsa_dx10_clamp 1
		.amdhsa_ieee_mode 1
		.amdhsa_fp16_overflow 0
		.amdhsa_tg_split 0
		.amdhsa_exception_fp_ieee_invalid_op 0
		.amdhsa_exception_fp_denorm_src 0
		.amdhsa_exception_fp_ieee_div_zero 0
		.amdhsa_exception_fp_ieee_overflow 0
		.amdhsa_exception_fp_ieee_underflow 0
		.amdhsa_exception_fp_ieee_inexact 0
		.amdhsa_exception_int_div_zero 0
	.end_amdhsa_kernel
	.section	.text._Z19_skinny_gemm_kernelILi3ELi1ELi2ELi16ELi4EEvPKhS1_P6__halfPKfiiiiiiii,"axG",@progbits,_Z19_skinny_gemm_kernelILi3ELi1ELi2ELi16ELi4EEvPKhS1_P6__halfPKfiiiiiiii,comdat
.Lfunc_end240:
	.size	_Z19_skinny_gemm_kernelILi3ELi1ELi2ELi16ELi4EEvPKhS1_P6__halfPKfiiiiiiii, .Lfunc_end240-_Z19_skinny_gemm_kernelILi3ELi1ELi2ELi16ELi4EEvPKhS1_P6__halfPKfiiiiiiii
                                        ; -- End function
	.set _Z19_skinny_gemm_kernelILi3ELi1ELi2ELi16ELi4EEvPKhS1_P6__halfPKfiiiiiiii.num_vgpr, 57
	.set _Z19_skinny_gemm_kernelILi3ELi1ELi2ELi16ELi4EEvPKhS1_P6__halfPKfiiiiiiii.num_agpr, 0
	.set _Z19_skinny_gemm_kernelILi3ELi1ELi2ELi16ELi4EEvPKhS1_P6__halfPKfiiiiiiii.numbered_sgpr, 58
	.set _Z19_skinny_gemm_kernelILi3ELi1ELi2ELi16ELi4EEvPKhS1_P6__halfPKfiiiiiiii.num_named_barrier, 0
	.set _Z19_skinny_gemm_kernelILi3ELi1ELi2ELi16ELi4EEvPKhS1_P6__halfPKfiiiiiiii.private_seg_size, 0
	.set _Z19_skinny_gemm_kernelILi3ELi1ELi2ELi16ELi4EEvPKhS1_P6__halfPKfiiiiiiii.uses_vcc, 1
	.set _Z19_skinny_gemm_kernelILi3ELi1ELi2ELi16ELi4EEvPKhS1_P6__halfPKfiiiiiiii.uses_flat_scratch, 0
	.set _Z19_skinny_gemm_kernelILi3ELi1ELi2ELi16ELi4EEvPKhS1_P6__halfPKfiiiiiiii.has_dyn_sized_stack, 0
	.set _Z19_skinny_gemm_kernelILi3ELi1ELi2ELi16ELi4EEvPKhS1_P6__halfPKfiiiiiiii.has_recursion, 0
	.set _Z19_skinny_gemm_kernelILi3ELi1ELi2ELi16ELi4EEvPKhS1_P6__halfPKfiiiiiiii.has_indirect_call, 0
	.section	.AMDGPU.csdata,"",@progbits
; Kernel info:
; codeLenInByte = 3820
; TotalNumSgprs: 64
; NumVgprs: 57
; NumAgprs: 0
; TotalNumVgprs: 57
; ScratchSize: 0
; MemoryBound: 0
; FloatMode: 240
; IeeeMode: 1
; LDSByteSize: 16416 bytes/workgroup (compile time only)
; SGPRBlocks: 7
; VGPRBlocks: 7
; NumSGPRsForWavesPerEU: 64
; NumVGPRsForWavesPerEU: 57
; AccumOffset: 60
; Occupancy: 8
; WaveLimiterHint : 0
; COMPUTE_PGM_RSRC2:SCRATCH_EN: 0
; COMPUTE_PGM_RSRC2:USER_SGPR: 2
; COMPUTE_PGM_RSRC2:TRAP_HANDLER: 0
; COMPUTE_PGM_RSRC2:TGID_X_EN: 1
; COMPUTE_PGM_RSRC2:TGID_Y_EN: 0
; COMPUTE_PGM_RSRC2:TGID_Z_EN: 0
; COMPUTE_PGM_RSRC2:TIDIG_COMP_CNT: 0
; COMPUTE_PGM_RSRC3_GFX90A:ACCUM_OFFSET: 14
; COMPUTE_PGM_RSRC3_GFX90A:TG_SPLIT: 0
	.section	.text._Z19_skinny_gemm_kernelILi3ELi1ELi2ELi16ELi8EEvPKhS1_P6__halfPKfiiiiiiii,"axG",@progbits,_Z19_skinny_gemm_kernelILi3ELi1ELi2ELi16ELi8EEvPKhS1_P6__halfPKfiiiiiiii,comdat
	.protected	_Z19_skinny_gemm_kernelILi3ELi1ELi2ELi16ELi8EEvPKhS1_P6__halfPKfiiiiiiii ; -- Begin function _Z19_skinny_gemm_kernelILi3ELi1ELi2ELi16ELi8EEvPKhS1_P6__halfPKfiiiiiiii
	.globl	_Z19_skinny_gemm_kernelILi3ELi1ELi2ELi16ELi8EEvPKhS1_P6__halfPKfiiiiiiii
	.p2align	8
	.type	_Z19_skinny_gemm_kernelILi3ELi1ELi2ELi16ELi8EEvPKhS1_P6__halfPKfiiiiiiii,@function
_Z19_skinny_gemm_kernelILi3ELi1ELi2ELi16ELi8EEvPKhS1_P6__halfPKfiiiiiiii: ; @_Z19_skinny_gemm_kernelILi3ELi1ELi2ELi16ELi8EEvPKhS1_P6__halfPKfiiiiiiii
; %bb.0:
	v_cmp_gt_u32_e32 vcc, 8, v0
	v_lshlrev_b32_e32 v1, 2, v0
	s_and_saveexec_b64 s[4:5], vcc
; %bb.1:
	v_mov_b32_e32 v2, 0
	ds_write_b32 v1, v2 offset:32768
; %bb.2:
	s_or_b64 exec, exec, s[4:5]
	s_load_dwordx8 s[12:19], s[0:1], 0x20
	s_waitcnt lgkmcnt(0)
	s_barrier
	s_add_i32 s3, s12, 47
	s_add_i32 s4, s13, 15
	s_mul_hi_i32 s3, s3, 0x2aaaaaab
	s_lshr_b32 s5, s3, 31
	s_ashr_i32 s33, s3, 3
	s_ashr_i32 s3, s4, 31
	s_lshr_b32 s3, s3, 28
	s_add_i32 s4, s4, s3
	s_add_i32 s33, s33, s5
	s_ashr_i32 s42, s4, 4
	s_mul_i32 s3, s42, s33
	s_mul_i32 s3, s3, s16
	s_add_i32 s4, s3, 0x12f
	s_mul_hi_i32 s4, s4, 0x6bca1af3
	s_lshr_b32 s5, s4, 31
	s_ashr_i32 s4, s4, 7
	s_add_i32 s4, s4, s5
	s_add_i32 s5, s2, 1
	s_mul_i32 s5, s4, s5
	v_cvt_f64_i32_e32 v[2:3], s3
	v_cvt_f64_u32_e32 v[4:5], s5
	v_min_f64 v[2:3], v[2:3], v[4:5]
	v_cvt_i32_f64_e32 v17, v[2:3]
	s_mul_i32 s43, s4, s2
	v_cmp_ge_i32_e32 vcc, s43, v17
	s_cbranch_vccnz .LBB241_52
; %bb.3:
	v_lshrrev_b32_e32 v2, 6, v0
	s_add_i32 s4, s18, s17
	s_load_dwordx8 s[20:27], s[0:1], 0x0
	v_cmp_le_i32_e64 s[0:1], s4, v2
	v_mov_b32_e32 v3, s17
	v_cmp_le_i32_e64 s[2:3], s17, v2
	v_mov_b32_e32 v4, s18
	v_cndmask_b32_e64 v4, 0, v4, s[0:1]
	v_cndmask_b32_e64 v3, 0, v3, s[2:3]
	s_abs_i32 s5, s16
	v_add_u32_e32 v3, v3, v4
	v_cvt_f32_u32_e32 v4, s5
	v_sub_u32_e32 v14, v2, v3
	s_ashr_i32 s6, s14, 31
	s_lshr_b32 s6, s6, 24
	v_rcp_iflag_f32_e32 v3, v4
	s_sub_i32 s9, 0, s5
	s_add_i32 s6, s14, s6
	s_ashr_i32 s6, s6, 8
	v_mul_f32_e32 v3, 0x4f7ffffe, v3
	v_cvt_u32_f32_e32 v3, v3
	s_abs_i32 s8, s6
	s_xor_b32 s7, s6, s16
	s_ashr_i32 s7, s7, 31
	v_readfirstlane_b32 s10, v3
	s_mul_i32 s9, s9, s10
	s_mul_hi_u32 s9, s10, s9
	s_add_i32 s10, s10, s9
	s_mul_hi_u32 s9, s8, s10
	s_mul_i32 s10, s9, s5
	s_sub_i32 s8, s8, s10
	s_add_i32 s10, s9, 1
	s_sub_i32 s11, s8, s5
	s_cmp_ge_u32 s8, s5
	s_cselect_b32 s9, s10, s9
	s_cselect_b32 s8, s11, s8
	s_add_i32 s10, s9, 1
	s_cmp_ge_u32 s8, s5
	s_cselect_b32 s5, s10, s9
	s_xor_b32 s5, s5, s7
	s_sub_i32 s44, s5, s7
	s_add_i32 s16, s16, -1
	s_mul_i32 s5, s44, s16
	s_add_i32 s4, s4, s19
	s_sub_i32 s45, s6, s5
	v_cmp_gt_i32_e64 s[4:5], s4, v2
	v_lshlrev_b32_e32 v2, 1, v0
	v_lshlrev_b32_e32 v3, 4, v0
	v_and_b32_e32 v1, 60, v1
	v_and_b32_e32 v2, 64, v2
	;; [unrolled: 1-line block ×3, first 2 shown]
	v_or3_b32 v41, v1, v2, v4
	v_and_b32_e32 v1, 1, v0
	v_lshrrev_b32_e32 v4, 2, v0
	s_abs_i32 s46, s33
	v_lshlrev_b32_e32 v2, 1, v1
	v_and_or_b32 v44, v4, 12, v1
	v_cvt_f32_u32_e32 v1, s46
	v_and_b32_e32 v16, 14, v0
	v_sub_u32_e32 v2, v0, v2
	v_bitop3_b32 v42, v0, 1, v0 bitop3:0xc
	v_rcp_iflag_f32_e32 v1, v1
	v_bitop3_b32 v43, v0, 3, 1 bitop3:0x6c
	v_and_b32_e32 v24, 48, v3
	v_bfe_u32 v45, v0, 2, 4
	v_and_b32_e32 v3, 60, v0
	v_lshlrev_b32_e32 v4, 8, v0
	v_lshlrev_b32_e32 v0, 6, v0
	v_and_b32_e32 v4, 0x200, v4
	v_and_b32_e32 v0, 64, v0
	s_abs_i32 s47, s42
	v_or3_b32 v46, v3, v4, v0
	v_mul_f32_e32 v0, 0x4f7ffffe, v1
	v_cvt_f32_u32_e32 v1, s47
	v_cvt_u32_f32_e32 v0, v0
	v_mad_u64_u32 v[18:19], s[6:7], s13, v44, v[16:17]
	v_rcp_iflag_f32_e32 v1, v1
	s_lshl_b32 s6, s13, 4
	v_readfirstlane_b32 s7, v0
	v_add_u32_e32 v20, s6, v18
	v_mul_f32_e32 v0, 0x4f7ffffe, v1
	v_cvt_u32_f32_e32 v0, v0
	v_add_u32_e32 v22, s6, v20
	s_sub_i32 s6, 0, s46
	s_mul_i32 s6, s6, s7
	s_mul_hi_u32 s6, s7, s6
	v_add_u32_e32 v2, 1, v2
	s_add_i32 s49, s7, s6
	s_sub_i32 s6, 0, s47
	v_readfirstlane_b32 s7, v0
	v_mbcnt_lo_u32_b32 v0, -1, 0
	v_and_b32_e32 v2, 63, v2
	s_mul_i32 s6, s6, s7
	v_mbcnt_hi_u32_b32 v0, -1, v0
	v_mul_lo_u32 v26, s15, v45
	s_mul_hi_u32 s6, s7, s6
	v_and_or_b32 v0, v0, 64, v2
	v_cndmask_b32_e64 v40, 0, 1, s[0:1]
	s_ashr_i32 s11, s13, 31
	s_mov_b32 s10, s13
	v_ashrrev_i32_e32 v19, 31, v18
	v_ashrrev_i32_e32 v21, 31, v20
	;; [unrolled: 1-line block ×4, first 2 shown]
	v_mov_b32_e32 v25, 0
	s_ashr_i32 s48, s33, 31
	s_ashr_i32 s50, s42, 31
	s_add_i32 s51, s7, s6
	s_movk_i32 s52, 0x3000
	s_mov_b32 s53, 0x55555556
	v_lshlrev_b32_e32 v47, 2, v0
	v_mov_b32_e32 v48, v14
	s_branch .LBB241_7
.LBB241_4:                              ;   in Loop: Header=BB241_7 Depth=1
	s_or_b64 exec, exec, s[28:29]
.LBB241_5:                              ;   in Loop: Header=BB241_7 Depth=1
	s_or_b64 exec, exec, s[8:9]
	v_subrev_u32_e32 v48, s57, v48
.LBB241_6:                              ;   in Loop: Header=BB241_7 Depth=1
	s_or_b64 exec, exec, s[6:7]
	s_add_i32 s43, s43, 1
	v_cmp_ge_i32_e32 vcc, s43, v17
	s_cbranch_vccnz .LBB241_52
.LBB241_7:                              ; =>This Loop Header: Depth=1
                                        ;     Child Loop BB241_13 Depth 2
                                        ;       Child Loop BB241_15 Depth 3
                                        ;       Child Loop BB241_18 Depth 3
	;; [unrolled: 1-line block ×4, first 2 shown]
                                        ;     Child Loop BB241_39 Depth 2
                                        ;       Child Loop BB241_41 Depth 3
                                        ;     Child Loop BB241_49 Depth 2
                                        ;       Child Loop BB241_51 Depth 3
	s_abs_i32 s7, s43
	s_mul_hi_u32 s8, s7, s49
	s_mul_i32 s9, s8, s46
	s_ashr_i32 s6, s43, 31
	s_sub_i32 s7, s7, s9
	s_xor_b32 s6, s6, s48
	s_add_i32 s9, s8, 1
	s_sub_i32 s28, s7, s46
	s_cmp_ge_u32 s7, s46
	s_cselect_b32 s8, s9, s8
	s_cselect_b32 s7, s28, s7
	s_add_i32 s9, s8, 1
	s_cmp_ge_u32 s7, s46
	s_cselect_b32 s7, s9, s8
	s_xor_b32 s7, s7, s6
	s_sub_i32 s6, s7, s6
	s_abs_i32 s8, s6
	s_mul_hi_u32 s9, s8, s51
	s_mul_i32 s7, s6, s33
	s_mul_i32 s28, s9, s47
	s_sub_i32 s54, s43, s7
	s_ashr_i32 s7, s6, 31
	s_sub_i32 s8, s8, s28
	s_xor_b32 s7, s7, s50
	s_add_i32 s28, s9, 1
	s_sub_i32 s29, s8, s47
	s_cmp_ge_u32 s8, s47
	s_cselect_b32 s9, s28, s9
	s_cselect_b32 s8, s29, s8
	s_add_i32 s28, s9, 1
	s_cmp_ge_u32 s8, s47
	s_cselect_b32 s8, s28, s9
	s_xor_b32 s8, s8, s7
	s_sub_i32 s7, s8, s7
	s_mul_i32 s8, s7, s44
	s_lshl_b32 s55, s8, 8
	s_mul_i32 s54, s54, 48
	s_cmp_eq_u32 s7, s16
	s_cselect_b32 s57, s45, s44
	s_sub_i32 s8, s54, s12
	s_add_i32 s8, s8, 48
	s_max_i32 s56, s8, 0
	s_and_saveexec_b64 s[8:9], s[2:3]
	s_xor_b64 s[28:29], exec, s[8:9]
	s_cbranch_execz .LBB241_45
; %bb.8:                                ;   in Loop: Header=BB241_7 Depth=1
	s_mul_i32 s7, s7, s42
	s_sub_i32 s6, s6, s7
	s_lshl_b32 s6, s6, 4
	s_sub_i32 s31, s6, s13
	s_add_i32 s31, s31, 16
	s_max_i32 s7, s31, 0
	s_sub_i32 s30, s6, s7
	s_and_saveexec_b64 s[6:7], s[0:1]
	s_xor_b64 s[34:35], exec, s[6:7]
	s_cbranch_execz .LBB241_35
; %bb.9:                                ;   in Loop: Header=BB241_7 Depth=1
	s_and_saveexec_b64 s[36:37], s[4:5]
	s_cbranch_execz .LBB241_34
; %bb.10:                               ;   in Loop: Header=BB241_7 Depth=1
	s_waitcnt lgkmcnt(0)
	global_load_dword v49, v25, s[26:27]
	v_mov_b32_e32 v11, 0
	v_cmp_gt_i32_e32 vcc, s57, v48
	v_mov_b32_e32 v10, v11
	v_mov_b32_e32 v9, v11
	;; [unrolled: 1-line block ×11, first 2 shown]
	s_and_saveexec_b64 s[6:7], vcc
	s_cbranch_execz .LBB241_26
; %bb.11:                               ;   in Loop: Header=BB241_7 Depth=1
	v_mov_b32_e32 v0, 0
	s_mov_b64 s[8:9], 0
	v_mov_b32_e32 v1, v0
	v_mov_b32_e32 v2, v0
	;; [unrolled: 1-line block ×11, first 2 shown]
	s_branch .LBB241_13
.LBB241_12:                             ;   in Loop: Header=BB241_13 Depth=2
	s_or_b64 exec, exec, s[38:39]
	v_add_u32_e32 v56, 0x2000, v53
	ds_read2_b32 v[54:55], v56 offset1:32
	ds_read2_b32 v[56:57], v56 offset0:128 offset1:160
	v_add_u32_e32 v58, 0x2400, v53
	v_add_u32_e32 v48, s19, v48
	v_cmp_le_i32_e32 vcc, s57, v48
	s_waitcnt lgkmcnt(1)
	v_mfma_f32_16x16x32_fp8_fp8 v[0:3], v[54:55], v[14:15], v[0:3]
	ds_read2_b32 v[14:15], v58 offset1:32
	v_add_u32_e32 v54, 0x2800, v53
	s_or_b64 s[8:9], vcc, s[8:9]
	s_waitcnt lgkmcnt(1)
	v_mfma_f32_16x16x32_fp8_fp8 v[0:3], v[56:57], v[28:29], v[0:3]
	ds_read2_b32 v[28:29], v58 offset0:128 offset1:160
	s_waitcnt lgkmcnt(1)
	v_mfma_f32_16x16x32_fp8_fp8 v[0:3], v[14:15], v[32:33], v[0:3]
	ds_read2_b32 v[14:15], v54 offset1:32
	s_waitcnt lgkmcnt(1)
	v_mfma_f32_16x16x32_fp8_fp8 v[0:3], v[28:29], v[34:35], v[0:3]
	ds_read2_b32 v[28:29], v54 offset0:128 offset1:160
	v_add_u32_e32 v34, 0x2c00, v53
	ds_read2_b32 v[32:33], v34 offset1:32
	s_waitcnt lgkmcnt(2)
	v_mfma_f32_16x16x32_fp8_fp8 v[0:3], v[14:15], v[36:37], v[0:3]
	v_add_u32_e32 v14, s19, v50
	v_add_u32_e32 v15, 2, v40
	v_cmp_lt_i32_e32 vcc, 1, v14
	s_waitcnt lgkmcnt(1)
	v_mfma_f32_16x16x32_fp8_fp8 v[0:3], v[28:29], v[38:39], v[0:3]
	ds_read2_b32 v[28:29], v34 offset0:128 offset1:160
	v_cndmask_b32_e32 v40, v40, v15, vcc
	;;#ASMSTART
	s_waitcnt lgkmcnt(0)
	;;#ASMEND
	s_waitcnt lgkmcnt(1)
	v_mfma_f32_16x16x32_fp8_fp8 v[0:3], v[32:33], v[30:31], v[0:3]
	ds_write_b32 v52, v51 offset:32776
	s_waitcnt lgkmcnt(1)
	v_mfma_f32_16x16x32_fp8_fp8 v[0:3], v[28:29], v[12:13], v[0:3]
	s_andn2_b64 exec, exec, s[8:9]
	s_cbranch_execz .LBB241_25
.LBB241_13:                             ;   Parent Loop BB241_7 Depth=1
                                        ; =>  This Loop Header: Depth=2
                                        ;       Child Loop BB241_15 Depth 3
                                        ;       Child Loop BB241_18 Depth 3
	;; [unrolled: 1-line block ×4, first 2 shown]
	v_cmp_gt_i32_e32 vcc, 2, v14
	s_nop 1
	v_cndmask_b32_e64 v12, -2, 0, vcc
	v_add_u32_e32 v50, v12, v14
	v_lshlrev_b32_e32 v12, 2, v50
	ds_read_b32 v13, v12 offset:32792
	v_add_u32_e32 v52, 0x8000, v12
	s_waitcnt lgkmcnt(0)
	v_cmp_ne_u32_e32 vcc, v13, v40
	s_and_saveexec_b64 s[38:39], vcc
	s_cbranch_execz .LBB241_16
; %bb.14:                               ;   in Loop: Header=BB241_13 Depth=2
	s_mov_b64 s[40:41], 0
.LBB241_15:                             ;   Parent Loop BB241_7 Depth=1
                                        ;     Parent Loop BB241_13 Depth=2
                                        ; =>    This Inner Loop Header: Depth=3
	;;#ASMSTART
	s_sleep 0
	;;#ASMEND
	ds_read_b32 v12, v52 offset:24
	s_waitcnt lgkmcnt(0)
	v_cmp_eq_u32_e32 vcc, v12, v40
	s_or_b64 s[40:41], vcc, s[40:41]
	s_andn2_b64 exec, exec, s[40:41]
	s_cbranch_execnz .LBB241_15
.LBB241_16:                             ;   in Loop: Header=BB241_13 Depth=2
	s_or_b64 exec, exec, s[38:39]
	v_or_b32_e32 v12, 0x6000, v41
	v_lshl_add_u32 v12, v50, 12, v12
	v_add_u32_e32 v13, 0x400, v12
	ds_read2_b32 v[14:15], v12 offset1:32
	ds_read2_b32 v[28:29], v12 offset0:128 offset1:160
	ds_read2_b32 v[32:33], v13 offset1:32
	ds_read2_b32 v[34:35], v13 offset0:128 offset1:160
	v_add_u32_e32 v13, 0x800, v12
	v_add_u32_e32 v12, 0xc00, v12
	;; [unrolled: 1-line block ×3, first 2 shown]
	ds_read2_b32 v[36:37], v13 offset1:32
	ds_read2_b32 v[38:39], v13 offset0:128 offset1:160
	ds_read2_b32 v[30:31], v12 offset1:32
	ds_read2_b32 v[12:13], v12 offset0:128 offset1:160
	;;#ASMSTART
	s_waitcnt lgkmcnt(0)
	;;#ASMEND
	ds_write_b32 v52, v51 offset:24
	v_mul_lo_u32 v52, v50, 12
	ds_read_b32 v53, v52 offset:32768
	s_waitcnt lgkmcnt(0)
	v_cmp_ne_u32_e32 vcc, v53, v40
	s_and_saveexec_b64 s[38:39], vcc
	s_cbranch_execz .LBB241_19
; %bb.17:                               ;   in Loop: Header=BB241_13 Depth=2
	s_mov_b64 s[40:41], 0
.LBB241_18:                             ;   Parent Loop BB241_7 Depth=1
                                        ;     Parent Loop BB241_13 Depth=2
                                        ; =>    This Inner Loop Header: Depth=3
	;;#ASMSTART
	s_sleep 0
	;;#ASMEND
	ds_read_b32 v53, v52 offset:32768
	s_waitcnt lgkmcnt(0)
	v_cmp_eq_u32_e32 vcc, v53, v40
	s_or_b64 s[40:41], vcc, s[40:41]
	s_andn2_b64 exec, exec, s[40:41]
	s_cbranch_execnz .LBB241_18
.LBB241_19:                             ;   in Loop: Header=BB241_13 Depth=2
	s_or_b64 exec, exec, s[38:39]
	v_mul_lo_u32 v53, v50, s52
	v_or_b32_e32 v58, v41, v53
	ds_read2_b32 v[54:55], v58 offset1:32
	ds_read2_b32 v[56:57], v58 offset0:128 offset1:160
	v_add_u32_e32 v59, 0x400, v58
	s_waitcnt lgkmcnt(1)
	v_mfma_f32_16x16x32_fp8_fp8 v[8:11], v[54:55], v[14:15], v[8:11]
	ds_read2_b32 v[54:55], v59 offset1:32
	s_waitcnt lgkmcnt(1)
	v_mfma_f32_16x16x32_fp8_fp8 v[8:11], v[56:57], v[28:29], v[8:11]
	ds_read2_b32 v[56:57], v59 offset0:128 offset1:160
	v_add_u32_e32 v59, 0x800, v58
	v_add_u32_e32 v58, 0xc00, v58
	s_waitcnt lgkmcnt(1)
	v_mfma_f32_16x16x32_fp8_fp8 v[8:11], v[54:55], v[32:33], v[8:11]
	ds_read2_b32 v[54:55], v59 offset1:32
	s_waitcnt lgkmcnt(1)
	v_mfma_f32_16x16x32_fp8_fp8 v[8:11], v[56:57], v[34:35], v[8:11]
	ds_read2_b32 v[56:57], v59 offset0:128 offset1:160
	s_waitcnt lgkmcnt(1)
	v_mfma_f32_16x16x32_fp8_fp8 v[8:11], v[54:55], v[36:37], v[8:11]
	ds_read2_b32 v[54:55], v58 offset1:32
	s_waitcnt lgkmcnt(1)
	v_mfma_f32_16x16x32_fp8_fp8 v[8:11], v[56:57], v[38:39], v[8:11]
	ds_read2_b32 v[56:57], v58 offset0:128 offset1:160
	;;#ASMSTART
	s_waitcnt lgkmcnt(0)
	;;#ASMEND
	ds_write_b32 v52, v51 offset:32768
	s_waitcnt lgkmcnt(2)
	v_mfma_f32_16x16x32_fp8_fp8 v[8:11], v[54:55], v[30:31], v[8:11]
	ds_read_b32 v54, v52 offset:32772
	s_waitcnt lgkmcnt(0)
	v_cmp_ne_u32_e32 vcc, v54, v40
	v_mfma_f32_16x16x32_fp8_fp8 v[8:11], v[56:57], v[12:13], v[8:11]
	s_and_saveexec_b64 s[38:39], vcc
	s_cbranch_execz .LBB241_22
; %bb.20:                               ;   in Loop: Header=BB241_13 Depth=2
	s_mov_b64 s[40:41], 0
.LBB241_21:                             ;   Parent Loop BB241_7 Depth=1
                                        ;     Parent Loop BB241_13 Depth=2
                                        ; =>    This Inner Loop Header: Depth=3
	;;#ASMSTART
	s_sleep 0
	;;#ASMEND
	ds_read_b32 v54, v52 offset:32772
	s_waitcnt lgkmcnt(0)
	v_cmp_eq_u32_e32 vcc, v54, v40
	s_or_b64 s[40:41], vcc, s[40:41]
	s_andn2_b64 exec, exec, s[40:41]
	s_cbranch_execnz .LBB241_21
.LBB241_22:                             ;   in Loop: Header=BB241_13 Depth=2
	s_or_b64 exec, exec, s[38:39]
	v_add_u32_e32 v53, v41, v53
	v_add_u32_e32 v56, 0x1000, v53
	ds_read2_b32 v[54:55], v56 offset1:32
	ds_read2_b32 v[56:57], v56 offset0:128 offset1:160
	v_add_u32_e32 v58, 0x1400, v53
	s_waitcnt lgkmcnt(1)
	v_mfma_f32_16x16x32_fp8_fp8 v[4:7], v[54:55], v[14:15], v[4:7]
	ds_read2_b32 v[54:55], v58 offset1:32
	s_waitcnt lgkmcnt(1)
	v_mfma_f32_16x16x32_fp8_fp8 v[4:7], v[56:57], v[28:29], v[4:7]
	ds_read2_b32 v[56:57], v58 offset0:128 offset1:160
	v_add_u32_e32 v58, 0x1800, v53
	s_waitcnt lgkmcnt(1)
	v_mfma_f32_16x16x32_fp8_fp8 v[4:7], v[54:55], v[32:33], v[4:7]
	ds_read2_b32 v[54:55], v58 offset1:32
	s_waitcnt lgkmcnt(1)
	v_mfma_f32_16x16x32_fp8_fp8 v[4:7], v[56:57], v[34:35], v[4:7]
	;; [unrolled: 7-line block ×3, first 2 shown]
	ds_read2_b32 v[56:57], v58 offset0:128 offset1:160
	;;#ASMSTART
	s_waitcnt lgkmcnt(0)
	;;#ASMEND
	ds_write_b32 v52, v51 offset:32772
	s_waitcnt lgkmcnt(2)
	v_mfma_f32_16x16x32_fp8_fp8 v[4:7], v[54:55], v[30:31], v[4:7]
	ds_read_b32 v54, v52 offset:32776
	s_waitcnt lgkmcnt(0)
	v_cmp_ne_u32_e32 vcc, v54, v40
	v_mfma_f32_16x16x32_fp8_fp8 v[4:7], v[56:57], v[12:13], v[4:7]
	s_and_saveexec_b64 s[38:39], vcc
	s_cbranch_execz .LBB241_12
; %bb.23:                               ;   in Loop: Header=BB241_13 Depth=2
	s_mov_b64 s[40:41], 0
.LBB241_24:                             ;   Parent Loop BB241_7 Depth=1
                                        ;     Parent Loop BB241_13 Depth=2
                                        ; =>    This Inner Loop Header: Depth=3
	;;#ASMSTART
	s_sleep 0
	;;#ASMEND
	ds_read_b32 v54, v52 offset:32776
	s_waitcnt lgkmcnt(0)
	v_cmp_eq_u32_e32 vcc, v54, v40
	s_or_b64 s[40:41], vcc, s[40:41]
	s_andn2_b64 exec, exec, s[40:41]
	s_cbranch_execnz .LBB241_24
	s_branch .LBB241_12
.LBB241_25:                             ;   in Loop: Header=BB241_7 Depth=1
	s_or_b64 exec, exec, s[8:9]
.LBB241_26:                             ;   in Loop: Header=BB241_7 Depth=1
	s_or_b64 exec, exec, s[6:7]
	v_cmp_le_i32_e32 vcc, s31, v16
	v_cmp_eq_u32_e64 s[6:7], 3, v42
	s_waitcnt vmcnt(0)
	v_cndmask_b32_e32 v12, 0, v49, vcc
	v_pk_mul_f32 v[28:29], v[12:13], v[8:9] op_sel_hi:[0,1]
	v_cmp_eq_u32_e32 vcc, 1, v42
	v_pk_mul_f32 v[10:11], v[12:13], v[10:11] op_sel_hi:[0,1]
	v_add_u32_e32 v13, s56, v44
	v_cndmask_b32_e32 v8, v28, v29, vcc
	v_cmp_eq_u32_e32 vcc, 2, v42
	s_nop 1
	v_cndmask_b32_e32 v8, v8, v10, vcc
	v_cndmask_b32_e64 v8, v8, v11, s[6:7]
	ds_bpermute_b32 v9, v47, v8
	s_waitcnt lgkmcnt(0)
	v_cndmask_b32_e32 v10, v10, v9, vcc
	v_cmp_ne_u32_e32 vcc, 0, v42
	v_cndmask_b32_e64 v15, v11, v9, s[6:7]
	s_nop 0
	v_cndmask_b32_e32 v8, v29, v9, vcc
	v_cmp_eq_u32_e32 vcc, 0, v42
	s_nop 1
	v_cndmask_b32_e32 v9, v28, v9, vcc
	v_cmp_eq_u32_e32 vcc, 1, v43
	;; [unrolled: 3-line block ×4, first 2 shown]
	s_nop 1
	v_cndmask_b32_e32 v11, v11, v15, vcc
	ds_bpermute_b32 v11, v47, v11
	v_cmp_gt_u32_e32 vcc, 48, v13
	s_and_saveexec_b64 s[38:39], vcc
	s_cbranch_execz .LBB241_33
; %bb.27:                               ;   in Loop: Header=BB241_7 Depth=1
	v_cmp_eq_u32_e64 s[8:9], 1, v43
	v_cmp_eq_u32_e64 s[6:7], 3, v43
	v_cmp_eq_u32_e32 vcc, 2, v43
	s_waitcnt lgkmcnt(0)
	v_cndmask_b32_e64 v8, v8, v11, s[8:9]
	v_cmp_eq_u32_e64 s[8:9], 0, v43
	v_cvt_f16_f32_sdwa v29, v8 dst_sel:WORD_1 dst_unused:UNUSED_PAD src0_sel:DWORD
	s_nop 0
	v_cndmask_b32_e64 v9, v9, v11, s[8:9]
	s_mul_i32 s8, s54, s13
	s_ashr_i32 s9, s8, 31
	s_lshl_b64 s[8:9], s[8:9], 1
	s_add_u32 s40, s24, s8
	s_addc_u32 s41, s25, s9
	s_ashr_i32 s31, s30, 31
	s_lshl_b64 s[8:9], s[30:31], 1
	v_cvt_f16_f32_e32 v28, v9
	s_add_u32 s40, s40, s8
	s_addc_u32 s41, s41, s9
	v_lshl_add_u64 v[8:9], v[18:19], 1, s[40:41]
	v_cmp_gt_u32_e64 s[8:9], 46, v13
	v_or_b32_e32 v28, v29, v28
	;;#ASMSTART
	global_atomic_pk_add_f16 v[8:9], v28, off
	
	;;#ASMEND
	s_and_b64 exec, exec, s[8:9]
	s_cbranch_execz .LBB241_33
; %bb.28:                               ;   in Loop: Header=BB241_7 Depth=1
	v_mov_b32_e32 v13, v12
	v_mov_b32_e32 v28, v12
	v_mov_b32_e32 v29, v12
	v_cndmask_b32_e64 v15, v15, v11, s[6:7]
	v_pk_mul_f32 v[6:7], v[28:29], v[6:7]
	v_pk_mul_f32 v[28:29], v[12:13], v[4:5]
	v_cmp_eq_u32_e64 s[6:7], 1, v42
	v_cmp_eq_u32_e64 s[8:9], 3, v42
	v_cvt_f16_f32_sdwa v15, v15 dst_sel:WORD_1 dst_unused:UNUSED_PAD src0_sel:DWORD
	v_cndmask_b32_e64 v4, v28, v29, s[6:7]
	v_cmp_eq_u32_e64 s[6:7], 2, v42
	s_nop 1
	v_cndmask_b32_e64 v4, v4, v6, s[6:7]
	v_cndmask_b32_e64 v4, v4, v7, s[8:9]
	ds_bpermute_b32 v5, v47, v4
	v_cndmask_b32_e32 v4, v10, v11, vcc
	v_cmp_ne_u32_e32 vcc, 0, v42
	v_lshl_add_u64 v[10:11], s[10:11], 2, v[8:9]
	v_cvt_f16_f32_e32 v9, v4
	s_waitcnt lgkmcnt(0)
	v_cndmask_b32_e32 v4, v29, v5, vcc
	v_cmp_eq_u32_e32 vcc, 0, v42
	v_cndmask_b32_e64 v8, v7, v5, s[8:9]
	v_cndmask_b32_e64 v6, v6, v5, s[6:7]
	v_cndmask_b32_e32 v5, v28, v5, vcc
	v_cmp_eq_u32_e32 vcc, 1, v43
	v_or_b32_e32 v9, v15, v9
	;;#ASMSTART
	global_atomic_pk_add_f16 v[10:11], v9, off
	
	;;#ASMEND
	v_or_b32_e32 v9, 16, v44
	v_cndmask_b32_e32 v7, v5, v4, vcc
	v_cmp_eq_u32_e32 vcc, 2, v43
	v_add_u32_e32 v9, s56, v9
	s_nop 0
	v_cndmask_b32_e32 v7, v7, v6, vcc
	v_cmp_eq_u32_e32 vcc, 3, v43
	s_nop 1
	v_cndmask_b32_e32 v7, v7, v8, vcc
	ds_bpermute_b32 v7, v47, v7
	v_cmp_gt_u32_e32 vcc, 48, v9
	s_and_b64 exec, exec, vcc
	s_cbranch_execz .LBB241_33
; %bb.29:                               ;   in Loop: Header=BB241_7 Depth=1
	v_cmp_eq_u32_e32 vcc, 1, v43
	v_cmp_eq_u32_e64 s[6:7], 3, v43
	v_cmp_gt_u32_e64 s[8:9], 46, v9
	s_waitcnt lgkmcnt(0)
	v_cndmask_b32_e32 v4, v4, v7, vcc
	v_cmp_eq_u32_e32 vcc, 0, v43
	v_cvt_f16_f32_sdwa v11, v4 dst_sel:WORD_1 dst_unused:UNUSED_PAD src0_sel:DWORD
	s_nop 0
	v_cndmask_b32_e32 v5, v5, v7, vcc
	v_cvt_f16_f32_e32 v10, v5
	v_cmp_eq_u32_e32 vcc, 2, v43
	v_lshl_add_u64 v[4:5], v[20:21], 1, s[40:41]
	v_or_b32_e32 v10, v11, v10
	;;#ASMSTART
	global_atomic_pk_add_f16 v[4:5], v10, off
	
	;;#ASMEND
	s_and_b64 exec, exec, s[8:9]
	s_cbranch_execz .LBB241_33
; %bb.30:                               ;   in Loop: Header=BB241_7 Depth=1
	v_cndmask_b32_e64 v15, v8, v7, s[6:7]
	v_mov_b32_e32 v8, v12
	v_mov_b32_e32 v9, v12
	v_pk_mul_f32 v[10:11], v[12:13], v[0:1]
	v_cmp_eq_u32_e64 s[6:7], 1, v42
	v_pk_mul_f32 v[8:9], v[8:9], v[2:3]
	v_cmp_eq_u32_e64 s[8:9], 3, v42
	v_cndmask_b32_e64 v0, v10, v11, s[6:7]
	v_cmp_eq_u32_e64 s[6:7], 2, v42
	v_cvt_f16_f32_sdwa v12, v15 dst_sel:WORD_1 dst_unused:UNUSED_PAD src0_sel:DWORD
	s_nop 0
	v_cndmask_b32_e64 v0, v0, v8, s[6:7]
	v_cndmask_b32_e64 v0, v0, v9, s[8:9]
	ds_bpermute_b32 v1, v47, v0
	v_cndmask_b32_e32 v0, v6, v7, vcc
	v_cmp_ne_u32_e32 vcc, 0, v42
	v_lshl_add_u64 v[6:7], s[10:11], 2, v[4:5]
	v_cvt_f16_f32_e32 v5, v0
	s_waitcnt lgkmcnt(0)
	v_cndmask_b32_e32 v0, v11, v1, vcc
	v_cmp_eq_u32_e32 vcc, 0, v42
	v_cndmask_b32_e64 v2, v9, v1, s[8:9]
	v_cndmask_b32_e64 v3, v8, v1, s[6:7]
	v_cndmask_b32_e32 v1, v10, v1, vcc
	v_cmp_eq_u32_e32 vcc, 1, v43
	v_or_b32_e32 v5, v12, v5
	;;#ASMSTART
	global_atomic_pk_add_f16 v[6:7], v5, off
	
	;;#ASMEND
	v_or_b32_e32 v5, 32, v44
	v_cndmask_b32_e32 v4, v1, v0, vcc
	v_cmp_eq_u32_e32 vcc, 2, v43
	v_add_u32_e32 v5, s56, v5
	s_nop 0
	v_cndmask_b32_e32 v4, v4, v3, vcc
	v_cmp_eq_u32_e32 vcc, 3, v43
	s_nop 1
	v_cndmask_b32_e32 v4, v4, v2, vcc
	ds_bpermute_b32 v4, v47, v4
	v_cmp_gt_u32_e32 vcc, 48, v5
	s_and_b64 exec, exec, vcc
	s_cbranch_execz .LBB241_33
; %bb.31:                               ;   in Loop: Header=BB241_7 Depth=1
	v_cmp_eq_u32_e32 vcc, 1, v43
	v_cmp_eq_u32_e64 s[6:7], 2, v43
	v_cmp_gt_u32_e64 s[8:9], 46, v5
	s_waitcnt lgkmcnt(0)
	v_cndmask_b32_e32 v0, v0, v4, vcc
	v_cmp_eq_u32_e32 vcc, 0, v43
	v_cvt_f16_f32_sdwa v7, v0 dst_sel:WORD_1 dst_unused:UNUSED_PAD src0_sel:DWORD
	s_nop 0
	v_cndmask_b32_e32 v1, v1, v4, vcc
	v_cvt_f16_f32_e32 v6, v1
	v_cmp_eq_u32_e32 vcc, 3, v43
	v_lshl_add_u64 v[0:1], v[22:23], 1, s[40:41]
	v_or_b32_e32 v6, v7, v6
	;;#ASMSTART
	global_atomic_pk_add_f16 v[0:1], v6, off
	
	;;#ASMEND
	s_and_b64 exec, exec, s[8:9]
	s_cbranch_execz .LBB241_33
; %bb.32:                               ;   in Loop: Header=BB241_7 Depth=1
	v_cndmask_b32_e32 v2, v2, v4, vcc
	v_cndmask_b32_e64 v3, v3, v4, s[6:7]
	v_cvt_f16_f32_sdwa v2, v2 dst_sel:WORD_1 dst_unused:UNUSED_PAD src0_sel:DWORD
	v_cvt_f16_f32_e32 v3, v3
	v_lshl_add_u64 v[0:1], s[10:11], 2, v[0:1]
	v_or_b32_e32 v2, v2, v3
	;;#ASMSTART
	global_atomic_pk_add_f16 v[0:1], v2, off
	
	;;#ASMEND
.LBB241_33:                             ;   in Loop: Header=BB241_7 Depth=1
	s_or_b64 exec, exec, s[38:39]
	v_subrev_u32_e32 v48, s57, v48
.LBB241_34:                             ;   in Loop: Header=BB241_7 Depth=1
	s_or_b64 exec, exec, s[36:37]
.LBB241_35:                             ;   in Loop: Header=BB241_7 Depth=1
	s_andn2_saveexec_b64 s[6:7], s[34:35]
	s_cbranch_execz .LBB241_44
; %bb.36:                               ;   in Loop: Header=BB241_7 Depth=1
	v_cmp_gt_i32_e32 vcc, s57, v48
	s_and_saveexec_b64 s[8:9], vcc
	s_cbranch_execz .LBB241_43
; %bb.37:                               ;   in Loop: Header=BB241_7 Depth=1
	s_mul_i32 s30, s30, s15
	s_ashr_i32 s31, s30, 31
	s_waitcnt lgkmcnt(0)
	s_add_u32 s30, s22, s30
	s_addc_u32 s31, s23, s31
	s_ashr_i32 s34, s55, 31
	s_add_u32 s30, s30, s55
	s_addc_u32 s31, s31, s34
	v_lshl_add_u64 v[0:1], s[30:31], 0, v[26:27]
	v_lshl_add_u64 v[28:29], v[0:1], 0, v[24:25]
	s_mov_b64 s[30:31], 0
	s_branch .LBB241_39
.LBB241_38:                             ;   in Loop: Header=BB241_39 Depth=2
	s_or_b64 exec, exec, s[34:35]
	v_or_b32_e32 v32, 0x6000, v46
	v_lshl_add_u32 v32, v30, 12, v32
	;;#ASMSTART
	s_waitcnt vmcnt(3)
	;;#ASMEND
	ds_write2_b32 v32, v12, v13 offset1:32
	ds_write2_b32 v32, v14, v15 offset0:64 offset1:96
	v_add_u32_e32 v12, 0x400, v32
	;;#ASMSTART
	s_waitcnt vmcnt(2)
	;;#ASMEND
	ds_write2_b32 v12, v8, v9 offset1:32
	ds_write2_b32 v12, v10, v11 offset0:64 offset1:96
	v_add_u32_e32 v8, 0x800, v32
	;; [unrolled: 6-line block ×3, first 2 shown]
	v_add_u32_e32 v48, s18, v48
	;;#ASMSTART
	s_waitcnt vmcnt(0)
	;;#ASMEND
	ds_write2_b32 v4, v0, v1 offset1:32
	ds_write2_b32 v4, v2, v3 offset0:64 offset1:96
	v_add_u32_e32 v0, 1, v40
	v_add_u32_e32 v14, s18, v30
	v_cmp_le_i32_e32 vcc, s57, v48
	ds_write_b32 v31, v0 offset:24
	v_add_u32_e32 v0, 2, v40
	s_or_b64 s[30:31], vcc, s[30:31]
	v_cmp_lt_i32_e32 vcc, 1, v14
	s_nop 1
	v_cndmask_b32_e32 v40, v40, v0, vcc
	s_andn2_b64 exec, exec, s[30:31]
	s_cbranch_execz .LBB241_42
.LBB241_39:                             ;   Parent Loop BB241_7 Depth=1
                                        ; =>  This Loop Header: Depth=2
                                        ;       Child Loop BB241_41 Depth 3
	v_cmp_gt_i32_e32 vcc, 2, v14
	s_nop 1
	v_cndmask_b32_e64 v0, -2, 0, vcc
	v_add_u32_e32 v30, v0, v14
	v_lshlrev_b32_e32 v0, 8, v48
	v_ashrrev_i32_e32 v1, 31, v0
	v_lshl_add_u64 v[0:1], v[28:29], 0, v[0:1]
	v_lshlrev_b32_e32 v31, 2, v30
	;;#ASMSTART
	global_load_dwordx4 v[12:15], v[0:1], off offset:0    sc0 sc1 nt  
	global_load_dwordx4 v[8:11], v[0:1], off offset:64   sc0 sc1 nt  
	global_load_dwordx4 v[4:7], v[0:1], off offset:128  sc0 sc1 nt  
	global_load_dwordx4 v[0:3], v[0:1], off offset:192  sc0 sc1 nt  
	
	;;#ASMEND
	ds_read_b32 v32, v31 offset:32792
	v_add_u32_e32 v31, 0x8000, v31
	s_waitcnt lgkmcnt(0)
	v_cmp_ne_u32_e32 vcc, v32, v40
	s_and_saveexec_b64 s[34:35], vcc
	s_cbranch_execz .LBB241_38
; %bb.40:                               ;   in Loop: Header=BB241_39 Depth=2
	s_mov_b64 s[36:37], 0
.LBB241_41:                             ;   Parent Loop BB241_7 Depth=1
                                        ;     Parent Loop BB241_39 Depth=2
                                        ; =>    This Inner Loop Header: Depth=3
	;;#ASMSTART
	s_sleep 0
	;;#ASMEND
	ds_read_b32 v32, v31 offset:24
	s_waitcnt lgkmcnt(0)
	v_cmp_eq_u32_e32 vcc, v32, v40
	s_or_b64 s[36:37], vcc, s[36:37]
	s_andn2_b64 exec, exec, s[36:37]
	s_cbranch_execnz .LBB241_41
	s_branch .LBB241_38
.LBB241_42:                             ;   in Loop: Header=BB241_7 Depth=1
	s_or_b64 exec, exec, s[30:31]
.LBB241_43:                             ;   in Loop: Header=BB241_7 Depth=1
	s_or_b64 exec, exec, s[8:9]
	v_subrev_u32_e32 v48, s57, v48
.LBB241_44:                             ;   in Loop: Header=BB241_7 Depth=1
	s_or_b64 exec, exec, s[6:7]
.LBB241_45:                             ;   in Loop: Header=BB241_7 Depth=1
	s_andn2_saveexec_b64 s[6:7], s[28:29]
	s_cbranch_execz .LBB241_6
; %bb.46:                               ;   in Loop: Header=BB241_7 Depth=1
	s_mul_i32 s57, s57, 3
	v_cmp_gt_i32_e32 vcc, s57, v48
	s_and_saveexec_b64 s[8:9], vcc
	s_cbranch_execz .LBB241_5
; %bb.47:                               ;   in Loop: Header=BB241_7 Depth=1
	s_mul_i32 s54, s54, s14
	s_ashr_i32 s28, s54, 31
	s_waitcnt lgkmcnt(0)
	s_add_u32 s29, s20, s54
	v_add_u32_e32 v2, s56, v45
	s_addc_u32 s30, s21, s28
	s_ashr_i32 s31, s55, 31
	v_mul_lo_u32 v0, s14, v45
	v_cmp_gt_u32_e32 vcc, 48, v2
	s_add_u32 s28, s29, s55
	s_addc_u32 s29, s30, s31
	v_cndmask_b32_e32 v0, 0, v0, vcc
	v_ashrrev_i32_e32 v1, 31, v0
	v_lshl_add_u64 v[0:1], s[28:29], 0, v[0:1]
	v_lshl_add_u64 v[28:29], v[0:1], 0, v[24:25]
	v_sub_u32_e32 v30, 47, v2
	s_mov_b64 s[28:29], 0
	s_branch .LBB241_49
.LBB241_48:                             ;   in Loop: Header=BB241_49 Depth=2
	s_or_b64 exec, exec, s[30:31]
	v_lshl_or_b32 v33, v31, 12, v46
	;;#ASMSTART
	s_waitcnt vmcnt(3)
	;;#ASMEND
	ds_write2_b32 v33, v12, v13 offset1:32
	ds_write2_b32 v33, v14, v15 offset0:64 offset1:96
	v_add_u32_e32 v12, 0x400, v33
	;;#ASMSTART
	s_waitcnt vmcnt(2)
	;;#ASMEND
	ds_write2_b32 v12, v8, v9 offset1:32
	ds_write2_b32 v12, v10, v11 offset0:64 offset1:96
	v_add_u32_e32 v8, 0x800, v33
	;;#ASMSTART
	s_waitcnt vmcnt(1)
	;;#ASMEND
	ds_write2_b32 v8, v4, v5 offset1:32
	ds_write2_b32 v8, v6, v7 offset0:64 offset1:96
	v_add_u32_e32 v4, 0xc00, v33
	v_add_u32_e32 v48, s17, v48
	;;#ASMSTART
	s_waitcnt vmcnt(0)
	;;#ASMEND
	ds_write2_b32 v4, v0, v1 offset1:32
	ds_write2_b32 v4, v2, v3 offset0:64 offset1:96
	v_add_u32_e32 v0, 1, v40
	v_add_u32_e32 v14, s17, v31
	v_cmp_le_i32_e32 vcc, s57, v48
	ds_write_b32 v32, v0
	v_add_u32_e32 v0, 2, v40
	s_or_b64 s[28:29], vcc, s[28:29]
	v_cmp_lt_i32_e32 vcc, 5, v14
	s_nop 1
	v_cndmask_b32_e32 v40, v40, v0, vcc
	s_andn2_b64 exec, exec, s[28:29]
	s_cbranch_execz .LBB241_4
.LBB241_49:                             ;   Parent Loop BB241_7 Depth=1
                                        ; =>  This Loop Header: Depth=2
                                        ;       Child Loop BB241_51 Depth 3
	v_cmp_gt_i32_e32 vcc, 6, v14
	s_nop 1
	v_cndmask_b32_e64 v0, -6, 0, vcc
	v_add_u32_e32 v31, v0, v14
	v_mul_hi_i32 v0, v48, s53
	v_lshrrev_b32_e32 v1, 31, v0
	v_add_u32_e32 v0, v0, v1
	v_lshl_add_u32 v1, v0, 1, v0
	v_sub_u32_e32 v1, v48, v1
	v_lshlrev_b32_e32 v1, 4, v1
	v_cmp_le_i32_e32 vcc, v1, v30
	v_lshlrev_b32_e32 v0, 8, v0
	v_lshlrev_b32_e32 v32, 2, v31
	v_cndmask_b32_e32 v2, 0, v1, vcc
	v_ashrrev_i32_e32 v1, 31, v0
	v_mul_lo_u32 v2, v2, s14
	v_lshl_add_u64 v[0:1], v[28:29], 0, v[0:1]
	v_ashrrev_i32_e32 v3, 31, v2
	v_lshl_add_u64 v[0:1], v[0:1], 0, v[2:3]
	;;#ASMSTART
	global_load_dwordx4 v[12:15], v[0:1], off offset:0    
	global_load_dwordx4 v[8:11], v[0:1], off offset:64   
	;; [unrolled: 1-line block ×4, first 2 shown]
	
	;;#ASMEND
	ds_read_b32 v33, v32 offset:32768
	v_add_u32_e32 v32, 0x8000, v32
	s_waitcnt lgkmcnt(0)
	v_cmp_ne_u32_e32 vcc, v33, v40
	s_and_saveexec_b64 s[30:31], vcc
	s_cbranch_execz .LBB241_48
; %bb.50:                               ;   in Loop: Header=BB241_49 Depth=2
	s_mov_b64 s[34:35], 0
.LBB241_51:                             ;   Parent Loop BB241_7 Depth=1
                                        ;     Parent Loop BB241_49 Depth=2
                                        ; =>    This Inner Loop Header: Depth=3
	;;#ASMSTART
	s_sleep 0
	;;#ASMEND
	ds_read_b32 v33, v32
	s_waitcnt lgkmcnt(0)
	v_cmp_eq_u32_e32 vcc, v33, v40
	s_or_b64 s[34:35], vcc, s[34:35]
	s_andn2_b64 exec, exec, s[34:35]
	s_cbranch_execnz .LBB241_51
	s_branch .LBB241_48
.LBB241_52:
	s_endpgm
	.section	.rodata,"a",@progbits
	.p2align	6, 0x0
	.amdhsa_kernel _Z19_skinny_gemm_kernelILi3ELi1ELi2ELi16ELi8EEvPKhS1_P6__halfPKfiiiiiiii
		.amdhsa_group_segment_fixed_size 32800
		.amdhsa_private_segment_fixed_size 0
		.amdhsa_kernarg_size 64
		.amdhsa_user_sgpr_count 2
		.amdhsa_user_sgpr_dispatch_ptr 0
		.amdhsa_user_sgpr_queue_ptr 0
		.amdhsa_user_sgpr_kernarg_segment_ptr 1
		.amdhsa_user_sgpr_dispatch_id 0
		.amdhsa_user_sgpr_kernarg_preload_length 0
		.amdhsa_user_sgpr_kernarg_preload_offset 0
		.amdhsa_user_sgpr_private_segment_size 0
		.amdhsa_uses_dynamic_stack 0
		.amdhsa_enable_private_segment 0
		.amdhsa_system_sgpr_workgroup_id_x 1
		.amdhsa_system_sgpr_workgroup_id_y 0
		.amdhsa_system_sgpr_workgroup_id_z 0
		.amdhsa_system_sgpr_workgroup_info 0
		.amdhsa_system_vgpr_workitem_id 0
		.amdhsa_next_free_vgpr 60
		.amdhsa_next_free_sgpr 58
		.amdhsa_accum_offset 60
		.amdhsa_reserve_vcc 1
		.amdhsa_float_round_mode_32 0
		.amdhsa_float_round_mode_16_64 0
		.amdhsa_float_denorm_mode_32 3
		.amdhsa_float_denorm_mode_16_64 3
		.amdhsa_dx10_clamp 1
		.amdhsa_ieee_mode 1
		.amdhsa_fp16_overflow 0
		.amdhsa_tg_split 0
		.amdhsa_exception_fp_ieee_invalid_op 0
		.amdhsa_exception_fp_denorm_src 0
		.amdhsa_exception_fp_ieee_div_zero 0
		.amdhsa_exception_fp_ieee_overflow 0
		.amdhsa_exception_fp_ieee_underflow 0
		.amdhsa_exception_fp_ieee_inexact 0
		.amdhsa_exception_int_div_zero 0
	.end_amdhsa_kernel
	.section	.text._Z19_skinny_gemm_kernelILi3ELi1ELi2ELi16ELi8EEvPKhS1_P6__halfPKfiiiiiiii,"axG",@progbits,_Z19_skinny_gemm_kernelILi3ELi1ELi2ELi16ELi8EEvPKhS1_P6__halfPKfiiiiiiii,comdat
.Lfunc_end241:
	.size	_Z19_skinny_gemm_kernelILi3ELi1ELi2ELi16ELi8EEvPKhS1_P6__halfPKfiiiiiiii, .Lfunc_end241-_Z19_skinny_gemm_kernelILi3ELi1ELi2ELi16ELi8EEvPKhS1_P6__halfPKfiiiiiiii
                                        ; -- End function
	.set _Z19_skinny_gemm_kernelILi3ELi1ELi2ELi16ELi8EEvPKhS1_P6__halfPKfiiiiiiii.num_vgpr, 60
	.set _Z19_skinny_gemm_kernelILi3ELi1ELi2ELi16ELi8EEvPKhS1_P6__halfPKfiiiiiiii.num_agpr, 0
	.set _Z19_skinny_gemm_kernelILi3ELi1ELi2ELi16ELi8EEvPKhS1_P6__halfPKfiiiiiiii.numbered_sgpr, 58
	.set _Z19_skinny_gemm_kernelILi3ELi1ELi2ELi16ELi8EEvPKhS1_P6__halfPKfiiiiiiii.num_named_barrier, 0
	.set _Z19_skinny_gemm_kernelILi3ELi1ELi2ELi16ELi8EEvPKhS1_P6__halfPKfiiiiiiii.private_seg_size, 0
	.set _Z19_skinny_gemm_kernelILi3ELi1ELi2ELi16ELi8EEvPKhS1_P6__halfPKfiiiiiiii.uses_vcc, 1
	.set _Z19_skinny_gemm_kernelILi3ELi1ELi2ELi16ELi8EEvPKhS1_P6__halfPKfiiiiiiii.uses_flat_scratch, 0
	.set _Z19_skinny_gemm_kernelILi3ELi1ELi2ELi16ELi8EEvPKhS1_P6__halfPKfiiiiiiii.has_dyn_sized_stack, 0
	.set _Z19_skinny_gemm_kernelILi3ELi1ELi2ELi16ELi8EEvPKhS1_P6__halfPKfiiiiiiii.has_recursion, 0
	.set _Z19_skinny_gemm_kernelILi3ELi1ELi2ELi16ELi8EEvPKhS1_P6__halfPKfiiiiiiii.has_indirect_call, 0
	.section	.AMDGPU.csdata,"",@progbits
; Kernel info:
; codeLenInByte = 4380
; TotalNumSgprs: 64
; NumVgprs: 60
; NumAgprs: 0
; TotalNumVgprs: 60
; ScratchSize: 0
; MemoryBound: 0
; FloatMode: 240
; IeeeMode: 1
; LDSByteSize: 32800 bytes/workgroup (compile time only)
; SGPRBlocks: 7
; VGPRBlocks: 7
; NumSGPRsForWavesPerEU: 64
; NumVGPRsForWavesPerEU: 60
; AccumOffset: 60
; Occupancy: 8
; WaveLimiterHint : 0
; COMPUTE_PGM_RSRC2:SCRATCH_EN: 0
; COMPUTE_PGM_RSRC2:USER_SGPR: 2
; COMPUTE_PGM_RSRC2:TRAP_HANDLER: 0
; COMPUTE_PGM_RSRC2:TGID_X_EN: 1
; COMPUTE_PGM_RSRC2:TGID_Y_EN: 0
; COMPUTE_PGM_RSRC2:TGID_Z_EN: 0
; COMPUTE_PGM_RSRC2:TIDIG_COMP_CNT: 0
; COMPUTE_PGM_RSRC3_GFX90A:ACCUM_OFFSET: 14
; COMPUTE_PGM_RSRC3_GFX90A:TG_SPLIT: 0
	.section	.text._Z19_skinny_gemm_kernelILi3ELi1ELi2ELi32ELi4EEvPKhS1_P6__halfPKfiiiiiiii,"axG",@progbits,_Z19_skinny_gemm_kernelILi3ELi1ELi2ELi32ELi4EEvPKhS1_P6__halfPKfiiiiiiii,comdat
	.protected	_Z19_skinny_gemm_kernelILi3ELi1ELi2ELi32ELi4EEvPKhS1_P6__halfPKfiiiiiiii ; -- Begin function _Z19_skinny_gemm_kernelILi3ELi1ELi2ELi32ELi4EEvPKhS1_P6__halfPKfiiiiiiii
	.globl	_Z19_skinny_gemm_kernelILi3ELi1ELi2ELi32ELi4EEvPKhS1_P6__halfPKfiiiiiiii
	.p2align	8
	.type	_Z19_skinny_gemm_kernelILi3ELi1ELi2ELi32ELi4EEvPKhS1_P6__halfPKfiiiiiiii,@function
_Z19_skinny_gemm_kernelILi3ELi1ELi2ELi32ELi4EEvPKhS1_P6__halfPKfiiiiiiii: ; @_Z19_skinny_gemm_kernelILi3ELi1ELi2ELi32ELi4EEvPKhS1_P6__halfPKfiiiiiiii
; %bb.0:
	v_cmp_gt_u32_e32 vcc, 8, v0
	s_and_saveexec_b64 s[4:5], vcc
; %bb.1:
	v_lshlrev_b32_e32 v1, 2, v0
	v_mov_b32_e32 v2, 0
	ds_write_b32 v1, v2 offset:16384
; %bb.2:
	s_or_b64 exec, exec, s[4:5]
	s_load_dwordx8 s[36:43], s[0:1], 0x20
	s_waitcnt lgkmcnt(0)
	s_barrier
	s_add_i32 s3, s36, 0x5f
	s_add_i32 s4, s37, 31
	s_mul_hi_i32 s3, s3, 0x2aaaaaab
	s_lshr_b32 s5, s3, 31
	s_ashr_i32 s33, s3, 4
	s_ashr_i32 s3, s4, 31
	s_lshr_b32 s3, s3, 27
	s_add_i32 s4, s4, s3
	s_add_i32 s33, s33, s5
	s_ashr_i32 s62, s4, 5
	s_mul_i32 s3, s62, s33
	s_mul_i32 s3, s3, s40
	s_add_i32 s4, s3, 0x12f
	s_mul_hi_i32 s4, s4, 0x6bca1af3
	s_lshr_b32 s5, s4, 31
	s_ashr_i32 s4, s4, 7
	s_add_i32 s4, s4, s5
	s_add_i32 s5, s2, 1
	s_mul_i32 s5, s4, s5
	v_cvt_f64_i32_e32 v[2:3], s3
	v_cvt_f64_u32_e32 v[4:5], s5
	v_min_f64 v[2:3], v[2:3], v[4:5]
	v_cvt_i32_f64_e32 v46, v[2:3]
	s_mul_i32 s63, s4, s2
	v_cmp_ge_i32_e32 vcc, s63, v46
	s_cbranch_vccnz .LBB242_48
; %bb.3:
	v_lshrrev_b32_e32 v1, 6, v0
	s_add_i32 s4, s42, s41
	s_load_dwordx8 s[44:51], s[0:1], 0x0
	v_cmp_le_i32_e64 s[0:1], s4, v1
	v_mov_b32_e32 v2, s41
	v_cmp_le_i32_e64 s[2:3], s41, v1
	v_mov_b32_e32 v3, s42
	v_cndmask_b32_e64 v3, 0, v3, s[0:1]
	v_cndmask_b32_e64 v2, 0, v2, s[2:3]
	s_abs_i32 s5, s40
	v_add_u32_e32 v2, v2, v3
	v_cvt_f32_u32_e32 v3, s5
	v_sub_u32_e32 v40, v1, v2
	s_ashr_i32 s6, s38, 31
	s_lshr_b32 s6, s6, 26
	v_rcp_iflag_f32_e32 v2, v3
	s_sub_i32 s9, 0, s5
	s_add_i32 s6, s38, s6
	s_ashr_i32 s6, s6, 6
	v_mul_f32_e32 v2, 0x4f7ffffe, v2
	v_cvt_u32_f32_e32 v2, v2
	s_abs_i32 s8, s6
	s_xor_b32 s7, s6, s40
	s_ashr_i32 s7, s7, 31
	v_readfirstlane_b32 s10, v2
	s_mul_i32 s9, s9, s10
	s_mul_hi_u32 s9, s10, s9
	s_add_i32 s10, s10, s9
	s_mul_hi_u32 s9, s8, s10
	s_mul_i32 s10, s9, s5
	s_sub_i32 s8, s8, s10
	s_add_i32 s10, s9, 1
	s_sub_i32 s11, s8, s5
	s_cmp_ge_u32 s8, s5
	s_cselect_b32 s9, s10, s9
	s_cselect_b32 s8, s11, s8
	s_add_i32 s10, s9, 1
	s_cmp_ge_u32 s8, s5
	s_cselect_b32 s5, s10, s9
	s_xor_b32 s5, s5, s7
	s_sub_i32 s64, s5, s7
	s_add_i32 s40, s40, -1
	s_mul_i32 s5, s64, s40
	s_add_i32 s4, s4, s43
	v_and_b32_e32 v48, 31, v0
	v_lshrrev_b32_e32 v2, 3, v0
	s_sub_i32 s65, s6, s5
	v_cmp_gt_i32_e64 s[4:5], s4, v1
	v_lshlrev_b32_e32 v1, 2, v48
	v_and_b32_e32 v3, 4, v2
	v_and_b32_e32 v5, 1, v0
	v_lshlrev_b32_e32 v2, 6, v3
	v_or_b32_e32 v4, 0x3000, v1
	v_or_b32_e32 v3, v3, v5
	;; [unrolled: 1-line block ×4, first 2 shown]
	v_lshlrev_b32_e32 v2, 1, v5
	v_or_b32_e32 v5, 2, v3
	v_sub_u32_e32 v60, 32, v5
	v_or_b32_e32 v5, 8, v3
	v_sub_u32_e32 v61, 32, v5
	;; [unrolled: 2-line block ×5, first 2 shown]
	v_mul_lo_u32 v18, s37, v3
	v_sub_u32_e32 v64, 32, v5
	v_or_b32_e32 v5, 24, v3
	v_or_b32_e32 v3, 26, v3
	v_sub_u32_e32 v66, 32, v3
	v_lshrrev_b32_e32 v3, 1, v0
	s_abs_i32 s66, s33
	v_and_b32_e32 v34, 16, v3
	v_cvt_f32_u32_e32 v3, s66
	v_sub_u32_e32 v2, v0, v2
	v_add_u32_e32 v2, 1, v2
	v_and_b32_e32 v6, 63, v2
	v_bitop3_b32 v51, v0, 1, v0 bitop3:0xc
	v_bitop3_b32 v52, v0, 3, 1 bitop3:0x6c
	v_bitop3_b32 v53, v0, 5, 1 bitop3:0x6c
	v_bitop3_b32 v54, v0, 7, 1 bitop3:0x6c
	v_bitop3_b32 v55, v0, 9, 1 bitop3:0x6c
	v_bitop3_b32 v56, v0, 11, 1 bitop3:0x6c
	v_bitop3_b32 v57, v0, 13, 1 bitop3:0x6c
	v_bitop3_b32 v58, v0, 15, 1 bitop3:0x6c
	v_and_b32_e32 v2, 30, v0
	v_lshlrev_b32_e32 v0, 4, v0
	v_and_b32_e32 v0, 0x200, v0
	v_rcp_iflag_f32_e32 v3, v3
	s_abs_i32 s67, s62
	v_or_b32_e32 v69, v1, v0
	v_cvt_f32_u32_e32 v1, s67
	s_lshl_b32 s6, s37, 1
	v_add_u32_e32 v20, s6, v18
	s_mul_i32 s7, s37, 6
	v_or_b32_e32 v67, v4, v0
	v_mul_f32_e32 v0, 0x4f7ffffe, v3
	v_add_u32_e32 v22, s7, v20
	v_cvt_u32_f32_e32 v0, v0
	v_rcp_iflag_f32_e32 v1, v1
	v_add_u32_e32 v24, s6, v22
	v_add_u32_e32 v26, s7, v24
	;; [unrolled: 1-line block ×4, first 2 shown]
	v_readfirstlane_b32 s7, v0
	v_mul_f32_e32 v0, 0x4f7ffffe, v1
	v_cvt_u32_f32_e32 v0, v0
	v_add_u32_e32 v32, s6, v30
	s_sub_i32 s6, 0, s66
	s_mul_i32 s6, s6, s7
	s_mul_hi_u32 s6, s7, s6
	s_add_i32 s69, s7, s6
	s_sub_i32 s6, 0, s67
	v_readfirstlane_b32 s7, v0
	v_mbcnt_lo_u32_b32 v0, -1, 0
	s_mul_i32 s6, s6, s7
	v_mbcnt_hi_u32_b32 v0, -1, v0
	v_mov_b32_e32 v17, 0
	v_mul_lo_u32 v36, s39, v48
	s_mul_hi_u32 s6, s7, s6
	v_and_or_b32 v0, v0, 64, v6
	v_cndmask_b32_e64 v47, 0, 1, s[0:1]
	v_ashrrev_i32_e32 v19, 31, v18
	v_ashrrev_i32_e32 v21, 31, v20
	;; [unrolled: 1-line block ×6, first 2 shown]
	v_sub_u32_e32 v65, 32, v5
	v_ashrrev_i32_e32 v31, 31, v30
	v_ashrrev_i32_e32 v33, 31, v32
	;; [unrolled: 1-line block ×3, first 2 shown]
	v_mov_b32_e32 v35, v17
	v_mul_lo_u32 v68, s38, v48
	s_ashr_i32 s68, s33, 31
	s_ashr_i32 s70, s62, 31
	s_add_i32 s71, s7, s6
	s_movk_i32 s72, 0x60
	v_lshlrev_b32_e32 v16, 1, v2
	s_mov_b32 s73, 0x55555556
	v_lshlrev_b32_e32 v70, 2, v0
	v_mov_b32_e32 v71, v40
	s_branch .LBB242_7
.LBB242_4:                              ;   in Loop: Header=BB242_7 Depth=1
	s_or_b64 exec, exec, s[10:11]
.LBB242_5:                              ;   in Loop: Header=BB242_7 Depth=1
	s_or_b64 exec, exec, s[8:9]
	v_subrev_u32_e32 v71, s77, v71
.LBB242_6:                              ;   in Loop: Header=BB242_7 Depth=1
	s_or_b64 exec, exec, s[6:7]
	s_add_i32 s63, s63, 1
	v_cmp_ge_i32_e32 vcc, s63, v46
	s_cbranch_vccnz .LBB242_48
.LBB242_7:                              ; =>This Loop Header: Depth=1
                                        ;     Child Loop BB242_13 Depth 2
                                        ;       Child Loop BB242_15 Depth 3
                                        ;       Child Loop BB242_18 Depth 3
                                        ;     Child Loop BB242_35 Depth 2
                                        ;       Child Loop BB242_37 Depth 3
                                        ;     Child Loop BB242_45 Depth 2
                                        ;       Child Loop BB242_47 Depth 3
	s_abs_i32 s7, s63
	s_mul_hi_u32 s8, s7, s69
	s_mul_i32 s9, s8, s66
	s_ashr_i32 s6, s63, 31
	s_sub_i32 s7, s7, s9
	s_xor_b32 s6, s6, s68
	s_add_i32 s9, s8, 1
	s_sub_i32 s10, s7, s66
	s_cmp_ge_u32 s7, s66
	s_cselect_b32 s8, s9, s8
	s_cselect_b32 s7, s10, s7
	s_add_i32 s9, s8, 1
	s_cmp_ge_u32 s7, s66
	s_cselect_b32 s7, s9, s8
	s_xor_b32 s7, s7, s6
	s_sub_i32 s6, s7, s6
	s_abs_i32 s8, s6
	s_mul_hi_u32 s9, s8, s71
	s_mul_i32 s7, s6, s33
	s_mul_i32 s10, s9, s67
	s_sub_i32 s74, s63, s7
	s_ashr_i32 s7, s6, 31
	s_sub_i32 s8, s8, s10
	s_xor_b32 s7, s7, s70
	s_add_i32 s10, s9, 1
	s_sub_i32 s11, s8, s67
	s_cmp_ge_u32 s8, s67
	s_cselect_b32 s9, s10, s9
	s_cselect_b32 s8, s11, s8
	s_add_i32 s10, s9, 1
	s_cmp_ge_u32 s8, s67
	s_cselect_b32 s8, s10, s9
	s_xor_b32 s8, s8, s7
	s_sub_i32 s7, s8, s7
	s_mul_i32 s8, s7, s64
	s_lshl_b32 s75, s8, 6
	s_mulk_i32 s74, 0x60
	s_cmp_eq_u32 s7, s40
	s_cselect_b32 s77, s65, s64
	s_sub_i32 s76, s74, s36
	s_addk_i32 s76, 0x60
	s_and_saveexec_b64 s[8:9], s[2:3]
	s_xor_b64 s[52:53], exec, s[8:9]
	s_cbranch_execz .LBB242_41
; %bb.8:                                ;   in Loop: Header=BB242_7 Depth=1
	s_mul_i32 s7, s7, s62
	s_sub_i32 s6, s6, s7
	s_lshl_b32 s6, s6, 5
	s_sub_i32 s14, s6, s37
	s_add_i32 s14, s14, 32
	s_max_i32 s7, s14, 0
	s_sub_i32 s54, s6, s7
	s_and_saveexec_b64 s[6:7], s[0:1]
	s_xor_b64 s[56:57], exec, s[6:7]
	s_cbranch_execz .LBB242_31
; %bb.9:                                ;   in Loop: Header=BB242_7 Depth=1
	s_and_saveexec_b64 s[58:59], s[4:5]
	s_cbranch_execz .LBB242_30
; %bb.10:                               ;   in Loop: Header=BB242_7 Depth=1
	s_waitcnt lgkmcnt(0)
	global_load_dword v72, v17, s[50:51]
	v_mov_b32_e32 v15, 0
	v_cmp_gt_i32_e32 vcc, s77, v71
	v_mov_b32_e32 v14, v15
	v_mov_b32_e32 v13, v15
	;; [unrolled: 1-line block ×15, first 2 shown]
	s_and_saveexec_b64 s[6:7], vcc
	s_cbranch_execz .LBB242_20
; %bb.11:                               ;   in Loop: Header=BB242_7 Depth=1
	v_mov_b32_e32 v0, 0
	s_mov_b64 s[8:9], 0
	v_mov_b32_e32 v1, v0
	v_mov_b32_e32 v2, v0
	;; [unrolled: 1-line block ×15, first 2 shown]
	s_branch .LBB242_13
.LBB242_12:                             ;   in Loop: Header=BB242_13 Depth=2
	s_or_b64 exec, exec, s[10:11]
	v_add_u32_e32 v78, v50, v76
	ds_read2_b32 v[76:77], v78 offset1:32
	v_add_u32_e32 v71, s43, v71
	s_waitcnt lgkmcnt(0)
	v_mfma_f32_32x32x16_fp8_fp8 v[0:15], v[44:45], v[76:77], v[0:15]
	ds_read2_b32 v[44:45], v78 offset0:128 offset1:160
	s_waitcnt lgkmcnt(0)
	v_mfma_f32_32x32x16_fp8_fp8 v[0:15], v[42:43], v[44:45], v[0:15]
	v_add_u32_e32 v44, 0x400, v78
	ds_read2_b32 v[42:43], v44 offset1:32
	ds_read2_b32 v[44:45], v44 offset0:128 offset1:160
	ds_write_b32 v74, v75 offset:16388
	s_waitcnt lgkmcnt(2)
	v_mfma_f32_32x32x16_fp8_fp8 v[0:15], v[40:41], v[42:43], v[0:15]
	v_add_u32_e32 v40, s43, v73
	v_add_u32_e32 v41, 2, v47
	v_cmp_lt_i32_e32 vcc, 1, v40
	s_nop 1
	v_cndmask_b32_e32 v47, v47, v41, vcc
	v_cmp_le_i32_e32 vcc, s77, v71
	s_waitcnt lgkmcnt(1)
	v_mfma_f32_32x32x16_fp8_fp8 v[0:15], v[38:39], v[44:45], v[0:15]
	s_or_b64 s[8:9], vcc, s[8:9]
	s_andn2_b64 exec, exec, s[8:9]
	s_cbranch_execz .LBB242_19
.LBB242_13:                             ;   Parent Loop BB242_7 Depth=1
                                        ; =>  This Loop Header: Depth=2
                                        ;       Child Loop BB242_15 Depth 3
                                        ;       Child Loop BB242_18 Depth 3
	v_cmp_gt_i32_e32 vcc, 2, v40
	s_nop 1
	v_cndmask_b32_e64 v38, -2, 0, vcc
	v_add_u32_e32 v73, v38, v40
	v_lshlrev_b32_e32 v74, 3, v73
	ds_read_b32 v38, v74 offset:16384
	s_waitcnt lgkmcnt(0)
	v_cmp_ne_u32_e32 vcc, v38, v47
	s_and_saveexec_b64 s[10:11], vcc
	s_cbranch_execz .LBB242_16
; %bb.14:                               ;   in Loop: Header=BB242_13 Depth=2
	s_mov_b64 s[12:13], 0
.LBB242_15:                             ;   Parent Loop BB242_7 Depth=1
                                        ;     Parent Loop BB242_13 Depth=2
                                        ; =>    This Inner Loop Header: Depth=3
	;;#ASMSTART
	s_sleep 0
	;;#ASMEND
	ds_read_b32 v38, v74 offset:16384
	s_waitcnt lgkmcnt(0)
	v_cmp_eq_u32_e32 vcc, v38, v47
	s_or_b64 s[12:13], vcc, s[12:13]
	s_andn2_b64 exec, exec, s[12:13]
	s_cbranch_execnz .LBB242_15
.LBB242_16:                             ;   in Loop: Header=BB242_13 Depth=2
	s_or_b64 exec, exec, s[10:11]
	v_lshlrev_b32_e32 v76, 11, v73
	v_or_b32_e32 v38, v49, v76
	ds_read2_b32 v[44:45], v38 offset1:32
	ds_read2_b32 v[42:43], v38 offset0:128 offset1:160
	v_add_u32_e32 v38, 0x400, v38
	ds_read2_b32 v[40:41], v38 offset1:32
	ds_read_b32 v77, v74 offset:16388
	ds_read2_b32 v[38:39], v38 offset0:128 offset1:160
	v_add_u32_e32 v75, 1, v47
	ds_write_b32 v74, v75 offset:16384
	s_waitcnt lgkmcnt(2)
	v_cmp_ne_u32_e32 vcc, v77, v47
	s_and_saveexec_b64 s[10:11], vcc
	s_cbranch_execz .LBB242_12
; %bb.17:                               ;   in Loop: Header=BB242_13 Depth=2
	s_mov_b64 s[12:13], 0
.LBB242_18:                             ;   Parent Loop BB242_7 Depth=1
                                        ;     Parent Loop BB242_13 Depth=2
                                        ; =>    This Inner Loop Header: Depth=3
	;;#ASMSTART
	s_sleep 0
	;;#ASMEND
	ds_read_b32 v77, v74 offset:16388
	s_waitcnt lgkmcnt(0)
	v_cmp_eq_u32_e32 vcc, v77, v47
	s_or_b64 s[12:13], vcc, s[12:13]
	s_andn2_b64 exec, exec, s[12:13]
	s_cbranch_execnz .LBB242_18
	s_branch .LBB242_12
.LBB242_19:                             ;   in Loop: Header=BB242_7 Depth=1
	s_or_b64 exec, exec, s[8:9]
.LBB242_20:                             ;   in Loop: Header=BB242_7 Depth=1
	s_or_b64 exec, exec, s[6:7]
	v_cmp_le_i32_e32 vcc, s14, v48
	v_cmp_eq_u32_e64 s[6:7], 3, v51
	v_cmp_eq_u32_e64 s[8:9], 4, v51
	s_waitcnt vmcnt(0)
	v_cndmask_b32_e32 v38, 0, v72, vcc
	s_nop 1
	v_pk_mul_f32 v[0:1], v[38:39], v[0:1] op_sel_hi:[0,1]
	v_cmp_eq_u32_e32 vcc, 1, v51
	v_pk_mul_f32 v[14:15], v[38:39], v[14:15] op_sel_hi:[0,1]
	v_pk_mul_f32 v[12:13], v[38:39], v[12:13] op_sel_hi:[0,1]
	;; [unrolled: 1-line block ×7, first 2 shown]
	v_cndmask_b32_e32 v38, v0, v1, vcc
	v_cmp_eq_u32_e32 vcc, 2, v51
	v_cmp_eq_u32_e64 s[10:11], 5, v51
	v_cmp_eq_u32_e64 s[12:13], 6, v51
	v_cndmask_b32_e32 v38, v38, v2, vcc
	v_cndmask_b32_e64 v38, v38, v3, s[6:7]
	v_cndmask_b32_e64 v38, v38, v4, s[8:9]
	;; [unrolled: 1-line block ×4, first 2 shown]
	v_cmp_eq_u32_e64 s[14:15], 7, v51
	v_cmp_eq_u32_e64 s[16:17], 8, v51
	v_cmp_eq_u32_e64 s[18:19], 9, v51
	v_cndmask_b32_e64 v38, v38, v7, s[14:15]
	v_cndmask_b32_e64 v38, v38, v8, s[16:17]
	v_cndmask_b32_e64 v38, v38, v9, s[18:19]
	v_cmp_eq_u32_e64 s[20:21], 10, v51
	v_cmp_eq_u32_e64 s[22:23], 11, v51
	v_cmp_eq_u32_e64 s[24:25], 12, v51
	v_cndmask_b32_e64 v38, v38, v10, s[20:21]
	v_cndmask_b32_e64 v38, v38, v11, s[22:23]
	v_cndmask_b32_e64 v38, v38, v12, s[24:25]
	;; [unrolled: 6-line block ×3, first 2 shown]
	ds_bpermute_b32 v38, v70, v38
	v_cmp_eq_u32_e64 s[34:35], 15, v52
	s_waitcnt lgkmcnt(0)
	v_cndmask_b32_e32 v2, v2, v38, vcc
	v_cmp_ne_u32_e32 vcc, 0, v51
	v_cndmask_b32_e64 v15, v15, v38, s[30:31]
	v_cndmask_b32_e64 v14, v14, v38, s[28:29]
	v_cndmask_b32_e32 v1, v1, v38, vcc
	v_cmp_eq_u32_e32 vcc, 0, v51
	v_cndmask_b32_e64 v13, v13, v38, s[26:27]
	v_cndmask_b32_e64 v12, v12, v38, s[24:25]
	v_cndmask_b32_e32 v0, v0, v38, vcc
	v_cmp_eq_u32_e32 vcc, 1, v52
	v_cndmask_b32_e64 v11, v11, v38, s[22:23]
	v_cndmask_b32_e64 v10, v10, v38, s[20:21]
	;; [unrolled: 1-line block ×9, first 2 shown]
	v_cndmask_b32_e32 v38, v0, v1, vcc
	v_cmp_eq_u32_e64 s[6:7], 2, v52
	v_cmp_eq_u32_e64 s[8:9], 3, v52
	v_cmp_eq_u32_e64 s[10:11], 4, v52
	v_cndmask_b32_e64 v38, v38, v2, s[6:7]
	v_cndmask_b32_e64 v38, v38, v3, s[8:9]
	v_cndmask_b32_e64 v38, v38, v4, s[10:11]
	v_cmp_eq_u32_e64 s[12:13], 5, v52
	v_cmp_eq_u32_e64 s[14:15], 6, v52
	v_cmp_eq_u32_e64 s[16:17], 7, v52
	v_cndmask_b32_e64 v38, v38, v5, s[12:13]
	v_cndmask_b32_e64 v38, v38, v6, s[14:15]
	v_cndmask_b32_e64 v38, v38, v7, s[16:17]
	;; [unrolled: 6-line block ×4, first 2 shown]
	v_cmp_eq_u32_e64 s[30:31], 14, v52
	s_nop 1
	v_cndmask_b32_e64 v38, v38, v14, s[30:31]
	v_cndmask_b32_e64 v38, v38, v15, s[34:35]
	ds_bpermute_b32 v38, v70, v38
	s_waitcnt lgkmcnt(0)
	v_cndmask_b32_e32 v1, v1, v38, vcc
	v_cmp_eq_u32_e32 vcc, 0, v52
	v_cndmask_b32_e64 v15, v15, v38, s[34:35]
	v_cndmask_b32_e64 v14, v14, v38, s[30:31]
	v_cndmask_b32_e32 v0, v0, v38, vcc
	v_cmp_eq_u32_e32 vcc, 1, v53
	v_cndmask_b32_e64 v13, v13, v38, s[28:29]
	v_cndmask_b32_e64 v12, v12, v38, s[26:27]
	v_cndmask_b32_e64 v11, v11, v38, s[24:25]
	v_cndmask_b32_e64 v10, v10, v38, s[22:23]
	v_cndmask_b32_e64 v9, v9, v38, s[20:21]
	v_cndmask_b32_e64 v8, v8, v38, s[18:19]
	v_cndmask_b32_e64 v7, v7, v38, s[16:17]
	v_cndmask_b32_e64 v6, v6, v38, s[14:15]
	v_cndmask_b32_e64 v5, v5, v38, s[12:13]
	v_cndmask_b32_e64 v4, v4, v38, s[10:11]
	v_cndmask_b32_e64 v3, v3, v38, s[8:9]
	v_cndmask_b32_e64 v2, v2, v38, s[6:7]
	v_cndmask_b32_e32 v38, v0, v1, vcc
	v_cmp_eq_u32_e64 s[6:7], 2, v53
	v_cmp_eq_u32_e64 s[8:9], 3, v53
	v_cmp_eq_u32_e64 s[10:11], 4, v53
	v_cndmask_b32_e64 v38, v38, v2, s[6:7]
	v_cndmask_b32_e64 v38, v38, v3, s[8:9]
	v_cndmask_b32_e64 v38, v38, v4, s[10:11]
	v_cmp_eq_u32_e64 s[12:13], 5, v53
	v_cmp_eq_u32_e64 s[14:15], 6, v53
	v_cmp_eq_u32_e64 s[16:17], 7, v53
	v_cndmask_b32_e64 v38, v38, v5, s[12:13]
	v_cndmask_b32_e64 v38, v38, v6, s[14:15]
	v_cndmask_b32_e64 v38, v38, v7, s[16:17]
	v_cmp_eq_u32_e64 s[18:19], 8, v53
	v_cmp_eq_u32_e64 s[20:21], 9, v53
	v_cmp_eq_u32_e64 s[22:23], 10, v53
	v_cndmask_b32_e64 v38, v38, v8, s[18:19]
	v_cndmask_b32_e64 v38, v38, v9, s[20:21]
	v_cndmask_b32_e64 v38, v38, v10, s[22:23]
	v_cmp_eq_u32_e64 s[24:25], 11, v53
	v_cmp_eq_u32_e64 s[26:27], 12, v53
	v_cmp_eq_u32_e64 s[28:29], 13, v53
	v_cndmask_b32_e64 v38, v38, v11, s[24:25]
	v_cndmask_b32_e64 v38, v38, v12, s[26:27]
	v_cndmask_b32_e64 v38, v38, v13, s[28:29]
	v_cmp_eq_u32_e64 s[30:31], 14, v53
	v_cmp_eq_u32_e64 s[34:35], 15, v53
	s_nop 0
	v_cndmask_b32_e64 v38, v38, v14, s[30:31]
	v_cndmask_b32_e64 v38, v38, v15, s[34:35]
	ds_bpermute_b32 v38, v70, v38
	s_waitcnt lgkmcnt(0)
	v_cndmask_b32_e32 v1, v1, v38, vcc
	v_cmp_eq_u32_e32 vcc, 0, v53
	v_cndmask_b32_e64 v15, v15, v38, s[34:35]
	v_cndmask_b32_e64 v14, v14, v38, s[30:31]
	v_cndmask_b32_e32 v0, v0, v38, vcc
	v_cmp_eq_u32_e32 vcc, 1, v54
	v_cndmask_b32_e64 v13, v13, v38, s[28:29]
	v_cndmask_b32_e64 v12, v12, v38, s[26:27]
	v_cndmask_b32_e64 v11, v11, v38, s[24:25]
	v_cndmask_b32_e64 v10, v10, v38, s[22:23]
	v_cndmask_b32_e64 v9, v9, v38, s[20:21]
	v_cndmask_b32_e64 v8, v8, v38, s[18:19]
	v_cndmask_b32_e64 v7, v7, v38, s[16:17]
	v_cndmask_b32_e64 v6, v6, v38, s[14:15]
	v_cndmask_b32_e64 v5, v5, v38, s[12:13]
	v_cndmask_b32_e64 v4, v4, v38, s[10:11]
	v_cndmask_b32_e64 v3, v3, v38, s[8:9]
	v_cndmask_b32_e64 v2, v2, v38, s[6:7]
	v_cndmask_b32_e32 v38, v0, v1, vcc
	v_cmp_eq_u32_e64 s[6:7], 2, v54
	v_cmp_eq_u32_e64 s[8:9], 3, v54
	v_cmp_eq_u32_e64 s[10:11], 4, v54
	v_cndmask_b32_e64 v38, v38, v2, s[6:7]
	v_cndmask_b32_e64 v38, v38, v3, s[8:9]
	v_cndmask_b32_e64 v38, v38, v4, s[10:11]
	v_cmp_eq_u32_e64 s[12:13], 5, v54
	v_cmp_eq_u32_e64 s[14:15], 6, v54
	v_cmp_eq_u32_e64 s[16:17], 7, v54
	v_cndmask_b32_e64 v38, v38, v5, s[12:13]
	v_cndmask_b32_e64 v38, v38, v6, s[14:15]
	v_cndmask_b32_e64 v38, v38, v7, s[16:17]
	v_cmp_eq_u32_e64 s[18:19], 8, v54
	v_cmp_eq_u32_e64 s[20:21], 9, v54
	v_cmp_eq_u32_e64 s[22:23], 10, v54
	v_cndmask_b32_e64 v38, v38, v8, s[18:19]
	v_cndmask_b32_e64 v38, v38, v9, s[20:21]
	v_cndmask_b32_e64 v38, v38, v10, s[22:23]
	v_cmp_eq_u32_e64 s[24:25], 11, v54
	v_cmp_eq_u32_e64 s[26:27], 12, v54
	v_cmp_eq_u32_e64 s[28:29], 13, v54
	v_cndmask_b32_e64 v38, v38, v11, s[24:25]
	v_cndmask_b32_e64 v38, v38, v12, s[26:27]
	v_cndmask_b32_e64 v38, v38, v13, s[28:29]
	v_cmp_eq_u32_e64 s[30:31], 14, v54
	;; [unrolled: 50-line block ×4, first 2 shown]
	v_cmp_eq_u32_e64 s[34:35], 15, v56
	s_nop 0
	v_cndmask_b32_e64 v38, v38, v14, s[30:31]
	v_cndmask_b32_e64 v38, v38, v15, s[34:35]
	ds_bpermute_b32 v38, v70, v38
	s_waitcnt lgkmcnt(0)
	v_cndmask_b32_e32 v1, v1, v38, vcc
	v_cmp_eq_u32_e32 vcc, 0, v56
	v_cndmask_b32_e64 v15, v15, v38, s[34:35]
	v_cndmask_b32_e64 v14, v14, v38, s[30:31]
	;; [unrolled: 1-line block ×14, first 2 shown]
	v_cndmask_b32_e32 v38, v0, v38, vcc
	v_cmp_eq_u32_e32 vcc, 1, v57
	v_cmp_eq_u32_e64 s[6:7], 2, v57
	v_cmp_eq_u32_e64 s[8:9], 3, v57
	v_cndmask_b32_e32 v0, v38, v1, vcc
	v_cndmask_b32_e64 v0, v0, v73, s[6:7]
	v_cndmask_b32_e64 v0, v0, v72, s[8:9]
	v_cmp_eq_u32_e64 s[10:11], 4, v57
	v_cmp_eq_u32_e64 s[12:13], 5, v57
	v_cmp_eq_u32_e64 s[14:15], 6, v57
	v_cndmask_b32_e64 v0, v0, v45, s[10:11]
	v_cndmask_b32_e64 v0, v0, v44, s[12:13]
	v_cndmask_b32_e64 v0, v0, v43, s[14:15]
	v_cmp_eq_u32_e64 s[16:17], 7, v57
	v_cmp_eq_u32_e64 s[18:19], 8, v57
	v_cmp_eq_u32_e64 s[20:21], 9, v57
	v_cndmask_b32_e64 v0, v0, v42, s[16:17]
	;; [unrolled: 6-line block ×4, first 2 shown]
	v_cndmask_b32_e64 v0, v0, v14, s[30:31]
	v_cndmask_b32_e64 v0, v0, v15, s[34:35]
	ds_bpermute_b32 v74, v70, v0
	s_waitcnt lgkmcnt(0)
	v_cndmask_b32_e32 v0, v1, v74, vcc
	v_cmp_eq_u32_e32 vcc, 0, v57
	v_cndmask_b32_e64 v4, v15, v74, s[34:35]
	v_cndmask_b32_e64 v15, v73, v74, s[6:7]
	v_cndmask_b32_e32 v1, v38, v74, vcc
	v_cmp_eq_u32_e32 vcc, 1, v58
	v_cndmask_b32_e64 v5, v14, v74, s[30:31]
	v_cndmask_b32_e64 v14, v72, v74, s[8:9]
	;; [unrolled: 4-line block ×7, first 2 shown]
	v_cndmask_b32_e32 v38, v38, v13, vcc
	v_cmp_eq_u32_e32 vcc, 7, v58
	s_nop 1
	v_cndmask_b32_e32 v38, v38, v12, vcc
	v_cmp_eq_u32_e32 vcc, 8, v58
	s_nop 1
	;; [unrolled: 3-line block ×9, first 2 shown]
	v_cndmask_b32_e32 v38, v38, v4, vcc
	ds_bpermute_b32 v38, v70, v38
	v_cmp_lt_i32_e32 vcc, s76, v59
	s_and_saveexec_b64 s[60:61], vcc
	s_cbranch_execz .LBB242_29
; %bb.21:                               ;   in Loop: Header=BB242_7 Depth=1
	s_mul_i32 s6, s74, s37
	s_ashr_i32 s7, s6, 31
	s_lshl_b64 s[6:7], s[6:7], 1
	v_cmp_eq_u32_e64 s[30:31], 1, v58
	s_add_u32 s8, s48, s6
	s_addc_u32 s9, s49, s7
	s_waitcnt lgkmcnt(0)
	v_cndmask_b32_e64 v0, v0, v38, s[30:31]
	v_cmp_eq_u32_e64 s[30:31], 0, v58
	s_ashr_i32 s55, s54, 31
	s_lshl_b64 s[6:7], s[54:55], 1
	v_cndmask_b32_e64 v1, v1, v38, s[30:31]
	v_cvt_f16_f32_e32 v39, v1
	v_cvt_f16_f32_sdwa v41, v0 dst_sel:WORD_1 dst_unused:UNUSED_PAD src0_sel:DWORD
	s_add_u32 s34, s8, s6
	s_addc_u32 s35, s9, s7
	v_cmp_eq_u32_e64 s[8:9], 15, v58
	v_cmp_eq_u32_e64 s[10:11], 14, v58
	;; [unrolled: 1-line block ×10, first 2 shown]
	v_cmp_eq_u32_e32 vcc, 5, v58
	v_cmp_eq_u32_e64 s[6:7], 4, v58
	v_cmp_eq_u32_e64 s[28:29], 3, v58
	;; [unrolled: 1-line block ×3, first 2 shown]
	v_lshl_add_u64 v[0:1], s[34:35], 0, v[16:17]
	v_cmp_lt_i32_e64 s[34:35], s76, v60
	v_lshl_add_u64 v[42:43], v[18:19], 1, v[0:1]
	v_or_b32_e32 v39, v41, v39
	;;#ASMSTART
	global_atomic_pk_add_f16 v[42:43], v39, off
	
	;;#ASMEND
	s_and_b64 exec, exec, s[34:35]
	s_cbranch_execz .LBB242_29
; %bb.22:                               ;   in Loop: Header=BB242_7 Depth=1
	v_cndmask_b32_e64 v14, v14, v38, s[28:29]
	v_cndmask_b32_e64 v15, v15, v38, s[30:31]
	v_cvt_f16_f32_e32 v39, v15
	v_cvt_f16_f32_sdwa v41, v14 dst_sel:WORD_1 dst_unused:UNUSED_PAD src0_sel:DWORD
	v_cndmask_b32_e64 v4, v4, v38, s[8:9]
	v_cndmask_b32_e64 v5, v5, v38, s[10:11]
	;; [unrolled: 1-line block ×10, first 2 shown]
	v_cndmask_b32_e32 v2, v2, v38, vcc
	v_cndmask_b32_e64 v3, v3, v38, s[6:7]
	v_cmp_lt_i32_e32 vcc, s76, v61
	v_lshl_add_u64 v[14:15], v[20:21], 1, v[0:1]
	v_or_b32_e32 v38, v41, v39
	;;#ASMSTART
	global_atomic_pk_add_f16 v[14:15], v38, off
	
	;;#ASMEND
	s_and_b64 exec, exec, vcc
	s_cbranch_execz .LBB242_29
; %bb.23:                               ;   in Loop: Header=BB242_7 Depth=1
	v_cvt_f16_f32_e32 v14, v3
	v_cvt_f16_f32_sdwa v15, v2 dst_sel:WORD_1 dst_unused:UNUSED_PAD src0_sel:DWORD
	v_cmp_lt_i32_e32 vcc, s76, v62
	v_lshl_add_u64 v[2:3], v[22:23], 1, v[0:1]
	v_or_b32_e32 v14, v15, v14
	;;#ASMSTART
	global_atomic_pk_add_f16 v[2:3], v14, off
	
	;;#ASMEND
	s_and_b64 exec, exec, vcc
	s_cbranch_execz .LBB242_29
; %bb.24:                               ;   in Loop: Header=BB242_7 Depth=1
	v_cvt_f16_f32_e32 v13, v13
	v_cvt_f16_f32_sdwa v12, v12 dst_sel:WORD_1 dst_unused:UNUSED_PAD src0_sel:DWORD
	;; [unrolled: 12-line block ×6, first 2 shown]
	v_lshl_add_u64 v[0:1], v[32:33], 1, v[0:1]
	v_or_b32_e32 v2, v3, v2
	;;#ASMSTART
	global_atomic_pk_add_f16 v[0:1], v2, off
	
	;;#ASMEND
.LBB242_29:                             ;   in Loop: Header=BB242_7 Depth=1
	s_or_b64 exec, exec, s[60:61]
	v_subrev_u32_e32 v71, s77, v71
.LBB242_30:                             ;   in Loop: Header=BB242_7 Depth=1
	s_or_b64 exec, exec, s[58:59]
.LBB242_31:                             ;   in Loop: Header=BB242_7 Depth=1
	s_andn2_saveexec_b64 s[6:7], s[56:57]
	s_cbranch_execz .LBB242_40
; %bb.32:                               ;   in Loop: Header=BB242_7 Depth=1
	v_cmp_gt_i32_e32 vcc, s77, v71
	s_and_saveexec_b64 s[8:9], vcc
	s_cbranch_execz .LBB242_39
; %bb.33:                               ;   in Loop: Header=BB242_7 Depth=1
	s_mul_i32 s10, s54, s39
	s_ashr_i32 s11, s10, 31
	s_waitcnt lgkmcnt(0)
	s_add_u32 s10, s46, s10
	s_addc_u32 s11, s47, s11
	s_ashr_i32 s12, s75, 31
	s_add_u32 s10, s10, s75
	s_addc_u32 s11, s11, s12
	v_lshl_add_u64 v[0:1], s[10:11], 0, v[36:37]
	v_lshl_add_u64 v[8:9], v[0:1], 0, v[34:35]
	s_mov_b64 s[10:11], 0
	s_branch .LBB242_35
.LBB242_34:                             ;   in Loop: Header=BB242_35 Depth=2
	s_or_b64 exec, exec, s[12:13]
	v_lshl_add_u32 v12, v10, 11, v67
	;;#ASMSTART
	s_waitcnt vmcnt(1)
	;;#ASMEND
	ds_write2_b32 v12, v4, v5 offset1:32
	ds_write2_b32 v12, v6, v7 offset0:64 offset1:96
	v_add_u32_e32 v4, 0x400, v12
	v_add_u32_e32 v71, s42, v71
	;;#ASMSTART
	s_waitcnt vmcnt(0)
	;;#ASMEND
	ds_write2_b32 v4, v0, v1 offset1:32
	ds_write2_b32 v4, v2, v3 offset0:64 offset1:96
	v_add_u32_e32 v0, 1, v47
	v_add_u32_e32 v40, s42, v10
	v_cmp_le_i32_e32 vcc, s77, v71
	ds_write_b32 v11, v0 offset:24
	v_add_u32_e32 v0, 2, v47
	s_or_b64 s[10:11], vcc, s[10:11]
	v_cmp_lt_i32_e32 vcc, 1, v40
	s_nop 1
	v_cndmask_b32_e32 v47, v47, v0, vcc
	s_andn2_b64 exec, exec, s[10:11]
	s_cbranch_execz .LBB242_38
.LBB242_35:                             ;   Parent Loop BB242_7 Depth=1
                                        ; =>  This Loop Header: Depth=2
                                        ;       Child Loop BB242_37 Depth 3
	v_cmp_gt_i32_e32 vcc, 2, v40
	s_nop 1
	v_cndmask_b32_e64 v0, -2, 0, vcc
	v_add_u32_e32 v10, v0, v40
	v_lshlrev_b32_e32 v0, 6, v71
	v_ashrrev_i32_e32 v1, 31, v0
	v_lshl_add_u64 v[0:1], v[8:9], 0, v[0:1]
	v_lshlrev_b32_e32 v11, 2, v10
	;;#ASMSTART
	global_load_dwordx4 v[4:7], v[0:1], off offset:0   sc0 sc1 nt  
	global_load_dwordx4 v[0:3], v[0:1], off offset:32  sc0 sc1 nt  
	
	;;#ASMEND
	ds_read_b32 v12, v11 offset:16408
	v_add_u32_e32 v11, 0x4000, v11
	s_waitcnt lgkmcnt(0)
	v_cmp_ne_u32_e32 vcc, v12, v47
	s_and_saveexec_b64 s[12:13], vcc
	s_cbranch_execz .LBB242_34
; %bb.36:                               ;   in Loop: Header=BB242_35 Depth=2
	s_mov_b64 s[14:15], 0
.LBB242_37:                             ;   Parent Loop BB242_7 Depth=1
                                        ;     Parent Loop BB242_35 Depth=2
                                        ; =>    This Inner Loop Header: Depth=3
	;;#ASMSTART
	s_sleep 0
	;;#ASMEND
	ds_read_b32 v12, v11 offset:24
	s_waitcnt lgkmcnt(0)
	v_cmp_eq_u32_e32 vcc, v12, v47
	s_or_b64 s[14:15], vcc, s[14:15]
	s_andn2_b64 exec, exec, s[14:15]
	s_cbranch_execnz .LBB242_37
	s_branch .LBB242_34
.LBB242_38:                             ;   in Loop: Header=BB242_7 Depth=1
	s_or_b64 exec, exec, s[10:11]
.LBB242_39:                             ;   in Loop: Header=BB242_7 Depth=1
	s_or_b64 exec, exec, s[8:9]
	v_subrev_u32_e32 v71, s77, v71
.LBB242_40:                             ;   in Loop: Header=BB242_7 Depth=1
	s_or_b64 exec, exec, s[6:7]
.LBB242_41:                             ;   in Loop: Header=BB242_7 Depth=1
	s_andn2_saveexec_b64 s[6:7], s[52:53]
	s_cbranch_execz .LBB242_6
; %bb.42:                               ;   in Loop: Header=BB242_7 Depth=1
	s_mul_i32 s77, s77, 3
	v_cmp_gt_i32_e32 vcc, s77, v71
	s_and_saveexec_b64 s[8:9], vcc
	s_cbranch_execz .LBB242_5
; %bb.43:                               ;   in Loop: Header=BB242_7 Depth=1
	s_mul_i32 s74, s74, s38
	s_max_i32 s12, s76, 0
	s_ashr_i32 s10, s74, 31
	s_waitcnt lgkmcnt(0)
	s_add_u32 s11, s44, s74
	v_add_u32_e32 v2, s12, v48
	s_addc_u32 s13, s45, s10
	s_ashr_i32 s14, s75, 31
	v_cmp_gt_u32_e32 vcc, s72, v2
	s_add_u32 s10, s11, s75
	s_addc_u32 s11, s13, s14
	v_cndmask_b32_e32 v0, 0, v68, vcc
	v_ashrrev_i32_e32 v1, 31, v0
	v_lshl_add_u64 v[0:1], s[10:11], 0, v[0:1]
	v_lshl_add_u64 v[8:9], v[0:1], 0, v[34:35]
	v_sub_u32_e32 v10, 0x5f, v2
	s_mov_b64 s[10:11], 0
	s_branch .LBB242_45
.LBB242_44:                             ;   in Loop: Header=BB242_45 Depth=2
	s_or_b64 exec, exec, s[12:13]
	v_lshl_or_b32 v13, v11, 11, v69
	;;#ASMSTART
	s_waitcnt vmcnt(1)
	;;#ASMEND
	ds_write2_b32 v13, v4, v5 offset1:32
	ds_write2_b32 v13, v6, v7 offset0:64 offset1:96
	v_add_u32_e32 v4, 0x400, v13
	v_add_u32_e32 v71, s41, v71
	;;#ASMSTART
	s_waitcnt vmcnt(0)
	;;#ASMEND
	ds_write2_b32 v4, v0, v1 offset1:32
	ds_write2_b32 v4, v2, v3 offset0:64 offset1:96
	v_add_u32_e32 v0, 1, v47
	v_add_u32_e32 v40, s41, v11
	v_cmp_le_i32_e32 vcc, s77, v71
	ds_write_b32 v12, v0
	v_add_u32_e32 v0, 2, v47
	s_or_b64 s[10:11], vcc, s[10:11]
	v_cmp_lt_i32_e32 vcc, 5, v40
	s_nop 1
	v_cndmask_b32_e32 v47, v47, v0, vcc
	s_andn2_b64 exec, exec, s[10:11]
	s_cbranch_execz .LBB242_4
.LBB242_45:                             ;   Parent Loop BB242_7 Depth=1
                                        ; =>  This Loop Header: Depth=2
                                        ;       Child Loop BB242_47 Depth 3
	v_cmp_gt_i32_e32 vcc, 6, v40
	s_nop 1
	v_cndmask_b32_e64 v0, -6, 0, vcc
	v_add_u32_e32 v11, v0, v40
	v_mul_hi_i32 v0, v71, s73
	v_lshrrev_b32_e32 v1, 31, v0
	v_add_u32_e32 v0, v0, v1
	v_lshl_add_u32 v1, v0, 1, v0
	v_sub_u32_e32 v1, v71, v1
	v_lshlrev_b32_e32 v1, 5, v1
	v_cmp_le_i32_e32 vcc, v1, v10
	v_lshlrev_b32_e32 v0, 6, v0
	v_lshlrev_b32_e32 v12, 2, v11
	v_cndmask_b32_e32 v2, 0, v1, vcc
	v_ashrrev_i32_e32 v1, 31, v0
	v_mul_lo_u32 v2, v2, s38
	v_lshl_add_u64 v[0:1], v[8:9], 0, v[0:1]
	v_ashrrev_i32_e32 v3, 31, v2
	v_lshl_add_u64 v[0:1], v[0:1], 0, v[2:3]
	;;#ASMSTART
	global_load_dwordx4 v[4:7], v[0:1], off offset:0   
	global_load_dwordx4 v[0:3], v[0:1], off offset:32  
	
	;;#ASMEND
	ds_read_b32 v13, v12 offset:16384
	v_add_u32_e32 v12, 0x4000, v12
	s_waitcnt lgkmcnt(0)
	v_cmp_ne_u32_e32 vcc, v13, v47
	s_and_saveexec_b64 s[12:13], vcc
	s_cbranch_execz .LBB242_44
; %bb.46:                               ;   in Loop: Header=BB242_45 Depth=2
	s_mov_b64 s[14:15], 0
.LBB242_47:                             ;   Parent Loop BB242_7 Depth=1
                                        ;     Parent Loop BB242_45 Depth=2
                                        ; =>    This Inner Loop Header: Depth=3
	;;#ASMSTART
	s_sleep 0
	;;#ASMEND
	ds_read_b32 v13, v12
	s_waitcnt lgkmcnt(0)
	v_cmp_eq_u32_e32 vcc, v13, v47
	s_or_b64 s[14:15], vcc, s[14:15]
	s_andn2_b64 exec, exec, s[14:15]
	s_cbranch_execnz .LBB242_47
	s_branch .LBB242_44
.LBB242_48:
	s_endpgm
	.section	.rodata,"a",@progbits
	.p2align	6, 0x0
	.amdhsa_kernel _Z19_skinny_gemm_kernelILi3ELi1ELi2ELi32ELi4EEvPKhS1_P6__halfPKfiiiiiiii
		.amdhsa_group_segment_fixed_size 16416
		.amdhsa_private_segment_fixed_size 0
		.amdhsa_kernarg_size 64
		.amdhsa_user_sgpr_count 2
		.amdhsa_user_sgpr_dispatch_ptr 0
		.amdhsa_user_sgpr_queue_ptr 0
		.amdhsa_user_sgpr_kernarg_segment_ptr 1
		.amdhsa_user_sgpr_dispatch_id 0
		.amdhsa_user_sgpr_kernarg_preload_length 0
		.amdhsa_user_sgpr_kernarg_preload_offset 0
		.amdhsa_user_sgpr_private_segment_size 0
		.amdhsa_uses_dynamic_stack 0
		.amdhsa_enable_private_segment 0
		.amdhsa_system_sgpr_workgroup_id_x 1
		.amdhsa_system_sgpr_workgroup_id_y 0
		.amdhsa_system_sgpr_workgroup_id_z 0
		.amdhsa_system_sgpr_workgroup_info 0
		.amdhsa_system_vgpr_workitem_id 0
		.amdhsa_next_free_vgpr 79
		.amdhsa_next_free_sgpr 78
		.amdhsa_accum_offset 80
		.amdhsa_reserve_vcc 1
		.amdhsa_float_round_mode_32 0
		.amdhsa_float_round_mode_16_64 0
		.amdhsa_float_denorm_mode_32 3
		.amdhsa_float_denorm_mode_16_64 3
		.amdhsa_dx10_clamp 1
		.amdhsa_ieee_mode 1
		.amdhsa_fp16_overflow 0
		.amdhsa_tg_split 0
		.amdhsa_exception_fp_ieee_invalid_op 0
		.amdhsa_exception_fp_denorm_src 0
		.amdhsa_exception_fp_ieee_div_zero 0
		.amdhsa_exception_fp_ieee_overflow 0
		.amdhsa_exception_fp_ieee_underflow 0
		.amdhsa_exception_fp_ieee_inexact 0
		.amdhsa_exception_int_div_zero 0
	.end_amdhsa_kernel
	.section	.text._Z19_skinny_gemm_kernelILi3ELi1ELi2ELi32ELi4EEvPKhS1_P6__halfPKfiiiiiiii,"axG",@progbits,_Z19_skinny_gemm_kernelILi3ELi1ELi2ELi32ELi4EEvPKhS1_P6__halfPKfiiiiiiii,comdat
.Lfunc_end242:
	.size	_Z19_skinny_gemm_kernelILi3ELi1ELi2ELi32ELi4EEvPKhS1_P6__halfPKfiiiiiiii, .Lfunc_end242-_Z19_skinny_gemm_kernelILi3ELi1ELi2ELi32ELi4EEvPKhS1_P6__halfPKfiiiiiiii
                                        ; -- End function
	.set _Z19_skinny_gemm_kernelILi3ELi1ELi2ELi32ELi4EEvPKhS1_P6__halfPKfiiiiiiii.num_vgpr, 79
	.set _Z19_skinny_gemm_kernelILi3ELi1ELi2ELi32ELi4EEvPKhS1_P6__halfPKfiiiiiiii.num_agpr, 0
	.set _Z19_skinny_gemm_kernelILi3ELi1ELi2ELi32ELi4EEvPKhS1_P6__halfPKfiiiiiiii.numbered_sgpr, 78
	.set _Z19_skinny_gemm_kernelILi3ELi1ELi2ELi32ELi4EEvPKhS1_P6__halfPKfiiiiiiii.num_named_barrier, 0
	.set _Z19_skinny_gemm_kernelILi3ELi1ELi2ELi32ELi4EEvPKhS1_P6__halfPKfiiiiiiii.private_seg_size, 0
	.set _Z19_skinny_gemm_kernelILi3ELi1ELi2ELi32ELi4EEvPKhS1_P6__halfPKfiiiiiiii.uses_vcc, 1
	.set _Z19_skinny_gemm_kernelILi3ELi1ELi2ELi32ELi4EEvPKhS1_P6__halfPKfiiiiiiii.uses_flat_scratch, 0
	.set _Z19_skinny_gemm_kernelILi3ELi1ELi2ELi32ELi4EEvPKhS1_P6__halfPKfiiiiiiii.has_dyn_sized_stack, 0
	.set _Z19_skinny_gemm_kernelILi3ELi1ELi2ELi32ELi4EEvPKhS1_P6__halfPKfiiiiiiii.has_recursion, 0
	.set _Z19_skinny_gemm_kernelILi3ELi1ELi2ELi32ELi4EEvPKhS1_P6__halfPKfiiiiiiii.has_indirect_call, 0
	.section	.AMDGPU.csdata,"",@progbits
; Kernel info:
; codeLenInByte = 6064
; TotalNumSgprs: 84
; NumVgprs: 79
; NumAgprs: 0
; TotalNumVgprs: 79
; ScratchSize: 0
; MemoryBound: 0
; FloatMode: 240
; IeeeMode: 1
; LDSByteSize: 16416 bytes/workgroup (compile time only)
; SGPRBlocks: 10
; VGPRBlocks: 9
; NumSGPRsForWavesPerEU: 84
; NumVGPRsForWavesPerEU: 79
; AccumOffset: 80
; Occupancy: 6
; WaveLimiterHint : 0
; COMPUTE_PGM_RSRC2:SCRATCH_EN: 0
; COMPUTE_PGM_RSRC2:USER_SGPR: 2
; COMPUTE_PGM_RSRC2:TRAP_HANDLER: 0
; COMPUTE_PGM_RSRC2:TGID_X_EN: 1
; COMPUTE_PGM_RSRC2:TGID_Y_EN: 0
; COMPUTE_PGM_RSRC2:TGID_Z_EN: 0
; COMPUTE_PGM_RSRC2:TIDIG_COMP_CNT: 0
; COMPUTE_PGM_RSRC3_GFX90A:ACCUM_OFFSET: 19
; COMPUTE_PGM_RSRC3_GFX90A:TG_SPLIT: 0
	.section	.text._Z19_skinny_gemm_kernelILi3ELi1ELi2ELi32ELi8EEvPKhS1_P6__halfPKfiiiiiiii,"axG",@progbits,_Z19_skinny_gemm_kernelILi3ELi1ELi2ELi32ELi8EEvPKhS1_P6__halfPKfiiiiiiii,comdat
	.protected	_Z19_skinny_gemm_kernelILi3ELi1ELi2ELi32ELi8EEvPKhS1_P6__halfPKfiiiiiiii ; -- Begin function _Z19_skinny_gemm_kernelILi3ELi1ELi2ELi32ELi8EEvPKhS1_P6__halfPKfiiiiiiii
	.globl	_Z19_skinny_gemm_kernelILi3ELi1ELi2ELi32ELi8EEvPKhS1_P6__halfPKfiiiiiiii
	.p2align	8
	.type	_Z19_skinny_gemm_kernelILi3ELi1ELi2ELi32ELi8EEvPKhS1_P6__halfPKfiiiiiiii,@function
_Z19_skinny_gemm_kernelILi3ELi1ELi2ELi32ELi8EEvPKhS1_P6__halfPKfiiiiiiii: ; @_Z19_skinny_gemm_kernelILi3ELi1ELi2ELi32ELi8EEvPKhS1_P6__halfPKfiiiiiiii
; %bb.0:
	v_cmp_gt_u32_e32 vcc, 8, v0
	s_and_saveexec_b64 s[4:5], vcc
; %bb.1:
	v_lshlrev_b32_e32 v1, 2, v0
	v_mov_b32_e32 v2, 0
	ds_write_b32 v1, v2 offset:32768
; %bb.2:
	s_or_b64 exec, exec, s[4:5]
	s_load_dwordx8 s[36:43], s[0:1], 0x20
	s_waitcnt lgkmcnt(0)
	s_barrier
	s_add_i32 s3, s36, 0x5f
	s_add_i32 s4, s37, 31
	s_mul_hi_i32 s3, s3, 0x2aaaaaab
	s_lshr_b32 s5, s3, 31
	s_ashr_i32 s33, s3, 4
	s_ashr_i32 s3, s4, 31
	s_lshr_b32 s3, s3, 27
	s_add_i32 s4, s4, s3
	s_add_i32 s33, s33, s5
	s_ashr_i32 s62, s4, 5
	s_mul_i32 s3, s62, s33
	s_mul_i32 s3, s3, s40
	s_add_i32 s4, s3, 0x12f
	s_mul_hi_i32 s4, s4, 0x6bca1af3
	s_lshr_b32 s5, s4, 31
	s_ashr_i32 s4, s4, 7
	s_add_i32 s4, s4, s5
	s_add_i32 s5, s2, 1
	s_mul_i32 s5, s4, s5
	v_cvt_f64_i32_e32 v[2:3], s3
	v_cvt_f64_u32_e32 v[4:5], s5
	v_min_f64 v[2:3], v[2:3], v[4:5]
	v_cvt_i32_f64_e32 v54, v[2:3]
	s_mul_i32 s63, s4, s2
	v_cmp_ge_i32_e32 vcc, s63, v54
	s_cbranch_vccnz .LBB243_48
; %bb.3:
	v_lshrrev_b32_e32 v1, 6, v0
	s_add_i32 s4, s42, s41
	s_load_dwordx8 s[44:51], s[0:1], 0x0
	v_cmp_le_i32_e64 s[0:1], s4, v1
	v_mov_b32_e32 v2, s41
	v_cmp_le_i32_e64 s[2:3], s41, v1
	v_mov_b32_e32 v3, s42
	v_cndmask_b32_e64 v3, 0, v3, s[0:1]
	v_cndmask_b32_e64 v2, 0, v2, s[2:3]
	s_abs_i32 s5, s40
	v_add_u32_e32 v2, v2, v3
	v_cvt_f32_u32_e32 v3, s5
	v_sub_u32_e32 v40, v1, v2
	s_ashr_i32 s6, s38, 31
	s_lshr_b32 s6, s6, 25
	v_rcp_iflag_f32_e32 v2, v3
	s_sub_i32 s9, 0, s5
	s_add_i32 s6, s38, s6
	s_ashr_i32 s6, s6, 7
	v_mul_f32_e32 v2, 0x4f7ffffe, v2
	v_cvt_u32_f32_e32 v2, v2
	s_abs_i32 s8, s6
	s_xor_b32 s7, s6, s40
	s_ashr_i32 s7, s7, 31
	v_readfirstlane_b32 s10, v2
	s_mul_i32 s9, s9, s10
	s_mul_hi_u32 s9, s10, s9
	s_add_i32 s10, s10, s9
	s_mul_hi_u32 s9, s8, s10
	s_mul_i32 s10, s9, s5
	s_sub_i32 s8, s8, s10
	s_add_i32 s10, s9, 1
	s_sub_i32 s11, s8, s5
	s_cmp_ge_u32 s8, s5
	s_cselect_b32 s9, s10, s9
	s_cselect_b32 s8, s11, s8
	s_add_i32 s10, s9, 1
	s_cmp_ge_u32 s8, s5
	s_cselect_b32 s5, s10, s9
	s_xor_b32 s5, s5, s7
	s_sub_i32 s64, s5, s7
	s_add_i32 s40, s40, -1
	s_mul_i32 s5, s64, s40
	s_add_i32 s4, s4, s43
	v_and_b32_e32 v56, 31, v0
	v_lshrrev_b32_e32 v2, 3, v0
	s_sub_i32 s65, s6, s5
	v_cmp_gt_i32_e64 s[4:5], s4, v1
	v_lshlrev_b32_e32 v1, 2, v56
	v_and_b32_e32 v3, 4, v2
	v_and_b32_e32 v5, 1, v0
	v_lshlrev_b32_e32 v2, 6, v3
	v_or_b32_e32 v4, 0x6000, v1
	v_or_b32_e32 v3, v3, v5
	;; [unrolled: 1-line block ×4, first 2 shown]
	v_lshlrev_b32_e32 v2, 1, v5
	v_or_b32_e32 v5, 2, v3
	v_sub_u32_e32 v68, 32, v5
	v_or_b32_e32 v5, 8, v3
	v_sub_u32_e32 v69, 32, v5
	;; [unrolled: 2-line block ×5, first 2 shown]
	v_mul_lo_u32 v18, s37, v3
	v_sub_u32_e32 v72, 32, v5
	v_or_b32_e32 v5, 24, v3
	v_or_b32_e32 v3, 26, v3
	v_sub_u32_e32 v74, 32, v3
	v_lshrrev_b32_e32 v3, 1, v0
	s_abs_i32 s66, s33
	v_and_b32_e32 v34, 16, v3
	v_cvt_f32_u32_e32 v3, s66
	v_sub_u32_e32 v2, v0, v2
	v_add_u32_e32 v2, 1, v2
	v_and_b32_e32 v6, 63, v2
	v_bitop3_b32 v59, v0, 1, v0 bitop3:0xc
	v_bitop3_b32 v60, v0, 3, 1 bitop3:0x6c
	;; [unrolled: 1-line block ×8, first 2 shown]
	v_and_b32_e32 v2, 30, v0
	v_lshlrev_b32_e32 v0, 4, v0
	v_and_b32_e32 v0, 0x200, v0
	v_rcp_iflag_f32_e32 v3, v3
	s_abs_i32 s67, s62
	v_or_b32_e32 v77, v1, v0
	v_cvt_f32_u32_e32 v1, s67
	s_lshl_b32 s6, s37, 1
	v_add_u32_e32 v20, s6, v18
	s_mul_i32 s7, s37, 6
	v_or_b32_e32 v75, v4, v0
	v_mul_f32_e32 v0, 0x4f7ffffe, v3
	v_add_u32_e32 v22, s7, v20
	v_cvt_u32_f32_e32 v0, v0
	v_rcp_iflag_f32_e32 v1, v1
	v_add_u32_e32 v24, s6, v22
	v_add_u32_e32 v26, s7, v24
	;; [unrolled: 1-line block ×4, first 2 shown]
	v_readfirstlane_b32 s7, v0
	v_mul_f32_e32 v0, 0x4f7ffffe, v1
	v_cvt_u32_f32_e32 v0, v0
	v_add_u32_e32 v32, s6, v30
	s_sub_i32 s6, 0, s66
	s_mul_i32 s6, s6, s7
	s_mul_hi_u32 s6, s7, s6
	s_add_i32 s69, s7, s6
	s_sub_i32 s6, 0, s67
	v_readfirstlane_b32 s7, v0
	v_mbcnt_lo_u32_b32 v0, -1, 0
	s_mul_i32 s6, s6, s7
	v_mbcnt_hi_u32_b32 v0, -1, v0
	v_mov_b32_e32 v17, 0
	v_mul_lo_u32 v36, s39, v56
	s_mul_hi_u32 s6, s7, s6
	v_and_or_b32 v0, v0, 64, v6
	v_cndmask_b32_e64 v55, 0, 1, s[0:1]
	v_ashrrev_i32_e32 v19, 31, v18
	v_ashrrev_i32_e32 v21, 31, v20
	;; [unrolled: 1-line block ×6, first 2 shown]
	v_sub_u32_e32 v73, 32, v5
	v_ashrrev_i32_e32 v31, 31, v30
	v_ashrrev_i32_e32 v33, 31, v32
	;; [unrolled: 1-line block ×3, first 2 shown]
	v_mov_b32_e32 v35, v17
	v_mul_lo_u32 v76, s38, v56
	s_ashr_i32 s68, s33, 31
	s_ashr_i32 s70, s62, 31
	s_add_i32 s71, s7, s6
	s_movk_i32 s72, 0x60
	v_lshlrev_b32_e32 v16, 1, v2
	s_mov_b32 s73, 0x55555556
	v_lshlrev_b32_e32 v78, 2, v0
	v_mov_b32_e32 v79, v40
	s_branch .LBB243_7
.LBB243_4:                              ;   in Loop: Header=BB243_7 Depth=1
	s_or_b64 exec, exec, s[10:11]
.LBB243_5:                              ;   in Loop: Header=BB243_7 Depth=1
	s_or_b64 exec, exec, s[8:9]
	v_subrev_u32_e32 v79, s77, v79
.LBB243_6:                              ;   in Loop: Header=BB243_7 Depth=1
	s_or_b64 exec, exec, s[6:7]
	s_add_i32 s63, s63, 1
	v_cmp_ge_i32_e32 vcc, s63, v54
	s_cbranch_vccnz .LBB243_48
.LBB243_7:                              ; =>This Loop Header: Depth=1
                                        ;     Child Loop BB243_13 Depth 2
                                        ;       Child Loop BB243_15 Depth 3
                                        ;       Child Loop BB243_18 Depth 3
                                        ;     Child Loop BB243_35 Depth 2
                                        ;       Child Loop BB243_37 Depth 3
                                        ;     Child Loop BB243_45 Depth 2
                                        ;       Child Loop BB243_47 Depth 3
	s_abs_i32 s7, s63
	s_mul_hi_u32 s8, s7, s69
	s_mul_i32 s9, s8, s66
	s_ashr_i32 s6, s63, 31
	s_sub_i32 s7, s7, s9
	s_xor_b32 s6, s6, s68
	s_add_i32 s9, s8, 1
	s_sub_i32 s10, s7, s66
	s_cmp_ge_u32 s7, s66
	s_cselect_b32 s8, s9, s8
	s_cselect_b32 s7, s10, s7
	s_add_i32 s9, s8, 1
	s_cmp_ge_u32 s7, s66
	s_cselect_b32 s7, s9, s8
	s_xor_b32 s7, s7, s6
	s_sub_i32 s6, s7, s6
	s_abs_i32 s8, s6
	s_mul_hi_u32 s9, s8, s71
	s_mul_i32 s7, s6, s33
	s_mul_i32 s10, s9, s67
	s_sub_i32 s74, s63, s7
	s_ashr_i32 s7, s6, 31
	s_sub_i32 s8, s8, s10
	s_xor_b32 s7, s7, s70
	s_add_i32 s10, s9, 1
	s_sub_i32 s11, s8, s67
	s_cmp_ge_u32 s8, s67
	s_cselect_b32 s9, s10, s9
	s_cselect_b32 s8, s11, s8
	s_add_i32 s10, s9, 1
	s_cmp_ge_u32 s8, s67
	s_cselect_b32 s8, s10, s9
	s_xor_b32 s8, s8, s7
	s_sub_i32 s7, s8, s7
	s_mul_i32 s8, s7, s64
	s_lshl_b32 s75, s8, 7
	s_mulk_i32 s74, 0x60
	s_cmp_eq_u32 s7, s40
	s_cselect_b32 s77, s65, s64
	s_sub_i32 s76, s74, s36
	s_addk_i32 s76, 0x60
	s_and_saveexec_b64 s[8:9], s[2:3]
	s_xor_b64 s[52:53], exec, s[8:9]
	s_cbranch_execz .LBB243_41
; %bb.8:                                ;   in Loop: Header=BB243_7 Depth=1
	s_mul_i32 s7, s7, s62
	s_sub_i32 s6, s6, s7
	s_lshl_b32 s6, s6, 5
	s_sub_i32 s14, s6, s37
	s_add_i32 s14, s14, 32
	s_max_i32 s7, s14, 0
	s_sub_i32 s54, s6, s7
	s_and_saveexec_b64 s[6:7], s[0:1]
	s_xor_b64 s[56:57], exec, s[6:7]
	s_cbranch_execz .LBB243_31
; %bb.9:                                ;   in Loop: Header=BB243_7 Depth=1
	s_and_saveexec_b64 s[58:59], s[4:5]
	s_cbranch_execz .LBB243_30
; %bb.10:                               ;   in Loop: Header=BB243_7 Depth=1
	s_waitcnt lgkmcnt(0)
	global_load_dword v80, v17, s[50:51]
	v_mov_b32_e32 v15, 0
	v_cmp_gt_i32_e32 vcc, s77, v79
	v_mov_b32_e32 v14, v15
	v_mov_b32_e32 v13, v15
	;; [unrolled: 1-line block ×15, first 2 shown]
	s_and_saveexec_b64 s[6:7], vcc
	s_cbranch_execz .LBB243_20
; %bb.11:                               ;   in Loop: Header=BB243_7 Depth=1
	v_mov_b32_e32 v0, 0
	s_mov_b64 s[8:9], 0
	v_mov_b32_e32 v1, v0
	v_mov_b32_e32 v2, v0
	;; [unrolled: 1-line block ×15, first 2 shown]
	s_branch .LBB243_13
.LBB243_12:                             ;   in Loop: Header=BB243_13 Depth=2
	s_or_b64 exec, exec, s[10:11]
	v_add_u32_e32 v86, v58, v84
	ds_read2_b32 v[84:85], v86 offset1:32
	v_add_u32_e32 v79, s43, v79
	s_waitcnt lgkmcnt(0)
	v_mfma_f32_32x32x16_fp8_fp8 v[0:15], v[52:53], v[84:85], v[0:15]
	ds_read2_b32 v[52:53], v86 offset0:128 offset1:160
	s_waitcnt lgkmcnt(0)
	v_mfma_f32_32x32x16_fp8_fp8 v[0:15], v[50:51], v[52:53], v[0:15]
	v_add_u32_e32 v52, 0x400, v86
	ds_read2_b32 v[50:51], v52 offset1:32
	s_waitcnt lgkmcnt(0)
	v_mfma_f32_32x32x16_fp8_fp8 v[0:15], v[48:49], v[50:51], v[0:15]
	ds_read2_b32 v[48:49], v52 offset0:128 offset1:160
	s_waitcnt lgkmcnt(0)
	v_mfma_f32_32x32x16_fp8_fp8 v[0:15], v[46:47], v[48:49], v[0:15]
	v_add_u32_e32 v48, 0x800, v86
	ds_read2_b32 v[46:47], v48 offset1:32
	;; [unrolled: 7-line block ×3, first 2 shown]
	ds_read2_b32 v[44:45], v44 offset0:128 offset1:160
	ds_write_b32 v82, v83 offset:32772
	s_waitcnt lgkmcnt(2)
	v_mfma_f32_32x32x16_fp8_fp8 v[0:15], v[40:41], v[42:43], v[0:15]
	v_add_u32_e32 v40, s43, v81
	v_add_u32_e32 v41, 2, v55
	v_cmp_lt_i32_e32 vcc, 1, v40
	s_nop 1
	v_cndmask_b32_e32 v55, v55, v41, vcc
	v_cmp_le_i32_e32 vcc, s77, v79
	s_waitcnt lgkmcnt(1)
	v_mfma_f32_32x32x16_fp8_fp8 v[0:15], v[38:39], v[44:45], v[0:15]
	s_or_b64 s[8:9], vcc, s[8:9]
	s_andn2_b64 exec, exec, s[8:9]
	s_cbranch_execz .LBB243_19
.LBB243_13:                             ;   Parent Loop BB243_7 Depth=1
                                        ; =>  This Loop Header: Depth=2
                                        ;       Child Loop BB243_15 Depth 3
                                        ;       Child Loop BB243_18 Depth 3
	v_cmp_gt_i32_e32 vcc, 2, v40
	s_nop 1
	v_cndmask_b32_e64 v38, -2, 0, vcc
	v_add_u32_e32 v81, v38, v40
	v_lshlrev_b32_e32 v82, 3, v81
	ds_read_b32 v38, v82 offset:32768
	s_waitcnt lgkmcnt(0)
	v_cmp_ne_u32_e32 vcc, v38, v55
	s_and_saveexec_b64 s[10:11], vcc
	s_cbranch_execz .LBB243_16
; %bb.14:                               ;   in Loop: Header=BB243_13 Depth=2
	s_mov_b64 s[12:13], 0
.LBB243_15:                             ;   Parent Loop BB243_7 Depth=1
                                        ;     Parent Loop BB243_13 Depth=2
                                        ; =>    This Inner Loop Header: Depth=3
	;;#ASMSTART
	s_sleep 0
	;;#ASMEND
	ds_read_b32 v38, v82 offset:32768
	s_waitcnt lgkmcnt(0)
	v_cmp_eq_u32_e32 vcc, v38, v55
	s_or_b64 s[12:13], vcc, s[12:13]
	s_andn2_b64 exec, exec, s[12:13]
	s_cbranch_execnz .LBB243_15
.LBB243_16:                             ;   in Loop: Header=BB243_13 Depth=2
	s_or_b64 exec, exec, s[10:11]
	v_lshlrev_b32_e32 v84, 12, v81
	v_or_b32_e32 v38, v57, v84
	v_add_u32_e32 v39, 0x400, v38
	ds_read2_b32 v[52:53], v38 offset1:32
	ds_read2_b32 v[50:51], v38 offset0:128 offset1:160
	ds_read2_b32 v[48:49], v39 offset1:32
	ds_read2_b32 v[46:47], v39 offset0:128 offset1:160
	v_add_u32_e32 v39, 0x800, v38
	v_add_u32_e32 v38, 0xc00, v38
	ds_read2_b32 v[44:45], v39 offset1:32
	ds_read2_b32 v[42:43], v39 offset0:128 offset1:160
	ds_read2_b32 v[40:41], v38 offset1:32
	ds_read_b32 v85, v82 offset:32772
	ds_read2_b32 v[38:39], v38 offset0:128 offset1:160
	v_add_u32_e32 v83, 1, v55
	ds_write_b32 v82, v83 offset:32768
	s_waitcnt lgkmcnt(2)
	v_cmp_ne_u32_e32 vcc, v85, v55
	s_and_saveexec_b64 s[10:11], vcc
	s_cbranch_execz .LBB243_12
; %bb.17:                               ;   in Loop: Header=BB243_13 Depth=2
	s_mov_b64 s[12:13], 0
.LBB243_18:                             ;   Parent Loop BB243_7 Depth=1
                                        ;     Parent Loop BB243_13 Depth=2
                                        ; =>    This Inner Loop Header: Depth=3
	;;#ASMSTART
	s_sleep 0
	;;#ASMEND
	ds_read_b32 v85, v82 offset:32772
	s_waitcnt lgkmcnt(0)
	v_cmp_eq_u32_e32 vcc, v85, v55
	s_or_b64 s[12:13], vcc, s[12:13]
	s_andn2_b64 exec, exec, s[12:13]
	s_cbranch_execnz .LBB243_18
	s_branch .LBB243_12
.LBB243_19:                             ;   in Loop: Header=BB243_7 Depth=1
	s_or_b64 exec, exec, s[8:9]
.LBB243_20:                             ;   in Loop: Header=BB243_7 Depth=1
	s_or_b64 exec, exec, s[6:7]
	v_cmp_le_i32_e32 vcc, s14, v56
	v_cmp_eq_u32_e64 s[6:7], 3, v59
	v_cmp_eq_u32_e64 s[8:9], 4, v59
	s_waitcnt vmcnt(0)
	v_cndmask_b32_e32 v38, 0, v80, vcc
	s_nop 1
	v_pk_mul_f32 v[0:1], v[38:39], v[0:1] op_sel_hi:[0,1]
	v_cmp_eq_u32_e32 vcc, 1, v59
	v_pk_mul_f32 v[14:15], v[38:39], v[14:15] op_sel_hi:[0,1]
	v_pk_mul_f32 v[12:13], v[38:39], v[12:13] op_sel_hi:[0,1]
	v_pk_mul_f32 v[10:11], v[38:39], v[10:11] op_sel_hi:[0,1]
	v_pk_mul_f32 v[8:9], v[38:39], v[8:9] op_sel_hi:[0,1]
	v_pk_mul_f32 v[6:7], v[38:39], v[6:7] op_sel_hi:[0,1]
	v_pk_mul_f32 v[4:5], v[38:39], v[4:5] op_sel_hi:[0,1]
	v_pk_mul_f32 v[2:3], v[38:39], v[2:3] op_sel_hi:[0,1]
	v_cndmask_b32_e32 v38, v0, v1, vcc
	v_cmp_eq_u32_e32 vcc, 2, v59
	v_cmp_eq_u32_e64 s[10:11], 5, v59
	v_cmp_eq_u32_e64 s[12:13], 6, v59
	v_cndmask_b32_e32 v38, v38, v2, vcc
	v_cndmask_b32_e64 v38, v38, v3, s[6:7]
	v_cndmask_b32_e64 v38, v38, v4, s[8:9]
	v_cndmask_b32_e64 v38, v38, v5, s[10:11]
	v_cndmask_b32_e64 v38, v38, v6, s[12:13]
	v_cmp_eq_u32_e64 s[14:15], 7, v59
	v_cmp_eq_u32_e64 s[16:17], 8, v59
	v_cmp_eq_u32_e64 s[18:19], 9, v59
	v_cndmask_b32_e64 v38, v38, v7, s[14:15]
	v_cndmask_b32_e64 v38, v38, v8, s[16:17]
	v_cndmask_b32_e64 v38, v38, v9, s[18:19]
	v_cmp_eq_u32_e64 s[20:21], 10, v59
	v_cmp_eq_u32_e64 s[22:23], 11, v59
	v_cmp_eq_u32_e64 s[24:25], 12, v59
	v_cndmask_b32_e64 v38, v38, v10, s[20:21]
	v_cndmask_b32_e64 v38, v38, v11, s[22:23]
	v_cndmask_b32_e64 v38, v38, v12, s[24:25]
	;; [unrolled: 6-line block ×3, first 2 shown]
	ds_bpermute_b32 v38, v78, v38
	v_cmp_eq_u32_e64 s[34:35], 15, v60
	s_waitcnt lgkmcnt(0)
	v_cndmask_b32_e32 v2, v2, v38, vcc
	v_cmp_ne_u32_e32 vcc, 0, v59
	v_cndmask_b32_e64 v15, v15, v38, s[30:31]
	v_cndmask_b32_e64 v14, v14, v38, s[28:29]
	v_cndmask_b32_e32 v1, v1, v38, vcc
	v_cmp_eq_u32_e32 vcc, 0, v59
	v_cndmask_b32_e64 v13, v13, v38, s[26:27]
	v_cndmask_b32_e64 v12, v12, v38, s[24:25]
	v_cndmask_b32_e32 v0, v0, v38, vcc
	v_cmp_eq_u32_e32 vcc, 1, v60
	v_cndmask_b32_e64 v11, v11, v38, s[22:23]
	v_cndmask_b32_e64 v10, v10, v38, s[20:21]
	;; [unrolled: 1-line block ×9, first 2 shown]
	v_cndmask_b32_e32 v38, v0, v1, vcc
	v_cmp_eq_u32_e64 s[6:7], 2, v60
	v_cmp_eq_u32_e64 s[8:9], 3, v60
	v_cmp_eq_u32_e64 s[10:11], 4, v60
	v_cndmask_b32_e64 v38, v38, v2, s[6:7]
	v_cndmask_b32_e64 v38, v38, v3, s[8:9]
	v_cndmask_b32_e64 v38, v38, v4, s[10:11]
	v_cmp_eq_u32_e64 s[12:13], 5, v60
	v_cmp_eq_u32_e64 s[14:15], 6, v60
	v_cmp_eq_u32_e64 s[16:17], 7, v60
	v_cndmask_b32_e64 v38, v38, v5, s[12:13]
	v_cndmask_b32_e64 v38, v38, v6, s[14:15]
	v_cndmask_b32_e64 v38, v38, v7, s[16:17]
	;; [unrolled: 6-line block ×4, first 2 shown]
	v_cmp_eq_u32_e64 s[30:31], 14, v60
	s_nop 1
	v_cndmask_b32_e64 v38, v38, v14, s[30:31]
	v_cndmask_b32_e64 v38, v38, v15, s[34:35]
	ds_bpermute_b32 v38, v78, v38
	s_waitcnt lgkmcnt(0)
	v_cndmask_b32_e32 v1, v1, v38, vcc
	v_cmp_eq_u32_e32 vcc, 0, v60
	v_cndmask_b32_e64 v15, v15, v38, s[34:35]
	v_cndmask_b32_e64 v14, v14, v38, s[30:31]
	v_cndmask_b32_e32 v0, v0, v38, vcc
	v_cmp_eq_u32_e32 vcc, 1, v61
	v_cndmask_b32_e64 v13, v13, v38, s[28:29]
	v_cndmask_b32_e64 v12, v12, v38, s[26:27]
	v_cndmask_b32_e64 v11, v11, v38, s[24:25]
	v_cndmask_b32_e64 v10, v10, v38, s[22:23]
	v_cndmask_b32_e64 v9, v9, v38, s[20:21]
	v_cndmask_b32_e64 v8, v8, v38, s[18:19]
	v_cndmask_b32_e64 v7, v7, v38, s[16:17]
	v_cndmask_b32_e64 v6, v6, v38, s[14:15]
	v_cndmask_b32_e64 v5, v5, v38, s[12:13]
	v_cndmask_b32_e64 v4, v4, v38, s[10:11]
	v_cndmask_b32_e64 v3, v3, v38, s[8:9]
	v_cndmask_b32_e64 v2, v2, v38, s[6:7]
	v_cndmask_b32_e32 v38, v0, v1, vcc
	v_cmp_eq_u32_e64 s[6:7], 2, v61
	v_cmp_eq_u32_e64 s[8:9], 3, v61
	v_cmp_eq_u32_e64 s[10:11], 4, v61
	v_cndmask_b32_e64 v38, v38, v2, s[6:7]
	v_cndmask_b32_e64 v38, v38, v3, s[8:9]
	v_cndmask_b32_e64 v38, v38, v4, s[10:11]
	v_cmp_eq_u32_e64 s[12:13], 5, v61
	v_cmp_eq_u32_e64 s[14:15], 6, v61
	v_cmp_eq_u32_e64 s[16:17], 7, v61
	v_cndmask_b32_e64 v38, v38, v5, s[12:13]
	v_cndmask_b32_e64 v38, v38, v6, s[14:15]
	v_cndmask_b32_e64 v38, v38, v7, s[16:17]
	v_cmp_eq_u32_e64 s[18:19], 8, v61
	v_cmp_eq_u32_e64 s[20:21], 9, v61
	v_cmp_eq_u32_e64 s[22:23], 10, v61
	v_cndmask_b32_e64 v38, v38, v8, s[18:19]
	v_cndmask_b32_e64 v38, v38, v9, s[20:21]
	v_cndmask_b32_e64 v38, v38, v10, s[22:23]
	v_cmp_eq_u32_e64 s[24:25], 11, v61
	v_cmp_eq_u32_e64 s[26:27], 12, v61
	v_cmp_eq_u32_e64 s[28:29], 13, v61
	v_cndmask_b32_e64 v38, v38, v11, s[24:25]
	v_cndmask_b32_e64 v38, v38, v12, s[26:27]
	v_cndmask_b32_e64 v38, v38, v13, s[28:29]
	v_cmp_eq_u32_e64 s[30:31], 14, v61
	v_cmp_eq_u32_e64 s[34:35], 15, v61
	s_nop 0
	v_cndmask_b32_e64 v38, v38, v14, s[30:31]
	v_cndmask_b32_e64 v38, v38, v15, s[34:35]
	ds_bpermute_b32 v38, v78, v38
	s_waitcnt lgkmcnt(0)
	v_cndmask_b32_e32 v1, v1, v38, vcc
	v_cmp_eq_u32_e32 vcc, 0, v61
	v_cndmask_b32_e64 v15, v15, v38, s[34:35]
	v_cndmask_b32_e64 v14, v14, v38, s[30:31]
	v_cndmask_b32_e32 v0, v0, v38, vcc
	v_cmp_eq_u32_e32 vcc, 1, v62
	v_cndmask_b32_e64 v13, v13, v38, s[28:29]
	v_cndmask_b32_e64 v12, v12, v38, s[26:27]
	v_cndmask_b32_e64 v11, v11, v38, s[24:25]
	v_cndmask_b32_e64 v10, v10, v38, s[22:23]
	v_cndmask_b32_e64 v9, v9, v38, s[20:21]
	v_cndmask_b32_e64 v8, v8, v38, s[18:19]
	v_cndmask_b32_e64 v7, v7, v38, s[16:17]
	v_cndmask_b32_e64 v6, v6, v38, s[14:15]
	v_cndmask_b32_e64 v5, v5, v38, s[12:13]
	v_cndmask_b32_e64 v4, v4, v38, s[10:11]
	v_cndmask_b32_e64 v3, v3, v38, s[8:9]
	v_cndmask_b32_e64 v2, v2, v38, s[6:7]
	v_cndmask_b32_e32 v38, v0, v1, vcc
	v_cmp_eq_u32_e64 s[6:7], 2, v62
	v_cmp_eq_u32_e64 s[8:9], 3, v62
	v_cmp_eq_u32_e64 s[10:11], 4, v62
	v_cndmask_b32_e64 v38, v38, v2, s[6:7]
	v_cndmask_b32_e64 v38, v38, v3, s[8:9]
	v_cndmask_b32_e64 v38, v38, v4, s[10:11]
	v_cmp_eq_u32_e64 s[12:13], 5, v62
	v_cmp_eq_u32_e64 s[14:15], 6, v62
	v_cmp_eq_u32_e64 s[16:17], 7, v62
	v_cndmask_b32_e64 v38, v38, v5, s[12:13]
	v_cndmask_b32_e64 v38, v38, v6, s[14:15]
	v_cndmask_b32_e64 v38, v38, v7, s[16:17]
	v_cmp_eq_u32_e64 s[18:19], 8, v62
	v_cmp_eq_u32_e64 s[20:21], 9, v62
	v_cmp_eq_u32_e64 s[22:23], 10, v62
	v_cndmask_b32_e64 v38, v38, v8, s[18:19]
	v_cndmask_b32_e64 v38, v38, v9, s[20:21]
	v_cndmask_b32_e64 v38, v38, v10, s[22:23]
	v_cmp_eq_u32_e64 s[24:25], 11, v62
	v_cmp_eq_u32_e64 s[26:27], 12, v62
	v_cmp_eq_u32_e64 s[28:29], 13, v62
	v_cndmask_b32_e64 v38, v38, v11, s[24:25]
	v_cndmask_b32_e64 v38, v38, v12, s[26:27]
	v_cndmask_b32_e64 v38, v38, v13, s[28:29]
	v_cmp_eq_u32_e64 s[30:31], 14, v62
	v_cmp_eq_u32_e64 s[34:35], 15, v62
	s_nop 0
	v_cndmask_b32_e64 v38, v38, v14, s[30:31]
	v_cndmask_b32_e64 v38, v38, v15, s[34:35]
	ds_bpermute_b32 v38, v78, v38
	s_waitcnt lgkmcnt(0)
	v_cndmask_b32_e32 v1, v1, v38, vcc
	v_cmp_eq_u32_e32 vcc, 0, v62
	v_cndmask_b32_e64 v15, v15, v38, s[34:35]
	v_cndmask_b32_e64 v14, v14, v38, s[30:31]
	v_cndmask_b32_e32 v0, v0, v38, vcc
	v_cmp_eq_u32_e32 vcc, 1, v63
	v_cndmask_b32_e64 v13, v13, v38, s[28:29]
	v_cndmask_b32_e64 v12, v12, v38, s[26:27]
	v_cndmask_b32_e64 v11, v11, v38, s[24:25]
	v_cndmask_b32_e64 v10, v10, v38, s[22:23]
	v_cndmask_b32_e64 v9, v9, v38, s[20:21]
	v_cndmask_b32_e64 v8, v8, v38, s[18:19]
	v_cndmask_b32_e64 v7, v7, v38, s[16:17]
	v_cndmask_b32_e64 v6, v6, v38, s[14:15]
	v_cndmask_b32_e64 v5, v5, v38, s[12:13]
	v_cndmask_b32_e64 v4, v4, v38, s[10:11]
	v_cndmask_b32_e64 v3, v3, v38, s[8:9]
	v_cndmask_b32_e64 v2, v2, v38, s[6:7]
	v_cndmask_b32_e32 v38, v0, v1, vcc
	v_cmp_eq_u32_e64 s[6:7], 2, v63
	v_cmp_eq_u32_e64 s[8:9], 3, v63
	v_cmp_eq_u32_e64 s[10:11], 4, v63
	v_cndmask_b32_e64 v38, v38, v2, s[6:7]
	v_cndmask_b32_e64 v38, v38, v3, s[8:9]
	v_cndmask_b32_e64 v38, v38, v4, s[10:11]
	v_cmp_eq_u32_e64 s[12:13], 5, v63
	v_cmp_eq_u32_e64 s[14:15], 6, v63
	v_cmp_eq_u32_e64 s[16:17], 7, v63
	v_cndmask_b32_e64 v38, v38, v5, s[12:13]
	v_cndmask_b32_e64 v38, v38, v6, s[14:15]
	v_cndmask_b32_e64 v38, v38, v7, s[16:17]
	v_cmp_eq_u32_e64 s[18:19], 8, v63
	v_cmp_eq_u32_e64 s[20:21], 9, v63
	v_cmp_eq_u32_e64 s[22:23], 10, v63
	v_cndmask_b32_e64 v38, v38, v8, s[18:19]
	v_cndmask_b32_e64 v38, v38, v9, s[20:21]
	v_cndmask_b32_e64 v38, v38, v10, s[22:23]
	v_cmp_eq_u32_e64 s[24:25], 11, v63
	v_cmp_eq_u32_e64 s[26:27], 12, v63
	v_cmp_eq_u32_e64 s[28:29], 13, v63
	v_cndmask_b32_e64 v38, v38, v11, s[24:25]
	v_cndmask_b32_e64 v38, v38, v12, s[26:27]
	v_cndmask_b32_e64 v38, v38, v13, s[28:29]
	v_cmp_eq_u32_e64 s[30:31], 14, v63
	v_cmp_eq_u32_e64 s[34:35], 15, v63
	s_nop 0
	v_cndmask_b32_e64 v38, v38, v14, s[30:31]
	v_cndmask_b32_e64 v38, v38, v15, s[34:35]
	ds_bpermute_b32 v38, v78, v38
	s_waitcnt lgkmcnt(0)
	v_cndmask_b32_e32 v1, v1, v38, vcc
	v_cmp_eq_u32_e32 vcc, 0, v63
	v_cndmask_b32_e64 v15, v15, v38, s[34:35]
	v_cndmask_b32_e64 v14, v14, v38, s[30:31]
	v_cndmask_b32_e32 v0, v0, v38, vcc
	v_cmp_eq_u32_e32 vcc, 1, v64
	v_cndmask_b32_e64 v13, v13, v38, s[28:29]
	v_cndmask_b32_e64 v12, v12, v38, s[26:27]
	v_cndmask_b32_e64 v11, v11, v38, s[24:25]
	v_cndmask_b32_e64 v10, v10, v38, s[22:23]
	v_cndmask_b32_e64 v9, v9, v38, s[20:21]
	v_cndmask_b32_e64 v8, v8, v38, s[18:19]
	v_cndmask_b32_e64 v7, v7, v38, s[16:17]
	v_cndmask_b32_e64 v6, v6, v38, s[14:15]
	v_cndmask_b32_e64 v5, v5, v38, s[12:13]
	v_cndmask_b32_e64 v4, v4, v38, s[10:11]
	v_cndmask_b32_e64 v3, v3, v38, s[8:9]
	v_cndmask_b32_e64 v2, v2, v38, s[6:7]
	v_cndmask_b32_e32 v38, v0, v1, vcc
	v_cmp_eq_u32_e64 s[6:7], 2, v64
	v_cmp_eq_u32_e64 s[8:9], 3, v64
	v_cmp_eq_u32_e64 s[10:11], 4, v64
	v_cndmask_b32_e64 v38, v38, v2, s[6:7]
	v_cndmask_b32_e64 v38, v38, v3, s[8:9]
	v_cndmask_b32_e64 v38, v38, v4, s[10:11]
	v_cmp_eq_u32_e64 s[12:13], 5, v64
	v_cmp_eq_u32_e64 s[14:15], 6, v64
	v_cmp_eq_u32_e64 s[16:17], 7, v64
	v_cndmask_b32_e64 v38, v38, v5, s[12:13]
	v_cndmask_b32_e64 v38, v38, v6, s[14:15]
	v_cndmask_b32_e64 v38, v38, v7, s[16:17]
	v_cmp_eq_u32_e64 s[18:19], 8, v64
	v_cmp_eq_u32_e64 s[20:21], 9, v64
	v_cmp_eq_u32_e64 s[22:23], 10, v64
	v_cndmask_b32_e64 v38, v38, v8, s[18:19]
	v_cndmask_b32_e64 v38, v38, v9, s[20:21]
	v_cndmask_b32_e64 v38, v38, v10, s[22:23]
	v_cmp_eq_u32_e64 s[24:25], 11, v64
	v_cmp_eq_u32_e64 s[26:27], 12, v64
	v_cmp_eq_u32_e64 s[28:29], 13, v64
	v_cndmask_b32_e64 v38, v38, v11, s[24:25]
	v_cndmask_b32_e64 v38, v38, v12, s[26:27]
	v_cndmask_b32_e64 v38, v38, v13, s[28:29]
	v_cmp_eq_u32_e64 s[30:31], 14, v64
	v_cmp_eq_u32_e64 s[34:35], 15, v64
	s_nop 0
	v_cndmask_b32_e64 v38, v38, v14, s[30:31]
	v_cndmask_b32_e64 v38, v38, v15, s[34:35]
	ds_bpermute_b32 v38, v78, v38
	s_waitcnt lgkmcnt(0)
	v_cndmask_b32_e32 v1, v1, v38, vcc
	v_cmp_eq_u32_e32 vcc, 0, v64
	v_cndmask_b32_e64 v15, v15, v38, s[34:35]
	v_cndmask_b32_e64 v14, v14, v38, s[30:31]
	;; [unrolled: 1-line block ×14, first 2 shown]
	v_cndmask_b32_e32 v38, v0, v38, vcc
	v_cmp_eq_u32_e32 vcc, 1, v65
	v_cmp_eq_u32_e64 s[6:7], 2, v65
	v_cmp_eq_u32_e64 s[8:9], 3, v65
	v_cndmask_b32_e32 v0, v38, v1, vcc
	v_cndmask_b32_e64 v0, v0, v47, s[6:7]
	v_cndmask_b32_e64 v0, v0, v46, s[8:9]
	v_cmp_eq_u32_e64 s[10:11], 4, v65
	v_cmp_eq_u32_e64 s[12:13], 5, v65
	v_cmp_eq_u32_e64 s[14:15], 6, v65
	v_cndmask_b32_e64 v0, v0, v45, s[10:11]
	v_cndmask_b32_e64 v0, v0, v44, s[12:13]
	v_cndmask_b32_e64 v0, v0, v43, s[14:15]
	v_cmp_eq_u32_e64 s[16:17], 7, v65
	v_cmp_eq_u32_e64 s[18:19], 8, v65
	v_cmp_eq_u32_e64 s[20:21], 9, v65
	v_cndmask_b32_e64 v0, v0, v42, s[16:17]
	;; [unrolled: 6-line block ×4, first 2 shown]
	v_cndmask_b32_e64 v0, v0, v14, s[30:31]
	v_cndmask_b32_e64 v0, v0, v15, s[34:35]
	ds_bpermute_b32 v48, v78, v0
	s_waitcnt lgkmcnt(0)
	v_cndmask_b32_e32 v0, v1, v48, vcc
	v_cmp_eq_u32_e32 vcc, 0, v65
	v_cndmask_b32_e64 v4, v15, v48, s[34:35]
	v_cndmask_b32_e64 v15, v47, v48, s[6:7]
	v_cndmask_b32_e32 v1, v38, v48, vcc
	v_cmp_eq_u32_e32 vcc, 1, v66
	v_cndmask_b32_e64 v5, v14, v48, s[30:31]
	v_cndmask_b32_e64 v14, v46, v48, s[8:9]
	;; [unrolled: 4-line block ×7, first 2 shown]
	v_cndmask_b32_e32 v38, v38, v13, vcc
	v_cmp_eq_u32_e32 vcc, 7, v66
	s_nop 1
	v_cndmask_b32_e32 v38, v38, v12, vcc
	v_cmp_eq_u32_e32 vcc, 8, v66
	s_nop 1
	v_cndmask_b32_e32 v38, v38, v11, vcc
	v_cmp_eq_u32_e32 vcc, 9, v66
	s_nop 1
	v_cndmask_b32_e32 v38, v38, v10, vcc
	v_cmp_eq_u32_e32 vcc, 10, v66
	s_nop 1
	v_cndmask_b32_e32 v38, v38, v9, vcc
	v_cmp_eq_u32_e32 vcc, 11, v66
	s_nop 1
	v_cndmask_b32_e32 v38, v38, v8, vcc
	v_cmp_eq_u32_e32 vcc, 12, v66
	s_nop 1
	v_cndmask_b32_e32 v38, v38, v7, vcc
	v_cmp_eq_u32_e32 vcc, 13, v66
	s_nop 1
	v_cndmask_b32_e32 v38, v38, v6, vcc
	v_cmp_eq_u32_e32 vcc, 14, v66
	s_nop 1
	v_cndmask_b32_e32 v38, v38, v5, vcc
	v_cmp_eq_u32_e32 vcc, 15, v66
	s_nop 1
	v_cndmask_b32_e32 v38, v38, v4, vcc
	ds_bpermute_b32 v38, v78, v38
	v_cmp_lt_i32_e32 vcc, s76, v67
	s_and_saveexec_b64 s[60:61], vcc
	s_cbranch_execz .LBB243_29
; %bb.21:                               ;   in Loop: Header=BB243_7 Depth=1
	s_mul_i32 s6, s74, s37
	s_ashr_i32 s7, s6, 31
	s_lshl_b64 s[6:7], s[6:7], 1
	v_cmp_eq_u32_e64 s[30:31], 1, v66
	s_add_u32 s8, s48, s6
	s_addc_u32 s9, s49, s7
	s_waitcnt lgkmcnt(0)
	v_cndmask_b32_e64 v0, v0, v38, s[30:31]
	v_cmp_eq_u32_e64 s[30:31], 0, v66
	s_ashr_i32 s55, s54, 31
	s_lshl_b64 s[6:7], s[54:55], 1
	v_cndmask_b32_e64 v1, v1, v38, s[30:31]
	v_cvt_f16_f32_e32 v39, v1
	v_cvt_f16_f32_sdwa v41, v0 dst_sel:WORD_1 dst_unused:UNUSED_PAD src0_sel:DWORD
	s_add_u32 s34, s8, s6
	s_addc_u32 s35, s9, s7
	v_cmp_eq_u32_e64 s[8:9], 15, v66
	v_cmp_eq_u32_e64 s[10:11], 14, v66
	v_cmp_eq_u32_e64 s[12:13], 13, v66
	v_cmp_eq_u32_e64 s[14:15], 12, v66
	v_cmp_eq_u32_e64 s[16:17], 11, v66
	v_cmp_eq_u32_e64 s[18:19], 10, v66
	v_cmp_eq_u32_e64 s[20:21], 9, v66
	v_cmp_eq_u32_e64 s[22:23], 8, v66
	v_cmp_eq_u32_e64 s[24:25], 7, v66
	v_cmp_eq_u32_e64 s[26:27], 6, v66
	v_cmp_eq_u32_e32 vcc, 5, v66
	v_cmp_eq_u32_e64 s[6:7], 4, v66
	v_cmp_eq_u32_e64 s[28:29], 3, v66
	;; [unrolled: 1-line block ×3, first 2 shown]
	v_lshl_add_u64 v[0:1], s[34:35], 0, v[16:17]
	v_cmp_lt_i32_e64 s[34:35], s76, v68
	v_lshl_add_u64 v[42:43], v[18:19], 1, v[0:1]
	v_or_b32_e32 v39, v41, v39
	;;#ASMSTART
	global_atomic_pk_add_f16 v[42:43], v39, off
	
	;;#ASMEND
	s_and_b64 exec, exec, s[34:35]
	s_cbranch_execz .LBB243_29
; %bb.22:                               ;   in Loop: Header=BB243_7 Depth=1
	v_cndmask_b32_e64 v14, v14, v38, s[28:29]
	v_cndmask_b32_e64 v15, v15, v38, s[30:31]
	v_cvt_f16_f32_e32 v39, v15
	v_cvt_f16_f32_sdwa v41, v14 dst_sel:WORD_1 dst_unused:UNUSED_PAD src0_sel:DWORD
	v_cndmask_b32_e64 v4, v4, v38, s[8:9]
	v_cndmask_b32_e64 v5, v5, v38, s[10:11]
	;; [unrolled: 1-line block ×10, first 2 shown]
	v_cndmask_b32_e32 v2, v2, v38, vcc
	v_cndmask_b32_e64 v3, v3, v38, s[6:7]
	v_cmp_lt_i32_e32 vcc, s76, v69
	v_lshl_add_u64 v[14:15], v[20:21], 1, v[0:1]
	v_or_b32_e32 v38, v41, v39
	;;#ASMSTART
	global_atomic_pk_add_f16 v[14:15], v38, off
	
	;;#ASMEND
	s_and_b64 exec, exec, vcc
	s_cbranch_execz .LBB243_29
; %bb.23:                               ;   in Loop: Header=BB243_7 Depth=1
	v_cvt_f16_f32_e32 v14, v3
	v_cvt_f16_f32_sdwa v15, v2 dst_sel:WORD_1 dst_unused:UNUSED_PAD src0_sel:DWORD
	v_cmp_lt_i32_e32 vcc, s76, v70
	v_lshl_add_u64 v[2:3], v[22:23], 1, v[0:1]
	v_or_b32_e32 v14, v15, v14
	;;#ASMSTART
	global_atomic_pk_add_f16 v[2:3], v14, off
	
	;;#ASMEND
	s_and_b64 exec, exec, vcc
	s_cbranch_execz .LBB243_29
; %bb.24:                               ;   in Loop: Header=BB243_7 Depth=1
	v_cvt_f16_f32_e32 v13, v13
	v_cvt_f16_f32_sdwa v12, v12 dst_sel:WORD_1 dst_unused:UNUSED_PAD src0_sel:DWORD
	;; [unrolled: 12-line block ×6, first 2 shown]
	v_lshl_add_u64 v[0:1], v[32:33], 1, v[0:1]
	v_or_b32_e32 v2, v3, v2
	;;#ASMSTART
	global_atomic_pk_add_f16 v[0:1], v2, off
	
	;;#ASMEND
.LBB243_29:                             ;   in Loop: Header=BB243_7 Depth=1
	s_or_b64 exec, exec, s[60:61]
	v_subrev_u32_e32 v79, s77, v79
.LBB243_30:                             ;   in Loop: Header=BB243_7 Depth=1
	s_or_b64 exec, exec, s[58:59]
.LBB243_31:                             ;   in Loop: Header=BB243_7 Depth=1
	s_andn2_saveexec_b64 s[6:7], s[56:57]
	s_cbranch_execz .LBB243_40
; %bb.32:                               ;   in Loop: Header=BB243_7 Depth=1
	v_cmp_gt_i32_e32 vcc, s77, v79
	s_and_saveexec_b64 s[8:9], vcc
	s_cbranch_execz .LBB243_39
; %bb.33:                               ;   in Loop: Header=BB243_7 Depth=1
	s_mul_i32 s10, s54, s39
	s_ashr_i32 s11, s10, 31
	s_waitcnt lgkmcnt(0)
	s_add_u32 s10, s46, s10
	s_addc_u32 s11, s47, s11
	s_ashr_i32 s12, s75, 31
	s_add_u32 s10, s10, s75
	s_addc_u32 s11, s11, s12
	v_lshl_add_u64 v[0:1], s[10:11], 0, v[36:37]
	v_lshl_add_u64 v[38:39], v[0:1], 0, v[34:35]
	s_mov_b64 s[10:11], 0
	s_branch .LBB243_35
.LBB243_34:                             ;   in Loop: Header=BB243_35 Depth=2
	s_or_b64 exec, exec, s[12:13]
	v_lshl_add_u32 v42, v40, 12, v75
	;;#ASMSTART
	s_waitcnt vmcnt(3)
	;;#ASMEND
	ds_write2_b32 v42, v12, v13 offset1:32
	ds_write2_b32 v42, v14, v15 offset0:64 offset1:96
	v_add_u32_e32 v12, 0x400, v42
	;;#ASMSTART
	s_waitcnt vmcnt(2)
	;;#ASMEND
	ds_write2_b32 v12, v8, v9 offset1:32
	ds_write2_b32 v12, v10, v11 offset0:64 offset1:96
	v_add_u32_e32 v8, 0x800, v42
	;; [unrolled: 6-line block ×3, first 2 shown]
	v_add_u32_e32 v79, s42, v79
	;;#ASMSTART
	s_waitcnt vmcnt(0)
	;;#ASMEND
	ds_write2_b32 v4, v0, v1 offset1:32
	ds_write2_b32 v4, v2, v3 offset0:64 offset1:96
	v_add_u32_e32 v0, 1, v55
	v_add_u32_e32 v40, s42, v40
	v_cmp_le_i32_e32 vcc, s77, v79
	ds_write_b32 v41, v0 offset:24
	v_add_u32_e32 v0, 2, v55
	s_or_b64 s[10:11], vcc, s[10:11]
	v_cmp_lt_i32_e32 vcc, 1, v40
	s_nop 1
	v_cndmask_b32_e32 v55, v55, v0, vcc
	s_andn2_b64 exec, exec, s[10:11]
	s_cbranch_execz .LBB243_38
.LBB243_35:                             ;   Parent Loop BB243_7 Depth=1
                                        ; =>  This Loop Header: Depth=2
                                        ;       Child Loop BB243_37 Depth 3
	v_cmp_gt_i32_e32 vcc, 2, v40
	s_nop 1
	v_cndmask_b32_e64 v0, -2, 0, vcc
	v_add_u32_e32 v40, v0, v40
	v_lshlrev_b32_e32 v0, 7, v79
	v_ashrrev_i32_e32 v1, 31, v0
	v_lshl_add_u64 v[0:1], v[38:39], 0, v[0:1]
	v_lshlrev_b32_e32 v41, 2, v40
	;;#ASMSTART
	global_load_dwordx4 v[12:15], v[0:1], off offset:0   sc0 sc1 nt  
	global_load_dwordx4 v[8:11], v[0:1], off offset:32  sc0 sc1 nt  
	global_load_dwordx4 v[4:7], v[0:1], off offset:64  sc0 sc1 nt  
	global_load_dwordx4 v[0:3], v[0:1], off offset:96  sc0 sc1 nt  
	
	;;#ASMEND
	ds_read_b32 v42, v41 offset:32792
	v_add_u32_e32 v41, 0x8000, v41
	s_waitcnt lgkmcnt(0)
	v_cmp_ne_u32_e32 vcc, v42, v55
	s_and_saveexec_b64 s[12:13], vcc
	s_cbranch_execz .LBB243_34
; %bb.36:                               ;   in Loop: Header=BB243_35 Depth=2
	s_mov_b64 s[14:15], 0
.LBB243_37:                             ;   Parent Loop BB243_7 Depth=1
                                        ;     Parent Loop BB243_35 Depth=2
                                        ; =>    This Inner Loop Header: Depth=3
	;;#ASMSTART
	s_sleep 0
	;;#ASMEND
	ds_read_b32 v42, v41 offset:24
	s_waitcnt lgkmcnt(0)
	v_cmp_eq_u32_e32 vcc, v42, v55
	s_or_b64 s[14:15], vcc, s[14:15]
	s_andn2_b64 exec, exec, s[14:15]
	s_cbranch_execnz .LBB243_37
	s_branch .LBB243_34
.LBB243_38:                             ;   in Loop: Header=BB243_7 Depth=1
	s_or_b64 exec, exec, s[10:11]
.LBB243_39:                             ;   in Loop: Header=BB243_7 Depth=1
	s_or_b64 exec, exec, s[8:9]
	v_subrev_u32_e32 v79, s77, v79
.LBB243_40:                             ;   in Loop: Header=BB243_7 Depth=1
	s_or_b64 exec, exec, s[6:7]
.LBB243_41:                             ;   in Loop: Header=BB243_7 Depth=1
	s_andn2_saveexec_b64 s[6:7], s[52:53]
	s_cbranch_execz .LBB243_6
; %bb.42:                               ;   in Loop: Header=BB243_7 Depth=1
	s_mul_i32 s77, s77, 3
	v_cmp_gt_i32_e32 vcc, s77, v79
	s_and_saveexec_b64 s[8:9], vcc
	s_cbranch_execz .LBB243_5
; %bb.43:                               ;   in Loop: Header=BB243_7 Depth=1
	s_mul_i32 s74, s74, s38
	s_max_i32 s12, s76, 0
	s_ashr_i32 s10, s74, 31
	s_waitcnt lgkmcnt(0)
	s_add_u32 s11, s44, s74
	v_add_u32_e32 v2, s12, v56
	s_addc_u32 s13, s45, s10
	s_ashr_i32 s14, s75, 31
	v_cmp_gt_u32_e32 vcc, s72, v2
	s_add_u32 s10, s11, s75
	s_addc_u32 s11, s13, s14
	v_cndmask_b32_e32 v0, 0, v76, vcc
	v_ashrrev_i32_e32 v1, 31, v0
	v_lshl_add_u64 v[0:1], s[10:11], 0, v[0:1]
	v_lshl_add_u64 v[38:39], v[0:1], 0, v[34:35]
	v_sub_u32_e32 v41, 0x5f, v2
	s_mov_b64 s[10:11], 0
	s_branch .LBB243_45
.LBB243_44:                             ;   in Loop: Header=BB243_45 Depth=2
	s_or_b64 exec, exec, s[12:13]
	v_lshl_or_b32 v43, v40, 12, v77
	;;#ASMSTART
	s_waitcnt vmcnt(3)
	;;#ASMEND
	ds_write2_b32 v43, v12, v13 offset1:32
	ds_write2_b32 v43, v14, v15 offset0:64 offset1:96
	v_add_u32_e32 v12, 0x400, v43
	;;#ASMSTART
	s_waitcnt vmcnt(2)
	;;#ASMEND
	ds_write2_b32 v12, v8, v9 offset1:32
	ds_write2_b32 v12, v10, v11 offset0:64 offset1:96
	v_add_u32_e32 v8, 0x800, v43
	;; [unrolled: 6-line block ×3, first 2 shown]
	v_add_u32_e32 v79, s41, v79
	;;#ASMSTART
	s_waitcnt vmcnt(0)
	;;#ASMEND
	ds_write2_b32 v4, v0, v1 offset1:32
	ds_write2_b32 v4, v2, v3 offset0:64 offset1:96
	v_add_u32_e32 v0, 1, v55
	v_add_u32_e32 v40, s41, v40
	v_cmp_le_i32_e32 vcc, s77, v79
	ds_write_b32 v42, v0
	v_add_u32_e32 v0, 2, v55
	s_or_b64 s[10:11], vcc, s[10:11]
	v_cmp_lt_i32_e32 vcc, 5, v40
	s_nop 1
	v_cndmask_b32_e32 v55, v55, v0, vcc
	s_andn2_b64 exec, exec, s[10:11]
	s_cbranch_execz .LBB243_4
.LBB243_45:                             ;   Parent Loop BB243_7 Depth=1
                                        ; =>  This Loop Header: Depth=2
                                        ;       Child Loop BB243_47 Depth 3
	v_cmp_gt_i32_e32 vcc, 6, v40
	s_nop 1
	v_cndmask_b32_e64 v0, -6, 0, vcc
	v_add_u32_e32 v40, v0, v40
	v_mul_hi_i32 v0, v79, s73
	v_lshrrev_b32_e32 v1, 31, v0
	v_add_u32_e32 v0, v0, v1
	v_lshl_add_u32 v1, v0, 1, v0
	v_sub_u32_e32 v1, v79, v1
	v_lshlrev_b32_e32 v1, 5, v1
	v_cmp_le_i32_e32 vcc, v1, v41
	v_lshlrev_b32_e32 v0, 7, v0
	v_lshlrev_b32_e32 v42, 2, v40
	v_cndmask_b32_e32 v2, 0, v1, vcc
	v_ashrrev_i32_e32 v1, 31, v0
	v_mul_lo_u32 v2, v2, s38
	v_lshl_add_u64 v[0:1], v[38:39], 0, v[0:1]
	v_ashrrev_i32_e32 v3, 31, v2
	v_lshl_add_u64 v[0:1], v[0:1], 0, v[2:3]
	;;#ASMSTART
	global_load_dwordx4 v[12:15], v[0:1], off offset:0   
	global_load_dwordx4 v[8:11], v[0:1], off offset:32  
	;; [unrolled: 1-line block ×4, first 2 shown]
	
	;;#ASMEND
	ds_read_b32 v43, v42 offset:32768
	v_add_u32_e32 v42, 0x8000, v42
	s_waitcnt lgkmcnt(0)
	v_cmp_ne_u32_e32 vcc, v43, v55
	s_and_saveexec_b64 s[12:13], vcc
	s_cbranch_execz .LBB243_44
; %bb.46:                               ;   in Loop: Header=BB243_45 Depth=2
	s_mov_b64 s[14:15], 0
.LBB243_47:                             ;   Parent Loop BB243_7 Depth=1
                                        ;     Parent Loop BB243_45 Depth=2
                                        ; =>    This Inner Loop Header: Depth=3
	;;#ASMSTART
	s_sleep 0
	;;#ASMEND
	ds_read_b32 v43, v42
	s_waitcnt lgkmcnt(0)
	v_cmp_eq_u32_e32 vcc, v43, v55
	s_or_b64 s[14:15], vcc, s[14:15]
	s_andn2_b64 exec, exec, s[14:15]
	s_cbranch_execnz .LBB243_47
	s_branch .LBB243_44
.LBB243_48:
	s_endpgm
	.section	.rodata,"a",@progbits
	.p2align	6, 0x0
	.amdhsa_kernel _Z19_skinny_gemm_kernelILi3ELi1ELi2ELi32ELi8EEvPKhS1_P6__halfPKfiiiiiiii
		.amdhsa_group_segment_fixed_size 32800
		.amdhsa_private_segment_fixed_size 0
		.amdhsa_kernarg_size 64
		.amdhsa_user_sgpr_count 2
		.amdhsa_user_sgpr_dispatch_ptr 0
		.amdhsa_user_sgpr_queue_ptr 0
		.amdhsa_user_sgpr_kernarg_segment_ptr 1
		.amdhsa_user_sgpr_dispatch_id 0
		.amdhsa_user_sgpr_kernarg_preload_length 0
		.amdhsa_user_sgpr_kernarg_preload_offset 0
		.amdhsa_user_sgpr_private_segment_size 0
		.amdhsa_uses_dynamic_stack 0
		.amdhsa_enable_private_segment 0
		.amdhsa_system_sgpr_workgroup_id_x 1
		.amdhsa_system_sgpr_workgroup_id_y 0
		.amdhsa_system_sgpr_workgroup_id_z 0
		.amdhsa_system_sgpr_workgroup_info 0
		.amdhsa_system_vgpr_workitem_id 0
		.amdhsa_next_free_vgpr 87
		.amdhsa_next_free_sgpr 78
		.amdhsa_accum_offset 88
		.amdhsa_reserve_vcc 1
		.amdhsa_float_round_mode_32 0
		.amdhsa_float_round_mode_16_64 0
		.amdhsa_float_denorm_mode_32 3
		.amdhsa_float_denorm_mode_16_64 3
		.amdhsa_dx10_clamp 1
		.amdhsa_ieee_mode 1
		.amdhsa_fp16_overflow 0
		.amdhsa_tg_split 0
		.amdhsa_exception_fp_ieee_invalid_op 0
		.amdhsa_exception_fp_denorm_src 0
		.amdhsa_exception_fp_ieee_div_zero 0
		.amdhsa_exception_fp_ieee_overflow 0
		.amdhsa_exception_fp_ieee_underflow 0
		.amdhsa_exception_fp_ieee_inexact 0
		.amdhsa_exception_int_div_zero 0
	.end_amdhsa_kernel
	.section	.text._Z19_skinny_gemm_kernelILi3ELi1ELi2ELi32ELi8EEvPKhS1_P6__halfPKfiiiiiiii,"axG",@progbits,_Z19_skinny_gemm_kernelILi3ELi1ELi2ELi32ELi8EEvPKhS1_P6__halfPKfiiiiiiii,comdat
.Lfunc_end243:
	.size	_Z19_skinny_gemm_kernelILi3ELi1ELi2ELi32ELi8EEvPKhS1_P6__halfPKfiiiiiiii, .Lfunc_end243-_Z19_skinny_gemm_kernelILi3ELi1ELi2ELi32ELi8EEvPKhS1_P6__halfPKfiiiiiiii
                                        ; -- End function
	.set _Z19_skinny_gemm_kernelILi3ELi1ELi2ELi32ELi8EEvPKhS1_P6__halfPKfiiiiiiii.num_vgpr, 87
	.set _Z19_skinny_gemm_kernelILi3ELi1ELi2ELi32ELi8EEvPKhS1_P6__halfPKfiiiiiiii.num_agpr, 0
	.set _Z19_skinny_gemm_kernelILi3ELi1ELi2ELi32ELi8EEvPKhS1_P6__halfPKfiiiiiiii.numbered_sgpr, 78
	.set _Z19_skinny_gemm_kernelILi3ELi1ELi2ELi32ELi8EEvPKhS1_P6__halfPKfiiiiiiii.num_named_barrier, 0
	.set _Z19_skinny_gemm_kernelILi3ELi1ELi2ELi32ELi8EEvPKhS1_P6__halfPKfiiiiiiii.private_seg_size, 0
	.set _Z19_skinny_gemm_kernelILi3ELi1ELi2ELi32ELi8EEvPKhS1_P6__halfPKfiiiiiiii.uses_vcc, 1
	.set _Z19_skinny_gemm_kernelILi3ELi1ELi2ELi32ELi8EEvPKhS1_P6__halfPKfiiiiiiii.uses_flat_scratch, 0
	.set _Z19_skinny_gemm_kernelILi3ELi1ELi2ELi32ELi8EEvPKhS1_P6__halfPKfiiiiiiii.has_dyn_sized_stack, 0
	.set _Z19_skinny_gemm_kernelILi3ELi1ELi2ELi32ELi8EEvPKhS1_P6__halfPKfiiiiiiii.has_recursion, 0
	.set _Z19_skinny_gemm_kernelILi3ELi1ELi2ELi32ELi8EEvPKhS1_P6__halfPKfiiiiiiii.has_indirect_call, 0
	.section	.AMDGPU.csdata,"",@progbits
; Kernel info:
; codeLenInByte = 6432
; TotalNumSgprs: 84
; NumVgprs: 87
; NumAgprs: 0
; TotalNumVgprs: 87
; ScratchSize: 0
; MemoryBound: 0
; FloatMode: 240
; IeeeMode: 1
; LDSByteSize: 32800 bytes/workgroup (compile time only)
; SGPRBlocks: 10
; VGPRBlocks: 10
; NumSGPRsForWavesPerEU: 84
; NumVGPRsForWavesPerEU: 87
; AccumOffset: 88
; Occupancy: 5
; WaveLimiterHint : 0
; COMPUTE_PGM_RSRC2:SCRATCH_EN: 0
; COMPUTE_PGM_RSRC2:USER_SGPR: 2
; COMPUTE_PGM_RSRC2:TRAP_HANDLER: 0
; COMPUTE_PGM_RSRC2:TGID_X_EN: 1
; COMPUTE_PGM_RSRC2:TGID_Y_EN: 0
; COMPUTE_PGM_RSRC2:TGID_Z_EN: 0
; COMPUTE_PGM_RSRC2:TIDIG_COMP_CNT: 0
; COMPUTE_PGM_RSRC3_GFX90A:ACCUM_OFFSET: 21
; COMPUTE_PGM_RSRC3_GFX90A:TG_SPLIT: 0
	.section	.text._Z19_skinny_gemm_kernelILi3ELi1ELi3ELi16ELi4EEvPKhS1_P6__halfPKfiiiiiiii,"axG",@progbits,_Z19_skinny_gemm_kernelILi3ELi1ELi3ELi16ELi4EEvPKhS1_P6__halfPKfiiiiiiii,comdat
	.protected	_Z19_skinny_gemm_kernelILi3ELi1ELi3ELi16ELi4EEvPKhS1_P6__halfPKfiiiiiiii ; -- Begin function _Z19_skinny_gemm_kernelILi3ELi1ELi3ELi16ELi4EEvPKhS1_P6__halfPKfiiiiiiii
	.globl	_Z19_skinny_gemm_kernelILi3ELi1ELi3ELi16ELi4EEvPKhS1_P6__halfPKfiiiiiiii
	.p2align	8
	.type	_Z19_skinny_gemm_kernelILi3ELi1ELi3ELi16ELi4EEvPKhS1_P6__halfPKfiiiiiiii,@function
_Z19_skinny_gemm_kernelILi3ELi1ELi3ELi16ELi4EEvPKhS1_P6__halfPKfiiiiiiii: ; @_Z19_skinny_gemm_kernelILi3ELi1ELi3ELi16ELi4EEvPKhS1_P6__halfPKfiiiiiiii
; %bb.0:
	v_cmp_gt_u32_e32 vcc, 12, v0
	v_lshlrev_b32_e32 v1, 2, v0
	s_and_saveexec_b64 s[4:5], vcc
; %bb.1:
	v_mov_b32_e32 v2, 0
	ds_write_b32 v1, v2 offset:24576
; %bb.2:
	s_or_b64 exec, exec, s[4:5]
	s_load_dwordx8 s[12:19], s[0:1], 0x20
	s_waitcnt lgkmcnt(0)
	s_barrier
	s_add_i32 s3, s12, 47
	s_add_i32 s4, s13, 15
	s_mul_hi_i32 s3, s3, 0x2aaaaaab
	s_lshr_b32 s5, s3, 31
	s_ashr_i32 s33, s3, 3
	s_ashr_i32 s3, s4, 31
	s_lshr_b32 s3, s3, 28
	s_add_i32 s4, s4, s3
	s_add_i32 s33, s33, s5
	s_ashr_i32 s42, s4, 4
	s_mul_i32 s3, s42, s33
	s_mul_i32 s3, s3, s16
	s_add_i32 s4, s3, 0x12f
	s_mul_hi_i32 s4, s4, 0x6bca1af3
	s_lshr_b32 s5, s4, 31
	s_ashr_i32 s4, s4, 7
	s_add_i32 s4, s4, s5
	s_add_i32 s5, s2, 1
	s_mul_i32 s5, s4, s5
	v_cvt_f64_i32_e32 v[2:3], s3
	v_cvt_f64_u32_e32 v[4:5], s5
	v_min_f64 v[2:3], v[2:3], v[4:5]
	v_cvt_i32_f64_e32 v13, v[2:3]
	s_mul_i32 s43, s4, s2
	v_cmp_ge_i32_e32 vcc, s43, v13
	s_cbranch_vccnz .LBB244_52
; %bb.3:
	v_lshrrev_b32_e32 v2, 6, v0
	s_add_i32 s4, s18, s17
	s_load_dwordx8 s[20:27], s[0:1], 0x0
	v_cmp_le_i32_e64 s[0:1], s4, v2
	v_mov_b32_e32 v3, s17
	v_cmp_le_i32_e64 s[2:3], s17, v2
	v_mov_b32_e32 v4, s18
	v_cndmask_b32_e64 v4, 0, v4, s[0:1]
	v_cndmask_b32_e64 v3, 0, v3, s[2:3]
	s_abs_i32 s5, s16
	v_add_u32_e32 v3, v3, v4
	v_cvt_f32_u32_e32 v4, s5
	v_sub_u32_e32 v28, v2, v3
	s_ashr_i32 s6, s14, 31
	s_lshr_b32 s6, s6, 25
	v_rcp_iflag_f32_e32 v3, v4
	s_sub_i32 s9, 0, s5
	s_add_i32 s6, s14, s6
	s_ashr_i32 s6, s6, 7
	v_mul_f32_e32 v3, 0x4f7ffffe, v3
	v_cvt_u32_f32_e32 v3, v3
	s_abs_i32 s8, s6
	s_xor_b32 s7, s6, s16
	s_ashr_i32 s7, s7, 31
	v_readfirstlane_b32 s10, v3
	s_mul_i32 s9, s9, s10
	s_mul_hi_u32 s9, s10, s9
	s_add_i32 s10, s10, s9
	s_mul_hi_u32 s9, s8, s10
	s_mul_i32 s10, s9, s5
	s_sub_i32 s8, s8, s10
	s_add_i32 s10, s9, 1
	s_sub_i32 s11, s8, s5
	s_cmp_ge_u32 s8, s5
	s_cselect_b32 s9, s10, s9
	s_cselect_b32 s8, s11, s8
	s_add_i32 s10, s9, 1
	s_cmp_ge_u32 s8, s5
	s_cselect_b32 s5, s10, s9
	s_xor_b32 s5, s5, s7
	s_sub_i32 s44, s5, s7
	s_add_i32 s16, s16, -1
	s_mul_i32 s5, s44, s16
	s_add_i32 s4, s4, s19
	s_sub_i32 s45, s6, s5
	v_cmp_gt_i32_e64 s[4:5], s4, v2
	v_lshlrev_b32_e32 v2, 1, v0
	v_lshlrev_b32_e32 v3, 4, v0
	v_and_b32_e32 v1, 60, v1
	v_and_b32_e32 v2, 64, v2
	;; [unrolled: 1-line block ×3, first 2 shown]
	v_or3_b32 v33, v1, v2, v4
	v_and_b32_e32 v1, 1, v0
	v_lshrrev_b32_e32 v4, 2, v0
	s_abs_i32 s46, s33
	v_and_or_b32 v37, v4, 12, v1
	v_cvt_f32_u32_e32 v4, s46
	v_lshlrev_b32_e32 v2, 1, v1
	v_and_b32_e32 v12, 14, v0
	v_sub_u32_e32 v2, v0, v2
	v_bitop3_b32 v35, v0, 1, v0 bitop3:0xc
	v_bitop3_b32 v36, v0, 3, 1 bitop3:0x6c
	v_and_b32_e32 v20, 48, v3
	v_bfe_u32 v40, v0, 2, 4
	v_and_b32_e32 v1, 60, v0
	v_lshlrev_b32_e32 v3, 8, v0
	v_lshlrev_b32_e32 v0, 6, v0
	v_and_b32_e32 v3, 0x200, v3
	v_and_b32_e32 v0, 64, v0
	v_rcp_iflag_f32_e32 v4, v4
	s_abs_i32 s47, s42
	v_or3_b32 v41, v1, v3, v0
	v_cvt_f32_u32_e32 v1, s47
	v_mul_f32_e32 v0, 0x4f7ffffe, v4
	v_cvt_u32_f32_e32 v0, v0
	v_mad_u64_u32 v[14:15], s[6:7], s13, v37, v[12:13]
	v_rcp_iflag_f32_e32 v1, v1
	s_lshl_b32 s6, s13, 4
	v_readfirstlane_b32 s7, v0
	v_add_u32_e32 v16, s6, v14
	v_mul_f32_e32 v0, 0x4f7ffffe, v1
	v_cvt_u32_f32_e32 v0, v0
	v_add_u32_e32 v18, s6, v16
	s_sub_i32 s6, 0, s46
	s_mul_i32 s6, s6, s7
	s_mul_hi_u32 s6, s7, s6
	v_add_u32_e32 v2, 1, v2
	s_add_i32 s49, s7, s6
	s_sub_i32 s6, 0, s47
	v_readfirstlane_b32 s7, v0
	v_mbcnt_lo_u32_b32 v0, -1, 0
	v_and_b32_e32 v2, 63, v2
	s_mul_i32 s6, s6, s7
	v_mbcnt_hi_u32_b32 v0, -1, v0
	v_mul_lo_u32 v22, s15, v40
	s_mul_hi_u32 s6, s7, s6
	v_and_or_b32 v0, v0, 64, v2
	v_cndmask_b32_e64 v32, 0, 1, s[0:1]
	v_or_b32_e32 v34, 0x4800, v33
	s_ashr_i32 s11, s13, 31
	s_mov_b32 s10, s13
	v_ashrrev_i32_e32 v15, 31, v14
	v_or_b32_e32 v38, 16, v37
	v_ashrrev_i32_e32 v17, 31, v16
	v_or_b32_e32 v39, 32, v37
	v_ashrrev_i32_e32 v19, 31, v18
	v_ashrrev_i32_e32 v23, 31, v22
	v_mov_b32_e32 v21, 0
	v_or_b32_e32 v42, 0x4800, v41
	v_mul_lo_u32 v43, s14, v40
	s_ashr_i32 s48, s33, 31
	s_ashr_i32 s50, s42, 31
	s_add_i32 s51, s7, s6
	s_movk_i32 s52, 0x1800
	s_mov_b32 s53, 0x55555556
	v_lshlrev_b32_e32 v44, 2, v0
	v_mov_b32_e32 v45, v28
	s_branch .LBB244_7
.LBB244_4:                              ;   in Loop: Header=BB244_7 Depth=1
	s_or_b64 exec, exec, s[28:29]
.LBB244_5:                              ;   in Loop: Header=BB244_7 Depth=1
	s_or_b64 exec, exec, s[8:9]
	v_subrev_u32_e32 v45, s57, v45
.LBB244_6:                              ;   in Loop: Header=BB244_7 Depth=1
	s_or_b64 exec, exec, s[6:7]
	s_add_i32 s43, s43, 1
	v_cmp_ge_i32_e32 vcc, s43, v13
	s_cbranch_vccnz .LBB244_52
.LBB244_7:                              ; =>This Loop Header: Depth=1
                                        ;     Child Loop BB244_13 Depth 2
                                        ;       Child Loop BB244_15 Depth 3
                                        ;       Child Loop BB244_18 Depth 3
	;; [unrolled: 1-line block ×4, first 2 shown]
                                        ;     Child Loop BB244_39 Depth 2
                                        ;       Child Loop BB244_41 Depth 3
                                        ;     Child Loop BB244_49 Depth 2
                                        ;       Child Loop BB244_51 Depth 3
	s_abs_i32 s7, s43
	s_mul_hi_u32 s8, s7, s49
	s_mul_i32 s9, s8, s46
	s_ashr_i32 s6, s43, 31
	s_sub_i32 s7, s7, s9
	s_xor_b32 s6, s6, s48
	s_add_i32 s9, s8, 1
	s_sub_i32 s28, s7, s46
	s_cmp_ge_u32 s7, s46
	s_cselect_b32 s8, s9, s8
	s_cselect_b32 s7, s28, s7
	s_add_i32 s9, s8, 1
	s_cmp_ge_u32 s7, s46
	s_cselect_b32 s7, s9, s8
	s_xor_b32 s7, s7, s6
	s_sub_i32 s6, s7, s6
	s_abs_i32 s8, s6
	s_mul_hi_u32 s9, s8, s51
	s_mul_i32 s7, s6, s33
	s_mul_i32 s28, s9, s47
	s_sub_i32 s54, s43, s7
	s_ashr_i32 s7, s6, 31
	s_sub_i32 s8, s8, s28
	s_xor_b32 s7, s7, s50
	s_add_i32 s28, s9, 1
	s_sub_i32 s29, s8, s47
	s_cmp_ge_u32 s8, s47
	s_cselect_b32 s9, s28, s9
	s_cselect_b32 s8, s29, s8
	s_add_i32 s28, s9, 1
	s_cmp_ge_u32 s8, s47
	s_cselect_b32 s8, s28, s9
	s_xor_b32 s8, s8, s7
	s_sub_i32 s7, s8, s7
	s_mul_i32 s8, s7, s44
	s_lshl_b32 s55, s8, 7
	s_mul_i32 s54, s54, 48
	s_cmp_eq_u32 s7, s16
	s_cselect_b32 s57, s45, s44
	s_sub_i32 s8, s54, s12
	s_add_i32 s8, s8, 48
	s_max_i32 s56, s8, 0
	s_and_saveexec_b64 s[8:9], s[2:3]
	s_xor_b64 s[28:29], exec, s[8:9]
	s_cbranch_execz .LBB244_45
; %bb.8:                                ;   in Loop: Header=BB244_7 Depth=1
	s_mul_i32 s7, s7, s42
	s_sub_i32 s6, s6, s7
	s_lshl_b32 s6, s6, 4
	s_sub_i32 s31, s6, s13
	s_add_i32 s31, s31, 16
	s_max_i32 s7, s31, 0
	s_sub_i32 s30, s6, s7
	s_and_saveexec_b64 s[6:7], s[0:1]
	s_xor_b64 s[34:35], exec, s[6:7]
	s_cbranch_execz .LBB244_35
; %bb.9:                                ;   in Loop: Header=BB244_7 Depth=1
	s_and_saveexec_b64 s[36:37], s[4:5]
	s_cbranch_execz .LBB244_34
; %bb.10:                               ;   in Loop: Header=BB244_7 Depth=1
	s_waitcnt lgkmcnt(0)
	global_load_dword v46, v21, s[26:27]
	v_mov_b32_e32 v11, 0
	v_cmp_gt_i32_e32 vcc, s57, v45
	v_mov_b32_e32 v10, v11
	v_mov_b32_e32 v9, v11
	;; [unrolled: 1-line block ×11, first 2 shown]
	s_and_saveexec_b64 s[6:7], vcc
	s_cbranch_execz .LBB244_26
; %bb.11:                               ;   in Loop: Header=BB244_7 Depth=1
	v_mov_b32_e32 v0, 0
	s_mov_b64 s[8:9], 0
	v_mov_b32_e32 v1, v0
	v_mov_b32_e32 v2, v0
	;; [unrolled: 1-line block ×11, first 2 shown]
	s_branch .LBB244_13
.LBB244_12:                             ;   in Loop: Header=BB244_13 Depth=2
	s_or_b64 exec, exec, s[38:39]
	v_add_u32_e32 v51, 0x1000, v50
	ds_read2_b32 v[52:53], v51 offset1:32
	ds_read2_b32 v[54:55], v51 offset0:128 offset1:160
	v_add_u32_e32 v56, 0x1400, v50
	ds_read2_b32 v[50:51], v56 offset1:32
	v_add_u32_e32 v45, s19, v45
	s_waitcnt lgkmcnt(2)
	v_mfma_f32_16x16x32_fp8_fp8 v[0:3], v[52:53], v[28:29], v[0:3]
	v_add_u32_e32 v28, s19, v47
	v_cmp_le_i32_e32 vcc, s57, v45
	v_add_u32_e32 v29, 2, v32
	s_waitcnt lgkmcnt(1)
	v_mfma_f32_16x16x32_fp8_fp8 v[0:3], v[54:55], v[30:31], v[0:3]
	ds_read2_b32 v[30:31], v56 offset0:128 offset1:160
	s_or_b64 s[8:9], vcc, s[8:9]
	v_cmp_lt_i32_e32 vcc, 2, v28
	s_waitcnt lgkmcnt(1)
	v_mfma_f32_16x16x32_fp8_fp8 v[0:3], v[50:51], v[26:27], v[0:3]
	;;#ASMSTART
	s_waitcnt lgkmcnt(0)
	;;#ASMEND
	ds_write_b32 v48, v49 offset:24584
	v_cndmask_b32_e32 v32, v32, v29, vcc
	s_waitcnt lgkmcnt(1)
	v_mfma_f32_16x16x32_fp8_fp8 v[0:3], v[30:31], v[24:25], v[0:3]
	s_andn2_b64 exec, exec, s[8:9]
	s_cbranch_execz .LBB244_25
.LBB244_13:                             ;   Parent Loop BB244_7 Depth=1
                                        ; =>  This Loop Header: Depth=2
                                        ;       Child Loop BB244_15 Depth 3
                                        ;       Child Loop BB244_18 Depth 3
	;; [unrolled: 1-line block ×4, first 2 shown]
	v_cmp_gt_i32_e32 vcc, 3, v28
	s_nop 1
	v_cndmask_b32_e64 v24, -3, 0, vcc
	v_add_u32_e32 v47, v24, v28
	v_lshlrev_b32_e32 v24, 2, v47
	ds_read_b32 v25, v24 offset:24612
	v_add_u32_e32 v50, 0x6000, v24
	s_waitcnt lgkmcnt(0)
	v_cmp_ne_u32_e32 vcc, v25, v32
	s_and_saveexec_b64 s[38:39], vcc
	s_cbranch_execz .LBB244_16
; %bb.14:                               ;   in Loop: Header=BB244_13 Depth=2
	s_mov_b64 s[40:41], 0
.LBB244_15:                             ;   Parent Loop BB244_7 Depth=1
                                        ;     Parent Loop BB244_13 Depth=2
                                        ; =>    This Inner Loop Header: Depth=3
	;;#ASMSTART
	s_sleep 0
	;;#ASMEND
	ds_read_b32 v24, v50 offset:36
	s_waitcnt lgkmcnt(0)
	v_cmp_eq_u32_e32 vcc, v24, v32
	s_or_b64 s[40:41], vcc, s[40:41]
	s_andn2_b64 exec, exec, s[40:41]
	s_cbranch_execnz .LBB244_15
.LBB244_16:                             ;   in Loop: Header=BB244_13 Depth=2
	s_or_b64 exec, exec, s[38:39]
	v_lshl_add_u32 v24, v47, 11, v34
	ds_read2_b32 v[28:29], v24 offset1:32
	ds_read2_b32 v[30:31], v24 offset0:128 offset1:160
	v_add_u32_e32 v24, 0x400, v24
	v_mul_lo_u32 v48, v47, 12
	ds_read2_b32 v[26:27], v24 offset1:32
	ds_read2_b32 v[24:25], v24 offset0:128 offset1:160
	;;#ASMSTART
	s_waitcnt lgkmcnt(0)
	;;#ASMEND
	ds_read_b32 v51, v48 offset:24576
	v_add_u32_e32 v49, 1, v32
	ds_write_b32 v50, v49 offset:36
	s_waitcnt lgkmcnt(1)
	v_cmp_ne_u32_e32 vcc, v51, v32
	s_and_saveexec_b64 s[38:39], vcc
	s_cbranch_execz .LBB244_19
; %bb.17:                               ;   in Loop: Header=BB244_13 Depth=2
	s_mov_b64 s[40:41], 0
.LBB244_18:                             ;   Parent Loop BB244_7 Depth=1
                                        ;     Parent Loop BB244_13 Depth=2
                                        ; =>    This Inner Loop Header: Depth=3
	;;#ASMSTART
	s_sleep 0
	;;#ASMEND
	ds_read_b32 v50, v48 offset:24576
	s_waitcnt lgkmcnt(0)
	v_cmp_eq_u32_e32 vcc, v50, v32
	s_or_b64 s[40:41], vcc, s[40:41]
	s_andn2_b64 exec, exec, s[40:41]
	s_cbranch_execnz .LBB244_18
.LBB244_19:                             ;   in Loop: Header=BB244_13 Depth=2
	s_or_b64 exec, exec, s[38:39]
	v_mul_lo_u32 v50, v47, s52
	v_or_b32_e32 v51, v33, v50
	ds_read2_b32 v[52:53], v51 offset1:32
	ds_read2_b32 v[54:55], v51 offset0:128 offset1:160
	v_add_u32_e32 v51, 0x400, v51
	s_waitcnt lgkmcnt(1)
	v_mfma_f32_16x16x32_fp8_fp8 v[8:11], v[52:53], v[28:29], v[8:11]
	ds_read2_b32 v[52:53], v51 offset1:32
	s_waitcnt lgkmcnt(1)
	v_mfma_f32_16x16x32_fp8_fp8 v[8:11], v[54:55], v[30:31], v[8:11]
	ds_read2_b32 v[54:55], v51 offset0:128 offset1:160
	;;#ASMSTART
	s_waitcnt lgkmcnt(0)
	;;#ASMEND
	ds_read_b32 v51, v48 offset:24580
	ds_write_b32 v48, v49 offset:24576
	s_waitcnt lgkmcnt(3)
	v_mfma_f32_16x16x32_fp8_fp8 v[8:11], v[52:53], v[26:27], v[8:11]
	s_waitcnt lgkmcnt(1)
	v_cmp_ne_u32_e32 vcc, v51, v32
	v_mfma_f32_16x16x32_fp8_fp8 v[8:11], v[54:55], v[24:25], v[8:11]
	s_and_saveexec_b64 s[38:39], vcc
	s_cbranch_execz .LBB244_22
; %bb.20:                               ;   in Loop: Header=BB244_13 Depth=2
	s_mov_b64 s[40:41], 0
.LBB244_21:                             ;   Parent Loop BB244_7 Depth=1
                                        ;     Parent Loop BB244_13 Depth=2
                                        ; =>    This Inner Loop Header: Depth=3
	;;#ASMSTART
	s_sleep 0
	;;#ASMEND
	ds_read_b32 v51, v48 offset:24580
	s_waitcnt lgkmcnt(0)
	v_cmp_eq_u32_e32 vcc, v51, v32
	s_or_b64 s[40:41], vcc, s[40:41]
	s_andn2_b64 exec, exec, s[40:41]
	s_cbranch_execnz .LBB244_21
.LBB244_22:                             ;   in Loop: Header=BB244_13 Depth=2
	s_or_b64 exec, exec, s[38:39]
	v_add_u32_e32 v50, v33, v50
	v_add_u32_e32 v51, 0x800, v50
	ds_read2_b32 v[52:53], v51 offset1:32
	ds_read2_b32 v[54:55], v51 offset0:128 offset1:160
	v_add_u32_e32 v51, 0xc00, v50
	s_waitcnt lgkmcnt(1)
	v_mfma_f32_16x16x32_fp8_fp8 v[4:7], v[52:53], v[28:29], v[4:7]
	ds_read2_b32 v[52:53], v51 offset1:32
	s_waitcnt lgkmcnt(1)
	v_mfma_f32_16x16x32_fp8_fp8 v[4:7], v[54:55], v[30:31], v[4:7]
	ds_read2_b32 v[54:55], v51 offset0:128 offset1:160
	;;#ASMSTART
	s_waitcnt lgkmcnt(0)
	;;#ASMEND
	ds_read_b32 v51, v48 offset:24584
	ds_write_b32 v48, v49 offset:24580
	s_waitcnt lgkmcnt(3)
	v_mfma_f32_16x16x32_fp8_fp8 v[4:7], v[52:53], v[26:27], v[4:7]
	s_waitcnt lgkmcnt(1)
	v_cmp_ne_u32_e32 vcc, v51, v32
	v_mfma_f32_16x16x32_fp8_fp8 v[4:7], v[54:55], v[24:25], v[4:7]
	s_and_saveexec_b64 s[38:39], vcc
	s_cbranch_execz .LBB244_12
; %bb.23:                               ;   in Loop: Header=BB244_13 Depth=2
	s_mov_b64 s[40:41], 0
.LBB244_24:                             ;   Parent Loop BB244_7 Depth=1
                                        ;     Parent Loop BB244_13 Depth=2
                                        ; =>    This Inner Loop Header: Depth=3
	;;#ASMSTART
	s_sleep 0
	;;#ASMEND
	ds_read_b32 v51, v48 offset:24584
	s_waitcnt lgkmcnt(0)
	v_cmp_eq_u32_e32 vcc, v51, v32
	s_or_b64 s[40:41], vcc, s[40:41]
	s_andn2_b64 exec, exec, s[40:41]
	s_cbranch_execnz .LBB244_24
	s_branch .LBB244_12
.LBB244_25:                             ;   in Loop: Header=BB244_7 Depth=1
	s_or_b64 exec, exec, s[8:9]
.LBB244_26:                             ;   in Loop: Header=BB244_7 Depth=1
	s_or_b64 exec, exec, s[6:7]
	v_cmp_le_i32_e32 vcc, s31, v12
	v_cmp_eq_u32_e64 s[6:7], 3, v35
	s_waitcnt vmcnt(0)
	v_cndmask_b32_e32 v24, 0, v46, vcc
	v_pk_mul_f32 v[30:31], v[24:25], v[8:9] op_sel_hi:[0,1]
	v_cmp_eq_u32_e32 vcc, 1, v35
	v_pk_mul_f32 v[10:11], v[24:25], v[10:11] op_sel_hi:[0,1]
	v_add_u32_e32 v25, s56, v37
	v_cndmask_b32_e32 v8, v30, v31, vcc
	v_cmp_eq_u32_e32 vcc, 2, v35
	s_nop 1
	v_cndmask_b32_e32 v8, v8, v10, vcc
	v_cndmask_b32_e64 v8, v8, v11, s[6:7]
	ds_bpermute_b32 v9, v44, v8
	s_waitcnt lgkmcnt(0)
	v_cndmask_b32_e32 v10, v10, v9, vcc
	v_cmp_ne_u32_e32 vcc, 0, v35
	v_cndmask_b32_e64 v26, v11, v9, s[6:7]
	s_nop 0
	v_cndmask_b32_e32 v8, v31, v9, vcc
	v_cmp_eq_u32_e32 vcc, 0, v35
	s_nop 1
	v_cndmask_b32_e32 v9, v30, v9, vcc
	v_cmp_eq_u32_e32 vcc, 1, v36
	;; [unrolled: 3-line block ×4, first 2 shown]
	s_nop 1
	v_cndmask_b32_e32 v11, v11, v26, vcc
	ds_bpermute_b32 v11, v44, v11
	v_cmp_gt_u32_e32 vcc, 48, v25
	s_and_saveexec_b64 s[38:39], vcc
	s_cbranch_execz .LBB244_33
; %bb.27:                               ;   in Loop: Header=BB244_7 Depth=1
	v_cmp_eq_u32_e64 s[8:9], 1, v36
	v_cmp_eq_u32_e64 s[6:7], 3, v36
	v_cmp_eq_u32_e32 vcc, 2, v36
	s_waitcnt lgkmcnt(0)
	v_cndmask_b32_e64 v8, v8, v11, s[8:9]
	v_cmp_eq_u32_e64 s[8:9], 0, v36
	v_cvt_f16_f32_sdwa v29, v8 dst_sel:WORD_1 dst_unused:UNUSED_PAD src0_sel:DWORD
	s_nop 0
	v_cndmask_b32_e64 v9, v9, v11, s[8:9]
	s_mul_i32 s8, s54, s13
	s_ashr_i32 s9, s8, 31
	s_lshl_b64 s[8:9], s[8:9], 1
	s_add_u32 s40, s24, s8
	s_addc_u32 s41, s25, s9
	s_ashr_i32 s31, s30, 31
	s_lshl_b64 s[8:9], s[30:31], 1
	v_cvt_f16_f32_e32 v27, v9
	s_add_u32 s40, s40, s8
	s_addc_u32 s41, s41, s9
	v_lshl_add_u64 v[8:9], v[14:15], 1, s[40:41]
	v_cmp_gt_u32_e64 s[8:9], 46, v25
	v_or_b32_e32 v27, v29, v27
	;;#ASMSTART
	global_atomic_pk_add_f16 v[8:9], v27, off
	
	;;#ASMEND
	s_and_b64 exec, exec, s[8:9]
	s_cbranch_execz .LBB244_33
; %bb.28:                               ;   in Loop: Header=BB244_7 Depth=1
	v_mov_b32_e32 v25, v24
	v_cndmask_b32_e64 v29, v26, v11, s[6:7]
	v_mov_b32_e32 v26, v24
	v_mov_b32_e32 v27, v24
	v_pk_mul_f32 v[6:7], v[26:27], v[6:7]
	v_pk_mul_f32 v[26:27], v[24:25], v[4:5]
	v_cmp_eq_u32_e64 s[6:7], 1, v35
	v_cmp_eq_u32_e64 s[8:9], 3, v35
	v_cvt_f16_f32_sdwa v29, v29 dst_sel:WORD_1 dst_unused:UNUSED_PAD src0_sel:DWORD
	v_cndmask_b32_e64 v4, v26, v27, s[6:7]
	v_cmp_eq_u32_e64 s[6:7], 2, v35
	s_nop 1
	v_cndmask_b32_e64 v4, v4, v6, s[6:7]
	v_cndmask_b32_e64 v4, v4, v7, s[8:9]
	ds_bpermute_b32 v5, v44, v4
	v_cndmask_b32_e32 v4, v10, v11, vcc
	v_cmp_ne_u32_e32 vcc, 0, v35
	v_lshl_add_u64 v[10:11], s[10:11], 2, v[8:9]
	v_cvt_f16_f32_e32 v9, v4
	s_waitcnt lgkmcnt(0)
	v_cndmask_b32_e32 v4, v27, v5, vcc
	v_cmp_eq_u32_e32 vcc, 0, v35
	v_cndmask_b32_e64 v8, v7, v5, s[8:9]
	v_cndmask_b32_e64 v6, v6, v5, s[6:7]
	v_cndmask_b32_e32 v5, v26, v5, vcc
	v_cmp_eq_u32_e32 vcc, 1, v36
	v_or_b32_e32 v9, v29, v9
	;;#ASMSTART
	global_atomic_pk_add_f16 v[10:11], v9, off
	
	;;#ASMEND
	v_add_u32_e32 v9, s56, v38
	v_cndmask_b32_e32 v7, v5, v4, vcc
	v_cmp_eq_u32_e32 vcc, 2, v36
	s_nop 1
	v_cndmask_b32_e32 v7, v7, v6, vcc
	v_cmp_eq_u32_e32 vcc, 3, v36
	s_nop 1
	v_cndmask_b32_e32 v7, v7, v8, vcc
	ds_bpermute_b32 v7, v44, v7
	v_cmp_gt_u32_e32 vcc, 48, v9
	s_and_b64 exec, exec, vcc
	s_cbranch_execz .LBB244_33
; %bb.29:                               ;   in Loop: Header=BB244_7 Depth=1
	v_cmp_eq_u32_e32 vcc, 1, v36
	v_cmp_eq_u32_e64 s[6:7], 3, v36
	v_cmp_gt_u32_e64 s[8:9], 46, v9
	s_waitcnt lgkmcnt(0)
	v_cndmask_b32_e32 v4, v4, v7, vcc
	v_cmp_eq_u32_e32 vcc, 0, v36
	v_cvt_f16_f32_sdwa v11, v4 dst_sel:WORD_1 dst_unused:UNUSED_PAD src0_sel:DWORD
	s_nop 0
	v_cndmask_b32_e32 v5, v5, v7, vcc
	v_cvt_f16_f32_e32 v10, v5
	v_cmp_eq_u32_e32 vcc, 2, v36
	v_lshl_add_u64 v[4:5], v[16:17], 1, s[40:41]
	v_or_b32_e32 v10, v11, v10
	;;#ASMSTART
	global_atomic_pk_add_f16 v[4:5], v10, off
	
	;;#ASMEND
	s_and_b64 exec, exec, s[8:9]
	s_cbranch_execz .LBB244_33
; %bb.30:                               ;   in Loop: Header=BB244_7 Depth=1
	v_cndmask_b32_e64 v26, v8, v7, s[6:7]
	v_mov_b32_e32 v8, v24
	v_mov_b32_e32 v9, v24
	v_pk_mul_f32 v[10:11], v[24:25], v[0:1]
	v_cmp_eq_u32_e64 s[6:7], 1, v35
	v_pk_mul_f32 v[8:9], v[8:9], v[2:3]
	v_cmp_eq_u32_e64 s[8:9], 3, v35
	v_cndmask_b32_e64 v0, v10, v11, s[6:7]
	v_cmp_eq_u32_e64 s[6:7], 2, v35
	v_cvt_f16_f32_sdwa v24, v26 dst_sel:WORD_1 dst_unused:UNUSED_PAD src0_sel:DWORD
	s_nop 0
	v_cndmask_b32_e64 v0, v0, v8, s[6:7]
	v_cndmask_b32_e64 v0, v0, v9, s[8:9]
	ds_bpermute_b32 v1, v44, v0
	v_cndmask_b32_e32 v0, v6, v7, vcc
	v_cmp_ne_u32_e32 vcc, 0, v35
	v_lshl_add_u64 v[6:7], s[10:11], 2, v[4:5]
	v_cvt_f16_f32_e32 v5, v0
	s_waitcnt lgkmcnt(0)
	v_cndmask_b32_e32 v0, v11, v1, vcc
	v_cmp_eq_u32_e32 vcc, 0, v35
	v_cndmask_b32_e64 v2, v9, v1, s[8:9]
	v_cndmask_b32_e64 v3, v8, v1, s[6:7]
	v_cndmask_b32_e32 v1, v10, v1, vcc
	v_cmp_eq_u32_e32 vcc, 1, v36
	v_or_b32_e32 v5, v24, v5
	;;#ASMSTART
	global_atomic_pk_add_f16 v[6:7], v5, off
	
	;;#ASMEND
	v_add_u32_e32 v5, s56, v39
	v_cndmask_b32_e32 v4, v1, v0, vcc
	v_cmp_eq_u32_e32 vcc, 2, v36
	s_nop 1
	v_cndmask_b32_e32 v4, v4, v3, vcc
	v_cmp_eq_u32_e32 vcc, 3, v36
	s_nop 1
	v_cndmask_b32_e32 v4, v4, v2, vcc
	ds_bpermute_b32 v4, v44, v4
	v_cmp_gt_u32_e32 vcc, 48, v5
	s_and_b64 exec, exec, vcc
	s_cbranch_execz .LBB244_33
; %bb.31:                               ;   in Loop: Header=BB244_7 Depth=1
	v_cmp_eq_u32_e32 vcc, 1, v36
	v_cmp_eq_u32_e64 s[6:7], 2, v36
	v_cmp_gt_u32_e64 s[8:9], 46, v5
	s_waitcnt lgkmcnt(0)
	v_cndmask_b32_e32 v0, v0, v4, vcc
	v_cmp_eq_u32_e32 vcc, 0, v36
	v_cvt_f16_f32_sdwa v7, v0 dst_sel:WORD_1 dst_unused:UNUSED_PAD src0_sel:DWORD
	s_nop 0
	v_cndmask_b32_e32 v1, v1, v4, vcc
	v_cvt_f16_f32_e32 v6, v1
	v_cmp_eq_u32_e32 vcc, 3, v36
	v_lshl_add_u64 v[0:1], v[18:19], 1, s[40:41]
	v_or_b32_e32 v6, v7, v6
	;;#ASMSTART
	global_atomic_pk_add_f16 v[0:1], v6, off
	
	;;#ASMEND
	s_and_b64 exec, exec, s[8:9]
	s_cbranch_execz .LBB244_33
; %bb.32:                               ;   in Loop: Header=BB244_7 Depth=1
	v_cndmask_b32_e32 v2, v2, v4, vcc
	v_cndmask_b32_e64 v3, v3, v4, s[6:7]
	v_cvt_f16_f32_sdwa v2, v2 dst_sel:WORD_1 dst_unused:UNUSED_PAD src0_sel:DWORD
	v_cvt_f16_f32_e32 v3, v3
	v_lshl_add_u64 v[0:1], s[10:11], 2, v[0:1]
	v_or_b32_e32 v2, v2, v3
	;;#ASMSTART
	global_atomic_pk_add_f16 v[0:1], v2, off
	
	;;#ASMEND
.LBB244_33:                             ;   in Loop: Header=BB244_7 Depth=1
	s_or_b64 exec, exec, s[38:39]
	v_subrev_u32_e32 v45, s57, v45
.LBB244_34:                             ;   in Loop: Header=BB244_7 Depth=1
	s_or_b64 exec, exec, s[36:37]
.LBB244_35:                             ;   in Loop: Header=BB244_7 Depth=1
	s_andn2_saveexec_b64 s[6:7], s[34:35]
	s_cbranch_execz .LBB244_44
; %bb.36:                               ;   in Loop: Header=BB244_7 Depth=1
	v_cmp_gt_i32_e32 vcc, s57, v45
	s_and_saveexec_b64 s[8:9], vcc
	s_cbranch_execz .LBB244_43
; %bb.37:                               ;   in Loop: Header=BB244_7 Depth=1
	s_mul_i32 s30, s30, s15
	s_ashr_i32 s31, s30, 31
	s_waitcnt lgkmcnt(0)
	s_add_u32 s30, s22, s30
	s_addc_u32 s31, s23, s31
	s_ashr_i32 s34, s55, 31
	s_add_u32 s30, s30, s55
	s_addc_u32 s31, s31, s34
	v_lshl_add_u64 v[0:1], s[30:31], 0, v[22:23]
	v_lshl_add_u64 v[8:9], v[0:1], 0, v[20:21]
	s_mov_b64 s[30:31], 0
	s_branch .LBB244_39
.LBB244_38:                             ;   in Loop: Header=BB244_39 Depth=2
	s_or_b64 exec, exec, s[34:35]
	v_lshl_add_u32 v24, v10, 11, v42
	;;#ASMSTART
	s_waitcnt vmcnt(1)
	;;#ASMEND
	ds_write2_b32 v24, v4, v5 offset1:32
	ds_write2_b32 v24, v6, v7 offset0:64 offset1:96
	v_add_u32_e32 v4, 0x400, v24
	v_add_u32_e32 v45, s18, v45
	;;#ASMSTART
	s_waitcnt vmcnt(0)
	;;#ASMEND
	ds_write2_b32 v4, v0, v1 offset1:32
	ds_write2_b32 v4, v2, v3 offset0:64 offset1:96
	v_add_u32_e32 v0, 1, v32
	v_add_u32_e32 v28, s18, v10
	v_cmp_le_i32_e32 vcc, s57, v45
	ds_write_b32 v11, v0 offset:36
	v_add_u32_e32 v0, 2, v32
	s_or_b64 s[30:31], vcc, s[30:31]
	v_cmp_lt_i32_e32 vcc, 2, v28
	s_nop 1
	v_cndmask_b32_e32 v32, v32, v0, vcc
	s_andn2_b64 exec, exec, s[30:31]
	s_cbranch_execz .LBB244_42
.LBB244_39:                             ;   Parent Loop BB244_7 Depth=1
                                        ; =>  This Loop Header: Depth=2
                                        ;       Child Loop BB244_41 Depth 3
	v_cmp_gt_i32_e32 vcc, 3, v28
	s_nop 1
	v_cndmask_b32_e64 v0, -3, 0, vcc
	v_add_u32_e32 v10, v0, v28
	v_lshlrev_b32_e32 v0, 7, v45
	v_ashrrev_i32_e32 v1, 31, v0
	v_lshl_add_u64 v[0:1], v[8:9], 0, v[0:1]
	v_lshlrev_b32_e32 v11, 2, v10
	;;#ASMSTART
	global_load_dwordx4 v[4:7], v[0:1], off offset:0   sc0 sc1 nt  
	global_load_dwordx4 v[0:3], v[0:1], off offset:64  sc0 sc1 nt  
	
	;;#ASMEND
	ds_read_b32 v24, v11 offset:24612
	v_add_u32_e32 v11, 0x6000, v11
	s_waitcnt lgkmcnt(0)
	v_cmp_ne_u32_e32 vcc, v24, v32
	s_and_saveexec_b64 s[34:35], vcc
	s_cbranch_execz .LBB244_38
; %bb.40:                               ;   in Loop: Header=BB244_39 Depth=2
	s_mov_b64 s[36:37], 0
.LBB244_41:                             ;   Parent Loop BB244_7 Depth=1
                                        ;     Parent Loop BB244_39 Depth=2
                                        ; =>    This Inner Loop Header: Depth=3
	;;#ASMSTART
	s_sleep 0
	;;#ASMEND
	ds_read_b32 v24, v11 offset:36
	s_waitcnt lgkmcnt(0)
	v_cmp_eq_u32_e32 vcc, v24, v32
	s_or_b64 s[36:37], vcc, s[36:37]
	s_andn2_b64 exec, exec, s[36:37]
	s_cbranch_execnz .LBB244_41
	s_branch .LBB244_38
.LBB244_42:                             ;   in Loop: Header=BB244_7 Depth=1
	s_or_b64 exec, exec, s[30:31]
.LBB244_43:                             ;   in Loop: Header=BB244_7 Depth=1
	s_or_b64 exec, exec, s[8:9]
	v_subrev_u32_e32 v45, s57, v45
.LBB244_44:                             ;   in Loop: Header=BB244_7 Depth=1
	s_or_b64 exec, exec, s[6:7]
.LBB244_45:                             ;   in Loop: Header=BB244_7 Depth=1
	s_andn2_saveexec_b64 s[6:7], s[28:29]
	s_cbranch_execz .LBB244_6
; %bb.46:                               ;   in Loop: Header=BB244_7 Depth=1
	s_mul_i32 s57, s57, 3
	v_cmp_gt_i32_e32 vcc, s57, v45
	s_and_saveexec_b64 s[8:9], vcc
	s_cbranch_execz .LBB244_5
; %bb.47:                               ;   in Loop: Header=BB244_7 Depth=1
	s_mul_i32 s54, s54, s14
	s_ashr_i32 s28, s54, 31
	s_waitcnt lgkmcnt(0)
	s_add_u32 s29, s20, s54
	v_add_u32_e32 v2, s56, v40
	s_addc_u32 s30, s21, s28
	s_ashr_i32 s31, s55, 31
	v_cmp_gt_u32_e32 vcc, 48, v2
	s_add_u32 s28, s29, s55
	s_addc_u32 s29, s30, s31
	v_cndmask_b32_e32 v0, 0, v43, vcc
	v_ashrrev_i32_e32 v1, 31, v0
	v_lshl_add_u64 v[0:1], s[28:29], 0, v[0:1]
	v_lshl_add_u64 v[8:9], v[0:1], 0, v[20:21]
	v_sub_u32_e32 v10, 47, v2
	s_mov_b64 s[28:29], 0
	s_branch .LBB244_49
.LBB244_48:                             ;   in Loop: Header=BB244_49 Depth=2
	s_or_b64 exec, exec, s[30:31]
	v_lshl_or_b32 v25, v11, 11, v41
	;;#ASMSTART
	s_waitcnt vmcnt(1)
	;;#ASMEND
	ds_write2_b32 v25, v4, v5 offset1:32
	ds_write2_b32 v25, v6, v7 offset0:64 offset1:96
	v_add_u32_e32 v4, 0x400, v25
	v_add_u32_e32 v45, s17, v45
	;;#ASMSTART
	s_waitcnt vmcnt(0)
	;;#ASMEND
	ds_write2_b32 v4, v0, v1 offset1:32
	ds_write2_b32 v4, v2, v3 offset0:64 offset1:96
	v_add_u32_e32 v0, 1, v32
	v_add_u32_e32 v28, s17, v11
	v_cmp_le_i32_e32 vcc, s57, v45
	ds_write_b32 v24, v0
	v_add_u32_e32 v0, 2, v32
	s_or_b64 s[28:29], vcc, s[28:29]
	v_cmp_lt_i32_e32 vcc, 8, v28
	s_nop 1
	v_cndmask_b32_e32 v32, v32, v0, vcc
	s_andn2_b64 exec, exec, s[28:29]
	s_cbranch_execz .LBB244_4
.LBB244_49:                             ;   Parent Loop BB244_7 Depth=1
                                        ; =>  This Loop Header: Depth=2
                                        ;       Child Loop BB244_51 Depth 3
	v_cmp_gt_i32_e32 vcc, 9, v28
	s_nop 1
	v_cndmask_b32_e64 v0, -9, 0, vcc
	v_add_u32_e32 v11, v0, v28
	v_mul_hi_i32 v0, v45, s53
	v_lshrrev_b32_e32 v1, 31, v0
	v_add_u32_e32 v0, v0, v1
	v_lshl_add_u32 v1, v0, 1, v0
	v_sub_u32_e32 v1, v45, v1
	v_lshlrev_b32_e32 v1, 4, v1
	v_cmp_le_i32_e32 vcc, v1, v10
	v_lshlrev_b32_e32 v0, 7, v0
	v_lshlrev_b32_e32 v24, 2, v11
	v_cndmask_b32_e32 v2, 0, v1, vcc
	v_ashrrev_i32_e32 v1, 31, v0
	v_mul_lo_u32 v2, v2, s14
	v_lshl_add_u64 v[0:1], v[8:9], 0, v[0:1]
	v_ashrrev_i32_e32 v3, 31, v2
	v_lshl_add_u64 v[0:1], v[0:1], 0, v[2:3]
	;;#ASMSTART
	global_load_dwordx4 v[4:7], v[0:1], off offset:0   
	global_load_dwordx4 v[0:3], v[0:1], off offset:64  
	
	;;#ASMEND
	ds_read_b32 v25, v24 offset:24576
	v_add_u32_e32 v24, 0x6000, v24
	s_waitcnt lgkmcnt(0)
	v_cmp_ne_u32_e32 vcc, v25, v32
	s_and_saveexec_b64 s[30:31], vcc
	s_cbranch_execz .LBB244_48
; %bb.50:                               ;   in Loop: Header=BB244_49 Depth=2
	s_mov_b64 s[34:35], 0
.LBB244_51:                             ;   Parent Loop BB244_7 Depth=1
                                        ;     Parent Loop BB244_49 Depth=2
                                        ; =>    This Inner Loop Header: Depth=3
	;;#ASMSTART
	s_sleep 0
	;;#ASMEND
	ds_read_b32 v25, v24
	s_waitcnt lgkmcnt(0)
	v_cmp_eq_u32_e32 vcc, v25, v32
	s_or_b64 s[34:35], vcc, s[34:35]
	s_andn2_b64 exec, exec, s[34:35]
	s_cbranch_execnz .LBB244_51
	s_branch .LBB244_48
.LBB244_52:
	s_endpgm
	.section	.rodata,"a",@progbits
	.p2align	6, 0x0
	.amdhsa_kernel _Z19_skinny_gemm_kernelILi3ELi1ELi3ELi16ELi4EEvPKhS1_P6__halfPKfiiiiiiii
		.amdhsa_group_segment_fixed_size 24624
		.amdhsa_private_segment_fixed_size 0
		.amdhsa_kernarg_size 64
		.amdhsa_user_sgpr_count 2
		.amdhsa_user_sgpr_dispatch_ptr 0
		.amdhsa_user_sgpr_queue_ptr 0
		.amdhsa_user_sgpr_kernarg_segment_ptr 1
		.amdhsa_user_sgpr_dispatch_id 0
		.amdhsa_user_sgpr_kernarg_preload_length 0
		.amdhsa_user_sgpr_kernarg_preload_offset 0
		.amdhsa_user_sgpr_private_segment_size 0
		.amdhsa_uses_dynamic_stack 0
		.amdhsa_enable_private_segment 0
		.amdhsa_system_sgpr_workgroup_id_x 1
		.amdhsa_system_sgpr_workgroup_id_y 0
		.amdhsa_system_sgpr_workgroup_id_z 0
		.amdhsa_system_sgpr_workgroup_info 0
		.amdhsa_system_vgpr_workitem_id 0
		.amdhsa_next_free_vgpr 57
		.amdhsa_next_free_sgpr 58
		.amdhsa_accum_offset 60
		.amdhsa_reserve_vcc 1
		.amdhsa_float_round_mode_32 0
		.amdhsa_float_round_mode_16_64 0
		.amdhsa_float_denorm_mode_32 3
		.amdhsa_float_denorm_mode_16_64 3
		.amdhsa_dx10_clamp 1
		.amdhsa_ieee_mode 1
		.amdhsa_fp16_overflow 0
		.amdhsa_tg_split 0
		.amdhsa_exception_fp_ieee_invalid_op 0
		.amdhsa_exception_fp_denorm_src 0
		.amdhsa_exception_fp_ieee_div_zero 0
		.amdhsa_exception_fp_ieee_overflow 0
		.amdhsa_exception_fp_ieee_underflow 0
		.amdhsa_exception_fp_ieee_inexact 0
		.amdhsa_exception_int_div_zero 0
	.end_amdhsa_kernel
	.section	.text._Z19_skinny_gemm_kernelILi3ELi1ELi3ELi16ELi4EEvPKhS1_P6__halfPKfiiiiiiii,"axG",@progbits,_Z19_skinny_gemm_kernelILi3ELi1ELi3ELi16ELi4EEvPKhS1_P6__halfPKfiiiiiiii,comdat
.Lfunc_end244:
	.size	_Z19_skinny_gemm_kernelILi3ELi1ELi3ELi16ELi4EEvPKhS1_P6__halfPKfiiiiiiii, .Lfunc_end244-_Z19_skinny_gemm_kernelILi3ELi1ELi3ELi16ELi4EEvPKhS1_P6__halfPKfiiiiiiii
                                        ; -- End function
	.set _Z19_skinny_gemm_kernelILi3ELi1ELi3ELi16ELi4EEvPKhS1_P6__halfPKfiiiiiiii.num_vgpr, 57
	.set _Z19_skinny_gemm_kernelILi3ELi1ELi3ELi16ELi4EEvPKhS1_P6__halfPKfiiiiiiii.num_agpr, 0
	.set _Z19_skinny_gemm_kernelILi3ELi1ELi3ELi16ELi4EEvPKhS1_P6__halfPKfiiiiiiii.numbered_sgpr, 58
	.set _Z19_skinny_gemm_kernelILi3ELi1ELi3ELi16ELi4EEvPKhS1_P6__halfPKfiiiiiiii.num_named_barrier, 0
	.set _Z19_skinny_gemm_kernelILi3ELi1ELi3ELi16ELi4EEvPKhS1_P6__halfPKfiiiiiiii.private_seg_size, 0
	.set _Z19_skinny_gemm_kernelILi3ELi1ELi3ELi16ELi4EEvPKhS1_P6__halfPKfiiiiiiii.uses_vcc, 1
	.set _Z19_skinny_gemm_kernelILi3ELi1ELi3ELi16ELi4EEvPKhS1_P6__halfPKfiiiiiiii.uses_flat_scratch, 0
	.set _Z19_skinny_gemm_kernelILi3ELi1ELi3ELi16ELi4EEvPKhS1_P6__halfPKfiiiiiiii.has_dyn_sized_stack, 0
	.set _Z19_skinny_gemm_kernelILi3ELi1ELi3ELi16ELi4EEvPKhS1_P6__halfPKfiiiiiiii.has_recursion, 0
	.set _Z19_skinny_gemm_kernelILi3ELi1ELi3ELi16ELi4EEvPKhS1_P6__halfPKfiiiiiiii.has_indirect_call, 0
	.section	.AMDGPU.csdata,"",@progbits
; Kernel info:
; codeLenInByte = 3820
; TotalNumSgprs: 64
; NumVgprs: 57
; NumAgprs: 0
; TotalNumVgprs: 57
; ScratchSize: 0
; MemoryBound: 0
; FloatMode: 240
; IeeeMode: 1
; LDSByteSize: 24624 bytes/workgroup (compile time only)
; SGPRBlocks: 7
; VGPRBlocks: 7
; NumSGPRsForWavesPerEU: 64
; NumVGPRsForWavesPerEU: 57
; AccumOffset: 60
; Occupancy: 8
; WaveLimiterHint : 0
; COMPUTE_PGM_RSRC2:SCRATCH_EN: 0
; COMPUTE_PGM_RSRC2:USER_SGPR: 2
; COMPUTE_PGM_RSRC2:TRAP_HANDLER: 0
; COMPUTE_PGM_RSRC2:TGID_X_EN: 1
; COMPUTE_PGM_RSRC2:TGID_Y_EN: 0
; COMPUTE_PGM_RSRC2:TGID_Z_EN: 0
; COMPUTE_PGM_RSRC2:TIDIG_COMP_CNT: 0
; COMPUTE_PGM_RSRC3_GFX90A:ACCUM_OFFSET: 14
; COMPUTE_PGM_RSRC3_GFX90A:TG_SPLIT: 0
	.section	.text._Z19_skinny_gemm_kernelILi3ELi1ELi3ELi16ELi8EEvPKhS1_P6__halfPKfiiiiiiii,"axG",@progbits,_Z19_skinny_gemm_kernelILi3ELi1ELi3ELi16ELi8EEvPKhS1_P6__halfPKfiiiiiiii,comdat
	.protected	_Z19_skinny_gemm_kernelILi3ELi1ELi3ELi16ELi8EEvPKhS1_P6__halfPKfiiiiiiii ; -- Begin function _Z19_skinny_gemm_kernelILi3ELi1ELi3ELi16ELi8EEvPKhS1_P6__halfPKfiiiiiiii
	.globl	_Z19_skinny_gemm_kernelILi3ELi1ELi3ELi16ELi8EEvPKhS1_P6__halfPKfiiiiiiii
	.p2align	8
	.type	_Z19_skinny_gemm_kernelILi3ELi1ELi3ELi16ELi8EEvPKhS1_P6__halfPKfiiiiiiii,@function
_Z19_skinny_gemm_kernelILi3ELi1ELi3ELi16ELi8EEvPKhS1_P6__halfPKfiiiiiiii: ; @_Z19_skinny_gemm_kernelILi3ELi1ELi3ELi16ELi8EEvPKhS1_P6__halfPKfiiiiiiii
; %bb.0:
	v_cmp_gt_u32_e32 vcc, 12, v0
	v_lshlrev_b32_e32 v1, 2, v0
	s_and_saveexec_b64 s[4:5], vcc
; %bb.1:
	v_mov_b32_e32 v2, 0
	ds_write_b32 v1, v2 offset:49152
; %bb.2:
	s_or_b64 exec, exec, s[4:5]
	s_load_dwordx8 s[12:19], s[0:1], 0x20
	s_waitcnt lgkmcnt(0)
	s_barrier
	s_add_i32 s3, s12, 47
	s_add_i32 s4, s13, 15
	s_mul_hi_i32 s3, s3, 0x2aaaaaab
	s_lshr_b32 s5, s3, 31
	s_ashr_i32 s33, s3, 3
	s_ashr_i32 s3, s4, 31
	s_lshr_b32 s3, s3, 28
	s_add_i32 s4, s4, s3
	s_add_i32 s33, s33, s5
	s_ashr_i32 s42, s4, 4
	s_mul_i32 s3, s42, s33
	s_mul_i32 s3, s3, s16
	s_add_i32 s4, s3, 0x12f
	s_mul_hi_i32 s4, s4, 0x6bca1af3
	s_lshr_b32 s5, s4, 31
	s_ashr_i32 s4, s4, 7
	s_add_i32 s4, s4, s5
	s_add_i32 s5, s2, 1
	s_mul_i32 s5, s4, s5
	v_cvt_f64_i32_e32 v[2:3], s3
	v_cvt_f64_u32_e32 v[4:5], s5
	v_min_f64 v[2:3], v[2:3], v[4:5]
	v_cvt_i32_f64_e32 v17, v[2:3]
	s_mul_i32 s43, s4, s2
	v_cmp_ge_i32_e32 vcc, s43, v17
	s_cbranch_vccnz .LBB245_52
; %bb.3:
	v_lshrrev_b32_e32 v2, 6, v0
	s_add_i32 s4, s18, s17
	s_load_dwordx8 s[20:27], s[0:1], 0x0
	v_cmp_le_i32_e64 s[0:1], s4, v2
	v_mov_b32_e32 v3, s17
	v_cmp_le_i32_e64 s[2:3], s17, v2
	v_mov_b32_e32 v4, s18
	v_cndmask_b32_e64 v4, 0, v4, s[0:1]
	v_cndmask_b32_e64 v3, 0, v3, s[2:3]
	s_abs_i32 s5, s16
	v_add_u32_e32 v3, v3, v4
	v_cvt_f32_u32_e32 v4, s5
	v_sub_u32_e32 v14, v2, v3
	s_ashr_i32 s6, s14, 31
	s_lshr_b32 s6, s6, 24
	v_rcp_iflag_f32_e32 v3, v4
	s_sub_i32 s9, 0, s5
	s_add_i32 s6, s14, s6
	s_ashr_i32 s6, s6, 8
	v_mul_f32_e32 v3, 0x4f7ffffe, v3
	v_cvt_u32_f32_e32 v3, v3
	s_abs_i32 s8, s6
	s_xor_b32 s7, s6, s16
	s_ashr_i32 s7, s7, 31
	v_readfirstlane_b32 s10, v3
	s_mul_i32 s9, s9, s10
	s_mul_hi_u32 s9, s10, s9
	s_add_i32 s10, s10, s9
	s_mul_hi_u32 s9, s8, s10
	s_mul_i32 s10, s9, s5
	s_sub_i32 s8, s8, s10
	s_add_i32 s10, s9, 1
	s_sub_i32 s11, s8, s5
	s_cmp_ge_u32 s8, s5
	s_cselect_b32 s9, s10, s9
	s_cselect_b32 s8, s11, s8
	s_add_i32 s10, s9, 1
	s_cmp_ge_u32 s8, s5
	s_cselect_b32 s5, s10, s9
	s_xor_b32 s5, s5, s7
	s_sub_i32 s44, s5, s7
	s_add_i32 s16, s16, -1
	s_mul_i32 s5, s44, s16
	s_add_i32 s4, s4, s19
	s_sub_i32 s45, s6, s5
	v_cmp_gt_i32_e64 s[4:5], s4, v2
	v_lshlrev_b32_e32 v2, 1, v0
	v_lshlrev_b32_e32 v3, 4, v0
	v_and_b32_e32 v1, 60, v1
	v_and_b32_e32 v2, 64, v2
	;; [unrolled: 1-line block ×3, first 2 shown]
	v_or3_b32 v41, v1, v2, v4
	v_and_b32_e32 v1, 1, v0
	v_lshrrev_b32_e32 v4, 2, v0
	s_abs_i32 s46, s33
	v_lshlrev_b32_e32 v2, 1, v1
	v_and_or_b32 v44, v4, 12, v1
	v_cvt_f32_u32_e32 v1, s46
	v_and_b32_e32 v16, 14, v0
	v_sub_u32_e32 v2, v0, v2
	v_bitop3_b32 v42, v0, 1, v0 bitop3:0xc
	v_rcp_iflag_f32_e32 v1, v1
	v_bitop3_b32 v43, v0, 3, 1 bitop3:0x6c
	v_and_b32_e32 v24, 48, v3
	v_bfe_u32 v45, v0, 2, 4
	v_and_b32_e32 v3, 60, v0
	v_lshlrev_b32_e32 v4, 8, v0
	v_lshlrev_b32_e32 v0, 6, v0
	v_and_b32_e32 v4, 0x200, v4
	v_and_b32_e32 v0, 64, v0
	s_abs_i32 s47, s42
	v_or3_b32 v46, v3, v4, v0
	v_mul_f32_e32 v0, 0x4f7ffffe, v1
	v_cvt_f32_u32_e32 v1, s47
	v_cvt_u32_f32_e32 v0, v0
	v_mad_u64_u32 v[18:19], s[6:7], s13, v44, v[16:17]
	v_rcp_iflag_f32_e32 v1, v1
	s_lshl_b32 s6, s13, 4
	v_readfirstlane_b32 s7, v0
	v_add_u32_e32 v20, s6, v18
	v_mul_f32_e32 v0, 0x4f7ffffe, v1
	v_cvt_u32_f32_e32 v0, v0
	v_add_u32_e32 v22, s6, v20
	s_sub_i32 s6, 0, s46
	s_mul_i32 s6, s6, s7
	s_mul_hi_u32 s6, s7, s6
	v_add_u32_e32 v2, 1, v2
	s_add_i32 s49, s7, s6
	s_sub_i32 s6, 0, s47
	v_readfirstlane_b32 s7, v0
	v_mbcnt_lo_u32_b32 v0, -1, 0
	v_and_b32_e32 v2, 63, v2
	s_mul_i32 s6, s6, s7
	v_mbcnt_hi_u32_b32 v0, -1, v0
	v_mul_lo_u32 v26, s15, v45
	s_mul_hi_u32 s6, s7, s6
	v_and_or_b32 v0, v0, 64, v2
	v_cndmask_b32_e64 v40, 0, 1, s[0:1]
	s_ashr_i32 s11, s13, 31
	s_mov_b32 s10, s13
	v_ashrrev_i32_e32 v19, 31, v18
	v_ashrrev_i32_e32 v21, 31, v20
	;; [unrolled: 1-line block ×4, first 2 shown]
	v_mov_b32_e32 v25, 0
	s_ashr_i32 s48, s33, 31
	s_ashr_i32 s50, s42, 31
	s_add_i32 s51, s7, s6
	s_movk_i32 s52, 0x3000
	s_mov_b32 s53, 0x55555556
	v_lshlrev_b32_e32 v47, 2, v0
	v_mov_b32_e32 v48, v14
	s_branch .LBB245_7
.LBB245_4:                              ;   in Loop: Header=BB245_7 Depth=1
	s_or_b64 exec, exec, s[28:29]
.LBB245_5:                              ;   in Loop: Header=BB245_7 Depth=1
	s_or_b64 exec, exec, s[8:9]
	v_subrev_u32_e32 v48, s57, v48
.LBB245_6:                              ;   in Loop: Header=BB245_7 Depth=1
	s_or_b64 exec, exec, s[6:7]
	s_add_i32 s43, s43, 1
	v_cmp_ge_i32_e32 vcc, s43, v17
	s_cbranch_vccnz .LBB245_52
.LBB245_7:                              ; =>This Loop Header: Depth=1
                                        ;     Child Loop BB245_13 Depth 2
                                        ;       Child Loop BB245_15 Depth 3
                                        ;       Child Loop BB245_18 Depth 3
	;; [unrolled: 1-line block ×4, first 2 shown]
                                        ;     Child Loop BB245_39 Depth 2
                                        ;       Child Loop BB245_41 Depth 3
                                        ;     Child Loop BB245_49 Depth 2
                                        ;       Child Loop BB245_51 Depth 3
	s_abs_i32 s7, s43
	s_mul_hi_u32 s8, s7, s49
	s_mul_i32 s9, s8, s46
	s_ashr_i32 s6, s43, 31
	s_sub_i32 s7, s7, s9
	s_xor_b32 s6, s6, s48
	s_add_i32 s9, s8, 1
	s_sub_i32 s28, s7, s46
	s_cmp_ge_u32 s7, s46
	s_cselect_b32 s8, s9, s8
	s_cselect_b32 s7, s28, s7
	s_add_i32 s9, s8, 1
	s_cmp_ge_u32 s7, s46
	s_cselect_b32 s7, s9, s8
	s_xor_b32 s7, s7, s6
	s_sub_i32 s6, s7, s6
	s_abs_i32 s8, s6
	s_mul_hi_u32 s9, s8, s51
	s_mul_i32 s7, s6, s33
	s_mul_i32 s28, s9, s47
	s_sub_i32 s54, s43, s7
	s_ashr_i32 s7, s6, 31
	s_sub_i32 s8, s8, s28
	s_xor_b32 s7, s7, s50
	s_add_i32 s28, s9, 1
	s_sub_i32 s29, s8, s47
	s_cmp_ge_u32 s8, s47
	s_cselect_b32 s9, s28, s9
	s_cselect_b32 s8, s29, s8
	s_add_i32 s28, s9, 1
	s_cmp_ge_u32 s8, s47
	s_cselect_b32 s8, s28, s9
	s_xor_b32 s8, s8, s7
	s_sub_i32 s7, s8, s7
	s_mul_i32 s8, s7, s44
	s_lshl_b32 s55, s8, 8
	s_mul_i32 s54, s54, 48
	s_cmp_eq_u32 s7, s16
	s_cselect_b32 s57, s45, s44
	s_sub_i32 s8, s54, s12
	s_add_i32 s8, s8, 48
	s_max_i32 s56, s8, 0
	s_and_saveexec_b64 s[8:9], s[2:3]
	s_xor_b64 s[28:29], exec, s[8:9]
	s_cbranch_execz .LBB245_45
; %bb.8:                                ;   in Loop: Header=BB245_7 Depth=1
	s_mul_i32 s7, s7, s42
	s_sub_i32 s6, s6, s7
	s_lshl_b32 s6, s6, 4
	s_sub_i32 s31, s6, s13
	s_add_i32 s31, s31, 16
	s_max_i32 s7, s31, 0
	s_sub_i32 s30, s6, s7
	s_and_saveexec_b64 s[6:7], s[0:1]
	s_xor_b64 s[34:35], exec, s[6:7]
	s_cbranch_execz .LBB245_35
; %bb.9:                                ;   in Loop: Header=BB245_7 Depth=1
	s_and_saveexec_b64 s[36:37], s[4:5]
	s_cbranch_execz .LBB245_34
; %bb.10:                               ;   in Loop: Header=BB245_7 Depth=1
	s_waitcnt lgkmcnt(0)
	global_load_dword v49, v25, s[26:27]
	v_mov_b32_e32 v11, 0
	v_cmp_gt_i32_e32 vcc, s57, v48
	v_mov_b32_e32 v10, v11
	v_mov_b32_e32 v9, v11
	;; [unrolled: 1-line block ×11, first 2 shown]
	s_and_saveexec_b64 s[6:7], vcc
	s_cbranch_execz .LBB245_26
; %bb.11:                               ;   in Loop: Header=BB245_7 Depth=1
	v_mov_b32_e32 v0, 0
	s_mov_b64 s[8:9], 0
	v_mov_b32_e32 v1, v0
	v_mov_b32_e32 v2, v0
	;; [unrolled: 1-line block ×11, first 2 shown]
	s_branch .LBB245_13
.LBB245_12:                             ;   in Loop: Header=BB245_13 Depth=2
	s_or_b64 exec, exec, s[38:39]
	v_add_u32_e32 v56, 0x2000, v53
	ds_read2_b32 v[54:55], v56 offset1:32
	ds_read2_b32 v[56:57], v56 offset0:128 offset1:160
	v_add_u32_e32 v58, 0x2400, v53
	v_add_u32_e32 v48, s19, v48
	v_cmp_le_i32_e32 vcc, s57, v48
	s_waitcnt lgkmcnt(1)
	v_mfma_f32_16x16x32_fp8_fp8 v[0:3], v[54:55], v[14:15], v[0:3]
	ds_read2_b32 v[14:15], v58 offset1:32
	v_add_u32_e32 v54, 0x2800, v53
	s_or_b64 s[8:9], vcc, s[8:9]
	s_waitcnt lgkmcnt(1)
	v_mfma_f32_16x16x32_fp8_fp8 v[0:3], v[56:57], v[28:29], v[0:3]
	ds_read2_b32 v[28:29], v58 offset0:128 offset1:160
	s_waitcnt lgkmcnt(1)
	v_mfma_f32_16x16x32_fp8_fp8 v[0:3], v[14:15], v[32:33], v[0:3]
	ds_read2_b32 v[14:15], v54 offset1:32
	s_waitcnt lgkmcnt(1)
	v_mfma_f32_16x16x32_fp8_fp8 v[0:3], v[28:29], v[34:35], v[0:3]
	ds_read2_b32 v[28:29], v54 offset0:128 offset1:160
	v_add_u32_e32 v34, 0x2c00, v53
	ds_read2_b32 v[32:33], v34 offset1:32
	s_waitcnt lgkmcnt(2)
	v_mfma_f32_16x16x32_fp8_fp8 v[0:3], v[14:15], v[36:37], v[0:3]
	v_add_u32_e32 v14, s19, v50
	v_add_u32_e32 v15, 2, v40
	v_cmp_lt_i32_e32 vcc, 2, v14
	s_waitcnt lgkmcnt(1)
	v_mfma_f32_16x16x32_fp8_fp8 v[0:3], v[28:29], v[38:39], v[0:3]
	ds_read2_b32 v[28:29], v34 offset0:128 offset1:160
	v_cndmask_b32_e32 v40, v40, v15, vcc
	;;#ASMSTART
	s_waitcnt lgkmcnt(0)
	;;#ASMEND
	s_waitcnt lgkmcnt(1)
	v_mfma_f32_16x16x32_fp8_fp8 v[0:3], v[32:33], v[30:31], v[0:3]
	ds_write_b32 v51, v52 offset:49160
	s_waitcnt lgkmcnt(1)
	v_mfma_f32_16x16x32_fp8_fp8 v[0:3], v[28:29], v[12:13], v[0:3]
	s_andn2_b64 exec, exec, s[8:9]
	s_cbranch_execz .LBB245_25
.LBB245_13:                             ;   Parent Loop BB245_7 Depth=1
                                        ; =>  This Loop Header: Depth=2
                                        ;       Child Loop BB245_15 Depth 3
                                        ;       Child Loop BB245_18 Depth 3
	;; [unrolled: 1-line block ×4, first 2 shown]
	v_cmp_gt_i32_e32 vcc, 3, v14
	s_nop 1
	v_cndmask_b32_e64 v12, -3, 0, vcc
	v_add_u32_e32 v50, v12, v14
	v_lshlrev_b32_e32 v12, 2, v50
	ds_read_b32 v13, v12 offset:49188
	v_add_u32_e32 v53, 0xc000, v12
	s_waitcnt lgkmcnt(0)
	v_cmp_ne_u32_e32 vcc, v13, v40
	s_and_saveexec_b64 s[38:39], vcc
	s_cbranch_execz .LBB245_16
; %bb.14:                               ;   in Loop: Header=BB245_13 Depth=2
	s_mov_b64 s[40:41], 0
.LBB245_15:                             ;   Parent Loop BB245_7 Depth=1
                                        ;     Parent Loop BB245_13 Depth=2
                                        ; =>    This Inner Loop Header: Depth=3
	;;#ASMSTART
	s_sleep 0
	;;#ASMEND
	ds_read_b32 v12, v53 offset:36
	s_waitcnt lgkmcnt(0)
	v_cmp_eq_u32_e32 vcc, v12, v40
	s_or_b64 s[40:41], vcc, s[40:41]
	s_andn2_b64 exec, exec, s[40:41]
	s_cbranch_execnz .LBB245_15
.LBB245_16:                             ;   in Loop: Header=BB245_13 Depth=2
	s_or_b64 exec, exec, s[38:39]
	v_or_b32_e32 v12, 0x9000, v41
	v_lshl_add_u32 v12, v50, 12, v12
	v_add_u32_e32 v13, 0x400, v12
	ds_read2_b32 v[14:15], v12 offset1:32
	ds_read2_b32 v[28:29], v12 offset0:128 offset1:160
	ds_read2_b32 v[32:33], v13 offset1:32
	ds_read2_b32 v[34:35], v13 offset0:128 offset1:160
	v_add_u32_e32 v13, 0x800, v12
	v_add_u32_e32 v12, 0xc00, v12
	v_mul_lo_u32 v51, v50, 12
	ds_read2_b32 v[36:37], v13 offset1:32
	ds_read2_b32 v[38:39], v13 offset0:128 offset1:160
	ds_read2_b32 v[30:31], v12 offset1:32
	ds_read2_b32 v[12:13], v12 offset0:128 offset1:160
	;;#ASMSTART
	s_waitcnt lgkmcnt(0)
	;;#ASMEND
	ds_read_b32 v54, v51 offset:49152
	v_add_u32_e32 v52, 1, v40
	ds_write_b32 v53, v52 offset:36
	s_waitcnt lgkmcnt(1)
	v_cmp_ne_u32_e32 vcc, v54, v40
	s_and_saveexec_b64 s[38:39], vcc
	s_cbranch_execz .LBB245_19
; %bb.17:                               ;   in Loop: Header=BB245_13 Depth=2
	s_mov_b64 s[40:41], 0
.LBB245_18:                             ;   Parent Loop BB245_7 Depth=1
                                        ;     Parent Loop BB245_13 Depth=2
                                        ; =>    This Inner Loop Header: Depth=3
	;;#ASMSTART
	s_sleep 0
	;;#ASMEND
	ds_read_b32 v53, v51 offset:49152
	s_waitcnt lgkmcnt(0)
	v_cmp_eq_u32_e32 vcc, v53, v40
	s_or_b64 s[40:41], vcc, s[40:41]
	s_andn2_b64 exec, exec, s[40:41]
	s_cbranch_execnz .LBB245_18
.LBB245_19:                             ;   in Loop: Header=BB245_13 Depth=2
	s_or_b64 exec, exec, s[38:39]
	v_mul_lo_u32 v53, v50, s52
	v_or_b32_e32 v58, v41, v53
	ds_read2_b32 v[54:55], v58 offset1:32
	ds_read2_b32 v[56:57], v58 offset0:128 offset1:160
	v_add_u32_e32 v59, 0x400, v58
	s_waitcnt lgkmcnt(1)
	v_mfma_f32_16x16x32_fp8_fp8 v[8:11], v[54:55], v[14:15], v[8:11]
	ds_read2_b32 v[54:55], v59 offset1:32
	s_waitcnt lgkmcnt(1)
	v_mfma_f32_16x16x32_fp8_fp8 v[8:11], v[56:57], v[28:29], v[8:11]
	ds_read2_b32 v[56:57], v59 offset0:128 offset1:160
	v_add_u32_e32 v59, 0x800, v58
	v_add_u32_e32 v58, 0xc00, v58
	s_waitcnt lgkmcnt(1)
	v_mfma_f32_16x16x32_fp8_fp8 v[8:11], v[54:55], v[32:33], v[8:11]
	ds_read2_b32 v[54:55], v59 offset1:32
	s_waitcnt lgkmcnt(1)
	v_mfma_f32_16x16x32_fp8_fp8 v[8:11], v[56:57], v[34:35], v[8:11]
	ds_read2_b32 v[56:57], v59 offset0:128 offset1:160
	s_waitcnt lgkmcnt(1)
	v_mfma_f32_16x16x32_fp8_fp8 v[8:11], v[54:55], v[36:37], v[8:11]
	ds_read2_b32 v[54:55], v58 offset1:32
	s_waitcnt lgkmcnt(1)
	v_mfma_f32_16x16x32_fp8_fp8 v[8:11], v[56:57], v[38:39], v[8:11]
	ds_read2_b32 v[56:57], v58 offset0:128 offset1:160
	;;#ASMSTART
	s_waitcnt lgkmcnt(0)
	;;#ASMEND
	ds_write_b32 v51, v52 offset:49152
	s_waitcnt lgkmcnt(2)
	v_mfma_f32_16x16x32_fp8_fp8 v[8:11], v[54:55], v[30:31], v[8:11]
	ds_read_b32 v54, v51 offset:49156
	s_waitcnt lgkmcnt(0)
	v_cmp_ne_u32_e32 vcc, v54, v40
	v_mfma_f32_16x16x32_fp8_fp8 v[8:11], v[56:57], v[12:13], v[8:11]
	s_and_saveexec_b64 s[38:39], vcc
	s_cbranch_execz .LBB245_22
; %bb.20:                               ;   in Loop: Header=BB245_13 Depth=2
	s_mov_b64 s[40:41], 0
.LBB245_21:                             ;   Parent Loop BB245_7 Depth=1
                                        ;     Parent Loop BB245_13 Depth=2
                                        ; =>    This Inner Loop Header: Depth=3
	;;#ASMSTART
	s_sleep 0
	;;#ASMEND
	ds_read_b32 v54, v51 offset:49156
	s_waitcnt lgkmcnt(0)
	v_cmp_eq_u32_e32 vcc, v54, v40
	s_or_b64 s[40:41], vcc, s[40:41]
	s_andn2_b64 exec, exec, s[40:41]
	s_cbranch_execnz .LBB245_21
.LBB245_22:                             ;   in Loop: Header=BB245_13 Depth=2
	s_or_b64 exec, exec, s[38:39]
	v_add_u32_e32 v53, v41, v53
	v_add_u32_e32 v56, 0x1000, v53
	ds_read2_b32 v[54:55], v56 offset1:32
	ds_read2_b32 v[56:57], v56 offset0:128 offset1:160
	v_add_u32_e32 v58, 0x1400, v53
	s_waitcnt lgkmcnt(1)
	v_mfma_f32_16x16x32_fp8_fp8 v[4:7], v[54:55], v[14:15], v[4:7]
	ds_read2_b32 v[54:55], v58 offset1:32
	s_waitcnt lgkmcnt(1)
	v_mfma_f32_16x16x32_fp8_fp8 v[4:7], v[56:57], v[28:29], v[4:7]
	ds_read2_b32 v[56:57], v58 offset0:128 offset1:160
	v_add_u32_e32 v58, 0x1800, v53
	s_waitcnt lgkmcnt(1)
	v_mfma_f32_16x16x32_fp8_fp8 v[4:7], v[54:55], v[32:33], v[4:7]
	ds_read2_b32 v[54:55], v58 offset1:32
	s_waitcnt lgkmcnt(1)
	v_mfma_f32_16x16x32_fp8_fp8 v[4:7], v[56:57], v[34:35], v[4:7]
	;; [unrolled: 7-line block ×3, first 2 shown]
	ds_read2_b32 v[56:57], v58 offset0:128 offset1:160
	;;#ASMSTART
	s_waitcnt lgkmcnt(0)
	;;#ASMEND
	ds_write_b32 v51, v52 offset:49156
	s_waitcnt lgkmcnt(2)
	v_mfma_f32_16x16x32_fp8_fp8 v[4:7], v[54:55], v[30:31], v[4:7]
	ds_read_b32 v54, v51 offset:49160
	s_waitcnt lgkmcnt(0)
	v_cmp_ne_u32_e32 vcc, v54, v40
	v_mfma_f32_16x16x32_fp8_fp8 v[4:7], v[56:57], v[12:13], v[4:7]
	s_and_saveexec_b64 s[38:39], vcc
	s_cbranch_execz .LBB245_12
; %bb.23:                               ;   in Loop: Header=BB245_13 Depth=2
	s_mov_b64 s[40:41], 0
.LBB245_24:                             ;   Parent Loop BB245_7 Depth=1
                                        ;     Parent Loop BB245_13 Depth=2
                                        ; =>    This Inner Loop Header: Depth=3
	;;#ASMSTART
	s_sleep 0
	;;#ASMEND
	ds_read_b32 v54, v51 offset:49160
	s_waitcnt lgkmcnt(0)
	v_cmp_eq_u32_e32 vcc, v54, v40
	s_or_b64 s[40:41], vcc, s[40:41]
	s_andn2_b64 exec, exec, s[40:41]
	s_cbranch_execnz .LBB245_24
	s_branch .LBB245_12
.LBB245_25:                             ;   in Loop: Header=BB245_7 Depth=1
	s_or_b64 exec, exec, s[8:9]
.LBB245_26:                             ;   in Loop: Header=BB245_7 Depth=1
	s_or_b64 exec, exec, s[6:7]
	v_cmp_le_i32_e32 vcc, s31, v16
	v_cmp_eq_u32_e64 s[6:7], 3, v42
	s_waitcnt vmcnt(0)
	v_cndmask_b32_e32 v12, 0, v49, vcc
	v_pk_mul_f32 v[28:29], v[12:13], v[8:9] op_sel_hi:[0,1]
	v_cmp_eq_u32_e32 vcc, 1, v42
	v_pk_mul_f32 v[10:11], v[12:13], v[10:11] op_sel_hi:[0,1]
	v_add_u32_e32 v13, s56, v44
	v_cndmask_b32_e32 v8, v28, v29, vcc
	v_cmp_eq_u32_e32 vcc, 2, v42
	s_nop 1
	v_cndmask_b32_e32 v8, v8, v10, vcc
	v_cndmask_b32_e64 v8, v8, v11, s[6:7]
	ds_bpermute_b32 v9, v47, v8
	s_waitcnt lgkmcnt(0)
	v_cndmask_b32_e32 v10, v10, v9, vcc
	v_cmp_ne_u32_e32 vcc, 0, v42
	v_cndmask_b32_e64 v15, v11, v9, s[6:7]
	s_nop 0
	v_cndmask_b32_e32 v8, v29, v9, vcc
	v_cmp_eq_u32_e32 vcc, 0, v42
	s_nop 1
	v_cndmask_b32_e32 v9, v28, v9, vcc
	v_cmp_eq_u32_e32 vcc, 1, v43
	;; [unrolled: 3-line block ×4, first 2 shown]
	s_nop 1
	v_cndmask_b32_e32 v11, v11, v15, vcc
	ds_bpermute_b32 v11, v47, v11
	v_cmp_gt_u32_e32 vcc, 48, v13
	s_and_saveexec_b64 s[38:39], vcc
	s_cbranch_execz .LBB245_33
; %bb.27:                               ;   in Loop: Header=BB245_7 Depth=1
	v_cmp_eq_u32_e64 s[8:9], 1, v43
	v_cmp_eq_u32_e64 s[6:7], 3, v43
	v_cmp_eq_u32_e32 vcc, 2, v43
	s_waitcnt lgkmcnt(0)
	v_cndmask_b32_e64 v8, v8, v11, s[8:9]
	v_cmp_eq_u32_e64 s[8:9], 0, v43
	v_cvt_f16_f32_sdwa v29, v8 dst_sel:WORD_1 dst_unused:UNUSED_PAD src0_sel:DWORD
	s_nop 0
	v_cndmask_b32_e64 v9, v9, v11, s[8:9]
	s_mul_i32 s8, s54, s13
	s_ashr_i32 s9, s8, 31
	s_lshl_b64 s[8:9], s[8:9], 1
	s_add_u32 s40, s24, s8
	s_addc_u32 s41, s25, s9
	s_ashr_i32 s31, s30, 31
	s_lshl_b64 s[8:9], s[30:31], 1
	v_cvt_f16_f32_e32 v28, v9
	s_add_u32 s40, s40, s8
	s_addc_u32 s41, s41, s9
	v_lshl_add_u64 v[8:9], v[18:19], 1, s[40:41]
	v_cmp_gt_u32_e64 s[8:9], 46, v13
	v_or_b32_e32 v28, v29, v28
	;;#ASMSTART
	global_atomic_pk_add_f16 v[8:9], v28, off
	
	;;#ASMEND
	s_and_b64 exec, exec, s[8:9]
	s_cbranch_execz .LBB245_33
; %bb.28:                               ;   in Loop: Header=BB245_7 Depth=1
	v_mov_b32_e32 v13, v12
	v_mov_b32_e32 v28, v12
	;; [unrolled: 1-line block ×3, first 2 shown]
	v_cndmask_b32_e64 v15, v15, v11, s[6:7]
	v_pk_mul_f32 v[6:7], v[28:29], v[6:7]
	v_pk_mul_f32 v[28:29], v[12:13], v[4:5]
	v_cmp_eq_u32_e64 s[6:7], 1, v42
	v_cmp_eq_u32_e64 s[8:9], 3, v42
	v_cvt_f16_f32_sdwa v15, v15 dst_sel:WORD_1 dst_unused:UNUSED_PAD src0_sel:DWORD
	v_cndmask_b32_e64 v4, v28, v29, s[6:7]
	v_cmp_eq_u32_e64 s[6:7], 2, v42
	s_nop 1
	v_cndmask_b32_e64 v4, v4, v6, s[6:7]
	v_cndmask_b32_e64 v4, v4, v7, s[8:9]
	ds_bpermute_b32 v5, v47, v4
	v_cndmask_b32_e32 v4, v10, v11, vcc
	v_cmp_ne_u32_e32 vcc, 0, v42
	v_lshl_add_u64 v[10:11], s[10:11], 2, v[8:9]
	v_cvt_f16_f32_e32 v9, v4
	s_waitcnt lgkmcnt(0)
	v_cndmask_b32_e32 v4, v29, v5, vcc
	v_cmp_eq_u32_e32 vcc, 0, v42
	v_cndmask_b32_e64 v8, v7, v5, s[8:9]
	v_cndmask_b32_e64 v6, v6, v5, s[6:7]
	v_cndmask_b32_e32 v5, v28, v5, vcc
	v_cmp_eq_u32_e32 vcc, 1, v43
	v_or_b32_e32 v9, v15, v9
	;;#ASMSTART
	global_atomic_pk_add_f16 v[10:11], v9, off
	
	;;#ASMEND
	v_or_b32_e32 v9, 16, v44
	v_cndmask_b32_e32 v7, v5, v4, vcc
	v_cmp_eq_u32_e32 vcc, 2, v43
	v_add_u32_e32 v9, s56, v9
	s_nop 0
	v_cndmask_b32_e32 v7, v7, v6, vcc
	v_cmp_eq_u32_e32 vcc, 3, v43
	s_nop 1
	v_cndmask_b32_e32 v7, v7, v8, vcc
	ds_bpermute_b32 v7, v47, v7
	v_cmp_gt_u32_e32 vcc, 48, v9
	s_and_b64 exec, exec, vcc
	s_cbranch_execz .LBB245_33
; %bb.29:                               ;   in Loop: Header=BB245_7 Depth=1
	v_cmp_eq_u32_e32 vcc, 1, v43
	v_cmp_eq_u32_e64 s[6:7], 3, v43
	v_cmp_gt_u32_e64 s[8:9], 46, v9
	s_waitcnt lgkmcnt(0)
	v_cndmask_b32_e32 v4, v4, v7, vcc
	v_cmp_eq_u32_e32 vcc, 0, v43
	v_cvt_f16_f32_sdwa v11, v4 dst_sel:WORD_1 dst_unused:UNUSED_PAD src0_sel:DWORD
	s_nop 0
	v_cndmask_b32_e32 v5, v5, v7, vcc
	v_cvt_f16_f32_e32 v10, v5
	v_cmp_eq_u32_e32 vcc, 2, v43
	v_lshl_add_u64 v[4:5], v[20:21], 1, s[40:41]
	v_or_b32_e32 v10, v11, v10
	;;#ASMSTART
	global_atomic_pk_add_f16 v[4:5], v10, off
	
	;;#ASMEND
	s_and_b64 exec, exec, s[8:9]
	s_cbranch_execz .LBB245_33
; %bb.30:                               ;   in Loop: Header=BB245_7 Depth=1
	v_cndmask_b32_e64 v15, v8, v7, s[6:7]
	v_mov_b32_e32 v8, v12
	v_mov_b32_e32 v9, v12
	v_pk_mul_f32 v[10:11], v[12:13], v[0:1]
	v_cmp_eq_u32_e64 s[6:7], 1, v42
	v_pk_mul_f32 v[8:9], v[8:9], v[2:3]
	v_cmp_eq_u32_e64 s[8:9], 3, v42
	v_cndmask_b32_e64 v0, v10, v11, s[6:7]
	v_cmp_eq_u32_e64 s[6:7], 2, v42
	v_cvt_f16_f32_sdwa v12, v15 dst_sel:WORD_1 dst_unused:UNUSED_PAD src0_sel:DWORD
	s_nop 0
	v_cndmask_b32_e64 v0, v0, v8, s[6:7]
	v_cndmask_b32_e64 v0, v0, v9, s[8:9]
	ds_bpermute_b32 v1, v47, v0
	v_cndmask_b32_e32 v0, v6, v7, vcc
	v_cmp_ne_u32_e32 vcc, 0, v42
	v_lshl_add_u64 v[6:7], s[10:11], 2, v[4:5]
	v_cvt_f16_f32_e32 v5, v0
	s_waitcnt lgkmcnt(0)
	v_cndmask_b32_e32 v0, v11, v1, vcc
	v_cmp_eq_u32_e32 vcc, 0, v42
	v_cndmask_b32_e64 v2, v9, v1, s[8:9]
	v_cndmask_b32_e64 v3, v8, v1, s[6:7]
	v_cndmask_b32_e32 v1, v10, v1, vcc
	v_cmp_eq_u32_e32 vcc, 1, v43
	v_or_b32_e32 v5, v12, v5
	;;#ASMSTART
	global_atomic_pk_add_f16 v[6:7], v5, off
	
	;;#ASMEND
	v_or_b32_e32 v5, 32, v44
	v_cndmask_b32_e32 v4, v1, v0, vcc
	v_cmp_eq_u32_e32 vcc, 2, v43
	v_add_u32_e32 v5, s56, v5
	s_nop 0
	v_cndmask_b32_e32 v4, v4, v3, vcc
	v_cmp_eq_u32_e32 vcc, 3, v43
	s_nop 1
	v_cndmask_b32_e32 v4, v4, v2, vcc
	ds_bpermute_b32 v4, v47, v4
	v_cmp_gt_u32_e32 vcc, 48, v5
	s_and_b64 exec, exec, vcc
	s_cbranch_execz .LBB245_33
; %bb.31:                               ;   in Loop: Header=BB245_7 Depth=1
	v_cmp_eq_u32_e32 vcc, 1, v43
	v_cmp_eq_u32_e64 s[6:7], 2, v43
	v_cmp_gt_u32_e64 s[8:9], 46, v5
	s_waitcnt lgkmcnt(0)
	v_cndmask_b32_e32 v0, v0, v4, vcc
	v_cmp_eq_u32_e32 vcc, 0, v43
	v_cvt_f16_f32_sdwa v7, v0 dst_sel:WORD_1 dst_unused:UNUSED_PAD src0_sel:DWORD
	s_nop 0
	v_cndmask_b32_e32 v1, v1, v4, vcc
	v_cvt_f16_f32_e32 v6, v1
	v_cmp_eq_u32_e32 vcc, 3, v43
	v_lshl_add_u64 v[0:1], v[22:23], 1, s[40:41]
	v_or_b32_e32 v6, v7, v6
	;;#ASMSTART
	global_atomic_pk_add_f16 v[0:1], v6, off
	
	;;#ASMEND
	s_and_b64 exec, exec, s[8:9]
	s_cbranch_execz .LBB245_33
; %bb.32:                               ;   in Loop: Header=BB245_7 Depth=1
	v_cndmask_b32_e32 v2, v2, v4, vcc
	v_cndmask_b32_e64 v3, v3, v4, s[6:7]
	v_cvt_f16_f32_sdwa v2, v2 dst_sel:WORD_1 dst_unused:UNUSED_PAD src0_sel:DWORD
	v_cvt_f16_f32_e32 v3, v3
	v_lshl_add_u64 v[0:1], s[10:11], 2, v[0:1]
	v_or_b32_e32 v2, v2, v3
	;;#ASMSTART
	global_atomic_pk_add_f16 v[0:1], v2, off
	
	;;#ASMEND
.LBB245_33:                             ;   in Loop: Header=BB245_7 Depth=1
	s_or_b64 exec, exec, s[38:39]
	v_subrev_u32_e32 v48, s57, v48
.LBB245_34:                             ;   in Loop: Header=BB245_7 Depth=1
	s_or_b64 exec, exec, s[36:37]
.LBB245_35:                             ;   in Loop: Header=BB245_7 Depth=1
	s_andn2_saveexec_b64 s[6:7], s[34:35]
	s_cbranch_execz .LBB245_44
; %bb.36:                               ;   in Loop: Header=BB245_7 Depth=1
	v_cmp_gt_i32_e32 vcc, s57, v48
	s_and_saveexec_b64 s[8:9], vcc
	s_cbranch_execz .LBB245_43
; %bb.37:                               ;   in Loop: Header=BB245_7 Depth=1
	s_mul_i32 s30, s30, s15
	s_ashr_i32 s31, s30, 31
	s_waitcnt lgkmcnt(0)
	s_add_u32 s30, s22, s30
	s_addc_u32 s31, s23, s31
	s_ashr_i32 s34, s55, 31
	s_add_u32 s30, s30, s55
	s_addc_u32 s31, s31, s34
	v_lshl_add_u64 v[0:1], s[30:31], 0, v[26:27]
	v_lshl_add_u64 v[28:29], v[0:1], 0, v[24:25]
	s_mov_b64 s[30:31], 0
	s_branch .LBB245_39
.LBB245_38:                             ;   in Loop: Header=BB245_39 Depth=2
	s_or_b64 exec, exec, s[34:35]
	v_or_b32_e32 v32, 0x9000, v46
	v_lshl_add_u32 v32, v30, 12, v32
	;;#ASMSTART
	s_waitcnt vmcnt(3)
	;;#ASMEND
	ds_write2_b32 v32, v12, v13 offset1:32
	ds_write2_b32 v32, v14, v15 offset0:64 offset1:96
	v_add_u32_e32 v12, 0x400, v32
	;;#ASMSTART
	s_waitcnt vmcnt(2)
	;;#ASMEND
	ds_write2_b32 v12, v8, v9 offset1:32
	ds_write2_b32 v12, v10, v11 offset0:64 offset1:96
	v_add_u32_e32 v8, 0x800, v32
	;; [unrolled: 6-line block ×3, first 2 shown]
	v_add_u32_e32 v48, s18, v48
	;;#ASMSTART
	s_waitcnt vmcnt(0)
	;;#ASMEND
	ds_write2_b32 v4, v0, v1 offset1:32
	ds_write2_b32 v4, v2, v3 offset0:64 offset1:96
	v_add_u32_e32 v0, 1, v40
	v_add_u32_e32 v14, s18, v30
	v_cmp_le_i32_e32 vcc, s57, v48
	ds_write_b32 v31, v0 offset:36
	v_add_u32_e32 v0, 2, v40
	s_or_b64 s[30:31], vcc, s[30:31]
	v_cmp_lt_i32_e32 vcc, 2, v14
	s_nop 1
	v_cndmask_b32_e32 v40, v40, v0, vcc
	s_andn2_b64 exec, exec, s[30:31]
	s_cbranch_execz .LBB245_42
.LBB245_39:                             ;   Parent Loop BB245_7 Depth=1
                                        ; =>  This Loop Header: Depth=2
                                        ;       Child Loop BB245_41 Depth 3
	v_cmp_gt_i32_e32 vcc, 3, v14
	s_nop 1
	v_cndmask_b32_e64 v0, -3, 0, vcc
	v_add_u32_e32 v30, v0, v14
	v_lshlrev_b32_e32 v0, 8, v48
	v_ashrrev_i32_e32 v1, 31, v0
	v_lshl_add_u64 v[0:1], v[28:29], 0, v[0:1]
	v_lshlrev_b32_e32 v31, 2, v30
	;;#ASMSTART
	global_load_dwordx4 v[12:15], v[0:1], off offset:0    sc0 sc1 nt  
	global_load_dwordx4 v[8:11], v[0:1], off offset:64   sc0 sc1 nt  
	global_load_dwordx4 v[4:7], v[0:1], off offset:128  sc0 sc1 nt  
	global_load_dwordx4 v[0:3], v[0:1], off offset:192  sc0 sc1 nt  
	
	;;#ASMEND
	ds_read_b32 v32, v31 offset:49188
	v_add_u32_e32 v31, 0xc000, v31
	s_waitcnt lgkmcnt(0)
	v_cmp_ne_u32_e32 vcc, v32, v40
	s_and_saveexec_b64 s[34:35], vcc
	s_cbranch_execz .LBB245_38
; %bb.40:                               ;   in Loop: Header=BB245_39 Depth=2
	s_mov_b64 s[36:37], 0
.LBB245_41:                             ;   Parent Loop BB245_7 Depth=1
                                        ;     Parent Loop BB245_39 Depth=2
                                        ; =>    This Inner Loop Header: Depth=3
	;;#ASMSTART
	s_sleep 0
	;;#ASMEND
	ds_read_b32 v32, v31 offset:36
	s_waitcnt lgkmcnt(0)
	v_cmp_eq_u32_e32 vcc, v32, v40
	s_or_b64 s[36:37], vcc, s[36:37]
	s_andn2_b64 exec, exec, s[36:37]
	s_cbranch_execnz .LBB245_41
	s_branch .LBB245_38
.LBB245_42:                             ;   in Loop: Header=BB245_7 Depth=1
	s_or_b64 exec, exec, s[30:31]
.LBB245_43:                             ;   in Loop: Header=BB245_7 Depth=1
	s_or_b64 exec, exec, s[8:9]
	v_subrev_u32_e32 v48, s57, v48
.LBB245_44:                             ;   in Loop: Header=BB245_7 Depth=1
	s_or_b64 exec, exec, s[6:7]
.LBB245_45:                             ;   in Loop: Header=BB245_7 Depth=1
	s_andn2_saveexec_b64 s[6:7], s[28:29]
	s_cbranch_execz .LBB245_6
; %bb.46:                               ;   in Loop: Header=BB245_7 Depth=1
	s_mul_i32 s57, s57, 3
	v_cmp_gt_i32_e32 vcc, s57, v48
	s_and_saveexec_b64 s[8:9], vcc
	s_cbranch_execz .LBB245_5
; %bb.47:                               ;   in Loop: Header=BB245_7 Depth=1
	s_mul_i32 s54, s54, s14
	s_ashr_i32 s28, s54, 31
	s_waitcnt lgkmcnt(0)
	s_add_u32 s29, s20, s54
	v_add_u32_e32 v2, s56, v45
	s_addc_u32 s30, s21, s28
	s_ashr_i32 s31, s55, 31
	v_mul_lo_u32 v0, s14, v45
	v_cmp_gt_u32_e32 vcc, 48, v2
	s_add_u32 s28, s29, s55
	s_addc_u32 s29, s30, s31
	v_cndmask_b32_e32 v0, 0, v0, vcc
	v_ashrrev_i32_e32 v1, 31, v0
	v_lshl_add_u64 v[0:1], s[28:29], 0, v[0:1]
	v_lshl_add_u64 v[28:29], v[0:1], 0, v[24:25]
	v_sub_u32_e32 v30, 47, v2
	s_mov_b64 s[28:29], 0
	s_branch .LBB245_49
.LBB245_48:                             ;   in Loop: Header=BB245_49 Depth=2
	s_or_b64 exec, exec, s[30:31]
	v_lshl_or_b32 v33, v31, 12, v46
	;;#ASMSTART
	s_waitcnt vmcnt(3)
	;;#ASMEND
	ds_write2_b32 v33, v12, v13 offset1:32
	ds_write2_b32 v33, v14, v15 offset0:64 offset1:96
	v_add_u32_e32 v12, 0x400, v33
	;;#ASMSTART
	s_waitcnt vmcnt(2)
	;;#ASMEND
	ds_write2_b32 v12, v8, v9 offset1:32
	ds_write2_b32 v12, v10, v11 offset0:64 offset1:96
	v_add_u32_e32 v8, 0x800, v33
	;; [unrolled: 6-line block ×3, first 2 shown]
	v_add_u32_e32 v48, s17, v48
	;;#ASMSTART
	s_waitcnt vmcnt(0)
	;;#ASMEND
	ds_write2_b32 v4, v0, v1 offset1:32
	ds_write2_b32 v4, v2, v3 offset0:64 offset1:96
	v_add_u32_e32 v0, 1, v40
	v_add_u32_e32 v14, s17, v31
	v_cmp_le_i32_e32 vcc, s57, v48
	ds_write_b32 v32, v0
	v_add_u32_e32 v0, 2, v40
	s_or_b64 s[28:29], vcc, s[28:29]
	v_cmp_lt_i32_e32 vcc, 8, v14
	s_nop 1
	v_cndmask_b32_e32 v40, v40, v0, vcc
	s_andn2_b64 exec, exec, s[28:29]
	s_cbranch_execz .LBB245_4
.LBB245_49:                             ;   Parent Loop BB245_7 Depth=1
                                        ; =>  This Loop Header: Depth=2
                                        ;       Child Loop BB245_51 Depth 3
	v_cmp_gt_i32_e32 vcc, 9, v14
	s_nop 1
	v_cndmask_b32_e64 v0, -9, 0, vcc
	v_add_u32_e32 v31, v0, v14
	v_mul_hi_i32 v0, v48, s53
	v_lshrrev_b32_e32 v1, 31, v0
	v_add_u32_e32 v0, v0, v1
	v_lshl_add_u32 v1, v0, 1, v0
	v_sub_u32_e32 v1, v48, v1
	v_lshlrev_b32_e32 v1, 4, v1
	v_cmp_le_i32_e32 vcc, v1, v30
	v_lshlrev_b32_e32 v0, 8, v0
	v_lshlrev_b32_e32 v32, 2, v31
	v_cndmask_b32_e32 v2, 0, v1, vcc
	v_ashrrev_i32_e32 v1, 31, v0
	v_mul_lo_u32 v2, v2, s14
	v_lshl_add_u64 v[0:1], v[28:29], 0, v[0:1]
	v_ashrrev_i32_e32 v3, 31, v2
	v_lshl_add_u64 v[0:1], v[0:1], 0, v[2:3]
	;;#ASMSTART
	global_load_dwordx4 v[12:15], v[0:1], off offset:0    
	global_load_dwordx4 v[8:11], v[0:1], off offset:64   
	;; [unrolled: 1-line block ×4, first 2 shown]
	
	;;#ASMEND
	ds_read_b32 v33, v32 offset:49152
	v_add_u32_e32 v32, 0xc000, v32
	s_waitcnt lgkmcnt(0)
	v_cmp_ne_u32_e32 vcc, v33, v40
	s_and_saveexec_b64 s[30:31], vcc
	s_cbranch_execz .LBB245_48
; %bb.50:                               ;   in Loop: Header=BB245_49 Depth=2
	s_mov_b64 s[34:35], 0
.LBB245_51:                             ;   Parent Loop BB245_7 Depth=1
                                        ;     Parent Loop BB245_49 Depth=2
                                        ; =>    This Inner Loop Header: Depth=3
	;;#ASMSTART
	s_sleep 0
	;;#ASMEND
	ds_read_b32 v33, v32
	s_waitcnt lgkmcnt(0)
	v_cmp_eq_u32_e32 vcc, v33, v40
	s_or_b64 s[34:35], vcc, s[34:35]
	s_andn2_b64 exec, exec, s[34:35]
	s_cbranch_execnz .LBB245_51
	s_branch .LBB245_48
.LBB245_52:
	s_endpgm
	.section	.rodata,"a",@progbits
	.p2align	6, 0x0
	.amdhsa_kernel _Z19_skinny_gemm_kernelILi3ELi1ELi3ELi16ELi8EEvPKhS1_P6__halfPKfiiiiiiii
		.amdhsa_group_segment_fixed_size 49200
		.amdhsa_private_segment_fixed_size 0
		.amdhsa_kernarg_size 64
		.amdhsa_user_sgpr_count 2
		.amdhsa_user_sgpr_dispatch_ptr 0
		.amdhsa_user_sgpr_queue_ptr 0
		.amdhsa_user_sgpr_kernarg_segment_ptr 1
		.amdhsa_user_sgpr_dispatch_id 0
		.amdhsa_user_sgpr_kernarg_preload_length 0
		.amdhsa_user_sgpr_kernarg_preload_offset 0
		.amdhsa_user_sgpr_private_segment_size 0
		.amdhsa_uses_dynamic_stack 0
		.amdhsa_enable_private_segment 0
		.amdhsa_system_sgpr_workgroup_id_x 1
		.amdhsa_system_sgpr_workgroup_id_y 0
		.amdhsa_system_sgpr_workgroup_id_z 0
		.amdhsa_system_sgpr_workgroup_info 0
		.amdhsa_system_vgpr_workitem_id 0
		.amdhsa_next_free_vgpr 60
		.amdhsa_next_free_sgpr 58
		.amdhsa_accum_offset 60
		.amdhsa_reserve_vcc 1
		.amdhsa_float_round_mode_32 0
		.amdhsa_float_round_mode_16_64 0
		.amdhsa_float_denorm_mode_32 3
		.amdhsa_float_denorm_mode_16_64 3
		.amdhsa_dx10_clamp 1
		.amdhsa_ieee_mode 1
		.amdhsa_fp16_overflow 0
		.amdhsa_tg_split 0
		.amdhsa_exception_fp_ieee_invalid_op 0
		.amdhsa_exception_fp_denorm_src 0
		.amdhsa_exception_fp_ieee_div_zero 0
		.amdhsa_exception_fp_ieee_overflow 0
		.amdhsa_exception_fp_ieee_underflow 0
		.amdhsa_exception_fp_ieee_inexact 0
		.amdhsa_exception_int_div_zero 0
	.end_amdhsa_kernel
	.section	.text._Z19_skinny_gemm_kernelILi3ELi1ELi3ELi16ELi8EEvPKhS1_P6__halfPKfiiiiiiii,"axG",@progbits,_Z19_skinny_gemm_kernelILi3ELi1ELi3ELi16ELi8EEvPKhS1_P6__halfPKfiiiiiiii,comdat
.Lfunc_end245:
	.size	_Z19_skinny_gemm_kernelILi3ELi1ELi3ELi16ELi8EEvPKhS1_P6__halfPKfiiiiiiii, .Lfunc_end245-_Z19_skinny_gemm_kernelILi3ELi1ELi3ELi16ELi8EEvPKhS1_P6__halfPKfiiiiiiii
                                        ; -- End function
	.set _Z19_skinny_gemm_kernelILi3ELi1ELi3ELi16ELi8EEvPKhS1_P6__halfPKfiiiiiiii.num_vgpr, 60
	.set _Z19_skinny_gemm_kernelILi3ELi1ELi3ELi16ELi8EEvPKhS1_P6__halfPKfiiiiiiii.num_agpr, 0
	.set _Z19_skinny_gemm_kernelILi3ELi1ELi3ELi16ELi8EEvPKhS1_P6__halfPKfiiiiiiii.numbered_sgpr, 58
	.set _Z19_skinny_gemm_kernelILi3ELi1ELi3ELi16ELi8EEvPKhS1_P6__halfPKfiiiiiiii.num_named_barrier, 0
	.set _Z19_skinny_gemm_kernelILi3ELi1ELi3ELi16ELi8EEvPKhS1_P6__halfPKfiiiiiiii.private_seg_size, 0
	.set _Z19_skinny_gemm_kernelILi3ELi1ELi3ELi16ELi8EEvPKhS1_P6__halfPKfiiiiiiii.uses_vcc, 1
	.set _Z19_skinny_gemm_kernelILi3ELi1ELi3ELi16ELi8EEvPKhS1_P6__halfPKfiiiiiiii.uses_flat_scratch, 0
	.set _Z19_skinny_gemm_kernelILi3ELi1ELi3ELi16ELi8EEvPKhS1_P6__halfPKfiiiiiiii.has_dyn_sized_stack, 0
	.set _Z19_skinny_gemm_kernelILi3ELi1ELi3ELi16ELi8EEvPKhS1_P6__halfPKfiiiiiiii.has_recursion, 0
	.set _Z19_skinny_gemm_kernelILi3ELi1ELi3ELi16ELi8EEvPKhS1_P6__halfPKfiiiiiiii.has_indirect_call, 0
	.section	.AMDGPU.csdata,"",@progbits
; Kernel info:
; codeLenInByte = 4380
; TotalNumSgprs: 64
; NumVgprs: 60
; NumAgprs: 0
; TotalNumVgprs: 60
; ScratchSize: 0
; MemoryBound: 0
; FloatMode: 240
; IeeeMode: 1
; LDSByteSize: 49200 bytes/workgroup (compile time only)
; SGPRBlocks: 7
; VGPRBlocks: 7
; NumSGPRsForWavesPerEU: 64
; NumVGPRsForWavesPerEU: 60
; AccumOffset: 60
; Occupancy: 8
; WaveLimiterHint : 0
; COMPUTE_PGM_RSRC2:SCRATCH_EN: 0
; COMPUTE_PGM_RSRC2:USER_SGPR: 2
; COMPUTE_PGM_RSRC2:TRAP_HANDLER: 0
; COMPUTE_PGM_RSRC2:TGID_X_EN: 1
; COMPUTE_PGM_RSRC2:TGID_Y_EN: 0
; COMPUTE_PGM_RSRC2:TGID_Z_EN: 0
; COMPUTE_PGM_RSRC2:TIDIG_COMP_CNT: 0
; COMPUTE_PGM_RSRC3_GFX90A:ACCUM_OFFSET: 14
; COMPUTE_PGM_RSRC3_GFX90A:TG_SPLIT: 0
	.section	.text._Z19_skinny_gemm_kernelILi3ELi1ELi3ELi32ELi4EEvPKhS1_P6__halfPKfiiiiiiii,"axG",@progbits,_Z19_skinny_gemm_kernelILi3ELi1ELi3ELi32ELi4EEvPKhS1_P6__halfPKfiiiiiiii,comdat
	.protected	_Z19_skinny_gemm_kernelILi3ELi1ELi3ELi32ELi4EEvPKhS1_P6__halfPKfiiiiiiii ; -- Begin function _Z19_skinny_gemm_kernelILi3ELi1ELi3ELi32ELi4EEvPKhS1_P6__halfPKfiiiiiiii
	.globl	_Z19_skinny_gemm_kernelILi3ELi1ELi3ELi32ELi4EEvPKhS1_P6__halfPKfiiiiiiii
	.p2align	8
	.type	_Z19_skinny_gemm_kernelILi3ELi1ELi3ELi32ELi4EEvPKhS1_P6__halfPKfiiiiiiii,@function
_Z19_skinny_gemm_kernelILi3ELi1ELi3ELi32ELi4EEvPKhS1_P6__halfPKfiiiiiiii: ; @_Z19_skinny_gemm_kernelILi3ELi1ELi3ELi32ELi4EEvPKhS1_P6__halfPKfiiiiiiii
; %bb.0:
	v_cmp_gt_u32_e32 vcc, 12, v0
	s_and_saveexec_b64 s[4:5], vcc
; %bb.1:
	v_lshlrev_b32_e32 v1, 2, v0
	v_mov_b32_e32 v2, 0
	ds_write_b32 v1, v2 offset:24576
; %bb.2:
	s_or_b64 exec, exec, s[4:5]
	s_load_dwordx8 s[36:43], s[0:1], 0x20
	s_waitcnt lgkmcnt(0)
	s_barrier
	s_add_i32 s3, s36, 0x5f
	s_add_i32 s4, s37, 31
	s_mul_hi_i32 s3, s3, 0x2aaaaaab
	s_lshr_b32 s5, s3, 31
	s_ashr_i32 s33, s3, 4
	s_ashr_i32 s3, s4, 31
	s_lshr_b32 s3, s3, 27
	s_add_i32 s4, s4, s3
	s_add_i32 s33, s33, s5
	s_ashr_i32 s62, s4, 5
	s_mul_i32 s3, s62, s33
	s_mul_i32 s3, s3, s40
	s_add_i32 s4, s3, 0x12f
	s_mul_hi_i32 s4, s4, 0x6bca1af3
	s_lshr_b32 s5, s4, 31
	s_ashr_i32 s4, s4, 7
	s_add_i32 s4, s4, s5
	s_add_i32 s5, s2, 1
	s_mul_i32 s5, s4, s5
	v_cvt_f64_i32_e32 v[2:3], s3
	v_cvt_f64_u32_e32 v[4:5], s5
	v_min_f64 v[2:3], v[2:3], v[4:5]
	v_cvt_i32_f64_e32 v46, v[2:3]
	s_mul_i32 s63, s4, s2
	v_cmp_ge_i32_e32 vcc, s63, v46
	s_cbranch_vccnz .LBB246_48
; %bb.3:
	v_lshrrev_b32_e32 v1, 6, v0
	s_add_i32 s4, s42, s41
	s_load_dwordx8 s[44:51], s[0:1], 0x0
	v_cmp_le_i32_e64 s[0:1], s4, v1
	v_mov_b32_e32 v2, s41
	v_cmp_le_i32_e64 s[2:3], s41, v1
	v_mov_b32_e32 v3, s42
	v_cndmask_b32_e64 v3, 0, v3, s[0:1]
	v_cndmask_b32_e64 v2, 0, v2, s[2:3]
	s_abs_i32 s5, s40
	v_add_u32_e32 v2, v2, v3
	v_cvt_f32_u32_e32 v3, s5
	v_sub_u32_e32 v40, v1, v2
	s_ashr_i32 s6, s38, 31
	s_lshr_b32 s6, s6, 26
	v_rcp_iflag_f32_e32 v2, v3
	s_sub_i32 s9, 0, s5
	s_add_i32 s6, s38, s6
	s_ashr_i32 s6, s6, 6
	v_mul_f32_e32 v2, 0x4f7ffffe, v2
	v_cvt_u32_f32_e32 v2, v2
	s_abs_i32 s8, s6
	s_xor_b32 s7, s6, s40
	s_ashr_i32 s7, s7, 31
	v_readfirstlane_b32 s10, v2
	s_mul_i32 s9, s9, s10
	s_mul_hi_u32 s9, s10, s9
	s_add_i32 s10, s10, s9
	s_mul_hi_u32 s9, s8, s10
	s_mul_i32 s10, s9, s5
	s_sub_i32 s8, s8, s10
	s_add_i32 s10, s9, 1
	s_sub_i32 s11, s8, s5
	s_cmp_ge_u32 s8, s5
	s_cselect_b32 s9, s10, s9
	s_cselect_b32 s8, s11, s8
	s_add_i32 s10, s9, 1
	s_cmp_ge_u32 s8, s5
	s_cselect_b32 s5, s10, s9
	s_xor_b32 s5, s5, s7
	s_sub_i32 s64, s5, s7
	s_add_i32 s40, s40, -1
	s_mul_i32 s5, s64, s40
	s_add_i32 s4, s4, s43
	v_and_b32_e32 v48, 31, v0
	v_lshrrev_b32_e32 v2, 3, v0
	s_sub_i32 s65, s6, s5
	v_cmp_gt_i32_e64 s[4:5], s4, v1
	v_lshlrev_b32_e32 v1, 2, v48
	v_and_b32_e32 v3, 4, v2
	v_and_b32_e32 v5, 1, v0
	v_lshlrev_b32_e32 v2, 6, v3
	v_or_b32_e32 v4, 0x4800, v1
	v_or_b32_e32 v3, v3, v5
	v_or_b32_e32 v49, v1, v2
	v_or_b32_e32 v50, v4, v2
	v_lshlrev_b32_e32 v2, 1, v5
	v_or_b32_e32 v5, 2, v3
	v_sub_u32_e32 v60, 32, v5
	v_or_b32_e32 v5, 8, v3
	v_sub_u32_e32 v61, 32, v5
	v_or_b32_e32 v5, 10, v3
	v_sub_u32_e32 v62, 32, v5
	v_or_b32_e32 v5, 16, v3
	v_sub_u32_e32 v63, 32, v5
	v_or_b32_e32 v5, 18, v3
	v_sub_u32_e32 v59, 32, v3
	v_mul_lo_u32 v18, s37, v3
	v_sub_u32_e32 v64, 32, v5
	v_or_b32_e32 v5, 24, v3
	v_or_b32_e32 v3, 26, v3
	v_sub_u32_e32 v66, 32, v3
	v_lshrrev_b32_e32 v3, 1, v0
	s_abs_i32 s66, s33
	v_and_b32_e32 v34, 16, v3
	v_cvt_f32_u32_e32 v3, s66
	v_sub_u32_e32 v2, v0, v2
	v_add_u32_e32 v2, 1, v2
	v_and_b32_e32 v6, 63, v2
	v_bitop3_b32 v51, v0, 1, v0 bitop3:0xc
	v_bitop3_b32 v52, v0, 3, 1 bitop3:0x6c
	v_bitop3_b32 v53, v0, 5, 1 bitop3:0x6c
	v_bitop3_b32 v54, v0, 7, 1 bitop3:0x6c
	v_bitop3_b32 v55, v0, 9, 1 bitop3:0x6c
	v_bitop3_b32 v56, v0, 11, 1 bitop3:0x6c
	v_bitop3_b32 v57, v0, 13, 1 bitop3:0x6c
	v_bitop3_b32 v58, v0, 15, 1 bitop3:0x6c
	v_and_b32_e32 v2, 30, v0
	v_lshlrev_b32_e32 v0, 4, v0
	v_and_b32_e32 v0, 0x200, v0
	v_rcp_iflag_f32_e32 v3, v3
	s_abs_i32 s67, s62
	v_or_b32_e32 v69, v1, v0
	v_cvt_f32_u32_e32 v1, s67
	s_lshl_b32 s6, s37, 1
	v_add_u32_e32 v20, s6, v18
	s_mul_i32 s7, s37, 6
	v_or_b32_e32 v67, v4, v0
	v_mul_f32_e32 v0, 0x4f7ffffe, v3
	v_add_u32_e32 v22, s7, v20
	v_cvt_u32_f32_e32 v0, v0
	v_rcp_iflag_f32_e32 v1, v1
	v_add_u32_e32 v24, s6, v22
	v_add_u32_e32 v26, s7, v24
	v_add_u32_e32 v28, s6, v26
	v_add_u32_e32 v30, s7, v28
	v_readfirstlane_b32 s7, v0
	v_mul_f32_e32 v0, 0x4f7ffffe, v1
	v_cvt_u32_f32_e32 v0, v0
	v_add_u32_e32 v32, s6, v30
	s_sub_i32 s6, 0, s66
	s_mul_i32 s6, s6, s7
	s_mul_hi_u32 s6, s7, s6
	s_add_i32 s69, s7, s6
	s_sub_i32 s6, 0, s67
	v_readfirstlane_b32 s7, v0
	v_mbcnt_lo_u32_b32 v0, -1, 0
	s_mul_i32 s6, s6, s7
	v_mbcnt_hi_u32_b32 v0, -1, v0
	v_mov_b32_e32 v17, 0
	v_mul_lo_u32 v36, s39, v48
	s_mul_hi_u32 s6, s7, s6
	v_and_or_b32 v0, v0, 64, v6
	v_cndmask_b32_e64 v47, 0, 1, s[0:1]
	v_ashrrev_i32_e32 v19, 31, v18
	v_ashrrev_i32_e32 v21, 31, v20
	;; [unrolled: 1-line block ×6, first 2 shown]
	v_sub_u32_e32 v65, 32, v5
	v_ashrrev_i32_e32 v31, 31, v30
	v_ashrrev_i32_e32 v33, 31, v32
	;; [unrolled: 1-line block ×3, first 2 shown]
	v_mov_b32_e32 v35, v17
	v_mul_lo_u32 v68, s38, v48
	s_ashr_i32 s68, s33, 31
	s_ashr_i32 s70, s62, 31
	s_add_i32 s71, s7, s6
	s_movk_i32 s72, 0x60
	v_lshlrev_b32_e32 v16, 1, v2
	s_mov_b32 s73, 0x55555556
	v_lshlrev_b32_e32 v70, 2, v0
	v_mov_b32_e32 v71, v40
	s_branch .LBB246_7
.LBB246_4:                              ;   in Loop: Header=BB246_7 Depth=1
	s_or_b64 exec, exec, s[10:11]
.LBB246_5:                              ;   in Loop: Header=BB246_7 Depth=1
	s_or_b64 exec, exec, s[8:9]
	v_subrev_u32_e32 v71, s77, v71
.LBB246_6:                              ;   in Loop: Header=BB246_7 Depth=1
	s_or_b64 exec, exec, s[6:7]
	s_add_i32 s63, s63, 1
	v_cmp_ge_i32_e32 vcc, s63, v46
	s_cbranch_vccnz .LBB246_48
.LBB246_7:                              ; =>This Loop Header: Depth=1
                                        ;     Child Loop BB246_13 Depth 2
                                        ;       Child Loop BB246_15 Depth 3
                                        ;       Child Loop BB246_18 Depth 3
                                        ;     Child Loop BB246_35 Depth 2
                                        ;       Child Loop BB246_37 Depth 3
                                        ;     Child Loop BB246_45 Depth 2
                                        ;       Child Loop BB246_47 Depth 3
	s_abs_i32 s7, s63
	s_mul_hi_u32 s8, s7, s69
	s_mul_i32 s9, s8, s66
	s_ashr_i32 s6, s63, 31
	s_sub_i32 s7, s7, s9
	s_xor_b32 s6, s6, s68
	s_add_i32 s9, s8, 1
	s_sub_i32 s10, s7, s66
	s_cmp_ge_u32 s7, s66
	s_cselect_b32 s8, s9, s8
	s_cselect_b32 s7, s10, s7
	s_add_i32 s9, s8, 1
	s_cmp_ge_u32 s7, s66
	s_cselect_b32 s7, s9, s8
	s_xor_b32 s7, s7, s6
	s_sub_i32 s6, s7, s6
	s_abs_i32 s8, s6
	s_mul_hi_u32 s9, s8, s71
	s_mul_i32 s7, s6, s33
	s_mul_i32 s10, s9, s67
	s_sub_i32 s74, s63, s7
	s_ashr_i32 s7, s6, 31
	s_sub_i32 s8, s8, s10
	s_xor_b32 s7, s7, s70
	s_add_i32 s10, s9, 1
	s_sub_i32 s11, s8, s67
	s_cmp_ge_u32 s8, s67
	s_cselect_b32 s9, s10, s9
	s_cselect_b32 s8, s11, s8
	s_add_i32 s10, s9, 1
	s_cmp_ge_u32 s8, s67
	s_cselect_b32 s8, s10, s9
	s_xor_b32 s8, s8, s7
	s_sub_i32 s7, s8, s7
	s_mul_i32 s8, s7, s64
	s_lshl_b32 s75, s8, 6
	s_mulk_i32 s74, 0x60
	s_cmp_eq_u32 s7, s40
	s_cselect_b32 s77, s65, s64
	s_sub_i32 s76, s74, s36
	s_addk_i32 s76, 0x60
	s_and_saveexec_b64 s[8:9], s[2:3]
	s_xor_b64 s[52:53], exec, s[8:9]
	s_cbranch_execz .LBB246_41
; %bb.8:                                ;   in Loop: Header=BB246_7 Depth=1
	s_mul_i32 s7, s7, s62
	s_sub_i32 s6, s6, s7
	s_lshl_b32 s6, s6, 5
	s_sub_i32 s14, s6, s37
	s_add_i32 s14, s14, 32
	s_max_i32 s7, s14, 0
	s_sub_i32 s54, s6, s7
	s_and_saveexec_b64 s[6:7], s[0:1]
	s_xor_b64 s[56:57], exec, s[6:7]
	s_cbranch_execz .LBB246_31
; %bb.9:                                ;   in Loop: Header=BB246_7 Depth=1
	s_and_saveexec_b64 s[58:59], s[4:5]
	s_cbranch_execz .LBB246_30
; %bb.10:                               ;   in Loop: Header=BB246_7 Depth=1
	s_waitcnt lgkmcnt(0)
	global_load_dword v72, v17, s[50:51]
	v_mov_b32_e32 v15, 0
	v_cmp_gt_i32_e32 vcc, s77, v71
	v_mov_b32_e32 v14, v15
	v_mov_b32_e32 v13, v15
	;; [unrolled: 1-line block ×15, first 2 shown]
	s_and_saveexec_b64 s[6:7], vcc
	s_cbranch_execz .LBB246_20
; %bb.11:                               ;   in Loop: Header=BB246_7 Depth=1
	v_mov_b32_e32 v0, 0
	s_mov_b64 s[8:9], 0
	v_mov_b32_e32 v1, v0
	v_mov_b32_e32 v2, v0
	;; [unrolled: 1-line block ×15, first 2 shown]
	s_branch .LBB246_13
.LBB246_12:                             ;   in Loop: Header=BB246_13 Depth=2
	s_or_b64 exec, exec, s[10:11]
	v_add_u32_e32 v78, v50, v76
	ds_read2_b32 v[76:77], v78 offset1:32
	v_add_u32_e32 v71, s43, v71
	s_waitcnt lgkmcnt(0)
	v_mfma_f32_32x32x16_fp8_fp8 v[0:15], v[44:45], v[76:77], v[0:15]
	ds_read2_b32 v[44:45], v78 offset0:128 offset1:160
	s_waitcnt lgkmcnt(0)
	v_mfma_f32_32x32x16_fp8_fp8 v[0:15], v[42:43], v[44:45], v[0:15]
	v_add_u32_e32 v44, 0x400, v78
	ds_read2_b32 v[42:43], v44 offset1:32
	ds_read2_b32 v[44:45], v44 offset0:128 offset1:160
	ds_write_b32 v74, v75 offset:24580
	s_waitcnt lgkmcnt(2)
	v_mfma_f32_32x32x16_fp8_fp8 v[0:15], v[40:41], v[42:43], v[0:15]
	v_add_u32_e32 v40, s43, v73
	v_add_u32_e32 v41, 2, v47
	v_cmp_lt_i32_e32 vcc, 2, v40
	s_nop 1
	v_cndmask_b32_e32 v47, v47, v41, vcc
	v_cmp_le_i32_e32 vcc, s77, v71
	s_waitcnt lgkmcnt(1)
	v_mfma_f32_32x32x16_fp8_fp8 v[0:15], v[38:39], v[44:45], v[0:15]
	s_or_b64 s[8:9], vcc, s[8:9]
	s_andn2_b64 exec, exec, s[8:9]
	s_cbranch_execz .LBB246_19
.LBB246_13:                             ;   Parent Loop BB246_7 Depth=1
                                        ; =>  This Loop Header: Depth=2
                                        ;       Child Loop BB246_15 Depth 3
                                        ;       Child Loop BB246_18 Depth 3
	v_cmp_gt_i32_e32 vcc, 3, v40
	s_nop 1
	v_cndmask_b32_e64 v38, -3, 0, vcc
	v_add_u32_e32 v73, v38, v40
	v_lshlrev_b32_e32 v74, 3, v73
	ds_read_b32 v38, v74 offset:24576
	s_waitcnt lgkmcnt(0)
	v_cmp_ne_u32_e32 vcc, v38, v47
	s_and_saveexec_b64 s[10:11], vcc
	s_cbranch_execz .LBB246_16
; %bb.14:                               ;   in Loop: Header=BB246_13 Depth=2
	s_mov_b64 s[12:13], 0
.LBB246_15:                             ;   Parent Loop BB246_7 Depth=1
                                        ;     Parent Loop BB246_13 Depth=2
                                        ; =>    This Inner Loop Header: Depth=3
	;;#ASMSTART
	s_sleep 0
	;;#ASMEND
	ds_read_b32 v38, v74 offset:24576
	s_waitcnt lgkmcnt(0)
	v_cmp_eq_u32_e32 vcc, v38, v47
	s_or_b64 s[12:13], vcc, s[12:13]
	s_andn2_b64 exec, exec, s[12:13]
	s_cbranch_execnz .LBB246_15
.LBB246_16:                             ;   in Loop: Header=BB246_13 Depth=2
	s_or_b64 exec, exec, s[10:11]
	v_lshlrev_b32_e32 v76, 11, v73
	v_or_b32_e32 v38, v49, v76
	ds_read2_b32 v[44:45], v38 offset1:32
	ds_read2_b32 v[42:43], v38 offset0:128 offset1:160
	v_add_u32_e32 v38, 0x400, v38
	ds_read2_b32 v[40:41], v38 offset1:32
	ds_read_b32 v77, v74 offset:24580
	ds_read2_b32 v[38:39], v38 offset0:128 offset1:160
	v_add_u32_e32 v75, 1, v47
	ds_write_b32 v74, v75 offset:24576
	s_waitcnt lgkmcnt(2)
	v_cmp_ne_u32_e32 vcc, v77, v47
	s_and_saveexec_b64 s[10:11], vcc
	s_cbranch_execz .LBB246_12
; %bb.17:                               ;   in Loop: Header=BB246_13 Depth=2
	s_mov_b64 s[12:13], 0
.LBB246_18:                             ;   Parent Loop BB246_7 Depth=1
                                        ;     Parent Loop BB246_13 Depth=2
                                        ; =>    This Inner Loop Header: Depth=3
	;;#ASMSTART
	s_sleep 0
	;;#ASMEND
	ds_read_b32 v77, v74 offset:24580
	s_waitcnt lgkmcnt(0)
	v_cmp_eq_u32_e32 vcc, v77, v47
	s_or_b64 s[12:13], vcc, s[12:13]
	s_andn2_b64 exec, exec, s[12:13]
	s_cbranch_execnz .LBB246_18
	s_branch .LBB246_12
.LBB246_19:                             ;   in Loop: Header=BB246_7 Depth=1
	s_or_b64 exec, exec, s[8:9]
.LBB246_20:                             ;   in Loop: Header=BB246_7 Depth=1
	s_or_b64 exec, exec, s[6:7]
	v_cmp_le_i32_e32 vcc, s14, v48
	v_cmp_eq_u32_e64 s[6:7], 3, v51
	v_cmp_eq_u32_e64 s[8:9], 4, v51
	s_waitcnt vmcnt(0)
	v_cndmask_b32_e32 v38, 0, v72, vcc
	s_nop 1
	v_pk_mul_f32 v[0:1], v[38:39], v[0:1] op_sel_hi:[0,1]
	v_cmp_eq_u32_e32 vcc, 1, v51
	v_pk_mul_f32 v[14:15], v[38:39], v[14:15] op_sel_hi:[0,1]
	v_pk_mul_f32 v[12:13], v[38:39], v[12:13] op_sel_hi:[0,1]
	;; [unrolled: 1-line block ×7, first 2 shown]
	v_cndmask_b32_e32 v38, v0, v1, vcc
	v_cmp_eq_u32_e32 vcc, 2, v51
	v_cmp_eq_u32_e64 s[10:11], 5, v51
	v_cmp_eq_u32_e64 s[12:13], 6, v51
	v_cndmask_b32_e32 v38, v38, v2, vcc
	v_cndmask_b32_e64 v38, v38, v3, s[6:7]
	v_cndmask_b32_e64 v38, v38, v4, s[8:9]
	;; [unrolled: 1-line block ×4, first 2 shown]
	v_cmp_eq_u32_e64 s[14:15], 7, v51
	v_cmp_eq_u32_e64 s[16:17], 8, v51
	v_cmp_eq_u32_e64 s[18:19], 9, v51
	v_cndmask_b32_e64 v38, v38, v7, s[14:15]
	v_cndmask_b32_e64 v38, v38, v8, s[16:17]
	v_cndmask_b32_e64 v38, v38, v9, s[18:19]
	v_cmp_eq_u32_e64 s[20:21], 10, v51
	v_cmp_eq_u32_e64 s[22:23], 11, v51
	v_cmp_eq_u32_e64 s[24:25], 12, v51
	v_cndmask_b32_e64 v38, v38, v10, s[20:21]
	v_cndmask_b32_e64 v38, v38, v11, s[22:23]
	v_cndmask_b32_e64 v38, v38, v12, s[24:25]
	;; [unrolled: 6-line block ×3, first 2 shown]
	ds_bpermute_b32 v38, v70, v38
	v_cmp_eq_u32_e64 s[34:35], 15, v52
	s_waitcnt lgkmcnt(0)
	v_cndmask_b32_e32 v2, v2, v38, vcc
	v_cmp_ne_u32_e32 vcc, 0, v51
	v_cndmask_b32_e64 v15, v15, v38, s[30:31]
	v_cndmask_b32_e64 v14, v14, v38, s[28:29]
	v_cndmask_b32_e32 v1, v1, v38, vcc
	v_cmp_eq_u32_e32 vcc, 0, v51
	v_cndmask_b32_e64 v13, v13, v38, s[26:27]
	v_cndmask_b32_e64 v12, v12, v38, s[24:25]
	v_cndmask_b32_e32 v0, v0, v38, vcc
	v_cmp_eq_u32_e32 vcc, 1, v52
	v_cndmask_b32_e64 v11, v11, v38, s[22:23]
	v_cndmask_b32_e64 v10, v10, v38, s[20:21]
	;; [unrolled: 1-line block ×9, first 2 shown]
	v_cndmask_b32_e32 v38, v0, v1, vcc
	v_cmp_eq_u32_e64 s[6:7], 2, v52
	v_cmp_eq_u32_e64 s[8:9], 3, v52
	v_cmp_eq_u32_e64 s[10:11], 4, v52
	v_cndmask_b32_e64 v38, v38, v2, s[6:7]
	v_cndmask_b32_e64 v38, v38, v3, s[8:9]
	v_cndmask_b32_e64 v38, v38, v4, s[10:11]
	v_cmp_eq_u32_e64 s[12:13], 5, v52
	v_cmp_eq_u32_e64 s[14:15], 6, v52
	v_cmp_eq_u32_e64 s[16:17], 7, v52
	v_cndmask_b32_e64 v38, v38, v5, s[12:13]
	v_cndmask_b32_e64 v38, v38, v6, s[14:15]
	v_cndmask_b32_e64 v38, v38, v7, s[16:17]
	;; [unrolled: 6-line block ×4, first 2 shown]
	v_cmp_eq_u32_e64 s[30:31], 14, v52
	s_nop 1
	v_cndmask_b32_e64 v38, v38, v14, s[30:31]
	v_cndmask_b32_e64 v38, v38, v15, s[34:35]
	ds_bpermute_b32 v38, v70, v38
	s_waitcnt lgkmcnt(0)
	v_cndmask_b32_e32 v1, v1, v38, vcc
	v_cmp_eq_u32_e32 vcc, 0, v52
	v_cndmask_b32_e64 v15, v15, v38, s[34:35]
	v_cndmask_b32_e64 v14, v14, v38, s[30:31]
	v_cndmask_b32_e32 v0, v0, v38, vcc
	v_cmp_eq_u32_e32 vcc, 1, v53
	v_cndmask_b32_e64 v13, v13, v38, s[28:29]
	v_cndmask_b32_e64 v12, v12, v38, s[26:27]
	v_cndmask_b32_e64 v11, v11, v38, s[24:25]
	v_cndmask_b32_e64 v10, v10, v38, s[22:23]
	v_cndmask_b32_e64 v9, v9, v38, s[20:21]
	v_cndmask_b32_e64 v8, v8, v38, s[18:19]
	v_cndmask_b32_e64 v7, v7, v38, s[16:17]
	v_cndmask_b32_e64 v6, v6, v38, s[14:15]
	v_cndmask_b32_e64 v5, v5, v38, s[12:13]
	v_cndmask_b32_e64 v4, v4, v38, s[10:11]
	v_cndmask_b32_e64 v3, v3, v38, s[8:9]
	v_cndmask_b32_e64 v2, v2, v38, s[6:7]
	v_cndmask_b32_e32 v38, v0, v1, vcc
	v_cmp_eq_u32_e64 s[6:7], 2, v53
	v_cmp_eq_u32_e64 s[8:9], 3, v53
	v_cmp_eq_u32_e64 s[10:11], 4, v53
	v_cndmask_b32_e64 v38, v38, v2, s[6:7]
	v_cndmask_b32_e64 v38, v38, v3, s[8:9]
	v_cndmask_b32_e64 v38, v38, v4, s[10:11]
	v_cmp_eq_u32_e64 s[12:13], 5, v53
	v_cmp_eq_u32_e64 s[14:15], 6, v53
	v_cmp_eq_u32_e64 s[16:17], 7, v53
	v_cndmask_b32_e64 v38, v38, v5, s[12:13]
	v_cndmask_b32_e64 v38, v38, v6, s[14:15]
	v_cndmask_b32_e64 v38, v38, v7, s[16:17]
	v_cmp_eq_u32_e64 s[18:19], 8, v53
	v_cmp_eq_u32_e64 s[20:21], 9, v53
	v_cmp_eq_u32_e64 s[22:23], 10, v53
	v_cndmask_b32_e64 v38, v38, v8, s[18:19]
	v_cndmask_b32_e64 v38, v38, v9, s[20:21]
	v_cndmask_b32_e64 v38, v38, v10, s[22:23]
	v_cmp_eq_u32_e64 s[24:25], 11, v53
	v_cmp_eq_u32_e64 s[26:27], 12, v53
	v_cmp_eq_u32_e64 s[28:29], 13, v53
	v_cndmask_b32_e64 v38, v38, v11, s[24:25]
	v_cndmask_b32_e64 v38, v38, v12, s[26:27]
	v_cndmask_b32_e64 v38, v38, v13, s[28:29]
	v_cmp_eq_u32_e64 s[30:31], 14, v53
	v_cmp_eq_u32_e64 s[34:35], 15, v53
	s_nop 0
	v_cndmask_b32_e64 v38, v38, v14, s[30:31]
	v_cndmask_b32_e64 v38, v38, v15, s[34:35]
	ds_bpermute_b32 v38, v70, v38
	s_waitcnt lgkmcnt(0)
	v_cndmask_b32_e32 v1, v1, v38, vcc
	v_cmp_eq_u32_e32 vcc, 0, v53
	v_cndmask_b32_e64 v15, v15, v38, s[34:35]
	v_cndmask_b32_e64 v14, v14, v38, s[30:31]
	v_cndmask_b32_e32 v0, v0, v38, vcc
	v_cmp_eq_u32_e32 vcc, 1, v54
	v_cndmask_b32_e64 v13, v13, v38, s[28:29]
	v_cndmask_b32_e64 v12, v12, v38, s[26:27]
	v_cndmask_b32_e64 v11, v11, v38, s[24:25]
	v_cndmask_b32_e64 v10, v10, v38, s[22:23]
	v_cndmask_b32_e64 v9, v9, v38, s[20:21]
	v_cndmask_b32_e64 v8, v8, v38, s[18:19]
	v_cndmask_b32_e64 v7, v7, v38, s[16:17]
	v_cndmask_b32_e64 v6, v6, v38, s[14:15]
	v_cndmask_b32_e64 v5, v5, v38, s[12:13]
	v_cndmask_b32_e64 v4, v4, v38, s[10:11]
	v_cndmask_b32_e64 v3, v3, v38, s[8:9]
	v_cndmask_b32_e64 v2, v2, v38, s[6:7]
	v_cndmask_b32_e32 v38, v0, v1, vcc
	v_cmp_eq_u32_e64 s[6:7], 2, v54
	v_cmp_eq_u32_e64 s[8:9], 3, v54
	v_cmp_eq_u32_e64 s[10:11], 4, v54
	v_cndmask_b32_e64 v38, v38, v2, s[6:7]
	v_cndmask_b32_e64 v38, v38, v3, s[8:9]
	v_cndmask_b32_e64 v38, v38, v4, s[10:11]
	v_cmp_eq_u32_e64 s[12:13], 5, v54
	v_cmp_eq_u32_e64 s[14:15], 6, v54
	v_cmp_eq_u32_e64 s[16:17], 7, v54
	v_cndmask_b32_e64 v38, v38, v5, s[12:13]
	v_cndmask_b32_e64 v38, v38, v6, s[14:15]
	v_cndmask_b32_e64 v38, v38, v7, s[16:17]
	v_cmp_eq_u32_e64 s[18:19], 8, v54
	v_cmp_eq_u32_e64 s[20:21], 9, v54
	v_cmp_eq_u32_e64 s[22:23], 10, v54
	v_cndmask_b32_e64 v38, v38, v8, s[18:19]
	v_cndmask_b32_e64 v38, v38, v9, s[20:21]
	v_cndmask_b32_e64 v38, v38, v10, s[22:23]
	v_cmp_eq_u32_e64 s[24:25], 11, v54
	v_cmp_eq_u32_e64 s[26:27], 12, v54
	v_cmp_eq_u32_e64 s[28:29], 13, v54
	v_cndmask_b32_e64 v38, v38, v11, s[24:25]
	v_cndmask_b32_e64 v38, v38, v12, s[26:27]
	v_cndmask_b32_e64 v38, v38, v13, s[28:29]
	v_cmp_eq_u32_e64 s[30:31], 14, v54
	;; [unrolled: 50-line block ×4, first 2 shown]
	v_cmp_eq_u32_e64 s[34:35], 15, v56
	s_nop 0
	v_cndmask_b32_e64 v38, v38, v14, s[30:31]
	v_cndmask_b32_e64 v38, v38, v15, s[34:35]
	ds_bpermute_b32 v38, v70, v38
	s_waitcnt lgkmcnt(0)
	v_cndmask_b32_e32 v1, v1, v38, vcc
	v_cmp_eq_u32_e32 vcc, 0, v56
	v_cndmask_b32_e64 v15, v15, v38, s[34:35]
	v_cndmask_b32_e64 v14, v14, v38, s[30:31]
	;; [unrolled: 1-line block ×14, first 2 shown]
	v_cndmask_b32_e32 v38, v0, v38, vcc
	v_cmp_eq_u32_e32 vcc, 1, v57
	v_cmp_eq_u32_e64 s[6:7], 2, v57
	v_cmp_eq_u32_e64 s[8:9], 3, v57
	v_cndmask_b32_e32 v0, v38, v1, vcc
	v_cndmask_b32_e64 v0, v0, v73, s[6:7]
	v_cndmask_b32_e64 v0, v0, v72, s[8:9]
	v_cmp_eq_u32_e64 s[10:11], 4, v57
	v_cmp_eq_u32_e64 s[12:13], 5, v57
	v_cmp_eq_u32_e64 s[14:15], 6, v57
	v_cndmask_b32_e64 v0, v0, v45, s[10:11]
	v_cndmask_b32_e64 v0, v0, v44, s[12:13]
	v_cndmask_b32_e64 v0, v0, v43, s[14:15]
	v_cmp_eq_u32_e64 s[16:17], 7, v57
	v_cmp_eq_u32_e64 s[18:19], 8, v57
	v_cmp_eq_u32_e64 s[20:21], 9, v57
	v_cndmask_b32_e64 v0, v0, v42, s[16:17]
	;; [unrolled: 6-line block ×4, first 2 shown]
	v_cndmask_b32_e64 v0, v0, v14, s[30:31]
	v_cndmask_b32_e64 v0, v0, v15, s[34:35]
	ds_bpermute_b32 v74, v70, v0
	s_waitcnt lgkmcnt(0)
	v_cndmask_b32_e32 v0, v1, v74, vcc
	v_cmp_eq_u32_e32 vcc, 0, v57
	v_cndmask_b32_e64 v4, v15, v74, s[34:35]
	v_cndmask_b32_e64 v15, v73, v74, s[6:7]
	v_cndmask_b32_e32 v1, v38, v74, vcc
	v_cmp_eq_u32_e32 vcc, 1, v58
	v_cndmask_b32_e64 v5, v14, v74, s[30:31]
	v_cndmask_b32_e64 v14, v72, v74, s[8:9]
	;; [unrolled: 4-line block ×7, first 2 shown]
	v_cndmask_b32_e32 v38, v38, v13, vcc
	v_cmp_eq_u32_e32 vcc, 7, v58
	s_nop 1
	v_cndmask_b32_e32 v38, v38, v12, vcc
	v_cmp_eq_u32_e32 vcc, 8, v58
	s_nop 1
	;; [unrolled: 3-line block ×9, first 2 shown]
	v_cndmask_b32_e32 v38, v38, v4, vcc
	ds_bpermute_b32 v38, v70, v38
	v_cmp_lt_i32_e32 vcc, s76, v59
	s_and_saveexec_b64 s[60:61], vcc
	s_cbranch_execz .LBB246_29
; %bb.21:                               ;   in Loop: Header=BB246_7 Depth=1
	s_mul_i32 s6, s74, s37
	s_ashr_i32 s7, s6, 31
	s_lshl_b64 s[6:7], s[6:7], 1
	v_cmp_eq_u32_e64 s[30:31], 1, v58
	s_add_u32 s8, s48, s6
	s_addc_u32 s9, s49, s7
	s_waitcnt lgkmcnt(0)
	v_cndmask_b32_e64 v0, v0, v38, s[30:31]
	v_cmp_eq_u32_e64 s[30:31], 0, v58
	s_ashr_i32 s55, s54, 31
	s_lshl_b64 s[6:7], s[54:55], 1
	v_cndmask_b32_e64 v1, v1, v38, s[30:31]
	v_cvt_f16_f32_e32 v39, v1
	v_cvt_f16_f32_sdwa v41, v0 dst_sel:WORD_1 dst_unused:UNUSED_PAD src0_sel:DWORD
	s_add_u32 s34, s8, s6
	s_addc_u32 s35, s9, s7
	v_cmp_eq_u32_e64 s[8:9], 15, v58
	v_cmp_eq_u32_e64 s[10:11], 14, v58
	;; [unrolled: 1-line block ×10, first 2 shown]
	v_cmp_eq_u32_e32 vcc, 5, v58
	v_cmp_eq_u32_e64 s[6:7], 4, v58
	v_cmp_eq_u32_e64 s[28:29], 3, v58
	;; [unrolled: 1-line block ×3, first 2 shown]
	v_lshl_add_u64 v[0:1], s[34:35], 0, v[16:17]
	v_cmp_lt_i32_e64 s[34:35], s76, v60
	v_lshl_add_u64 v[42:43], v[18:19], 1, v[0:1]
	v_or_b32_e32 v39, v41, v39
	;;#ASMSTART
	global_atomic_pk_add_f16 v[42:43], v39, off
	
	;;#ASMEND
	s_and_b64 exec, exec, s[34:35]
	s_cbranch_execz .LBB246_29
; %bb.22:                               ;   in Loop: Header=BB246_7 Depth=1
	v_cndmask_b32_e64 v14, v14, v38, s[28:29]
	v_cndmask_b32_e64 v15, v15, v38, s[30:31]
	v_cvt_f16_f32_e32 v39, v15
	v_cvt_f16_f32_sdwa v41, v14 dst_sel:WORD_1 dst_unused:UNUSED_PAD src0_sel:DWORD
	v_cndmask_b32_e64 v4, v4, v38, s[8:9]
	v_cndmask_b32_e64 v5, v5, v38, s[10:11]
	;; [unrolled: 1-line block ×10, first 2 shown]
	v_cndmask_b32_e32 v2, v2, v38, vcc
	v_cndmask_b32_e64 v3, v3, v38, s[6:7]
	v_cmp_lt_i32_e32 vcc, s76, v61
	v_lshl_add_u64 v[14:15], v[20:21], 1, v[0:1]
	v_or_b32_e32 v38, v41, v39
	;;#ASMSTART
	global_atomic_pk_add_f16 v[14:15], v38, off
	
	;;#ASMEND
	s_and_b64 exec, exec, vcc
	s_cbranch_execz .LBB246_29
; %bb.23:                               ;   in Loop: Header=BB246_7 Depth=1
	v_cvt_f16_f32_e32 v14, v3
	v_cvt_f16_f32_sdwa v15, v2 dst_sel:WORD_1 dst_unused:UNUSED_PAD src0_sel:DWORD
	v_cmp_lt_i32_e32 vcc, s76, v62
	v_lshl_add_u64 v[2:3], v[22:23], 1, v[0:1]
	v_or_b32_e32 v14, v15, v14
	;;#ASMSTART
	global_atomic_pk_add_f16 v[2:3], v14, off
	
	;;#ASMEND
	s_and_b64 exec, exec, vcc
	s_cbranch_execz .LBB246_29
; %bb.24:                               ;   in Loop: Header=BB246_7 Depth=1
	v_cvt_f16_f32_e32 v13, v13
	v_cvt_f16_f32_sdwa v12, v12 dst_sel:WORD_1 dst_unused:UNUSED_PAD src0_sel:DWORD
	v_cmp_lt_i32_e32 vcc, s76, v63
	v_lshl_add_u64 v[2:3], v[24:25], 1, v[0:1]
	v_or_b32_e32 v12, v12, v13
	;;#ASMSTART
	global_atomic_pk_add_f16 v[2:3], v12, off
	
	;;#ASMEND
	s_and_b64 exec, exec, vcc
	s_cbranch_execz .LBB246_29
; %bb.25:                               ;   in Loop: Header=BB246_7 Depth=1
	v_cvt_f16_f32_e32 v11, v11
	v_cvt_f16_f32_sdwa v10, v10 dst_sel:WORD_1 dst_unused:UNUSED_PAD src0_sel:DWORD
	v_cmp_lt_i32_e32 vcc, s76, v64
	v_lshl_add_u64 v[2:3], v[26:27], 1, v[0:1]
	v_or_b32_e32 v10, v10, v11
	;;#ASMSTART
	global_atomic_pk_add_f16 v[2:3], v10, off
	
	;;#ASMEND
	s_and_b64 exec, exec, vcc
	s_cbranch_execz .LBB246_29
; %bb.26:                               ;   in Loop: Header=BB246_7 Depth=1
	v_cvt_f16_f32_e32 v9, v9
	v_cvt_f16_f32_sdwa v8, v8 dst_sel:WORD_1 dst_unused:UNUSED_PAD src0_sel:DWORD
	v_cmp_lt_i32_e32 vcc, s76, v65
	v_lshl_add_u64 v[2:3], v[28:29], 1, v[0:1]
	v_or_b32_e32 v8, v8, v9
	;;#ASMSTART
	global_atomic_pk_add_f16 v[2:3], v8, off
	
	;;#ASMEND
	s_and_b64 exec, exec, vcc
	s_cbranch_execz .LBB246_29
; %bb.27:                               ;   in Loop: Header=BB246_7 Depth=1
	v_cvt_f16_f32_e32 v7, v7
	v_cvt_f16_f32_sdwa v6, v6 dst_sel:WORD_1 dst_unused:UNUSED_PAD src0_sel:DWORD
	v_cmp_lt_i32_e32 vcc, s76, v66
	v_lshl_add_u64 v[2:3], v[30:31], 1, v[0:1]
	v_or_b32_e32 v6, v6, v7
	;;#ASMSTART
	global_atomic_pk_add_f16 v[2:3], v6, off
	
	;;#ASMEND
	s_and_b64 exec, exec, vcc
	s_cbranch_execz .LBB246_29
; %bb.28:                               ;   in Loop: Header=BB246_7 Depth=1
	v_cvt_f16_f32_e32 v2, v5
	v_cvt_f16_f32_sdwa v3, v4 dst_sel:WORD_1 dst_unused:UNUSED_PAD src0_sel:DWORD
	v_lshl_add_u64 v[0:1], v[32:33], 1, v[0:1]
	v_or_b32_e32 v2, v3, v2
	;;#ASMSTART
	global_atomic_pk_add_f16 v[0:1], v2, off
	
	;;#ASMEND
.LBB246_29:                             ;   in Loop: Header=BB246_7 Depth=1
	s_or_b64 exec, exec, s[60:61]
	v_subrev_u32_e32 v71, s77, v71
.LBB246_30:                             ;   in Loop: Header=BB246_7 Depth=1
	s_or_b64 exec, exec, s[58:59]
.LBB246_31:                             ;   in Loop: Header=BB246_7 Depth=1
	s_andn2_saveexec_b64 s[6:7], s[56:57]
	s_cbranch_execz .LBB246_40
; %bb.32:                               ;   in Loop: Header=BB246_7 Depth=1
	v_cmp_gt_i32_e32 vcc, s77, v71
	s_and_saveexec_b64 s[8:9], vcc
	s_cbranch_execz .LBB246_39
; %bb.33:                               ;   in Loop: Header=BB246_7 Depth=1
	s_mul_i32 s10, s54, s39
	s_ashr_i32 s11, s10, 31
	s_waitcnt lgkmcnt(0)
	s_add_u32 s10, s46, s10
	s_addc_u32 s11, s47, s11
	s_ashr_i32 s12, s75, 31
	s_add_u32 s10, s10, s75
	s_addc_u32 s11, s11, s12
	v_lshl_add_u64 v[0:1], s[10:11], 0, v[36:37]
	v_lshl_add_u64 v[8:9], v[0:1], 0, v[34:35]
	s_mov_b64 s[10:11], 0
	s_branch .LBB246_35
.LBB246_34:                             ;   in Loop: Header=BB246_35 Depth=2
	s_or_b64 exec, exec, s[12:13]
	v_lshl_add_u32 v12, v10, 11, v67
	;;#ASMSTART
	s_waitcnt vmcnt(1)
	;;#ASMEND
	ds_write2_b32 v12, v4, v5 offset1:32
	ds_write2_b32 v12, v6, v7 offset0:64 offset1:96
	v_add_u32_e32 v4, 0x400, v12
	v_add_u32_e32 v71, s42, v71
	;;#ASMSTART
	s_waitcnt vmcnt(0)
	;;#ASMEND
	ds_write2_b32 v4, v0, v1 offset1:32
	ds_write2_b32 v4, v2, v3 offset0:64 offset1:96
	v_add_u32_e32 v0, 1, v47
	v_add_u32_e32 v40, s42, v10
	v_cmp_le_i32_e32 vcc, s77, v71
	ds_write_b32 v11, v0 offset:36
	v_add_u32_e32 v0, 2, v47
	s_or_b64 s[10:11], vcc, s[10:11]
	v_cmp_lt_i32_e32 vcc, 2, v40
	s_nop 1
	v_cndmask_b32_e32 v47, v47, v0, vcc
	s_andn2_b64 exec, exec, s[10:11]
	s_cbranch_execz .LBB246_38
.LBB246_35:                             ;   Parent Loop BB246_7 Depth=1
                                        ; =>  This Loop Header: Depth=2
                                        ;       Child Loop BB246_37 Depth 3
	v_cmp_gt_i32_e32 vcc, 3, v40
	s_nop 1
	v_cndmask_b32_e64 v0, -3, 0, vcc
	v_add_u32_e32 v10, v0, v40
	v_lshlrev_b32_e32 v0, 6, v71
	v_ashrrev_i32_e32 v1, 31, v0
	v_lshl_add_u64 v[0:1], v[8:9], 0, v[0:1]
	v_lshlrev_b32_e32 v11, 2, v10
	;;#ASMSTART
	global_load_dwordx4 v[4:7], v[0:1], off offset:0   sc0 sc1 nt  
	global_load_dwordx4 v[0:3], v[0:1], off offset:32  sc0 sc1 nt  
	
	;;#ASMEND
	ds_read_b32 v12, v11 offset:24612
	v_add_u32_e32 v11, 0x6000, v11
	s_waitcnt lgkmcnt(0)
	v_cmp_ne_u32_e32 vcc, v12, v47
	s_and_saveexec_b64 s[12:13], vcc
	s_cbranch_execz .LBB246_34
; %bb.36:                               ;   in Loop: Header=BB246_35 Depth=2
	s_mov_b64 s[14:15], 0
.LBB246_37:                             ;   Parent Loop BB246_7 Depth=1
                                        ;     Parent Loop BB246_35 Depth=2
                                        ; =>    This Inner Loop Header: Depth=3
	;;#ASMSTART
	s_sleep 0
	;;#ASMEND
	ds_read_b32 v12, v11 offset:36
	s_waitcnt lgkmcnt(0)
	v_cmp_eq_u32_e32 vcc, v12, v47
	s_or_b64 s[14:15], vcc, s[14:15]
	s_andn2_b64 exec, exec, s[14:15]
	s_cbranch_execnz .LBB246_37
	s_branch .LBB246_34
.LBB246_38:                             ;   in Loop: Header=BB246_7 Depth=1
	s_or_b64 exec, exec, s[10:11]
.LBB246_39:                             ;   in Loop: Header=BB246_7 Depth=1
	s_or_b64 exec, exec, s[8:9]
	v_subrev_u32_e32 v71, s77, v71
.LBB246_40:                             ;   in Loop: Header=BB246_7 Depth=1
	s_or_b64 exec, exec, s[6:7]
.LBB246_41:                             ;   in Loop: Header=BB246_7 Depth=1
	s_andn2_saveexec_b64 s[6:7], s[52:53]
	s_cbranch_execz .LBB246_6
; %bb.42:                               ;   in Loop: Header=BB246_7 Depth=1
	s_mul_i32 s77, s77, 3
	v_cmp_gt_i32_e32 vcc, s77, v71
	s_and_saveexec_b64 s[8:9], vcc
	s_cbranch_execz .LBB246_5
; %bb.43:                               ;   in Loop: Header=BB246_7 Depth=1
	s_mul_i32 s74, s74, s38
	s_max_i32 s12, s76, 0
	s_ashr_i32 s10, s74, 31
	s_waitcnt lgkmcnt(0)
	s_add_u32 s11, s44, s74
	v_add_u32_e32 v2, s12, v48
	s_addc_u32 s13, s45, s10
	s_ashr_i32 s14, s75, 31
	v_cmp_gt_u32_e32 vcc, s72, v2
	s_add_u32 s10, s11, s75
	s_addc_u32 s11, s13, s14
	v_cndmask_b32_e32 v0, 0, v68, vcc
	v_ashrrev_i32_e32 v1, 31, v0
	v_lshl_add_u64 v[0:1], s[10:11], 0, v[0:1]
	v_lshl_add_u64 v[8:9], v[0:1], 0, v[34:35]
	v_sub_u32_e32 v10, 0x5f, v2
	s_mov_b64 s[10:11], 0
	s_branch .LBB246_45
.LBB246_44:                             ;   in Loop: Header=BB246_45 Depth=2
	s_or_b64 exec, exec, s[12:13]
	v_lshl_or_b32 v13, v11, 11, v69
	;;#ASMSTART
	s_waitcnt vmcnt(1)
	;;#ASMEND
	ds_write2_b32 v13, v4, v5 offset1:32
	ds_write2_b32 v13, v6, v7 offset0:64 offset1:96
	v_add_u32_e32 v4, 0x400, v13
	v_add_u32_e32 v71, s41, v71
	;;#ASMSTART
	s_waitcnt vmcnt(0)
	;;#ASMEND
	ds_write2_b32 v4, v0, v1 offset1:32
	ds_write2_b32 v4, v2, v3 offset0:64 offset1:96
	v_add_u32_e32 v0, 1, v47
	v_add_u32_e32 v40, s41, v11
	v_cmp_le_i32_e32 vcc, s77, v71
	ds_write_b32 v12, v0
	v_add_u32_e32 v0, 2, v47
	s_or_b64 s[10:11], vcc, s[10:11]
	v_cmp_lt_i32_e32 vcc, 8, v40
	s_nop 1
	v_cndmask_b32_e32 v47, v47, v0, vcc
	s_andn2_b64 exec, exec, s[10:11]
	s_cbranch_execz .LBB246_4
.LBB246_45:                             ;   Parent Loop BB246_7 Depth=1
                                        ; =>  This Loop Header: Depth=2
                                        ;       Child Loop BB246_47 Depth 3
	v_cmp_gt_i32_e32 vcc, 9, v40
	s_nop 1
	v_cndmask_b32_e64 v0, -9, 0, vcc
	v_add_u32_e32 v11, v0, v40
	v_mul_hi_i32 v0, v71, s73
	v_lshrrev_b32_e32 v1, 31, v0
	v_add_u32_e32 v0, v0, v1
	v_lshl_add_u32 v1, v0, 1, v0
	v_sub_u32_e32 v1, v71, v1
	v_lshlrev_b32_e32 v1, 5, v1
	v_cmp_le_i32_e32 vcc, v1, v10
	v_lshlrev_b32_e32 v0, 6, v0
	v_lshlrev_b32_e32 v12, 2, v11
	v_cndmask_b32_e32 v2, 0, v1, vcc
	v_ashrrev_i32_e32 v1, 31, v0
	v_mul_lo_u32 v2, v2, s38
	v_lshl_add_u64 v[0:1], v[8:9], 0, v[0:1]
	v_ashrrev_i32_e32 v3, 31, v2
	v_lshl_add_u64 v[0:1], v[0:1], 0, v[2:3]
	;;#ASMSTART
	global_load_dwordx4 v[4:7], v[0:1], off offset:0   
	global_load_dwordx4 v[0:3], v[0:1], off offset:32  
	
	;;#ASMEND
	ds_read_b32 v13, v12 offset:24576
	v_add_u32_e32 v12, 0x6000, v12
	s_waitcnt lgkmcnt(0)
	v_cmp_ne_u32_e32 vcc, v13, v47
	s_and_saveexec_b64 s[12:13], vcc
	s_cbranch_execz .LBB246_44
; %bb.46:                               ;   in Loop: Header=BB246_45 Depth=2
	s_mov_b64 s[14:15], 0
.LBB246_47:                             ;   Parent Loop BB246_7 Depth=1
                                        ;     Parent Loop BB246_45 Depth=2
                                        ; =>    This Inner Loop Header: Depth=3
	;;#ASMSTART
	s_sleep 0
	;;#ASMEND
	ds_read_b32 v13, v12
	s_waitcnt lgkmcnt(0)
	v_cmp_eq_u32_e32 vcc, v13, v47
	s_or_b64 s[14:15], vcc, s[14:15]
	s_andn2_b64 exec, exec, s[14:15]
	s_cbranch_execnz .LBB246_47
	s_branch .LBB246_44
.LBB246_48:
	s_endpgm
	.section	.rodata,"a",@progbits
	.p2align	6, 0x0
	.amdhsa_kernel _Z19_skinny_gemm_kernelILi3ELi1ELi3ELi32ELi4EEvPKhS1_P6__halfPKfiiiiiiii
		.amdhsa_group_segment_fixed_size 24624
		.amdhsa_private_segment_fixed_size 0
		.amdhsa_kernarg_size 64
		.amdhsa_user_sgpr_count 2
		.amdhsa_user_sgpr_dispatch_ptr 0
		.amdhsa_user_sgpr_queue_ptr 0
		.amdhsa_user_sgpr_kernarg_segment_ptr 1
		.amdhsa_user_sgpr_dispatch_id 0
		.amdhsa_user_sgpr_kernarg_preload_length 0
		.amdhsa_user_sgpr_kernarg_preload_offset 0
		.amdhsa_user_sgpr_private_segment_size 0
		.amdhsa_uses_dynamic_stack 0
		.amdhsa_enable_private_segment 0
		.amdhsa_system_sgpr_workgroup_id_x 1
		.amdhsa_system_sgpr_workgroup_id_y 0
		.amdhsa_system_sgpr_workgroup_id_z 0
		.amdhsa_system_sgpr_workgroup_info 0
		.amdhsa_system_vgpr_workitem_id 0
		.amdhsa_next_free_vgpr 79
		.amdhsa_next_free_sgpr 78
		.amdhsa_accum_offset 80
		.amdhsa_reserve_vcc 1
		.amdhsa_float_round_mode_32 0
		.amdhsa_float_round_mode_16_64 0
		.amdhsa_float_denorm_mode_32 3
		.amdhsa_float_denorm_mode_16_64 3
		.amdhsa_dx10_clamp 1
		.amdhsa_ieee_mode 1
		.amdhsa_fp16_overflow 0
		.amdhsa_tg_split 0
		.amdhsa_exception_fp_ieee_invalid_op 0
		.amdhsa_exception_fp_denorm_src 0
		.amdhsa_exception_fp_ieee_div_zero 0
		.amdhsa_exception_fp_ieee_overflow 0
		.amdhsa_exception_fp_ieee_underflow 0
		.amdhsa_exception_fp_ieee_inexact 0
		.amdhsa_exception_int_div_zero 0
	.end_amdhsa_kernel
	.section	.text._Z19_skinny_gemm_kernelILi3ELi1ELi3ELi32ELi4EEvPKhS1_P6__halfPKfiiiiiiii,"axG",@progbits,_Z19_skinny_gemm_kernelILi3ELi1ELi3ELi32ELi4EEvPKhS1_P6__halfPKfiiiiiiii,comdat
.Lfunc_end246:
	.size	_Z19_skinny_gemm_kernelILi3ELi1ELi3ELi32ELi4EEvPKhS1_P6__halfPKfiiiiiiii, .Lfunc_end246-_Z19_skinny_gemm_kernelILi3ELi1ELi3ELi32ELi4EEvPKhS1_P6__halfPKfiiiiiiii
                                        ; -- End function
	.set _Z19_skinny_gemm_kernelILi3ELi1ELi3ELi32ELi4EEvPKhS1_P6__halfPKfiiiiiiii.num_vgpr, 79
	.set _Z19_skinny_gemm_kernelILi3ELi1ELi3ELi32ELi4EEvPKhS1_P6__halfPKfiiiiiiii.num_agpr, 0
	.set _Z19_skinny_gemm_kernelILi3ELi1ELi3ELi32ELi4EEvPKhS1_P6__halfPKfiiiiiiii.numbered_sgpr, 78
	.set _Z19_skinny_gemm_kernelILi3ELi1ELi3ELi32ELi4EEvPKhS1_P6__halfPKfiiiiiiii.num_named_barrier, 0
	.set _Z19_skinny_gemm_kernelILi3ELi1ELi3ELi32ELi4EEvPKhS1_P6__halfPKfiiiiiiii.private_seg_size, 0
	.set _Z19_skinny_gemm_kernelILi3ELi1ELi3ELi32ELi4EEvPKhS1_P6__halfPKfiiiiiiii.uses_vcc, 1
	.set _Z19_skinny_gemm_kernelILi3ELi1ELi3ELi32ELi4EEvPKhS1_P6__halfPKfiiiiiiii.uses_flat_scratch, 0
	.set _Z19_skinny_gemm_kernelILi3ELi1ELi3ELi32ELi4EEvPKhS1_P6__halfPKfiiiiiiii.has_dyn_sized_stack, 0
	.set _Z19_skinny_gemm_kernelILi3ELi1ELi3ELi32ELi4EEvPKhS1_P6__halfPKfiiiiiiii.has_recursion, 0
	.set _Z19_skinny_gemm_kernelILi3ELi1ELi3ELi32ELi4EEvPKhS1_P6__halfPKfiiiiiiii.has_indirect_call, 0
	.section	.AMDGPU.csdata,"",@progbits
; Kernel info:
; codeLenInByte = 6064
; TotalNumSgprs: 84
; NumVgprs: 79
; NumAgprs: 0
; TotalNumVgprs: 79
; ScratchSize: 0
; MemoryBound: 0
; FloatMode: 240
; IeeeMode: 1
; LDSByteSize: 24624 bytes/workgroup (compile time only)
; SGPRBlocks: 10
; VGPRBlocks: 9
; NumSGPRsForWavesPerEU: 84
; NumVGPRsForWavesPerEU: 79
; AccumOffset: 80
; Occupancy: 6
; WaveLimiterHint : 0
; COMPUTE_PGM_RSRC2:SCRATCH_EN: 0
; COMPUTE_PGM_RSRC2:USER_SGPR: 2
; COMPUTE_PGM_RSRC2:TRAP_HANDLER: 0
; COMPUTE_PGM_RSRC2:TGID_X_EN: 1
; COMPUTE_PGM_RSRC2:TGID_Y_EN: 0
; COMPUTE_PGM_RSRC2:TGID_Z_EN: 0
; COMPUTE_PGM_RSRC2:TIDIG_COMP_CNT: 0
; COMPUTE_PGM_RSRC3_GFX90A:ACCUM_OFFSET: 19
; COMPUTE_PGM_RSRC3_GFX90A:TG_SPLIT: 0
	.section	.text._Z19_skinny_gemm_kernelILi3ELi1ELi3ELi32ELi8EEvPKhS1_P6__halfPKfiiiiiiii,"axG",@progbits,_Z19_skinny_gemm_kernelILi3ELi1ELi3ELi32ELi8EEvPKhS1_P6__halfPKfiiiiiiii,comdat
	.protected	_Z19_skinny_gemm_kernelILi3ELi1ELi3ELi32ELi8EEvPKhS1_P6__halfPKfiiiiiiii ; -- Begin function _Z19_skinny_gemm_kernelILi3ELi1ELi3ELi32ELi8EEvPKhS1_P6__halfPKfiiiiiiii
	.globl	_Z19_skinny_gemm_kernelILi3ELi1ELi3ELi32ELi8EEvPKhS1_P6__halfPKfiiiiiiii
	.p2align	8
	.type	_Z19_skinny_gemm_kernelILi3ELi1ELi3ELi32ELi8EEvPKhS1_P6__halfPKfiiiiiiii,@function
_Z19_skinny_gemm_kernelILi3ELi1ELi3ELi32ELi8EEvPKhS1_P6__halfPKfiiiiiiii: ; @_Z19_skinny_gemm_kernelILi3ELi1ELi3ELi32ELi8EEvPKhS1_P6__halfPKfiiiiiiii
; %bb.0:
	v_cmp_gt_u32_e32 vcc, 12, v0
	s_and_saveexec_b64 s[4:5], vcc
; %bb.1:
	v_lshlrev_b32_e32 v1, 2, v0
	v_mov_b32_e32 v2, 0
	ds_write_b32 v1, v2 offset:49152
; %bb.2:
	s_or_b64 exec, exec, s[4:5]
	s_load_dwordx8 s[36:43], s[0:1], 0x20
	s_waitcnt lgkmcnt(0)
	s_barrier
	s_add_i32 s3, s36, 0x5f
	s_add_i32 s4, s37, 31
	s_mul_hi_i32 s3, s3, 0x2aaaaaab
	s_lshr_b32 s5, s3, 31
	s_ashr_i32 s33, s3, 4
	s_ashr_i32 s3, s4, 31
	s_lshr_b32 s3, s3, 27
	s_add_i32 s4, s4, s3
	s_add_i32 s33, s33, s5
	s_ashr_i32 s62, s4, 5
	s_mul_i32 s3, s62, s33
	s_mul_i32 s3, s3, s40
	s_add_i32 s4, s3, 0x12f
	s_mul_hi_i32 s4, s4, 0x6bca1af3
	s_lshr_b32 s5, s4, 31
	s_ashr_i32 s4, s4, 7
	s_add_i32 s4, s4, s5
	s_add_i32 s5, s2, 1
	s_mul_i32 s5, s4, s5
	v_cvt_f64_i32_e32 v[2:3], s3
	v_cvt_f64_u32_e32 v[4:5], s5
	v_min_f64 v[2:3], v[2:3], v[4:5]
	v_cvt_i32_f64_e32 v54, v[2:3]
	s_mul_i32 s63, s4, s2
	v_cmp_ge_i32_e32 vcc, s63, v54
	s_cbranch_vccnz .LBB247_48
; %bb.3:
	v_lshrrev_b32_e32 v1, 6, v0
	s_add_i32 s4, s42, s41
	s_load_dwordx8 s[44:51], s[0:1], 0x0
	v_cmp_le_i32_e64 s[0:1], s4, v1
	v_mov_b32_e32 v2, s41
	v_cmp_le_i32_e64 s[2:3], s41, v1
	v_mov_b32_e32 v3, s42
	v_cndmask_b32_e64 v3, 0, v3, s[0:1]
	v_cndmask_b32_e64 v2, 0, v2, s[2:3]
	s_abs_i32 s5, s40
	v_add_u32_e32 v2, v2, v3
	v_cvt_f32_u32_e32 v3, s5
	v_sub_u32_e32 v40, v1, v2
	s_ashr_i32 s6, s38, 31
	s_lshr_b32 s6, s6, 25
	v_rcp_iflag_f32_e32 v2, v3
	s_sub_i32 s9, 0, s5
	s_add_i32 s6, s38, s6
	s_ashr_i32 s6, s6, 7
	v_mul_f32_e32 v2, 0x4f7ffffe, v2
	v_cvt_u32_f32_e32 v2, v2
	s_abs_i32 s8, s6
	s_xor_b32 s7, s6, s40
	s_ashr_i32 s7, s7, 31
	v_readfirstlane_b32 s10, v2
	s_mul_i32 s9, s9, s10
	s_mul_hi_u32 s9, s10, s9
	s_add_i32 s10, s10, s9
	s_mul_hi_u32 s9, s8, s10
	s_mul_i32 s10, s9, s5
	s_sub_i32 s8, s8, s10
	s_add_i32 s10, s9, 1
	s_sub_i32 s11, s8, s5
	s_cmp_ge_u32 s8, s5
	s_cselect_b32 s9, s10, s9
	s_cselect_b32 s8, s11, s8
	s_add_i32 s10, s9, 1
	s_cmp_ge_u32 s8, s5
	s_cselect_b32 s5, s10, s9
	s_xor_b32 s5, s5, s7
	s_sub_i32 s64, s5, s7
	s_add_i32 s40, s40, -1
	s_mul_i32 s5, s64, s40
	s_add_i32 s4, s4, s43
	v_and_b32_e32 v56, 31, v0
	v_lshrrev_b32_e32 v2, 3, v0
	s_sub_i32 s65, s6, s5
	v_cmp_gt_i32_e64 s[4:5], s4, v1
	v_lshlrev_b32_e32 v1, 2, v56
	v_and_b32_e32 v3, 4, v2
	v_and_b32_e32 v5, 1, v0
	v_lshlrev_b32_e32 v2, 6, v3
	v_or_b32_e32 v4, 0x9000, v1
	v_or_b32_e32 v3, v3, v5
	;; [unrolled: 1-line block ×4, first 2 shown]
	v_lshlrev_b32_e32 v2, 1, v5
	v_or_b32_e32 v5, 2, v3
	v_sub_u32_e32 v68, 32, v5
	v_or_b32_e32 v5, 8, v3
	v_sub_u32_e32 v69, 32, v5
	;; [unrolled: 2-line block ×5, first 2 shown]
	v_mul_lo_u32 v18, s37, v3
	v_sub_u32_e32 v72, 32, v5
	v_or_b32_e32 v5, 24, v3
	v_or_b32_e32 v3, 26, v3
	v_sub_u32_e32 v74, 32, v3
	v_lshrrev_b32_e32 v3, 1, v0
	s_abs_i32 s66, s33
	v_and_b32_e32 v34, 16, v3
	v_cvt_f32_u32_e32 v3, s66
	v_sub_u32_e32 v2, v0, v2
	v_add_u32_e32 v2, 1, v2
	v_and_b32_e32 v6, 63, v2
	v_bitop3_b32 v59, v0, 1, v0 bitop3:0xc
	v_bitop3_b32 v60, v0, 3, 1 bitop3:0x6c
	;; [unrolled: 1-line block ×8, first 2 shown]
	v_and_b32_e32 v2, 30, v0
	v_lshlrev_b32_e32 v0, 4, v0
	v_and_b32_e32 v0, 0x200, v0
	v_rcp_iflag_f32_e32 v3, v3
	s_abs_i32 s67, s62
	v_or_b32_e32 v77, v1, v0
	v_cvt_f32_u32_e32 v1, s67
	s_lshl_b32 s6, s37, 1
	v_add_u32_e32 v20, s6, v18
	s_mul_i32 s7, s37, 6
	v_or_b32_e32 v75, v4, v0
	v_mul_f32_e32 v0, 0x4f7ffffe, v3
	v_add_u32_e32 v22, s7, v20
	v_cvt_u32_f32_e32 v0, v0
	v_rcp_iflag_f32_e32 v1, v1
	v_add_u32_e32 v24, s6, v22
	v_add_u32_e32 v26, s7, v24
	;; [unrolled: 1-line block ×4, first 2 shown]
	v_readfirstlane_b32 s7, v0
	v_mul_f32_e32 v0, 0x4f7ffffe, v1
	v_cvt_u32_f32_e32 v0, v0
	v_add_u32_e32 v32, s6, v30
	s_sub_i32 s6, 0, s66
	s_mul_i32 s6, s6, s7
	s_mul_hi_u32 s6, s7, s6
	s_add_i32 s69, s7, s6
	s_sub_i32 s6, 0, s67
	v_readfirstlane_b32 s7, v0
	v_mbcnt_lo_u32_b32 v0, -1, 0
	s_mul_i32 s6, s6, s7
	v_mbcnt_hi_u32_b32 v0, -1, v0
	v_mov_b32_e32 v17, 0
	v_mul_lo_u32 v36, s39, v56
	s_mul_hi_u32 s6, s7, s6
	v_and_or_b32 v0, v0, 64, v6
	v_cndmask_b32_e64 v55, 0, 1, s[0:1]
	v_ashrrev_i32_e32 v19, 31, v18
	v_ashrrev_i32_e32 v21, 31, v20
	;; [unrolled: 1-line block ×6, first 2 shown]
	v_sub_u32_e32 v73, 32, v5
	v_ashrrev_i32_e32 v31, 31, v30
	v_ashrrev_i32_e32 v33, 31, v32
	;; [unrolled: 1-line block ×3, first 2 shown]
	v_mov_b32_e32 v35, v17
	v_mul_lo_u32 v76, s38, v56
	s_ashr_i32 s68, s33, 31
	s_ashr_i32 s70, s62, 31
	s_add_i32 s71, s7, s6
	s_movk_i32 s72, 0x60
	v_lshlrev_b32_e32 v16, 1, v2
	s_mov_b32 s73, 0x55555556
	v_lshlrev_b32_e32 v78, 2, v0
	v_mov_b32_e32 v79, v40
	s_branch .LBB247_7
.LBB247_4:                              ;   in Loop: Header=BB247_7 Depth=1
	s_or_b64 exec, exec, s[10:11]
.LBB247_5:                              ;   in Loop: Header=BB247_7 Depth=1
	s_or_b64 exec, exec, s[8:9]
	v_subrev_u32_e32 v79, s77, v79
.LBB247_6:                              ;   in Loop: Header=BB247_7 Depth=1
	s_or_b64 exec, exec, s[6:7]
	s_add_i32 s63, s63, 1
	v_cmp_ge_i32_e32 vcc, s63, v54
	s_cbranch_vccnz .LBB247_48
.LBB247_7:                              ; =>This Loop Header: Depth=1
                                        ;     Child Loop BB247_13 Depth 2
                                        ;       Child Loop BB247_15 Depth 3
                                        ;       Child Loop BB247_18 Depth 3
                                        ;     Child Loop BB247_35 Depth 2
                                        ;       Child Loop BB247_37 Depth 3
                                        ;     Child Loop BB247_45 Depth 2
                                        ;       Child Loop BB247_47 Depth 3
	s_abs_i32 s7, s63
	s_mul_hi_u32 s8, s7, s69
	s_mul_i32 s9, s8, s66
	s_ashr_i32 s6, s63, 31
	s_sub_i32 s7, s7, s9
	s_xor_b32 s6, s6, s68
	s_add_i32 s9, s8, 1
	s_sub_i32 s10, s7, s66
	s_cmp_ge_u32 s7, s66
	s_cselect_b32 s8, s9, s8
	s_cselect_b32 s7, s10, s7
	s_add_i32 s9, s8, 1
	s_cmp_ge_u32 s7, s66
	s_cselect_b32 s7, s9, s8
	s_xor_b32 s7, s7, s6
	s_sub_i32 s6, s7, s6
	s_abs_i32 s8, s6
	s_mul_hi_u32 s9, s8, s71
	s_mul_i32 s7, s6, s33
	s_mul_i32 s10, s9, s67
	s_sub_i32 s74, s63, s7
	s_ashr_i32 s7, s6, 31
	s_sub_i32 s8, s8, s10
	s_xor_b32 s7, s7, s70
	s_add_i32 s10, s9, 1
	s_sub_i32 s11, s8, s67
	s_cmp_ge_u32 s8, s67
	s_cselect_b32 s9, s10, s9
	s_cselect_b32 s8, s11, s8
	s_add_i32 s10, s9, 1
	s_cmp_ge_u32 s8, s67
	s_cselect_b32 s8, s10, s9
	s_xor_b32 s8, s8, s7
	s_sub_i32 s7, s8, s7
	s_mul_i32 s8, s7, s64
	s_lshl_b32 s75, s8, 7
	s_mulk_i32 s74, 0x60
	s_cmp_eq_u32 s7, s40
	s_cselect_b32 s77, s65, s64
	s_sub_i32 s76, s74, s36
	s_addk_i32 s76, 0x60
	s_and_saveexec_b64 s[8:9], s[2:3]
	s_xor_b64 s[52:53], exec, s[8:9]
	s_cbranch_execz .LBB247_41
; %bb.8:                                ;   in Loop: Header=BB247_7 Depth=1
	s_mul_i32 s7, s7, s62
	s_sub_i32 s6, s6, s7
	s_lshl_b32 s6, s6, 5
	s_sub_i32 s14, s6, s37
	s_add_i32 s14, s14, 32
	s_max_i32 s7, s14, 0
	s_sub_i32 s54, s6, s7
	s_and_saveexec_b64 s[6:7], s[0:1]
	s_xor_b64 s[56:57], exec, s[6:7]
	s_cbranch_execz .LBB247_31
; %bb.9:                                ;   in Loop: Header=BB247_7 Depth=1
	s_and_saveexec_b64 s[58:59], s[4:5]
	s_cbranch_execz .LBB247_30
; %bb.10:                               ;   in Loop: Header=BB247_7 Depth=1
	s_waitcnt lgkmcnt(0)
	global_load_dword v80, v17, s[50:51]
	v_mov_b32_e32 v15, 0
	v_cmp_gt_i32_e32 vcc, s77, v79
	v_mov_b32_e32 v14, v15
	v_mov_b32_e32 v13, v15
	;; [unrolled: 1-line block ×15, first 2 shown]
	s_and_saveexec_b64 s[6:7], vcc
	s_cbranch_execz .LBB247_20
; %bb.11:                               ;   in Loop: Header=BB247_7 Depth=1
	v_mov_b32_e32 v0, 0
	s_mov_b64 s[8:9], 0
	v_mov_b32_e32 v1, v0
	v_mov_b32_e32 v2, v0
	;; [unrolled: 1-line block ×15, first 2 shown]
	s_branch .LBB247_13
.LBB247_12:                             ;   in Loop: Header=BB247_13 Depth=2
	s_or_b64 exec, exec, s[10:11]
	v_add_u32_e32 v86, v58, v84
	ds_read2_b32 v[84:85], v86 offset1:32
	v_add_u32_e32 v79, s43, v79
	s_waitcnt lgkmcnt(0)
	v_mfma_f32_32x32x16_fp8_fp8 v[0:15], v[52:53], v[84:85], v[0:15]
	ds_read2_b32 v[52:53], v86 offset0:128 offset1:160
	s_waitcnt lgkmcnt(0)
	v_mfma_f32_32x32x16_fp8_fp8 v[0:15], v[50:51], v[52:53], v[0:15]
	v_add_u32_e32 v52, 0x400, v86
	ds_read2_b32 v[50:51], v52 offset1:32
	s_waitcnt lgkmcnt(0)
	v_mfma_f32_32x32x16_fp8_fp8 v[0:15], v[48:49], v[50:51], v[0:15]
	ds_read2_b32 v[48:49], v52 offset0:128 offset1:160
	s_waitcnt lgkmcnt(0)
	v_mfma_f32_32x32x16_fp8_fp8 v[0:15], v[46:47], v[48:49], v[0:15]
	v_add_u32_e32 v48, 0x800, v86
	ds_read2_b32 v[46:47], v48 offset1:32
	s_waitcnt lgkmcnt(0)
	v_mfma_f32_32x32x16_fp8_fp8 v[0:15], v[44:45], v[46:47], v[0:15]
	ds_read2_b32 v[44:45], v48 offset0:128 offset1:160
	s_waitcnt lgkmcnt(0)
	v_mfma_f32_32x32x16_fp8_fp8 v[0:15], v[42:43], v[44:45], v[0:15]
	v_add_u32_e32 v44, 0xc00, v86
	ds_read2_b32 v[42:43], v44 offset1:32
	ds_read2_b32 v[44:45], v44 offset0:128 offset1:160
	ds_write_b32 v82, v83 offset:49156
	s_waitcnt lgkmcnt(2)
	v_mfma_f32_32x32x16_fp8_fp8 v[0:15], v[40:41], v[42:43], v[0:15]
	v_add_u32_e32 v40, s43, v81
	v_add_u32_e32 v41, 2, v55
	v_cmp_lt_i32_e32 vcc, 2, v40
	s_nop 1
	v_cndmask_b32_e32 v55, v55, v41, vcc
	v_cmp_le_i32_e32 vcc, s77, v79
	s_waitcnt lgkmcnt(1)
	v_mfma_f32_32x32x16_fp8_fp8 v[0:15], v[38:39], v[44:45], v[0:15]
	s_or_b64 s[8:9], vcc, s[8:9]
	s_andn2_b64 exec, exec, s[8:9]
	s_cbranch_execz .LBB247_19
.LBB247_13:                             ;   Parent Loop BB247_7 Depth=1
                                        ; =>  This Loop Header: Depth=2
                                        ;       Child Loop BB247_15 Depth 3
                                        ;       Child Loop BB247_18 Depth 3
	v_cmp_gt_i32_e32 vcc, 3, v40
	s_nop 1
	v_cndmask_b32_e64 v38, -3, 0, vcc
	v_add_u32_e32 v81, v38, v40
	v_lshlrev_b32_e32 v82, 3, v81
	ds_read_b32 v38, v82 offset:49152
	s_waitcnt lgkmcnt(0)
	v_cmp_ne_u32_e32 vcc, v38, v55
	s_and_saveexec_b64 s[10:11], vcc
	s_cbranch_execz .LBB247_16
; %bb.14:                               ;   in Loop: Header=BB247_13 Depth=2
	s_mov_b64 s[12:13], 0
.LBB247_15:                             ;   Parent Loop BB247_7 Depth=1
                                        ;     Parent Loop BB247_13 Depth=2
                                        ; =>    This Inner Loop Header: Depth=3
	;;#ASMSTART
	s_sleep 0
	;;#ASMEND
	ds_read_b32 v38, v82 offset:49152
	s_waitcnt lgkmcnt(0)
	v_cmp_eq_u32_e32 vcc, v38, v55
	s_or_b64 s[12:13], vcc, s[12:13]
	s_andn2_b64 exec, exec, s[12:13]
	s_cbranch_execnz .LBB247_15
.LBB247_16:                             ;   in Loop: Header=BB247_13 Depth=2
	s_or_b64 exec, exec, s[10:11]
	v_lshlrev_b32_e32 v84, 12, v81
	v_or_b32_e32 v38, v57, v84
	v_add_u32_e32 v39, 0x400, v38
	ds_read2_b32 v[52:53], v38 offset1:32
	ds_read2_b32 v[50:51], v38 offset0:128 offset1:160
	ds_read2_b32 v[48:49], v39 offset1:32
	ds_read2_b32 v[46:47], v39 offset0:128 offset1:160
	v_add_u32_e32 v39, 0x800, v38
	v_add_u32_e32 v38, 0xc00, v38
	ds_read2_b32 v[44:45], v39 offset1:32
	ds_read2_b32 v[42:43], v39 offset0:128 offset1:160
	ds_read2_b32 v[40:41], v38 offset1:32
	ds_read_b32 v85, v82 offset:49156
	ds_read2_b32 v[38:39], v38 offset0:128 offset1:160
	v_add_u32_e32 v83, 1, v55
	ds_write_b32 v82, v83 offset:49152
	s_waitcnt lgkmcnt(2)
	v_cmp_ne_u32_e32 vcc, v85, v55
	s_and_saveexec_b64 s[10:11], vcc
	s_cbranch_execz .LBB247_12
; %bb.17:                               ;   in Loop: Header=BB247_13 Depth=2
	s_mov_b64 s[12:13], 0
.LBB247_18:                             ;   Parent Loop BB247_7 Depth=1
                                        ;     Parent Loop BB247_13 Depth=2
                                        ; =>    This Inner Loop Header: Depth=3
	;;#ASMSTART
	s_sleep 0
	;;#ASMEND
	ds_read_b32 v85, v82 offset:49156
	s_waitcnt lgkmcnt(0)
	v_cmp_eq_u32_e32 vcc, v85, v55
	s_or_b64 s[12:13], vcc, s[12:13]
	s_andn2_b64 exec, exec, s[12:13]
	s_cbranch_execnz .LBB247_18
	s_branch .LBB247_12
.LBB247_19:                             ;   in Loop: Header=BB247_7 Depth=1
	s_or_b64 exec, exec, s[8:9]
.LBB247_20:                             ;   in Loop: Header=BB247_7 Depth=1
	s_or_b64 exec, exec, s[6:7]
	v_cmp_le_i32_e32 vcc, s14, v56
	v_cmp_eq_u32_e64 s[6:7], 3, v59
	v_cmp_eq_u32_e64 s[8:9], 4, v59
	s_waitcnt vmcnt(0)
	v_cndmask_b32_e32 v38, 0, v80, vcc
	s_nop 1
	v_pk_mul_f32 v[0:1], v[38:39], v[0:1] op_sel_hi:[0,1]
	v_cmp_eq_u32_e32 vcc, 1, v59
	v_pk_mul_f32 v[14:15], v[38:39], v[14:15] op_sel_hi:[0,1]
	v_pk_mul_f32 v[12:13], v[38:39], v[12:13] op_sel_hi:[0,1]
	;; [unrolled: 1-line block ×7, first 2 shown]
	v_cndmask_b32_e32 v38, v0, v1, vcc
	v_cmp_eq_u32_e32 vcc, 2, v59
	v_cmp_eq_u32_e64 s[10:11], 5, v59
	v_cmp_eq_u32_e64 s[12:13], 6, v59
	v_cndmask_b32_e32 v38, v38, v2, vcc
	v_cndmask_b32_e64 v38, v38, v3, s[6:7]
	v_cndmask_b32_e64 v38, v38, v4, s[8:9]
	;; [unrolled: 1-line block ×4, first 2 shown]
	v_cmp_eq_u32_e64 s[14:15], 7, v59
	v_cmp_eq_u32_e64 s[16:17], 8, v59
	v_cmp_eq_u32_e64 s[18:19], 9, v59
	v_cndmask_b32_e64 v38, v38, v7, s[14:15]
	v_cndmask_b32_e64 v38, v38, v8, s[16:17]
	v_cndmask_b32_e64 v38, v38, v9, s[18:19]
	v_cmp_eq_u32_e64 s[20:21], 10, v59
	v_cmp_eq_u32_e64 s[22:23], 11, v59
	v_cmp_eq_u32_e64 s[24:25], 12, v59
	v_cndmask_b32_e64 v38, v38, v10, s[20:21]
	v_cndmask_b32_e64 v38, v38, v11, s[22:23]
	v_cndmask_b32_e64 v38, v38, v12, s[24:25]
	;; [unrolled: 6-line block ×3, first 2 shown]
	ds_bpermute_b32 v38, v78, v38
	v_cmp_eq_u32_e64 s[34:35], 15, v60
	s_waitcnt lgkmcnt(0)
	v_cndmask_b32_e32 v2, v2, v38, vcc
	v_cmp_ne_u32_e32 vcc, 0, v59
	v_cndmask_b32_e64 v15, v15, v38, s[30:31]
	v_cndmask_b32_e64 v14, v14, v38, s[28:29]
	v_cndmask_b32_e32 v1, v1, v38, vcc
	v_cmp_eq_u32_e32 vcc, 0, v59
	v_cndmask_b32_e64 v13, v13, v38, s[26:27]
	v_cndmask_b32_e64 v12, v12, v38, s[24:25]
	v_cndmask_b32_e32 v0, v0, v38, vcc
	v_cmp_eq_u32_e32 vcc, 1, v60
	v_cndmask_b32_e64 v11, v11, v38, s[22:23]
	v_cndmask_b32_e64 v10, v10, v38, s[20:21]
	;; [unrolled: 1-line block ×9, first 2 shown]
	v_cndmask_b32_e32 v38, v0, v1, vcc
	v_cmp_eq_u32_e64 s[6:7], 2, v60
	v_cmp_eq_u32_e64 s[8:9], 3, v60
	v_cmp_eq_u32_e64 s[10:11], 4, v60
	v_cndmask_b32_e64 v38, v38, v2, s[6:7]
	v_cndmask_b32_e64 v38, v38, v3, s[8:9]
	v_cndmask_b32_e64 v38, v38, v4, s[10:11]
	v_cmp_eq_u32_e64 s[12:13], 5, v60
	v_cmp_eq_u32_e64 s[14:15], 6, v60
	v_cmp_eq_u32_e64 s[16:17], 7, v60
	v_cndmask_b32_e64 v38, v38, v5, s[12:13]
	v_cndmask_b32_e64 v38, v38, v6, s[14:15]
	v_cndmask_b32_e64 v38, v38, v7, s[16:17]
	;; [unrolled: 6-line block ×4, first 2 shown]
	v_cmp_eq_u32_e64 s[30:31], 14, v60
	s_nop 1
	v_cndmask_b32_e64 v38, v38, v14, s[30:31]
	v_cndmask_b32_e64 v38, v38, v15, s[34:35]
	ds_bpermute_b32 v38, v78, v38
	s_waitcnt lgkmcnt(0)
	v_cndmask_b32_e32 v1, v1, v38, vcc
	v_cmp_eq_u32_e32 vcc, 0, v60
	v_cndmask_b32_e64 v15, v15, v38, s[34:35]
	v_cndmask_b32_e64 v14, v14, v38, s[30:31]
	v_cndmask_b32_e32 v0, v0, v38, vcc
	v_cmp_eq_u32_e32 vcc, 1, v61
	v_cndmask_b32_e64 v13, v13, v38, s[28:29]
	v_cndmask_b32_e64 v12, v12, v38, s[26:27]
	v_cndmask_b32_e64 v11, v11, v38, s[24:25]
	v_cndmask_b32_e64 v10, v10, v38, s[22:23]
	v_cndmask_b32_e64 v9, v9, v38, s[20:21]
	v_cndmask_b32_e64 v8, v8, v38, s[18:19]
	v_cndmask_b32_e64 v7, v7, v38, s[16:17]
	v_cndmask_b32_e64 v6, v6, v38, s[14:15]
	v_cndmask_b32_e64 v5, v5, v38, s[12:13]
	v_cndmask_b32_e64 v4, v4, v38, s[10:11]
	v_cndmask_b32_e64 v3, v3, v38, s[8:9]
	v_cndmask_b32_e64 v2, v2, v38, s[6:7]
	v_cndmask_b32_e32 v38, v0, v1, vcc
	v_cmp_eq_u32_e64 s[6:7], 2, v61
	v_cmp_eq_u32_e64 s[8:9], 3, v61
	v_cmp_eq_u32_e64 s[10:11], 4, v61
	v_cndmask_b32_e64 v38, v38, v2, s[6:7]
	v_cndmask_b32_e64 v38, v38, v3, s[8:9]
	v_cndmask_b32_e64 v38, v38, v4, s[10:11]
	v_cmp_eq_u32_e64 s[12:13], 5, v61
	v_cmp_eq_u32_e64 s[14:15], 6, v61
	v_cmp_eq_u32_e64 s[16:17], 7, v61
	v_cndmask_b32_e64 v38, v38, v5, s[12:13]
	v_cndmask_b32_e64 v38, v38, v6, s[14:15]
	v_cndmask_b32_e64 v38, v38, v7, s[16:17]
	v_cmp_eq_u32_e64 s[18:19], 8, v61
	v_cmp_eq_u32_e64 s[20:21], 9, v61
	v_cmp_eq_u32_e64 s[22:23], 10, v61
	v_cndmask_b32_e64 v38, v38, v8, s[18:19]
	v_cndmask_b32_e64 v38, v38, v9, s[20:21]
	v_cndmask_b32_e64 v38, v38, v10, s[22:23]
	v_cmp_eq_u32_e64 s[24:25], 11, v61
	v_cmp_eq_u32_e64 s[26:27], 12, v61
	v_cmp_eq_u32_e64 s[28:29], 13, v61
	v_cndmask_b32_e64 v38, v38, v11, s[24:25]
	v_cndmask_b32_e64 v38, v38, v12, s[26:27]
	v_cndmask_b32_e64 v38, v38, v13, s[28:29]
	v_cmp_eq_u32_e64 s[30:31], 14, v61
	v_cmp_eq_u32_e64 s[34:35], 15, v61
	s_nop 0
	v_cndmask_b32_e64 v38, v38, v14, s[30:31]
	v_cndmask_b32_e64 v38, v38, v15, s[34:35]
	ds_bpermute_b32 v38, v78, v38
	s_waitcnt lgkmcnt(0)
	v_cndmask_b32_e32 v1, v1, v38, vcc
	v_cmp_eq_u32_e32 vcc, 0, v61
	v_cndmask_b32_e64 v15, v15, v38, s[34:35]
	v_cndmask_b32_e64 v14, v14, v38, s[30:31]
	v_cndmask_b32_e32 v0, v0, v38, vcc
	v_cmp_eq_u32_e32 vcc, 1, v62
	v_cndmask_b32_e64 v13, v13, v38, s[28:29]
	v_cndmask_b32_e64 v12, v12, v38, s[26:27]
	v_cndmask_b32_e64 v11, v11, v38, s[24:25]
	v_cndmask_b32_e64 v10, v10, v38, s[22:23]
	v_cndmask_b32_e64 v9, v9, v38, s[20:21]
	v_cndmask_b32_e64 v8, v8, v38, s[18:19]
	v_cndmask_b32_e64 v7, v7, v38, s[16:17]
	v_cndmask_b32_e64 v6, v6, v38, s[14:15]
	v_cndmask_b32_e64 v5, v5, v38, s[12:13]
	v_cndmask_b32_e64 v4, v4, v38, s[10:11]
	v_cndmask_b32_e64 v3, v3, v38, s[8:9]
	v_cndmask_b32_e64 v2, v2, v38, s[6:7]
	v_cndmask_b32_e32 v38, v0, v1, vcc
	v_cmp_eq_u32_e64 s[6:7], 2, v62
	v_cmp_eq_u32_e64 s[8:9], 3, v62
	v_cmp_eq_u32_e64 s[10:11], 4, v62
	v_cndmask_b32_e64 v38, v38, v2, s[6:7]
	v_cndmask_b32_e64 v38, v38, v3, s[8:9]
	v_cndmask_b32_e64 v38, v38, v4, s[10:11]
	v_cmp_eq_u32_e64 s[12:13], 5, v62
	v_cmp_eq_u32_e64 s[14:15], 6, v62
	v_cmp_eq_u32_e64 s[16:17], 7, v62
	v_cndmask_b32_e64 v38, v38, v5, s[12:13]
	v_cndmask_b32_e64 v38, v38, v6, s[14:15]
	v_cndmask_b32_e64 v38, v38, v7, s[16:17]
	v_cmp_eq_u32_e64 s[18:19], 8, v62
	v_cmp_eq_u32_e64 s[20:21], 9, v62
	v_cmp_eq_u32_e64 s[22:23], 10, v62
	v_cndmask_b32_e64 v38, v38, v8, s[18:19]
	v_cndmask_b32_e64 v38, v38, v9, s[20:21]
	v_cndmask_b32_e64 v38, v38, v10, s[22:23]
	v_cmp_eq_u32_e64 s[24:25], 11, v62
	v_cmp_eq_u32_e64 s[26:27], 12, v62
	v_cmp_eq_u32_e64 s[28:29], 13, v62
	v_cndmask_b32_e64 v38, v38, v11, s[24:25]
	v_cndmask_b32_e64 v38, v38, v12, s[26:27]
	v_cndmask_b32_e64 v38, v38, v13, s[28:29]
	v_cmp_eq_u32_e64 s[30:31], 14, v62
	;; [unrolled: 50-line block ×4, first 2 shown]
	v_cmp_eq_u32_e64 s[34:35], 15, v64
	s_nop 0
	v_cndmask_b32_e64 v38, v38, v14, s[30:31]
	v_cndmask_b32_e64 v38, v38, v15, s[34:35]
	ds_bpermute_b32 v38, v78, v38
	s_waitcnt lgkmcnt(0)
	v_cndmask_b32_e32 v1, v1, v38, vcc
	v_cmp_eq_u32_e32 vcc, 0, v64
	v_cndmask_b32_e64 v15, v15, v38, s[34:35]
	v_cndmask_b32_e64 v14, v14, v38, s[30:31]
	;; [unrolled: 1-line block ×14, first 2 shown]
	v_cndmask_b32_e32 v38, v0, v38, vcc
	v_cmp_eq_u32_e32 vcc, 1, v65
	v_cmp_eq_u32_e64 s[6:7], 2, v65
	v_cmp_eq_u32_e64 s[8:9], 3, v65
	v_cndmask_b32_e32 v0, v38, v1, vcc
	v_cndmask_b32_e64 v0, v0, v47, s[6:7]
	v_cndmask_b32_e64 v0, v0, v46, s[8:9]
	v_cmp_eq_u32_e64 s[10:11], 4, v65
	v_cmp_eq_u32_e64 s[12:13], 5, v65
	v_cmp_eq_u32_e64 s[14:15], 6, v65
	v_cndmask_b32_e64 v0, v0, v45, s[10:11]
	v_cndmask_b32_e64 v0, v0, v44, s[12:13]
	v_cndmask_b32_e64 v0, v0, v43, s[14:15]
	v_cmp_eq_u32_e64 s[16:17], 7, v65
	v_cmp_eq_u32_e64 s[18:19], 8, v65
	v_cmp_eq_u32_e64 s[20:21], 9, v65
	v_cndmask_b32_e64 v0, v0, v42, s[16:17]
	;; [unrolled: 6-line block ×4, first 2 shown]
	v_cndmask_b32_e64 v0, v0, v14, s[30:31]
	v_cndmask_b32_e64 v0, v0, v15, s[34:35]
	ds_bpermute_b32 v48, v78, v0
	s_waitcnt lgkmcnt(0)
	v_cndmask_b32_e32 v0, v1, v48, vcc
	v_cmp_eq_u32_e32 vcc, 0, v65
	v_cndmask_b32_e64 v4, v15, v48, s[34:35]
	v_cndmask_b32_e64 v15, v47, v48, s[6:7]
	v_cndmask_b32_e32 v1, v38, v48, vcc
	v_cmp_eq_u32_e32 vcc, 1, v66
	v_cndmask_b32_e64 v5, v14, v48, s[30:31]
	v_cndmask_b32_e64 v14, v46, v48, s[8:9]
	;; [unrolled: 4-line block ×7, first 2 shown]
	v_cndmask_b32_e32 v38, v38, v13, vcc
	v_cmp_eq_u32_e32 vcc, 7, v66
	s_nop 1
	v_cndmask_b32_e32 v38, v38, v12, vcc
	v_cmp_eq_u32_e32 vcc, 8, v66
	s_nop 1
	;; [unrolled: 3-line block ×9, first 2 shown]
	v_cndmask_b32_e32 v38, v38, v4, vcc
	ds_bpermute_b32 v38, v78, v38
	v_cmp_lt_i32_e32 vcc, s76, v67
	s_and_saveexec_b64 s[60:61], vcc
	s_cbranch_execz .LBB247_29
; %bb.21:                               ;   in Loop: Header=BB247_7 Depth=1
	s_mul_i32 s6, s74, s37
	s_ashr_i32 s7, s6, 31
	s_lshl_b64 s[6:7], s[6:7], 1
	v_cmp_eq_u32_e64 s[30:31], 1, v66
	s_add_u32 s8, s48, s6
	s_addc_u32 s9, s49, s7
	s_waitcnt lgkmcnt(0)
	v_cndmask_b32_e64 v0, v0, v38, s[30:31]
	v_cmp_eq_u32_e64 s[30:31], 0, v66
	s_ashr_i32 s55, s54, 31
	s_lshl_b64 s[6:7], s[54:55], 1
	v_cndmask_b32_e64 v1, v1, v38, s[30:31]
	v_cvt_f16_f32_e32 v39, v1
	v_cvt_f16_f32_sdwa v41, v0 dst_sel:WORD_1 dst_unused:UNUSED_PAD src0_sel:DWORD
	s_add_u32 s34, s8, s6
	s_addc_u32 s35, s9, s7
	v_cmp_eq_u32_e64 s[8:9], 15, v66
	v_cmp_eq_u32_e64 s[10:11], 14, v66
	;; [unrolled: 1-line block ×10, first 2 shown]
	v_cmp_eq_u32_e32 vcc, 5, v66
	v_cmp_eq_u32_e64 s[6:7], 4, v66
	v_cmp_eq_u32_e64 s[28:29], 3, v66
	;; [unrolled: 1-line block ×3, first 2 shown]
	v_lshl_add_u64 v[0:1], s[34:35], 0, v[16:17]
	v_cmp_lt_i32_e64 s[34:35], s76, v68
	v_lshl_add_u64 v[42:43], v[18:19], 1, v[0:1]
	v_or_b32_e32 v39, v41, v39
	;;#ASMSTART
	global_atomic_pk_add_f16 v[42:43], v39, off
	
	;;#ASMEND
	s_and_b64 exec, exec, s[34:35]
	s_cbranch_execz .LBB247_29
; %bb.22:                               ;   in Loop: Header=BB247_7 Depth=1
	v_cndmask_b32_e64 v14, v14, v38, s[28:29]
	v_cndmask_b32_e64 v15, v15, v38, s[30:31]
	v_cvt_f16_f32_e32 v39, v15
	v_cvt_f16_f32_sdwa v41, v14 dst_sel:WORD_1 dst_unused:UNUSED_PAD src0_sel:DWORD
	v_cndmask_b32_e64 v4, v4, v38, s[8:9]
	v_cndmask_b32_e64 v5, v5, v38, s[10:11]
	;; [unrolled: 1-line block ×10, first 2 shown]
	v_cndmask_b32_e32 v2, v2, v38, vcc
	v_cndmask_b32_e64 v3, v3, v38, s[6:7]
	v_cmp_lt_i32_e32 vcc, s76, v69
	v_lshl_add_u64 v[14:15], v[20:21], 1, v[0:1]
	v_or_b32_e32 v38, v41, v39
	;;#ASMSTART
	global_atomic_pk_add_f16 v[14:15], v38, off
	
	;;#ASMEND
	s_and_b64 exec, exec, vcc
	s_cbranch_execz .LBB247_29
; %bb.23:                               ;   in Loop: Header=BB247_7 Depth=1
	v_cvt_f16_f32_e32 v14, v3
	v_cvt_f16_f32_sdwa v15, v2 dst_sel:WORD_1 dst_unused:UNUSED_PAD src0_sel:DWORD
	v_cmp_lt_i32_e32 vcc, s76, v70
	v_lshl_add_u64 v[2:3], v[22:23], 1, v[0:1]
	v_or_b32_e32 v14, v15, v14
	;;#ASMSTART
	global_atomic_pk_add_f16 v[2:3], v14, off
	
	;;#ASMEND
	s_and_b64 exec, exec, vcc
	s_cbranch_execz .LBB247_29
; %bb.24:                               ;   in Loop: Header=BB247_7 Depth=1
	v_cvt_f16_f32_e32 v13, v13
	v_cvt_f16_f32_sdwa v12, v12 dst_sel:WORD_1 dst_unused:UNUSED_PAD src0_sel:DWORD
	;; [unrolled: 12-line block ×6, first 2 shown]
	v_lshl_add_u64 v[0:1], v[32:33], 1, v[0:1]
	v_or_b32_e32 v2, v3, v2
	;;#ASMSTART
	global_atomic_pk_add_f16 v[0:1], v2, off
	
	;;#ASMEND
.LBB247_29:                             ;   in Loop: Header=BB247_7 Depth=1
	s_or_b64 exec, exec, s[60:61]
	v_subrev_u32_e32 v79, s77, v79
.LBB247_30:                             ;   in Loop: Header=BB247_7 Depth=1
	s_or_b64 exec, exec, s[58:59]
.LBB247_31:                             ;   in Loop: Header=BB247_7 Depth=1
	s_andn2_saveexec_b64 s[6:7], s[56:57]
	s_cbranch_execz .LBB247_40
; %bb.32:                               ;   in Loop: Header=BB247_7 Depth=1
	v_cmp_gt_i32_e32 vcc, s77, v79
	s_and_saveexec_b64 s[8:9], vcc
	s_cbranch_execz .LBB247_39
; %bb.33:                               ;   in Loop: Header=BB247_7 Depth=1
	s_mul_i32 s10, s54, s39
	s_ashr_i32 s11, s10, 31
	s_waitcnt lgkmcnt(0)
	s_add_u32 s10, s46, s10
	s_addc_u32 s11, s47, s11
	s_ashr_i32 s12, s75, 31
	s_add_u32 s10, s10, s75
	s_addc_u32 s11, s11, s12
	v_lshl_add_u64 v[0:1], s[10:11], 0, v[36:37]
	v_lshl_add_u64 v[38:39], v[0:1], 0, v[34:35]
	s_mov_b64 s[10:11], 0
	s_branch .LBB247_35
.LBB247_34:                             ;   in Loop: Header=BB247_35 Depth=2
	s_or_b64 exec, exec, s[12:13]
	v_lshl_add_u32 v42, v40, 12, v75
	;;#ASMSTART
	s_waitcnt vmcnt(3)
	;;#ASMEND
	ds_write2_b32 v42, v12, v13 offset1:32
	ds_write2_b32 v42, v14, v15 offset0:64 offset1:96
	v_add_u32_e32 v12, 0x400, v42
	;;#ASMSTART
	s_waitcnt vmcnt(2)
	;;#ASMEND
	ds_write2_b32 v12, v8, v9 offset1:32
	ds_write2_b32 v12, v10, v11 offset0:64 offset1:96
	v_add_u32_e32 v8, 0x800, v42
	;; [unrolled: 6-line block ×3, first 2 shown]
	v_add_u32_e32 v79, s42, v79
	;;#ASMSTART
	s_waitcnt vmcnt(0)
	;;#ASMEND
	ds_write2_b32 v4, v0, v1 offset1:32
	ds_write2_b32 v4, v2, v3 offset0:64 offset1:96
	v_add_u32_e32 v0, 1, v55
	v_add_u32_e32 v40, s42, v40
	v_cmp_le_i32_e32 vcc, s77, v79
	ds_write_b32 v41, v0 offset:36
	v_add_u32_e32 v0, 2, v55
	s_or_b64 s[10:11], vcc, s[10:11]
	v_cmp_lt_i32_e32 vcc, 2, v40
	s_nop 1
	v_cndmask_b32_e32 v55, v55, v0, vcc
	s_andn2_b64 exec, exec, s[10:11]
	s_cbranch_execz .LBB247_38
.LBB247_35:                             ;   Parent Loop BB247_7 Depth=1
                                        ; =>  This Loop Header: Depth=2
                                        ;       Child Loop BB247_37 Depth 3
	v_cmp_gt_i32_e32 vcc, 3, v40
	s_nop 1
	v_cndmask_b32_e64 v0, -3, 0, vcc
	v_add_u32_e32 v40, v0, v40
	v_lshlrev_b32_e32 v0, 7, v79
	v_ashrrev_i32_e32 v1, 31, v0
	v_lshl_add_u64 v[0:1], v[38:39], 0, v[0:1]
	v_lshlrev_b32_e32 v41, 2, v40
	;;#ASMSTART
	global_load_dwordx4 v[12:15], v[0:1], off offset:0   sc0 sc1 nt  
	global_load_dwordx4 v[8:11], v[0:1], off offset:32  sc0 sc1 nt  
	global_load_dwordx4 v[4:7], v[0:1], off offset:64  sc0 sc1 nt  
	global_load_dwordx4 v[0:3], v[0:1], off offset:96  sc0 sc1 nt  
	
	;;#ASMEND
	ds_read_b32 v42, v41 offset:49188
	v_add_u32_e32 v41, 0xc000, v41
	s_waitcnt lgkmcnt(0)
	v_cmp_ne_u32_e32 vcc, v42, v55
	s_and_saveexec_b64 s[12:13], vcc
	s_cbranch_execz .LBB247_34
; %bb.36:                               ;   in Loop: Header=BB247_35 Depth=2
	s_mov_b64 s[14:15], 0
.LBB247_37:                             ;   Parent Loop BB247_7 Depth=1
                                        ;     Parent Loop BB247_35 Depth=2
                                        ; =>    This Inner Loop Header: Depth=3
	;;#ASMSTART
	s_sleep 0
	;;#ASMEND
	ds_read_b32 v42, v41 offset:36
	s_waitcnt lgkmcnt(0)
	v_cmp_eq_u32_e32 vcc, v42, v55
	s_or_b64 s[14:15], vcc, s[14:15]
	s_andn2_b64 exec, exec, s[14:15]
	s_cbranch_execnz .LBB247_37
	s_branch .LBB247_34
.LBB247_38:                             ;   in Loop: Header=BB247_7 Depth=1
	s_or_b64 exec, exec, s[10:11]
.LBB247_39:                             ;   in Loop: Header=BB247_7 Depth=1
	s_or_b64 exec, exec, s[8:9]
	v_subrev_u32_e32 v79, s77, v79
.LBB247_40:                             ;   in Loop: Header=BB247_7 Depth=1
	s_or_b64 exec, exec, s[6:7]
.LBB247_41:                             ;   in Loop: Header=BB247_7 Depth=1
	s_andn2_saveexec_b64 s[6:7], s[52:53]
	s_cbranch_execz .LBB247_6
; %bb.42:                               ;   in Loop: Header=BB247_7 Depth=1
	s_mul_i32 s77, s77, 3
	v_cmp_gt_i32_e32 vcc, s77, v79
	s_and_saveexec_b64 s[8:9], vcc
	s_cbranch_execz .LBB247_5
; %bb.43:                               ;   in Loop: Header=BB247_7 Depth=1
	s_mul_i32 s74, s74, s38
	s_max_i32 s12, s76, 0
	s_ashr_i32 s10, s74, 31
	s_waitcnt lgkmcnt(0)
	s_add_u32 s11, s44, s74
	v_add_u32_e32 v2, s12, v56
	s_addc_u32 s13, s45, s10
	s_ashr_i32 s14, s75, 31
	v_cmp_gt_u32_e32 vcc, s72, v2
	s_add_u32 s10, s11, s75
	s_addc_u32 s11, s13, s14
	v_cndmask_b32_e32 v0, 0, v76, vcc
	v_ashrrev_i32_e32 v1, 31, v0
	v_lshl_add_u64 v[0:1], s[10:11], 0, v[0:1]
	v_lshl_add_u64 v[38:39], v[0:1], 0, v[34:35]
	v_sub_u32_e32 v41, 0x5f, v2
	s_mov_b64 s[10:11], 0
	s_branch .LBB247_45
.LBB247_44:                             ;   in Loop: Header=BB247_45 Depth=2
	s_or_b64 exec, exec, s[12:13]
	v_lshl_or_b32 v43, v40, 12, v77
	;;#ASMSTART
	s_waitcnt vmcnt(3)
	;;#ASMEND
	ds_write2_b32 v43, v12, v13 offset1:32
	ds_write2_b32 v43, v14, v15 offset0:64 offset1:96
	v_add_u32_e32 v12, 0x400, v43
	;;#ASMSTART
	s_waitcnt vmcnt(2)
	;;#ASMEND
	ds_write2_b32 v12, v8, v9 offset1:32
	ds_write2_b32 v12, v10, v11 offset0:64 offset1:96
	v_add_u32_e32 v8, 0x800, v43
	;; [unrolled: 6-line block ×3, first 2 shown]
	v_add_u32_e32 v79, s41, v79
	;;#ASMSTART
	s_waitcnt vmcnt(0)
	;;#ASMEND
	ds_write2_b32 v4, v0, v1 offset1:32
	ds_write2_b32 v4, v2, v3 offset0:64 offset1:96
	v_add_u32_e32 v0, 1, v55
	v_add_u32_e32 v40, s41, v40
	v_cmp_le_i32_e32 vcc, s77, v79
	ds_write_b32 v42, v0
	v_add_u32_e32 v0, 2, v55
	s_or_b64 s[10:11], vcc, s[10:11]
	v_cmp_lt_i32_e32 vcc, 8, v40
	s_nop 1
	v_cndmask_b32_e32 v55, v55, v0, vcc
	s_andn2_b64 exec, exec, s[10:11]
	s_cbranch_execz .LBB247_4
.LBB247_45:                             ;   Parent Loop BB247_7 Depth=1
                                        ; =>  This Loop Header: Depth=2
                                        ;       Child Loop BB247_47 Depth 3
	v_cmp_gt_i32_e32 vcc, 9, v40
	s_nop 1
	v_cndmask_b32_e64 v0, -9, 0, vcc
	v_add_u32_e32 v40, v0, v40
	v_mul_hi_i32 v0, v79, s73
	v_lshrrev_b32_e32 v1, 31, v0
	v_add_u32_e32 v0, v0, v1
	v_lshl_add_u32 v1, v0, 1, v0
	v_sub_u32_e32 v1, v79, v1
	v_lshlrev_b32_e32 v1, 5, v1
	v_cmp_le_i32_e32 vcc, v1, v41
	v_lshlrev_b32_e32 v0, 7, v0
	v_lshlrev_b32_e32 v42, 2, v40
	v_cndmask_b32_e32 v2, 0, v1, vcc
	v_ashrrev_i32_e32 v1, 31, v0
	v_mul_lo_u32 v2, v2, s38
	v_lshl_add_u64 v[0:1], v[38:39], 0, v[0:1]
	v_ashrrev_i32_e32 v3, 31, v2
	v_lshl_add_u64 v[0:1], v[0:1], 0, v[2:3]
	;;#ASMSTART
	global_load_dwordx4 v[12:15], v[0:1], off offset:0   
	global_load_dwordx4 v[8:11], v[0:1], off offset:32  
	;; [unrolled: 1-line block ×4, first 2 shown]
	
	;;#ASMEND
	ds_read_b32 v43, v42 offset:49152
	v_add_u32_e32 v42, 0xc000, v42
	s_waitcnt lgkmcnt(0)
	v_cmp_ne_u32_e32 vcc, v43, v55
	s_and_saveexec_b64 s[12:13], vcc
	s_cbranch_execz .LBB247_44
; %bb.46:                               ;   in Loop: Header=BB247_45 Depth=2
	s_mov_b64 s[14:15], 0
.LBB247_47:                             ;   Parent Loop BB247_7 Depth=1
                                        ;     Parent Loop BB247_45 Depth=2
                                        ; =>    This Inner Loop Header: Depth=3
	;;#ASMSTART
	s_sleep 0
	;;#ASMEND
	ds_read_b32 v43, v42
	s_waitcnt lgkmcnt(0)
	v_cmp_eq_u32_e32 vcc, v43, v55
	s_or_b64 s[14:15], vcc, s[14:15]
	s_andn2_b64 exec, exec, s[14:15]
	s_cbranch_execnz .LBB247_47
	s_branch .LBB247_44
.LBB247_48:
	s_endpgm
	.section	.rodata,"a",@progbits
	.p2align	6, 0x0
	.amdhsa_kernel _Z19_skinny_gemm_kernelILi3ELi1ELi3ELi32ELi8EEvPKhS1_P6__halfPKfiiiiiiii
		.amdhsa_group_segment_fixed_size 49200
		.amdhsa_private_segment_fixed_size 0
		.amdhsa_kernarg_size 64
		.amdhsa_user_sgpr_count 2
		.amdhsa_user_sgpr_dispatch_ptr 0
		.amdhsa_user_sgpr_queue_ptr 0
		.amdhsa_user_sgpr_kernarg_segment_ptr 1
		.amdhsa_user_sgpr_dispatch_id 0
		.amdhsa_user_sgpr_kernarg_preload_length 0
		.amdhsa_user_sgpr_kernarg_preload_offset 0
		.amdhsa_user_sgpr_private_segment_size 0
		.amdhsa_uses_dynamic_stack 0
		.amdhsa_enable_private_segment 0
		.amdhsa_system_sgpr_workgroup_id_x 1
		.amdhsa_system_sgpr_workgroup_id_y 0
		.amdhsa_system_sgpr_workgroup_id_z 0
		.amdhsa_system_sgpr_workgroup_info 0
		.amdhsa_system_vgpr_workitem_id 0
		.amdhsa_next_free_vgpr 87
		.amdhsa_next_free_sgpr 78
		.amdhsa_accum_offset 88
		.amdhsa_reserve_vcc 1
		.amdhsa_float_round_mode_32 0
		.amdhsa_float_round_mode_16_64 0
		.amdhsa_float_denorm_mode_32 3
		.amdhsa_float_denorm_mode_16_64 3
		.amdhsa_dx10_clamp 1
		.amdhsa_ieee_mode 1
		.amdhsa_fp16_overflow 0
		.amdhsa_tg_split 0
		.amdhsa_exception_fp_ieee_invalid_op 0
		.amdhsa_exception_fp_denorm_src 0
		.amdhsa_exception_fp_ieee_div_zero 0
		.amdhsa_exception_fp_ieee_overflow 0
		.amdhsa_exception_fp_ieee_underflow 0
		.amdhsa_exception_fp_ieee_inexact 0
		.amdhsa_exception_int_div_zero 0
	.end_amdhsa_kernel
	.section	.text._Z19_skinny_gemm_kernelILi3ELi1ELi3ELi32ELi8EEvPKhS1_P6__halfPKfiiiiiiii,"axG",@progbits,_Z19_skinny_gemm_kernelILi3ELi1ELi3ELi32ELi8EEvPKhS1_P6__halfPKfiiiiiiii,comdat
.Lfunc_end247:
	.size	_Z19_skinny_gemm_kernelILi3ELi1ELi3ELi32ELi8EEvPKhS1_P6__halfPKfiiiiiiii, .Lfunc_end247-_Z19_skinny_gemm_kernelILi3ELi1ELi3ELi32ELi8EEvPKhS1_P6__halfPKfiiiiiiii
                                        ; -- End function
	.set _Z19_skinny_gemm_kernelILi3ELi1ELi3ELi32ELi8EEvPKhS1_P6__halfPKfiiiiiiii.num_vgpr, 87
	.set _Z19_skinny_gemm_kernelILi3ELi1ELi3ELi32ELi8EEvPKhS1_P6__halfPKfiiiiiiii.num_agpr, 0
	.set _Z19_skinny_gemm_kernelILi3ELi1ELi3ELi32ELi8EEvPKhS1_P6__halfPKfiiiiiiii.numbered_sgpr, 78
	.set _Z19_skinny_gemm_kernelILi3ELi1ELi3ELi32ELi8EEvPKhS1_P6__halfPKfiiiiiiii.num_named_barrier, 0
	.set _Z19_skinny_gemm_kernelILi3ELi1ELi3ELi32ELi8EEvPKhS1_P6__halfPKfiiiiiiii.private_seg_size, 0
	.set _Z19_skinny_gemm_kernelILi3ELi1ELi3ELi32ELi8EEvPKhS1_P6__halfPKfiiiiiiii.uses_vcc, 1
	.set _Z19_skinny_gemm_kernelILi3ELi1ELi3ELi32ELi8EEvPKhS1_P6__halfPKfiiiiiiii.uses_flat_scratch, 0
	.set _Z19_skinny_gemm_kernelILi3ELi1ELi3ELi32ELi8EEvPKhS1_P6__halfPKfiiiiiiii.has_dyn_sized_stack, 0
	.set _Z19_skinny_gemm_kernelILi3ELi1ELi3ELi32ELi8EEvPKhS1_P6__halfPKfiiiiiiii.has_recursion, 0
	.set _Z19_skinny_gemm_kernelILi3ELi1ELi3ELi32ELi8EEvPKhS1_P6__halfPKfiiiiiiii.has_indirect_call, 0
	.section	.AMDGPU.csdata,"",@progbits
; Kernel info:
; codeLenInByte = 6432
; TotalNumSgprs: 84
; NumVgprs: 87
; NumAgprs: 0
; TotalNumVgprs: 87
; ScratchSize: 0
; MemoryBound: 0
; FloatMode: 240
; IeeeMode: 1
; LDSByteSize: 49200 bytes/workgroup (compile time only)
; SGPRBlocks: 10
; VGPRBlocks: 10
; NumSGPRsForWavesPerEU: 84
; NumVGPRsForWavesPerEU: 87
; AccumOffset: 88
; Occupancy: 5
; WaveLimiterHint : 0
; COMPUTE_PGM_RSRC2:SCRATCH_EN: 0
; COMPUTE_PGM_RSRC2:USER_SGPR: 2
; COMPUTE_PGM_RSRC2:TRAP_HANDLER: 0
; COMPUTE_PGM_RSRC2:TGID_X_EN: 1
; COMPUTE_PGM_RSRC2:TGID_Y_EN: 0
; COMPUTE_PGM_RSRC2:TGID_Z_EN: 0
; COMPUTE_PGM_RSRC2:TIDIG_COMP_CNT: 0
; COMPUTE_PGM_RSRC3_GFX90A:ACCUM_OFFSET: 21
; COMPUTE_PGM_RSRC3_GFX90A:TG_SPLIT: 0
	.section	.text._Z19_skinny_gemm_kernelILi3ELi1ELi4ELi16ELi4EEvPKhS1_P6__halfPKfiiiiiiii,"axG",@progbits,_Z19_skinny_gemm_kernelILi3ELi1ELi4ELi16ELi4EEvPKhS1_P6__halfPKfiiiiiiii,comdat
	.protected	_Z19_skinny_gemm_kernelILi3ELi1ELi4ELi16ELi4EEvPKhS1_P6__halfPKfiiiiiiii ; -- Begin function _Z19_skinny_gemm_kernelILi3ELi1ELi4ELi16ELi4EEvPKhS1_P6__halfPKfiiiiiiii
	.globl	_Z19_skinny_gemm_kernelILi3ELi1ELi4ELi16ELi4EEvPKhS1_P6__halfPKfiiiiiiii
	.p2align	8
	.type	_Z19_skinny_gemm_kernelILi3ELi1ELi4ELi16ELi4EEvPKhS1_P6__halfPKfiiiiiiii,@function
_Z19_skinny_gemm_kernelILi3ELi1ELi4ELi16ELi4EEvPKhS1_P6__halfPKfiiiiiiii: ; @_Z19_skinny_gemm_kernelILi3ELi1ELi4ELi16ELi4EEvPKhS1_P6__halfPKfiiiiiiii
; %bb.0:
	v_cmp_gt_u32_e32 vcc, 16, v0
	v_lshlrev_b32_e32 v1, 2, v0
	s_and_saveexec_b64 s[4:5], vcc
; %bb.1:
	v_mov_b32_e32 v2, 0
	ds_write_b32 v1, v2 offset:32768
; %bb.2:
	s_or_b64 exec, exec, s[4:5]
	s_load_dwordx8 s[12:19], s[0:1], 0x20
	s_waitcnt lgkmcnt(0)
	s_barrier
	s_add_i32 s3, s12, 47
	s_add_i32 s4, s13, 15
	s_mul_hi_i32 s3, s3, 0x2aaaaaab
	s_lshr_b32 s5, s3, 31
	s_ashr_i32 s33, s3, 3
	s_ashr_i32 s3, s4, 31
	s_lshr_b32 s3, s3, 28
	s_add_i32 s4, s4, s3
	s_add_i32 s33, s33, s5
	s_ashr_i32 s42, s4, 4
	s_mul_i32 s3, s42, s33
	s_mul_i32 s3, s3, s16
	s_add_i32 s4, s3, 0x12f
	s_mul_hi_i32 s4, s4, 0x6bca1af3
	s_lshr_b32 s5, s4, 31
	s_ashr_i32 s4, s4, 7
	s_add_i32 s4, s4, s5
	s_add_i32 s5, s2, 1
	s_mul_i32 s5, s4, s5
	v_cvt_f64_i32_e32 v[2:3], s3
	v_cvt_f64_u32_e32 v[4:5], s5
	v_min_f64 v[2:3], v[2:3], v[4:5]
	v_cvt_i32_f64_e32 v13, v[2:3]
	s_mul_i32 s43, s4, s2
	v_cmp_ge_i32_e32 vcc, s43, v13
	s_cbranch_vccnz .LBB248_52
; %bb.3:
	v_lshrrev_b32_e32 v2, 6, v0
	s_add_i32 s4, s18, s17
	s_load_dwordx8 s[20:27], s[0:1], 0x0
	v_cmp_le_i32_e64 s[0:1], s4, v2
	v_mov_b32_e32 v3, s17
	v_cmp_le_i32_e64 s[2:3], s17, v2
	v_mov_b32_e32 v4, s18
	v_cndmask_b32_e64 v4, 0, v4, s[0:1]
	v_cndmask_b32_e64 v3, 0, v3, s[2:3]
	s_abs_i32 s5, s16
	v_add_u32_e32 v3, v3, v4
	v_cvt_f32_u32_e32 v4, s5
	v_sub_u32_e32 v28, v2, v3
	s_ashr_i32 s6, s14, 31
	s_lshr_b32 s6, s6, 25
	v_rcp_iflag_f32_e32 v3, v4
	s_sub_i32 s9, 0, s5
	s_add_i32 s6, s14, s6
	s_ashr_i32 s6, s6, 7
	v_mul_f32_e32 v3, 0x4f7ffffe, v3
	v_cvt_u32_f32_e32 v3, v3
	s_abs_i32 s8, s6
	s_xor_b32 s7, s6, s16
	s_ashr_i32 s7, s7, 31
	v_readfirstlane_b32 s10, v3
	s_mul_i32 s9, s9, s10
	s_mul_hi_u32 s9, s10, s9
	s_add_i32 s10, s10, s9
	s_mul_hi_u32 s9, s8, s10
	s_mul_i32 s10, s9, s5
	s_sub_i32 s8, s8, s10
	s_add_i32 s10, s9, 1
	s_sub_i32 s11, s8, s5
	s_cmp_ge_u32 s8, s5
	s_cselect_b32 s9, s10, s9
	s_cselect_b32 s8, s11, s8
	s_add_i32 s10, s9, 1
	s_cmp_ge_u32 s8, s5
	s_cselect_b32 s5, s10, s9
	s_xor_b32 s5, s5, s7
	s_sub_i32 s44, s5, s7
	s_add_i32 s16, s16, -1
	s_mul_i32 s5, s44, s16
	s_add_i32 s4, s4, s19
	s_sub_i32 s45, s6, s5
	v_cmp_gt_i32_e64 s[4:5], s4, v2
	v_lshlrev_b32_e32 v2, 1, v0
	v_lshlrev_b32_e32 v3, 4, v0
	v_and_b32_e32 v1, 60, v1
	v_and_b32_e32 v2, 64, v2
	;; [unrolled: 1-line block ×3, first 2 shown]
	v_or3_b32 v33, v1, v2, v4
	v_and_b32_e32 v1, 1, v0
	v_lshrrev_b32_e32 v4, 2, v0
	s_abs_i32 s46, s33
	v_and_or_b32 v37, v4, 12, v1
	v_cvt_f32_u32_e32 v4, s46
	v_lshlrev_b32_e32 v2, 1, v1
	v_and_b32_e32 v12, 14, v0
	v_sub_u32_e32 v2, v0, v2
	v_bitop3_b32 v35, v0, 1, v0 bitop3:0xc
	v_bitop3_b32 v36, v0, 3, 1 bitop3:0x6c
	v_and_b32_e32 v20, 48, v3
	v_bfe_u32 v40, v0, 2, 4
	v_and_b32_e32 v1, 60, v0
	v_lshlrev_b32_e32 v3, 8, v0
	v_lshlrev_b32_e32 v0, 6, v0
	v_and_b32_e32 v3, 0x200, v3
	v_and_b32_e32 v0, 64, v0
	v_rcp_iflag_f32_e32 v4, v4
	s_abs_i32 s47, s42
	v_or3_b32 v41, v1, v3, v0
	v_cvt_f32_u32_e32 v1, s47
	v_mul_f32_e32 v0, 0x4f7ffffe, v4
	v_cvt_u32_f32_e32 v0, v0
	v_mad_u64_u32 v[14:15], s[6:7], s13, v37, v[12:13]
	v_rcp_iflag_f32_e32 v1, v1
	s_lshl_b32 s6, s13, 4
	v_readfirstlane_b32 s7, v0
	v_add_u32_e32 v16, s6, v14
	v_mul_f32_e32 v0, 0x4f7ffffe, v1
	v_cvt_u32_f32_e32 v0, v0
	v_add_u32_e32 v18, s6, v16
	s_sub_i32 s6, 0, s46
	s_mul_i32 s6, s6, s7
	s_mul_hi_u32 s6, s7, s6
	v_add_u32_e32 v2, 1, v2
	s_add_i32 s49, s7, s6
	s_sub_i32 s6, 0, s47
	v_readfirstlane_b32 s7, v0
	v_mbcnt_lo_u32_b32 v0, -1, 0
	v_and_b32_e32 v2, 63, v2
	s_mul_i32 s6, s6, s7
	v_mbcnt_hi_u32_b32 v0, -1, v0
	v_mul_lo_u32 v22, s15, v40
	s_mul_hi_u32 s6, s7, s6
	v_and_or_b32 v0, v0, 64, v2
	v_cndmask_b32_e64 v32, 0, 1, s[0:1]
	v_or_b32_e32 v34, 0x6000, v33
	s_ashr_i32 s11, s13, 31
	s_mov_b32 s10, s13
	v_ashrrev_i32_e32 v15, 31, v14
	v_or_b32_e32 v38, 16, v37
	v_ashrrev_i32_e32 v17, 31, v16
	v_or_b32_e32 v39, 32, v37
	v_ashrrev_i32_e32 v19, 31, v18
	v_ashrrev_i32_e32 v23, 31, v22
	v_mov_b32_e32 v21, 0
	v_or_b32_e32 v42, 0x6000, v41
	v_mul_lo_u32 v43, s14, v40
	s_ashr_i32 s48, s33, 31
	s_ashr_i32 s50, s42, 31
	s_add_i32 s51, s7, s6
	s_movk_i32 s52, 0x1800
	s_mov_b32 s53, 0x55555556
	v_lshlrev_b32_e32 v44, 2, v0
	v_mov_b32_e32 v45, v28
	s_branch .LBB248_7
.LBB248_4:                              ;   in Loop: Header=BB248_7 Depth=1
	s_or_b64 exec, exec, s[28:29]
.LBB248_5:                              ;   in Loop: Header=BB248_7 Depth=1
	s_or_b64 exec, exec, s[8:9]
	v_subrev_u32_e32 v45, s57, v45
.LBB248_6:                              ;   in Loop: Header=BB248_7 Depth=1
	s_or_b64 exec, exec, s[6:7]
	s_add_i32 s43, s43, 1
	v_cmp_ge_i32_e32 vcc, s43, v13
	s_cbranch_vccnz .LBB248_52
.LBB248_7:                              ; =>This Loop Header: Depth=1
                                        ;     Child Loop BB248_13 Depth 2
                                        ;       Child Loop BB248_15 Depth 3
                                        ;       Child Loop BB248_18 Depth 3
	;; [unrolled: 1-line block ×4, first 2 shown]
                                        ;     Child Loop BB248_39 Depth 2
                                        ;       Child Loop BB248_41 Depth 3
                                        ;     Child Loop BB248_49 Depth 2
                                        ;       Child Loop BB248_51 Depth 3
	s_abs_i32 s7, s43
	s_mul_hi_u32 s8, s7, s49
	s_mul_i32 s9, s8, s46
	s_ashr_i32 s6, s43, 31
	s_sub_i32 s7, s7, s9
	s_xor_b32 s6, s6, s48
	s_add_i32 s9, s8, 1
	s_sub_i32 s28, s7, s46
	s_cmp_ge_u32 s7, s46
	s_cselect_b32 s8, s9, s8
	s_cselect_b32 s7, s28, s7
	s_add_i32 s9, s8, 1
	s_cmp_ge_u32 s7, s46
	s_cselect_b32 s7, s9, s8
	s_xor_b32 s7, s7, s6
	s_sub_i32 s6, s7, s6
	s_abs_i32 s8, s6
	s_mul_hi_u32 s9, s8, s51
	s_mul_i32 s7, s6, s33
	s_mul_i32 s28, s9, s47
	s_sub_i32 s54, s43, s7
	s_ashr_i32 s7, s6, 31
	s_sub_i32 s8, s8, s28
	s_xor_b32 s7, s7, s50
	s_add_i32 s28, s9, 1
	s_sub_i32 s29, s8, s47
	s_cmp_ge_u32 s8, s47
	s_cselect_b32 s9, s28, s9
	s_cselect_b32 s8, s29, s8
	s_add_i32 s28, s9, 1
	s_cmp_ge_u32 s8, s47
	s_cselect_b32 s8, s28, s9
	s_xor_b32 s8, s8, s7
	s_sub_i32 s7, s8, s7
	s_mul_i32 s8, s7, s44
	s_lshl_b32 s55, s8, 7
	s_mul_i32 s54, s54, 48
	s_cmp_eq_u32 s7, s16
	s_cselect_b32 s57, s45, s44
	s_sub_i32 s8, s54, s12
	s_add_i32 s8, s8, 48
	s_max_i32 s56, s8, 0
	s_and_saveexec_b64 s[8:9], s[2:3]
	s_xor_b64 s[28:29], exec, s[8:9]
	s_cbranch_execz .LBB248_45
; %bb.8:                                ;   in Loop: Header=BB248_7 Depth=1
	s_mul_i32 s7, s7, s42
	s_sub_i32 s6, s6, s7
	s_lshl_b32 s6, s6, 4
	s_sub_i32 s31, s6, s13
	s_add_i32 s31, s31, 16
	s_max_i32 s7, s31, 0
	s_sub_i32 s30, s6, s7
	s_and_saveexec_b64 s[6:7], s[0:1]
	s_xor_b64 s[34:35], exec, s[6:7]
	s_cbranch_execz .LBB248_35
; %bb.9:                                ;   in Loop: Header=BB248_7 Depth=1
	s_and_saveexec_b64 s[36:37], s[4:5]
	s_cbranch_execz .LBB248_34
; %bb.10:                               ;   in Loop: Header=BB248_7 Depth=1
	s_waitcnt lgkmcnt(0)
	global_load_dword v46, v21, s[26:27]
	v_mov_b32_e32 v11, 0
	v_cmp_gt_i32_e32 vcc, s57, v45
	v_mov_b32_e32 v10, v11
	v_mov_b32_e32 v9, v11
	;; [unrolled: 1-line block ×11, first 2 shown]
	s_and_saveexec_b64 s[6:7], vcc
	s_cbranch_execz .LBB248_26
; %bb.11:                               ;   in Loop: Header=BB248_7 Depth=1
	v_mov_b32_e32 v0, 0
	s_mov_b64 s[8:9], 0
	v_mov_b32_e32 v1, v0
	v_mov_b32_e32 v2, v0
	;; [unrolled: 1-line block ×11, first 2 shown]
	s_branch .LBB248_13
.LBB248_12:                             ;   in Loop: Header=BB248_13 Depth=2
	s_or_b64 exec, exec, s[38:39]
	v_add_u32_e32 v51, 0x1000, v50
	ds_read2_b32 v[52:53], v51 offset1:32
	ds_read2_b32 v[54:55], v51 offset0:128 offset1:160
	v_add_u32_e32 v56, 0x1400, v50
	ds_read2_b32 v[50:51], v56 offset1:32
	v_add_u32_e32 v45, s19, v45
	s_waitcnt lgkmcnt(2)
	v_mfma_f32_16x16x32_fp8_fp8 v[0:3], v[52:53], v[28:29], v[0:3]
	v_add_u32_e32 v28, s19, v47
	v_cmp_le_i32_e32 vcc, s57, v45
	v_add_u32_e32 v29, 2, v32
	s_waitcnt lgkmcnt(1)
	v_mfma_f32_16x16x32_fp8_fp8 v[0:3], v[54:55], v[30:31], v[0:3]
	ds_read2_b32 v[30:31], v56 offset0:128 offset1:160
	s_or_b64 s[8:9], vcc, s[8:9]
	v_cmp_lt_i32_e32 vcc, 3, v28
	s_waitcnt lgkmcnt(1)
	v_mfma_f32_16x16x32_fp8_fp8 v[0:3], v[50:51], v[26:27], v[0:3]
	;;#ASMSTART
	s_waitcnt lgkmcnt(0)
	;;#ASMEND
	ds_write_b32 v49, v48 offset:32776
	v_cndmask_b32_e32 v32, v32, v29, vcc
	s_waitcnt lgkmcnt(1)
	v_mfma_f32_16x16x32_fp8_fp8 v[0:3], v[30:31], v[24:25], v[0:3]
	s_andn2_b64 exec, exec, s[8:9]
	s_cbranch_execz .LBB248_25
.LBB248_13:                             ;   Parent Loop BB248_7 Depth=1
                                        ; =>  This Loop Header: Depth=2
                                        ;       Child Loop BB248_15 Depth 3
                                        ;       Child Loop BB248_18 Depth 3
	;; [unrolled: 1-line block ×4, first 2 shown]
	v_cmp_gt_i32_e32 vcc, 4, v28
	s_nop 1
	v_cndmask_b32_e64 v24, -4, 0, vcc
	v_add_u32_e32 v47, v24, v28
	v_lshlrev_b32_e32 v24, 2, v47
	ds_read_b32 v25, v24 offset:32816
	v_add_u32_e32 v49, 0x8000, v24
	s_waitcnt lgkmcnt(0)
	v_cmp_ne_u32_e32 vcc, v25, v32
	s_and_saveexec_b64 s[38:39], vcc
	s_cbranch_execz .LBB248_16
; %bb.14:                               ;   in Loop: Header=BB248_13 Depth=2
	s_mov_b64 s[40:41], 0
.LBB248_15:                             ;   Parent Loop BB248_7 Depth=1
                                        ;     Parent Loop BB248_13 Depth=2
                                        ; =>    This Inner Loop Header: Depth=3
	;;#ASMSTART
	s_sleep 0
	;;#ASMEND
	ds_read_b32 v24, v49 offset:48
	s_waitcnt lgkmcnt(0)
	v_cmp_eq_u32_e32 vcc, v24, v32
	s_or_b64 s[40:41], vcc, s[40:41]
	s_andn2_b64 exec, exec, s[40:41]
	s_cbranch_execnz .LBB248_15
.LBB248_16:                             ;   in Loop: Header=BB248_13 Depth=2
	s_or_b64 exec, exec, s[38:39]
	v_lshl_add_u32 v24, v47, 11, v34
	ds_read2_b32 v[28:29], v24 offset1:32
	ds_read2_b32 v[30:31], v24 offset0:128 offset1:160
	v_add_u32_e32 v24, 0x400, v24
	v_add_u32_e32 v48, 1, v32
	ds_read2_b32 v[26:27], v24 offset1:32
	ds_read2_b32 v[24:25], v24 offset0:128 offset1:160
	;;#ASMSTART
	s_waitcnt lgkmcnt(0)
	;;#ASMEND
	ds_write_b32 v49, v48 offset:48
	v_mul_lo_u32 v49, v47, 12
	ds_read_b32 v50, v49 offset:32768
	s_waitcnt lgkmcnt(0)
	v_cmp_ne_u32_e32 vcc, v50, v32
	s_and_saveexec_b64 s[38:39], vcc
	s_cbranch_execz .LBB248_19
; %bb.17:                               ;   in Loop: Header=BB248_13 Depth=2
	s_mov_b64 s[40:41], 0
.LBB248_18:                             ;   Parent Loop BB248_7 Depth=1
                                        ;     Parent Loop BB248_13 Depth=2
                                        ; =>    This Inner Loop Header: Depth=3
	;;#ASMSTART
	s_sleep 0
	;;#ASMEND
	ds_read_b32 v50, v49 offset:32768
	s_waitcnt lgkmcnt(0)
	v_cmp_eq_u32_e32 vcc, v50, v32
	s_or_b64 s[40:41], vcc, s[40:41]
	s_andn2_b64 exec, exec, s[40:41]
	s_cbranch_execnz .LBB248_18
.LBB248_19:                             ;   in Loop: Header=BB248_13 Depth=2
	s_or_b64 exec, exec, s[38:39]
	v_mul_lo_u32 v50, v47, s52
	v_or_b32_e32 v51, v33, v50
	ds_read2_b32 v[52:53], v51 offset1:32
	ds_read2_b32 v[54:55], v51 offset0:128 offset1:160
	v_add_u32_e32 v51, 0x400, v51
	s_waitcnt lgkmcnt(1)
	v_mfma_f32_16x16x32_fp8_fp8 v[8:11], v[52:53], v[28:29], v[8:11]
	ds_read2_b32 v[52:53], v51 offset1:32
	s_waitcnt lgkmcnt(1)
	v_mfma_f32_16x16x32_fp8_fp8 v[8:11], v[54:55], v[30:31], v[8:11]
	ds_read2_b32 v[54:55], v51 offset0:128 offset1:160
	;;#ASMSTART
	s_waitcnt lgkmcnt(0)
	;;#ASMEND
	ds_read_b32 v51, v49 offset:32772
	ds_write_b32 v49, v48 offset:32768
	s_waitcnt lgkmcnt(3)
	v_mfma_f32_16x16x32_fp8_fp8 v[8:11], v[52:53], v[26:27], v[8:11]
	s_waitcnt lgkmcnt(1)
	v_cmp_ne_u32_e32 vcc, v51, v32
	v_mfma_f32_16x16x32_fp8_fp8 v[8:11], v[54:55], v[24:25], v[8:11]
	s_and_saveexec_b64 s[38:39], vcc
	s_cbranch_execz .LBB248_22
; %bb.20:                               ;   in Loop: Header=BB248_13 Depth=2
	s_mov_b64 s[40:41], 0
.LBB248_21:                             ;   Parent Loop BB248_7 Depth=1
                                        ;     Parent Loop BB248_13 Depth=2
                                        ; =>    This Inner Loop Header: Depth=3
	;;#ASMSTART
	s_sleep 0
	;;#ASMEND
	ds_read_b32 v51, v49 offset:32772
	s_waitcnt lgkmcnt(0)
	v_cmp_eq_u32_e32 vcc, v51, v32
	s_or_b64 s[40:41], vcc, s[40:41]
	s_andn2_b64 exec, exec, s[40:41]
	s_cbranch_execnz .LBB248_21
.LBB248_22:                             ;   in Loop: Header=BB248_13 Depth=2
	s_or_b64 exec, exec, s[38:39]
	v_add_u32_e32 v50, v33, v50
	v_add_u32_e32 v51, 0x800, v50
	ds_read2_b32 v[52:53], v51 offset1:32
	ds_read2_b32 v[54:55], v51 offset0:128 offset1:160
	v_add_u32_e32 v51, 0xc00, v50
	s_waitcnt lgkmcnt(1)
	v_mfma_f32_16x16x32_fp8_fp8 v[4:7], v[52:53], v[28:29], v[4:7]
	ds_read2_b32 v[52:53], v51 offset1:32
	s_waitcnt lgkmcnt(1)
	v_mfma_f32_16x16x32_fp8_fp8 v[4:7], v[54:55], v[30:31], v[4:7]
	ds_read2_b32 v[54:55], v51 offset0:128 offset1:160
	;;#ASMSTART
	s_waitcnt lgkmcnt(0)
	;;#ASMEND
	ds_read_b32 v51, v49 offset:32776
	ds_write_b32 v49, v48 offset:32772
	s_waitcnt lgkmcnt(3)
	v_mfma_f32_16x16x32_fp8_fp8 v[4:7], v[52:53], v[26:27], v[4:7]
	s_waitcnt lgkmcnt(1)
	v_cmp_ne_u32_e32 vcc, v51, v32
	v_mfma_f32_16x16x32_fp8_fp8 v[4:7], v[54:55], v[24:25], v[4:7]
	s_and_saveexec_b64 s[38:39], vcc
	s_cbranch_execz .LBB248_12
; %bb.23:                               ;   in Loop: Header=BB248_13 Depth=2
	s_mov_b64 s[40:41], 0
.LBB248_24:                             ;   Parent Loop BB248_7 Depth=1
                                        ;     Parent Loop BB248_13 Depth=2
                                        ; =>    This Inner Loop Header: Depth=3
	;;#ASMSTART
	s_sleep 0
	;;#ASMEND
	ds_read_b32 v51, v49 offset:32776
	s_waitcnt lgkmcnt(0)
	v_cmp_eq_u32_e32 vcc, v51, v32
	s_or_b64 s[40:41], vcc, s[40:41]
	s_andn2_b64 exec, exec, s[40:41]
	s_cbranch_execnz .LBB248_24
	s_branch .LBB248_12
.LBB248_25:                             ;   in Loop: Header=BB248_7 Depth=1
	s_or_b64 exec, exec, s[8:9]
.LBB248_26:                             ;   in Loop: Header=BB248_7 Depth=1
	s_or_b64 exec, exec, s[6:7]
	v_cmp_le_i32_e32 vcc, s31, v12
	v_cmp_eq_u32_e64 s[6:7], 3, v35
	s_waitcnt vmcnt(0)
	v_cndmask_b32_e32 v24, 0, v46, vcc
	v_pk_mul_f32 v[30:31], v[24:25], v[8:9] op_sel_hi:[0,1]
	v_cmp_eq_u32_e32 vcc, 1, v35
	v_pk_mul_f32 v[10:11], v[24:25], v[10:11] op_sel_hi:[0,1]
	v_add_u32_e32 v25, s56, v37
	v_cndmask_b32_e32 v8, v30, v31, vcc
	v_cmp_eq_u32_e32 vcc, 2, v35
	s_nop 1
	v_cndmask_b32_e32 v8, v8, v10, vcc
	v_cndmask_b32_e64 v8, v8, v11, s[6:7]
	ds_bpermute_b32 v9, v44, v8
	s_waitcnt lgkmcnt(0)
	v_cndmask_b32_e32 v10, v10, v9, vcc
	v_cmp_ne_u32_e32 vcc, 0, v35
	v_cndmask_b32_e64 v26, v11, v9, s[6:7]
	s_nop 0
	v_cndmask_b32_e32 v8, v31, v9, vcc
	v_cmp_eq_u32_e32 vcc, 0, v35
	s_nop 1
	v_cndmask_b32_e32 v9, v30, v9, vcc
	v_cmp_eq_u32_e32 vcc, 1, v36
	;; [unrolled: 3-line block ×4, first 2 shown]
	s_nop 1
	v_cndmask_b32_e32 v11, v11, v26, vcc
	ds_bpermute_b32 v11, v44, v11
	v_cmp_gt_u32_e32 vcc, 48, v25
	s_and_saveexec_b64 s[38:39], vcc
	s_cbranch_execz .LBB248_33
; %bb.27:                               ;   in Loop: Header=BB248_7 Depth=1
	v_cmp_eq_u32_e64 s[8:9], 1, v36
	v_cmp_eq_u32_e64 s[6:7], 3, v36
	v_cmp_eq_u32_e32 vcc, 2, v36
	s_waitcnt lgkmcnt(0)
	v_cndmask_b32_e64 v8, v8, v11, s[8:9]
	v_cmp_eq_u32_e64 s[8:9], 0, v36
	v_cvt_f16_f32_sdwa v29, v8 dst_sel:WORD_1 dst_unused:UNUSED_PAD src0_sel:DWORD
	s_nop 0
	v_cndmask_b32_e64 v9, v9, v11, s[8:9]
	s_mul_i32 s8, s54, s13
	s_ashr_i32 s9, s8, 31
	s_lshl_b64 s[8:9], s[8:9], 1
	s_add_u32 s40, s24, s8
	s_addc_u32 s41, s25, s9
	s_ashr_i32 s31, s30, 31
	s_lshl_b64 s[8:9], s[30:31], 1
	v_cvt_f16_f32_e32 v27, v9
	s_add_u32 s40, s40, s8
	s_addc_u32 s41, s41, s9
	v_lshl_add_u64 v[8:9], v[14:15], 1, s[40:41]
	v_cmp_gt_u32_e64 s[8:9], 46, v25
	v_or_b32_e32 v27, v29, v27
	;;#ASMSTART
	global_atomic_pk_add_f16 v[8:9], v27, off
	
	;;#ASMEND
	s_and_b64 exec, exec, s[8:9]
	s_cbranch_execz .LBB248_33
; %bb.28:                               ;   in Loop: Header=BB248_7 Depth=1
	v_mov_b32_e32 v25, v24
	v_cndmask_b32_e64 v29, v26, v11, s[6:7]
	v_mov_b32_e32 v26, v24
	v_mov_b32_e32 v27, v24
	v_pk_mul_f32 v[6:7], v[26:27], v[6:7]
	v_pk_mul_f32 v[26:27], v[24:25], v[4:5]
	v_cmp_eq_u32_e64 s[6:7], 1, v35
	v_cmp_eq_u32_e64 s[8:9], 3, v35
	v_cvt_f16_f32_sdwa v29, v29 dst_sel:WORD_1 dst_unused:UNUSED_PAD src0_sel:DWORD
	v_cndmask_b32_e64 v4, v26, v27, s[6:7]
	v_cmp_eq_u32_e64 s[6:7], 2, v35
	s_nop 1
	v_cndmask_b32_e64 v4, v4, v6, s[6:7]
	v_cndmask_b32_e64 v4, v4, v7, s[8:9]
	ds_bpermute_b32 v5, v44, v4
	v_cndmask_b32_e32 v4, v10, v11, vcc
	v_cmp_ne_u32_e32 vcc, 0, v35
	v_lshl_add_u64 v[10:11], s[10:11], 2, v[8:9]
	v_cvt_f16_f32_e32 v9, v4
	s_waitcnt lgkmcnt(0)
	v_cndmask_b32_e32 v4, v27, v5, vcc
	v_cmp_eq_u32_e32 vcc, 0, v35
	v_cndmask_b32_e64 v8, v7, v5, s[8:9]
	v_cndmask_b32_e64 v6, v6, v5, s[6:7]
	v_cndmask_b32_e32 v5, v26, v5, vcc
	v_cmp_eq_u32_e32 vcc, 1, v36
	v_or_b32_e32 v9, v29, v9
	;;#ASMSTART
	global_atomic_pk_add_f16 v[10:11], v9, off
	
	;;#ASMEND
	v_add_u32_e32 v9, s56, v38
	v_cndmask_b32_e32 v7, v5, v4, vcc
	v_cmp_eq_u32_e32 vcc, 2, v36
	s_nop 1
	v_cndmask_b32_e32 v7, v7, v6, vcc
	v_cmp_eq_u32_e32 vcc, 3, v36
	s_nop 1
	v_cndmask_b32_e32 v7, v7, v8, vcc
	ds_bpermute_b32 v7, v44, v7
	v_cmp_gt_u32_e32 vcc, 48, v9
	s_and_b64 exec, exec, vcc
	s_cbranch_execz .LBB248_33
; %bb.29:                               ;   in Loop: Header=BB248_7 Depth=1
	v_cmp_eq_u32_e32 vcc, 1, v36
	v_cmp_eq_u32_e64 s[6:7], 3, v36
	v_cmp_gt_u32_e64 s[8:9], 46, v9
	s_waitcnt lgkmcnt(0)
	v_cndmask_b32_e32 v4, v4, v7, vcc
	v_cmp_eq_u32_e32 vcc, 0, v36
	v_cvt_f16_f32_sdwa v11, v4 dst_sel:WORD_1 dst_unused:UNUSED_PAD src0_sel:DWORD
	s_nop 0
	v_cndmask_b32_e32 v5, v5, v7, vcc
	v_cvt_f16_f32_e32 v10, v5
	v_cmp_eq_u32_e32 vcc, 2, v36
	v_lshl_add_u64 v[4:5], v[16:17], 1, s[40:41]
	v_or_b32_e32 v10, v11, v10
	;;#ASMSTART
	global_atomic_pk_add_f16 v[4:5], v10, off
	
	;;#ASMEND
	s_and_b64 exec, exec, s[8:9]
	s_cbranch_execz .LBB248_33
; %bb.30:                               ;   in Loop: Header=BB248_7 Depth=1
	v_cndmask_b32_e64 v26, v8, v7, s[6:7]
	v_mov_b32_e32 v8, v24
	v_mov_b32_e32 v9, v24
	v_pk_mul_f32 v[10:11], v[24:25], v[0:1]
	v_cmp_eq_u32_e64 s[6:7], 1, v35
	v_pk_mul_f32 v[8:9], v[8:9], v[2:3]
	v_cmp_eq_u32_e64 s[8:9], 3, v35
	v_cndmask_b32_e64 v0, v10, v11, s[6:7]
	v_cmp_eq_u32_e64 s[6:7], 2, v35
	v_cvt_f16_f32_sdwa v24, v26 dst_sel:WORD_1 dst_unused:UNUSED_PAD src0_sel:DWORD
	s_nop 0
	v_cndmask_b32_e64 v0, v0, v8, s[6:7]
	v_cndmask_b32_e64 v0, v0, v9, s[8:9]
	ds_bpermute_b32 v1, v44, v0
	v_cndmask_b32_e32 v0, v6, v7, vcc
	v_cmp_ne_u32_e32 vcc, 0, v35
	v_lshl_add_u64 v[6:7], s[10:11], 2, v[4:5]
	v_cvt_f16_f32_e32 v5, v0
	s_waitcnt lgkmcnt(0)
	v_cndmask_b32_e32 v0, v11, v1, vcc
	v_cmp_eq_u32_e32 vcc, 0, v35
	v_cndmask_b32_e64 v2, v9, v1, s[8:9]
	v_cndmask_b32_e64 v3, v8, v1, s[6:7]
	v_cndmask_b32_e32 v1, v10, v1, vcc
	v_cmp_eq_u32_e32 vcc, 1, v36
	v_or_b32_e32 v5, v24, v5
	;;#ASMSTART
	global_atomic_pk_add_f16 v[6:7], v5, off
	
	;;#ASMEND
	v_add_u32_e32 v5, s56, v39
	v_cndmask_b32_e32 v4, v1, v0, vcc
	v_cmp_eq_u32_e32 vcc, 2, v36
	s_nop 1
	v_cndmask_b32_e32 v4, v4, v3, vcc
	v_cmp_eq_u32_e32 vcc, 3, v36
	s_nop 1
	v_cndmask_b32_e32 v4, v4, v2, vcc
	ds_bpermute_b32 v4, v44, v4
	v_cmp_gt_u32_e32 vcc, 48, v5
	s_and_b64 exec, exec, vcc
	s_cbranch_execz .LBB248_33
; %bb.31:                               ;   in Loop: Header=BB248_7 Depth=1
	v_cmp_eq_u32_e32 vcc, 1, v36
	v_cmp_eq_u32_e64 s[6:7], 2, v36
	v_cmp_gt_u32_e64 s[8:9], 46, v5
	s_waitcnt lgkmcnt(0)
	v_cndmask_b32_e32 v0, v0, v4, vcc
	v_cmp_eq_u32_e32 vcc, 0, v36
	v_cvt_f16_f32_sdwa v7, v0 dst_sel:WORD_1 dst_unused:UNUSED_PAD src0_sel:DWORD
	s_nop 0
	v_cndmask_b32_e32 v1, v1, v4, vcc
	v_cvt_f16_f32_e32 v6, v1
	v_cmp_eq_u32_e32 vcc, 3, v36
	v_lshl_add_u64 v[0:1], v[18:19], 1, s[40:41]
	v_or_b32_e32 v6, v7, v6
	;;#ASMSTART
	global_atomic_pk_add_f16 v[0:1], v6, off
	
	;;#ASMEND
	s_and_b64 exec, exec, s[8:9]
	s_cbranch_execz .LBB248_33
; %bb.32:                               ;   in Loop: Header=BB248_7 Depth=1
	v_cndmask_b32_e32 v2, v2, v4, vcc
	v_cndmask_b32_e64 v3, v3, v4, s[6:7]
	v_cvt_f16_f32_sdwa v2, v2 dst_sel:WORD_1 dst_unused:UNUSED_PAD src0_sel:DWORD
	v_cvt_f16_f32_e32 v3, v3
	v_lshl_add_u64 v[0:1], s[10:11], 2, v[0:1]
	v_or_b32_e32 v2, v2, v3
	;;#ASMSTART
	global_atomic_pk_add_f16 v[0:1], v2, off
	
	;;#ASMEND
.LBB248_33:                             ;   in Loop: Header=BB248_7 Depth=1
	s_or_b64 exec, exec, s[38:39]
	v_subrev_u32_e32 v45, s57, v45
.LBB248_34:                             ;   in Loop: Header=BB248_7 Depth=1
	s_or_b64 exec, exec, s[36:37]
.LBB248_35:                             ;   in Loop: Header=BB248_7 Depth=1
	s_andn2_saveexec_b64 s[6:7], s[34:35]
	s_cbranch_execz .LBB248_44
; %bb.36:                               ;   in Loop: Header=BB248_7 Depth=1
	v_cmp_gt_i32_e32 vcc, s57, v45
	s_and_saveexec_b64 s[8:9], vcc
	s_cbranch_execz .LBB248_43
; %bb.37:                               ;   in Loop: Header=BB248_7 Depth=1
	s_mul_i32 s30, s30, s15
	s_ashr_i32 s31, s30, 31
	s_waitcnt lgkmcnt(0)
	s_add_u32 s30, s22, s30
	s_addc_u32 s31, s23, s31
	s_ashr_i32 s34, s55, 31
	s_add_u32 s30, s30, s55
	s_addc_u32 s31, s31, s34
	v_lshl_add_u64 v[0:1], s[30:31], 0, v[22:23]
	v_lshl_add_u64 v[8:9], v[0:1], 0, v[20:21]
	s_mov_b64 s[30:31], 0
	s_branch .LBB248_39
.LBB248_38:                             ;   in Loop: Header=BB248_39 Depth=2
	s_or_b64 exec, exec, s[34:35]
	v_lshl_add_u32 v24, v10, 11, v42
	;;#ASMSTART
	s_waitcnt vmcnt(1)
	;;#ASMEND
	ds_write2_b32 v24, v4, v5 offset1:32
	ds_write2_b32 v24, v6, v7 offset0:64 offset1:96
	v_add_u32_e32 v4, 0x400, v24
	v_add_u32_e32 v45, s18, v45
	;;#ASMSTART
	s_waitcnt vmcnt(0)
	;;#ASMEND
	ds_write2_b32 v4, v0, v1 offset1:32
	ds_write2_b32 v4, v2, v3 offset0:64 offset1:96
	v_add_u32_e32 v0, 1, v32
	v_add_u32_e32 v28, s18, v10
	v_cmp_le_i32_e32 vcc, s57, v45
	ds_write_b32 v11, v0 offset:48
	v_add_u32_e32 v0, 2, v32
	s_or_b64 s[30:31], vcc, s[30:31]
	v_cmp_lt_i32_e32 vcc, 3, v28
	s_nop 1
	v_cndmask_b32_e32 v32, v32, v0, vcc
	s_andn2_b64 exec, exec, s[30:31]
	s_cbranch_execz .LBB248_42
.LBB248_39:                             ;   Parent Loop BB248_7 Depth=1
                                        ; =>  This Loop Header: Depth=2
                                        ;       Child Loop BB248_41 Depth 3
	v_cmp_gt_i32_e32 vcc, 4, v28
	s_nop 1
	v_cndmask_b32_e64 v0, -4, 0, vcc
	v_add_u32_e32 v10, v0, v28
	v_lshlrev_b32_e32 v0, 7, v45
	v_ashrrev_i32_e32 v1, 31, v0
	v_lshl_add_u64 v[0:1], v[8:9], 0, v[0:1]
	v_lshlrev_b32_e32 v11, 2, v10
	;;#ASMSTART
	global_load_dwordx4 v[4:7], v[0:1], off offset:0   sc0 sc1 nt  
	global_load_dwordx4 v[0:3], v[0:1], off offset:64  sc0 sc1 nt  
	
	;;#ASMEND
	ds_read_b32 v24, v11 offset:32816
	v_add_u32_e32 v11, 0x8000, v11
	s_waitcnt lgkmcnt(0)
	v_cmp_ne_u32_e32 vcc, v24, v32
	s_and_saveexec_b64 s[34:35], vcc
	s_cbranch_execz .LBB248_38
; %bb.40:                               ;   in Loop: Header=BB248_39 Depth=2
	s_mov_b64 s[36:37], 0
.LBB248_41:                             ;   Parent Loop BB248_7 Depth=1
                                        ;     Parent Loop BB248_39 Depth=2
                                        ; =>    This Inner Loop Header: Depth=3
	;;#ASMSTART
	s_sleep 0
	;;#ASMEND
	ds_read_b32 v24, v11 offset:48
	s_waitcnt lgkmcnt(0)
	v_cmp_eq_u32_e32 vcc, v24, v32
	s_or_b64 s[36:37], vcc, s[36:37]
	s_andn2_b64 exec, exec, s[36:37]
	s_cbranch_execnz .LBB248_41
	s_branch .LBB248_38
.LBB248_42:                             ;   in Loop: Header=BB248_7 Depth=1
	s_or_b64 exec, exec, s[30:31]
.LBB248_43:                             ;   in Loop: Header=BB248_7 Depth=1
	s_or_b64 exec, exec, s[8:9]
	v_subrev_u32_e32 v45, s57, v45
.LBB248_44:                             ;   in Loop: Header=BB248_7 Depth=1
	s_or_b64 exec, exec, s[6:7]
.LBB248_45:                             ;   in Loop: Header=BB248_7 Depth=1
	s_andn2_saveexec_b64 s[6:7], s[28:29]
	s_cbranch_execz .LBB248_6
; %bb.46:                               ;   in Loop: Header=BB248_7 Depth=1
	s_mul_i32 s57, s57, 3
	v_cmp_gt_i32_e32 vcc, s57, v45
	s_and_saveexec_b64 s[8:9], vcc
	s_cbranch_execz .LBB248_5
; %bb.47:                               ;   in Loop: Header=BB248_7 Depth=1
	s_mul_i32 s54, s54, s14
	s_ashr_i32 s28, s54, 31
	s_waitcnt lgkmcnt(0)
	s_add_u32 s29, s20, s54
	v_add_u32_e32 v2, s56, v40
	s_addc_u32 s30, s21, s28
	s_ashr_i32 s31, s55, 31
	v_cmp_gt_u32_e32 vcc, 48, v2
	s_add_u32 s28, s29, s55
	s_addc_u32 s29, s30, s31
	v_cndmask_b32_e32 v0, 0, v43, vcc
	v_ashrrev_i32_e32 v1, 31, v0
	v_lshl_add_u64 v[0:1], s[28:29], 0, v[0:1]
	v_lshl_add_u64 v[8:9], v[0:1], 0, v[20:21]
	v_sub_u32_e32 v10, 47, v2
	s_mov_b64 s[28:29], 0
	s_branch .LBB248_49
.LBB248_48:                             ;   in Loop: Header=BB248_49 Depth=2
	s_or_b64 exec, exec, s[30:31]
	v_lshl_or_b32 v25, v11, 11, v41
	;;#ASMSTART
	s_waitcnt vmcnt(1)
	;;#ASMEND
	ds_write2_b32 v25, v4, v5 offset1:32
	ds_write2_b32 v25, v6, v7 offset0:64 offset1:96
	v_add_u32_e32 v4, 0x400, v25
	v_add_u32_e32 v45, s17, v45
	;;#ASMSTART
	s_waitcnt vmcnt(0)
	;;#ASMEND
	ds_write2_b32 v4, v0, v1 offset1:32
	ds_write2_b32 v4, v2, v3 offset0:64 offset1:96
	v_add_u32_e32 v0, 1, v32
	v_add_u32_e32 v28, s17, v11
	v_cmp_le_i32_e32 vcc, s57, v45
	ds_write_b32 v24, v0
	v_add_u32_e32 v0, 2, v32
	s_or_b64 s[28:29], vcc, s[28:29]
	v_cmp_lt_i32_e32 vcc, 11, v28
	s_nop 1
	v_cndmask_b32_e32 v32, v32, v0, vcc
	s_andn2_b64 exec, exec, s[28:29]
	s_cbranch_execz .LBB248_4
.LBB248_49:                             ;   Parent Loop BB248_7 Depth=1
                                        ; =>  This Loop Header: Depth=2
                                        ;       Child Loop BB248_51 Depth 3
	v_cmp_gt_i32_e32 vcc, 12, v28
	s_nop 1
	v_cndmask_b32_e64 v0, -12, 0, vcc
	v_add_u32_e32 v11, v0, v28
	v_mul_hi_i32 v0, v45, s53
	v_lshrrev_b32_e32 v1, 31, v0
	v_add_u32_e32 v0, v0, v1
	v_lshl_add_u32 v1, v0, 1, v0
	v_sub_u32_e32 v1, v45, v1
	v_lshlrev_b32_e32 v1, 4, v1
	v_cmp_le_i32_e32 vcc, v1, v10
	v_lshlrev_b32_e32 v0, 7, v0
	v_lshlrev_b32_e32 v24, 2, v11
	v_cndmask_b32_e32 v2, 0, v1, vcc
	v_ashrrev_i32_e32 v1, 31, v0
	v_mul_lo_u32 v2, v2, s14
	v_lshl_add_u64 v[0:1], v[8:9], 0, v[0:1]
	v_ashrrev_i32_e32 v3, 31, v2
	v_lshl_add_u64 v[0:1], v[0:1], 0, v[2:3]
	;;#ASMSTART
	global_load_dwordx4 v[4:7], v[0:1], off offset:0   
	global_load_dwordx4 v[0:3], v[0:1], off offset:64  
	
	;;#ASMEND
	ds_read_b32 v25, v24 offset:32768
	v_add_u32_e32 v24, 0x8000, v24
	s_waitcnt lgkmcnt(0)
	v_cmp_ne_u32_e32 vcc, v25, v32
	s_and_saveexec_b64 s[30:31], vcc
	s_cbranch_execz .LBB248_48
; %bb.50:                               ;   in Loop: Header=BB248_49 Depth=2
	s_mov_b64 s[34:35], 0
.LBB248_51:                             ;   Parent Loop BB248_7 Depth=1
                                        ;     Parent Loop BB248_49 Depth=2
                                        ; =>    This Inner Loop Header: Depth=3
	;;#ASMSTART
	s_sleep 0
	;;#ASMEND
	ds_read_b32 v25, v24
	s_waitcnt lgkmcnt(0)
	v_cmp_eq_u32_e32 vcc, v25, v32
	s_or_b64 s[34:35], vcc, s[34:35]
	s_andn2_b64 exec, exec, s[34:35]
	s_cbranch_execnz .LBB248_51
	s_branch .LBB248_48
.LBB248_52:
	s_endpgm
	.section	.rodata,"a",@progbits
	.p2align	6, 0x0
	.amdhsa_kernel _Z19_skinny_gemm_kernelILi3ELi1ELi4ELi16ELi4EEvPKhS1_P6__halfPKfiiiiiiii
		.amdhsa_group_segment_fixed_size 32832
		.amdhsa_private_segment_fixed_size 0
		.amdhsa_kernarg_size 64
		.amdhsa_user_sgpr_count 2
		.amdhsa_user_sgpr_dispatch_ptr 0
		.amdhsa_user_sgpr_queue_ptr 0
		.amdhsa_user_sgpr_kernarg_segment_ptr 1
		.amdhsa_user_sgpr_dispatch_id 0
		.amdhsa_user_sgpr_kernarg_preload_length 0
		.amdhsa_user_sgpr_kernarg_preload_offset 0
		.amdhsa_user_sgpr_private_segment_size 0
		.amdhsa_uses_dynamic_stack 0
		.amdhsa_enable_private_segment 0
		.amdhsa_system_sgpr_workgroup_id_x 1
		.amdhsa_system_sgpr_workgroup_id_y 0
		.amdhsa_system_sgpr_workgroup_id_z 0
		.amdhsa_system_sgpr_workgroup_info 0
		.amdhsa_system_vgpr_workitem_id 0
		.amdhsa_next_free_vgpr 57
		.amdhsa_next_free_sgpr 58
		.amdhsa_accum_offset 60
		.amdhsa_reserve_vcc 1
		.amdhsa_float_round_mode_32 0
		.amdhsa_float_round_mode_16_64 0
		.amdhsa_float_denorm_mode_32 3
		.amdhsa_float_denorm_mode_16_64 3
		.amdhsa_dx10_clamp 1
		.amdhsa_ieee_mode 1
		.amdhsa_fp16_overflow 0
		.amdhsa_tg_split 0
		.amdhsa_exception_fp_ieee_invalid_op 0
		.amdhsa_exception_fp_denorm_src 0
		.amdhsa_exception_fp_ieee_div_zero 0
		.amdhsa_exception_fp_ieee_overflow 0
		.amdhsa_exception_fp_ieee_underflow 0
		.amdhsa_exception_fp_ieee_inexact 0
		.amdhsa_exception_int_div_zero 0
	.end_amdhsa_kernel
	.section	.text._Z19_skinny_gemm_kernelILi3ELi1ELi4ELi16ELi4EEvPKhS1_P6__halfPKfiiiiiiii,"axG",@progbits,_Z19_skinny_gemm_kernelILi3ELi1ELi4ELi16ELi4EEvPKhS1_P6__halfPKfiiiiiiii,comdat
.Lfunc_end248:
	.size	_Z19_skinny_gemm_kernelILi3ELi1ELi4ELi16ELi4EEvPKhS1_P6__halfPKfiiiiiiii, .Lfunc_end248-_Z19_skinny_gemm_kernelILi3ELi1ELi4ELi16ELi4EEvPKhS1_P6__halfPKfiiiiiiii
                                        ; -- End function
	.set _Z19_skinny_gemm_kernelILi3ELi1ELi4ELi16ELi4EEvPKhS1_P6__halfPKfiiiiiiii.num_vgpr, 57
	.set _Z19_skinny_gemm_kernelILi3ELi1ELi4ELi16ELi4EEvPKhS1_P6__halfPKfiiiiiiii.num_agpr, 0
	.set _Z19_skinny_gemm_kernelILi3ELi1ELi4ELi16ELi4EEvPKhS1_P6__halfPKfiiiiiiii.numbered_sgpr, 58
	.set _Z19_skinny_gemm_kernelILi3ELi1ELi4ELi16ELi4EEvPKhS1_P6__halfPKfiiiiiiii.num_named_barrier, 0
	.set _Z19_skinny_gemm_kernelILi3ELi1ELi4ELi16ELi4EEvPKhS1_P6__halfPKfiiiiiiii.private_seg_size, 0
	.set _Z19_skinny_gemm_kernelILi3ELi1ELi4ELi16ELi4EEvPKhS1_P6__halfPKfiiiiiiii.uses_vcc, 1
	.set _Z19_skinny_gemm_kernelILi3ELi1ELi4ELi16ELi4EEvPKhS1_P6__halfPKfiiiiiiii.uses_flat_scratch, 0
	.set _Z19_skinny_gemm_kernelILi3ELi1ELi4ELi16ELi4EEvPKhS1_P6__halfPKfiiiiiiii.has_dyn_sized_stack, 0
	.set _Z19_skinny_gemm_kernelILi3ELi1ELi4ELi16ELi4EEvPKhS1_P6__halfPKfiiiiiiii.has_recursion, 0
	.set _Z19_skinny_gemm_kernelILi3ELi1ELi4ELi16ELi4EEvPKhS1_P6__halfPKfiiiiiiii.has_indirect_call, 0
	.section	.AMDGPU.csdata,"",@progbits
; Kernel info:
; codeLenInByte = 3820
; TotalNumSgprs: 64
; NumVgprs: 57
; NumAgprs: 0
; TotalNumVgprs: 57
; ScratchSize: 0
; MemoryBound: 0
; FloatMode: 240
; IeeeMode: 1
; LDSByteSize: 32832 bytes/workgroup (compile time only)
; SGPRBlocks: 7
; VGPRBlocks: 7
; NumSGPRsForWavesPerEU: 64
; NumVGPRsForWavesPerEU: 57
; AccumOffset: 60
; Occupancy: 8
; WaveLimiterHint : 0
; COMPUTE_PGM_RSRC2:SCRATCH_EN: 0
; COMPUTE_PGM_RSRC2:USER_SGPR: 2
; COMPUTE_PGM_RSRC2:TRAP_HANDLER: 0
; COMPUTE_PGM_RSRC2:TGID_X_EN: 1
; COMPUTE_PGM_RSRC2:TGID_Y_EN: 0
; COMPUTE_PGM_RSRC2:TGID_Z_EN: 0
; COMPUTE_PGM_RSRC2:TIDIG_COMP_CNT: 0
; COMPUTE_PGM_RSRC3_GFX90A:ACCUM_OFFSET: 14
; COMPUTE_PGM_RSRC3_GFX90A:TG_SPLIT: 0
	.section	.text._Z19_skinny_gemm_kernelILi3ELi1ELi4ELi32ELi4EEvPKhS1_P6__halfPKfiiiiiiii,"axG",@progbits,_Z19_skinny_gemm_kernelILi3ELi1ELi4ELi32ELi4EEvPKhS1_P6__halfPKfiiiiiiii,comdat
	.protected	_Z19_skinny_gemm_kernelILi3ELi1ELi4ELi32ELi4EEvPKhS1_P6__halfPKfiiiiiiii ; -- Begin function _Z19_skinny_gemm_kernelILi3ELi1ELi4ELi32ELi4EEvPKhS1_P6__halfPKfiiiiiiii
	.globl	_Z19_skinny_gemm_kernelILi3ELi1ELi4ELi32ELi4EEvPKhS1_P6__halfPKfiiiiiiii
	.p2align	8
	.type	_Z19_skinny_gemm_kernelILi3ELi1ELi4ELi32ELi4EEvPKhS1_P6__halfPKfiiiiiiii,@function
_Z19_skinny_gemm_kernelILi3ELi1ELi4ELi32ELi4EEvPKhS1_P6__halfPKfiiiiiiii: ; @_Z19_skinny_gemm_kernelILi3ELi1ELi4ELi32ELi4EEvPKhS1_P6__halfPKfiiiiiiii
; %bb.0:
	v_cmp_gt_u32_e32 vcc, 16, v0
	s_and_saveexec_b64 s[4:5], vcc
; %bb.1:
	v_lshlrev_b32_e32 v1, 2, v0
	v_mov_b32_e32 v2, 0
	ds_write_b32 v1, v2 offset:32768
; %bb.2:
	s_or_b64 exec, exec, s[4:5]
	s_load_dwordx8 s[36:43], s[0:1], 0x20
	s_waitcnt lgkmcnt(0)
	s_barrier
	s_add_i32 s3, s36, 0x5f
	s_add_i32 s4, s37, 31
	s_mul_hi_i32 s3, s3, 0x2aaaaaab
	s_lshr_b32 s5, s3, 31
	s_ashr_i32 s33, s3, 4
	s_ashr_i32 s3, s4, 31
	s_lshr_b32 s3, s3, 27
	s_add_i32 s4, s4, s3
	s_add_i32 s33, s33, s5
	s_ashr_i32 s62, s4, 5
	s_mul_i32 s3, s62, s33
	s_mul_i32 s3, s3, s40
	s_add_i32 s4, s3, 0x12f
	s_mul_hi_i32 s4, s4, 0x6bca1af3
	s_lshr_b32 s5, s4, 31
	s_ashr_i32 s4, s4, 7
	s_add_i32 s4, s4, s5
	s_add_i32 s5, s2, 1
	s_mul_i32 s5, s4, s5
	v_cvt_f64_i32_e32 v[2:3], s3
	v_cvt_f64_u32_e32 v[4:5], s5
	v_min_f64 v[2:3], v[2:3], v[4:5]
	v_cvt_i32_f64_e32 v46, v[2:3]
	s_mul_i32 s63, s4, s2
	v_cmp_ge_i32_e32 vcc, s63, v46
	s_cbranch_vccnz .LBB249_48
; %bb.3:
	v_lshrrev_b32_e32 v1, 6, v0
	s_add_i32 s4, s42, s41
	s_load_dwordx8 s[44:51], s[0:1], 0x0
	v_cmp_le_i32_e64 s[0:1], s4, v1
	v_mov_b32_e32 v2, s41
	v_cmp_le_i32_e64 s[2:3], s41, v1
	v_mov_b32_e32 v3, s42
	v_cndmask_b32_e64 v3, 0, v3, s[0:1]
	v_cndmask_b32_e64 v2, 0, v2, s[2:3]
	s_abs_i32 s5, s40
	v_add_u32_e32 v2, v2, v3
	v_cvt_f32_u32_e32 v3, s5
	v_sub_u32_e32 v40, v1, v2
	s_ashr_i32 s6, s38, 31
	s_lshr_b32 s6, s6, 26
	v_rcp_iflag_f32_e32 v2, v3
	s_sub_i32 s9, 0, s5
	s_add_i32 s6, s38, s6
	s_ashr_i32 s6, s6, 6
	v_mul_f32_e32 v2, 0x4f7ffffe, v2
	v_cvt_u32_f32_e32 v2, v2
	s_abs_i32 s8, s6
	s_xor_b32 s7, s6, s40
	s_ashr_i32 s7, s7, 31
	v_readfirstlane_b32 s10, v2
	s_mul_i32 s9, s9, s10
	s_mul_hi_u32 s9, s10, s9
	s_add_i32 s10, s10, s9
	s_mul_hi_u32 s9, s8, s10
	s_mul_i32 s10, s9, s5
	s_sub_i32 s8, s8, s10
	s_add_i32 s10, s9, 1
	s_sub_i32 s11, s8, s5
	s_cmp_ge_u32 s8, s5
	s_cselect_b32 s9, s10, s9
	s_cselect_b32 s8, s11, s8
	s_add_i32 s10, s9, 1
	s_cmp_ge_u32 s8, s5
	s_cselect_b32 s5, s10, s9
	s_xor_b32 s5, s5, s7
	s_sub_i32 s64, s5, s7
	s_add_i32 s40, s40, -1
	s_mul_i32 s5, s64, s40
	s_add_i32 s4, s4, s43
	v_and_b32_e32 v48, 31, v0
	v_lshrrev_b32_e32 v2, 3, v0
	s_sub_i32 s65, s6, s5
	v_cmp_gt_i32_e64 s[4:5], s4, v1
	v_lshlrev_b32_e32 v1, 2, v48
	v_and_b32_e32 v3, 4, v2
	v_and_b32_e32 v5, 1, v0
	v_lshlrev_b32_e32 v2, 6, v3
	v_or_b32_e32 v4, 0x6000, v1
	v_or_b32_e32 v3, v3, v5
	;; [unrolled: 1-line block ×4, first 2 shown]
	v_lshlrev_b32_e32 v2, 1, v5
	v_or_b32_e32 v5, 2, v3
	v_sub_u32_e32 v60, 32, v5
	v_or_b32_e32 v5, 8, v3
	v_sub_u32_e32 v61, 32, v5
	;; [unrolled: 2-line block ×5, first 2 shown]
	v_mul_lo_u32 v18, s37, v3
	v_sub_u32_e32 v64, 32, v5
	v_or_b32_e32 v5, 24, v3
	v_or_b32_e32 v3, 26, v3
	v_sub_u32_e32 v66, 32, v3
	v_lshrrev_b32_e32 v3, 1, v0
	s_abs_i32 s66, s33
	v_and_b32_e32 v34, 16, v3
	v_cvt_f32_u32_e32 v3, s66
	v_sub_u32_e32 v2, v0, v2
	v_add_u32_e32 v2, 1, v2
	v_and_b32_e32 v6, 63, v2
	v_bitop3_b32 v51, v0, 1, v0 bitop3:0xc
	v_bitop3_b32 v52, v0, 3, 1 bitop3:0x6c
	;; [unrolled: 1-line block ×8, first 2 shown]
	v_and_b32_e32 v2, 30, v0
	v_lshlrev_b32_e32 v0, 4, v0
	v_and_b32_e32 v0, 0x200, v0
	v_rcp_iflag_f32_e32 v3, v3
	s_abs_i32 s67, s62
	v_or_b32_e32 v69, v1, v0
	v_cvt_f32_u32_e32 v1, s67
	s_lshl_b32 s6, s37, 1
	v_add_u32_e32 v20, s6, v18
	s_mul_i32 s7, s37, 6
	v_or_b32_e32 v67, v4, v0
	v_mul_f32_e32 v0, 0x4f7ffffe, v3
	v_add_u32_e32 v22, s7, v20
	v_cvt_u32_f32_e32 v0, v0
	v_rcp_iflag_f32_e32 v1, v1
	v_add_u32_e32 v24, s6, v22
	v_add_u32_e32 v26, s7, v24
	;; [unrolled: 1-line block ×4, first 2 shown]
	v_readfirstlane_b32 s7, v0
	v_mul_f32_e32 v0, 0x4f7ffffe, v1
	v_cvt_u32_f32_e32 v0, v0
	v_add_u32_e32 v32, s6, v30
	s_sub_i32 s6, 0, s66
	s_mul_i32 s6, s6, s7
	s_mul_hi_u32 s6, s7, s6
	s_add_i32 s69, s7, s6
	s_sub_i32 s6, 0, s67
	v_readfirstlane_b32 s7, v0
	v_mbcnt_lo_u32_b32 v0, -1, 0
	s_mul_i32 s6, s6, s7
	v_mbcnt_hi_u32_b32 v0, -1, v0
	v_mov_b32_e32 v17, 0
	v_mul_lo_u32 v36, s39, v48
	s_mul_hi_u32 s6, s7, s6
	v_and_or_b32 v0, v0, 64, v6
	v_cndmask_b32_e64 v47, 0, 1, s[0:1]
	v_ashrrev_i32_e32 v19, 31, v18
	v_ashrrev_i32_e32 v21, 31, v20
	;; [unrolled: 1-line block ×6, first 2 shown]
	v_sub_u32_e32 v65, 32, v5
	v_ashrrev_i32_e32 v31, 31, v30
	v_ashrrev_i32_e32 v33, 31, v32
	;; [unrolled: 1-line block ×3, first 2 shown]
	v_mov_b32_e32 v35, v17
	v_mul_lo_u32 v68, s38, v48
	s_ashr_i32 s68, s33, 31
	s_ashr_i32 s70, s62, 31
	s_add_i32 s71, s7, s6
	s_movk_i32 s72, 0x60
	v_lshlrev_b32_e32 v16, 1, v2
	s_mov_b32 s73, 0x55555556
	v_lshlrev_b32_e32 v70, 2, v0
	v_mov_b32_e32 v71, v40
	s_branch .LBB249_7
.LBB249_4:                              ;   in Loop: Header=BB249_7 Depth=1
	s_or_b64 exec, exec, s[10:11]
.LBB249_5:                              ;   in Loop: Header=BB249_7 Depth=1
	s_or_b64 exec, exec, s[8:9]
	v_subrev_u32_e32 v71, s77, v71
.LBB249_6:                              ;   in Loop: Header=BB249_7 Depth=1
	s_or_b64 exec, exec, s[6:7]
	s_add_i32 s63, s63, 1
	v_cmp_ge_i32_e32 vcc, s63, v46
	s_cbranch_vccnz .LBB249_48
.LBB249_7:                              ; =>This Loop Header: Depth=1
                                        ;     Child Loop BB249_13 Depth 2
                                        ;       Child Loop BB249_15 Depth 3
                                        ;       Child Loop BB249_18 Depth 3
                                        ;     Child Loop BB249_35 Depth 2
                                        ;       Child Loop BB249_37 Depth 3
                                        ;     Child Loop BB249_45 Depth 2
                                        ;       Child Loop BB249_47 Depth 3
	s_abs_i32 s7, s63
	s_mul_hi_u32 s8, s7, s69
	s_mul_i32 s9, s8, s66
	s_ashr_i32 s6, s63, 31
	s_sub_i32 s7, s7, s9
	s_xor_b32 s6, s6, s68
	s_add_i32 s9, s8, 1
	s_sub_i32 s10, s7, s66
	s_cmp_ge_u32 s7, s66
	s_cselect_b32 s8, s9, s8
	s_cselect_b32 s7, s10, s7
	s_add_i32 s9, s8, 1
	s_cmp_ge_u32 s7, s66
	s_cselect_b32 s7, s9, s8
	s_xor_b32 s7, s7, s6
	s_sub_i32 s6, s7, s6
	s_abs_i32 s8, s6
	s_mul_hi_u32 s9, s8, s71
	s_mul_i32 s7, s6, s33
	s_mul_i32 s10, s9, s67
	s_sub_i32 s74, s63, s7
	s_ashr_i32 s7, s6, 31
	s_sub_i32 s8, s8, s10
	s_xor_b32 s7, s7, s70
	s_add_i32 s10, s9, 1
	s_sub_i32 s11, s8, s67
	s_cmp_ge_u32 s8, s67
	s_cselect_b32 s9, s10, s9
	s_cselect_b32 s8, s11, s8
	s_add_i32 s10, s9, 1
	s_cmp_ge_u32 s8, s67
	s_cselect_b32 s8, s10, s9
	s_xor_b32 s8, s8, s7
	s_sub_i32 s7, s8, s7
	s_mul_i32 s8, s7, s64
	s_lshl_b32 s75, s8, 6
	s_mulk_i32 s74, 0x60
	s_cmp_eq_u32 s7, s40
	s_cselect_b32 s77, s65, s64
	s_sub_i32 s76, s74, s36
	s_addk_i32 s76, 0x60
	s_and_saveexec_b64 s[8:9], s[2:3]
	s_xor_b64 s[52:53], exec, s[8:9]
	s_cbranch_execz .LBB249_41
; %bb.8:                                ;   in Loop: Header=BB249_7 Depth=1
	s_mul_i32 s7, s7, s62
	s_sub_i32 s6, s6, s7
	s_lshl_b32 s6, s6, 5
	s_sub_i32 s14, s6, s37
	s_add_i32 s14, s14, 32
	s_max_i32 s7, s14, 0
	s_sub_i32 s54, s6, s7
	s_and_saveexec_b64 s[6:7], s[0:1]
	s_xor_b64 s[56:57], exec, s[6:7]
	s_cbranch_execz .LBB249_31
; %bb.9:                                ;   in Loop: Header=BB249_7 Depth=1
	s_and_saveexec_b64 s[58:59], s[4:5]
	s_cbranch_execz .LBB249_30
; %bb.10:                               ;   in Loop: Header=BB249_7 Depth=1
	s_waitcnt lgkmcnt(0)
	global_load_dword v72, v17, s[50:51]
	v_mov_b32_e32 v15, 0
	v_cmp_gt_i32_e32 vcc, s77, v71
	v_mov_b32_e32 v14, v15
	v_mov_b32_e32 v13, v15
	v_mov_b32_e32 v12, v15
	v_mov_b32_e32 v11, v15
	v_mov_b32_e32 v10, v15
	v_mov_b32_e32 v9, v15
	v_mov_b32_e32 v8, v15
	v_mov_b32_e32 v7, v15
	v_mov_b32_e32 v6, v15
	v_mov_b32_e32 v5, v15
	v_mov_b32_e32 v4, v15
	v_mov_b32_e32 v3, v15
	v_mov_b32_e32 v2, v15
	v_mov_b32_e32 v1, v15
	v_mov_b32_e32 v0, v15
	s_and_saveexec_b64 s[6:7], vcc
	s_cbranch_execz .LBB249_20
; %bb.11:                               ;   in Loop: Header=BB249_7 Depth=1
	v_mov_b32_e32 v0, 0
	s_mov_b64 s[8:9], 0
	v_mov_b32_e32 v1, v0
	v_mov_b32_e32 v2, v0
	;; [unrolled: 1-line block ×15, first 2 shown]
	s_branch .LBB249_13
.LBB249_12:                             ;   in Loop: Header=BB249_13 Depth=2
	s_or_b64 exec, exec, s[10:11]
	v_add_u32_e32 v78, v50, v76
	ds_read2_b32 v[76:77], v78 offset1:32
	v_add_u32_e32 v71, s43, v71
	s_waitcnt lgkmcnt(0)
	v_mfma_f32_32x32x16_fp8_fp8 v[0:15], v[44:45], v[76:77], v[0:15]
	ds_read2_b32 v[44:45], v78 offset0:128 offset1:160
	s_waitcnt lgkmcnt(0)
	v_mfma_f32_32x32x16_fp8_fp8 v[0:15], v[42:43], v[44:45], v[0:15]
	v_add_u32_e32 v44, 0x400, v78
	ds_read2_b32 v[42:43], v44 offset1:32
	ds_read2_b32 v[44:45], v44 offset0:128 offset1:160
	ds_write_b32 v74, v75 offset:32772
	s_waitcnt lgkmcnt(2)
	v_mfma_f32_32x32x16_fp8_fp8 v[0:15], v[40:41], v[42:43], v[0:15]
	v_add_u32_e32 v40, s43, v73
	v_add_u32_e32 v41, 2, v47
	v_cmp_lt_i32_e32 vcc, 3, v40
	s_nop 1
	v_cndmask_b32_e32 v47, v47, v41, vcc
	v_cmp_le_i32_e32 vcc, s77, v71
	s_waitcnt lgkmcnt(1)
	v_mfma_f32_32x32x16_fp8_fp8 v[0:15], v[38:39], v[44:45], v[0:15]
	s_or_b64 s[8:9], vcc, s[8:9]
	s_andn2_b64 exec, exec, s[8:9]
	s_cbranch_execz .LBB249_19
.LBB249_13:                             ;   Parent Loop BB249_7 Depth=1
                                        ; =>  This Loop Header: Depth=2
                                        ;       Child Loop BB249_15 Depth 3
                                        ;       Child Loop BB249_18 Depth 3
	v_cmp_gt_i32_e32 vcc, 4, v40
	s_nop 1
	v_cndmask_b32_e64 v38, -4, 0, vcc
	v_add_u32_e32 v73, v38, v40
	v_lshlrev_b32_e32 v74, 3, v73
	ds_read_b32 v38, v74 offset:32768
	s_waitcnt lgkmcnt(0)
	v_cmp_ne_u32_e32 vcc, v38, v47
	s_and_saveexec_b64 s[10:11], vcc
	s_cbranch_execz .LBB249_16
; %bb.14:                               ;   in Loop: Header=BB249_13 Depth=2
	s_mov_b64 s[12:13], 0
.LBB249_15:                             ;   Parent Loop BB249_7 Depth=1
                                        ;     Parent Loop BB249_13 Depth=2
                                        ; =>    This Inner Loop Header: Depth=3
	;;#ASMSTART
	s_sleep 0
	;;#ASMEND
	ds_read_b32 v38, v74 offset:32768
	s_waitcnt lgkmcnt(0)
	v_cmp_eq_u32_e32 vcc, v38, v47
	s_or_b64 s[12:13], vcc, s[12:13]
	s_andn2_b64 exec, exec, s[12:13]
	s_cbranch_execnz .LBB249_15
.LBB249_16:                             ;   in Loop: Header=BB249_13 Depth=2
	s_or_b64 exec, exec, s[10:11]
	v_lshlrev_b32_e32 v76, 11, v73
	v_or_b32_e32 v38, v49, v76
	ds_read2_b32 v[44:45], v38 offset1:32
	ds_read2_b32 v[42:43], v38 offset0:128 offset1:160
	v_add_u32_e32 v38, 0x400, v38
	ds_read2_b32 v[40:41], v38 offset1:32
	ds_read_b32 v77, v74 offset:32772
	ds_read2_b32 v[38:39], v38 offset0:128 offset1:160
	v_add_u32_e32 v75, 1, v47
	ds_write_b32 v74, v75 offset:32768
	s_waitcnt lgkmcnt(2)
	v_cmp_ne_u32_e32 vcc, v77, v47
	s_and_saveexec_b64 s[10:11], vcc
	s_cbranch_execz .LBB249_12
; %bb.17:                               ;   in Loop: Header=BB249_13 Depth=2
	s_mov_b64 s[12:13], 0
.LBB249_18:                             ;   Parent Loop BB249_7 Depth=1
                                        ;     Parent Loop BB249_13 Depth=2
                                        ; =>    This Inner Loop Header: Depth=3
	;;#ASMSTART
	s_sleep 0
	;;#ASMEND
	ds_read_b32 v77, v74 offset:32772
	s_waitcnt lgkmcnt(0)
	v_cmp_eq_u32_e32 vcc, v77, v47
	s_or_b64 s[12:13], vcc, s[12:13]
	s_andn2_b64 exec, exec, s[12:13]
	s_cbranch_execnz .LBB249_18
	s_branch .LBB249_12
.LBB249_19:                             ;   in Loop: Header=BB249_7 Depth=1
	s_or_b64 exec, exec, s[8:9]
.LBB249_20:                             ;   in Loop: Header=BB249_7 Depth=1
	s_or_b64 exec, exec, s[6:7]
	v_cmp_le_i32_e32 vcc, s14, v48
	v_cmp_eq_u32_e64 s[6:7], 3, v51
	v_cmp_eq_u32_e64 s[8:9], 4, v51
	s_waitcnt vmcnt(0)
	v_cndmask_b32_e32 v38, 0, v72, vcc
	s_nop 1
	v_pk_mul_f32 v[0:1], v[38:39], v[0:1] op_sel_hi:[0,1]
	v_cmp_eq_u32_e32 vcc, 1, v51
	v_pk_mul_f32 v[14:15], v[38:39], v[14:15] op_sel_hi:[0,1]
	v_pk_mul_f32 v[12:13], v[38:39], v[12:13] op_sel_hi:[0,1]
	;; [unrolled: 1-line block ×7, first 2 shown]
	v_cndmask_b32_e32 v38, v0, v1, vcc
	v_cmp_eq_u32_e32 vcc, 2, v51
	v_cmp_eq_u32_e64 s[10:11], 5, v51
	v_cmp_eq_u32_e64 s[12:13], 6, v51
	v_cndmask_b32_e32 v38, v38, v2, vcc
	v_cndmask_b32_e64 v38, v38, v3, s[6:7]
	v_cndmask_b32_e64 v38, v38, v4, s[8:9]
	;; [unrolled: 1-line block ×4, first 2 shown]
	v_cmp_eq_u32_e64 s[14:15], 7, v51
	v_cmp_eq_u32_e64 s[16:17], 8, v51
	v_cmp_eq_u32_e64 s[18:19], 9, v51
	v_cndmask_b32_e64 v38, v38, v7, s[14:15]
	v_cndmask_b32_e64 v38, v38, v8, s[16:17]
	v_cndmask_b32_e64 v38, v38, v9, s[18:19]
	v_cmp_eq_u32_e64 s[20:21], 10, v51
	v_cmp_eq_u32_e64 s[22:23], 11, v51
	v_cmp_eq_u32_e64 s[24:25], 12, v51
	v_cndmask_b32_e64 v38, v38, v10, s[20:21]
	v_cndmask_b32_e64 v38, v38, v11, s[22:23]
	v_cndmask_b32_e64 v38, v38, v12, s[24:25]
	;; [unrolled: 6-line block ×3, first 2 shown]
	ds_bpermute_b32 v38, v70, v38
	v_cmp_eq_u32_e64 s[34:35], 15, v52
	s_waitcnt lgkmcnt(0)
	v_cndmask_b32_e32 v2, v2, v38, vcc
	v_cmp_ne_u32_e32 vcc, 0, v51
	v_cndmask_b32_e64 v15, v15, v38, s[30:31]
	v_cndmask_b32_e64 v14, v14, v38, s[28:29]
	v_cndmask_b32_e32 v1, v1, v38, vcc
	v_cmp_eq_u32_e32 vcc, 0, v51
	v_cndmask_b32_e64 v13, v13, v38, s[26:27]
	v_cndmask_b32_e64 v12, v12, v38, s[24:25]
	v_cndmask_b32_e32 v0, v0, v38, vcc
	v_cmp_eq_u32_e32 vcc, 1, v52
	v_cndmask_b32_e64 v11, v11, v38, s[22:23]
	v_cndmask_b32_e64 v10, v10, v38, s[20:21]
	;; [unrolled: 1-line block ×9, first 2 shown]
	v_cndmask_b32_e32 v38, v0, v1, vcc
	v_cmp_eq_u32_e64 s[6:7], 2, v52
	v_cmp_eq_u32_e64 s[8:9], 3, v52
	v_cmp_eq_u32_e64 s[10:11], 4, v52
	v_cndmask_b32_e64 v38, v38, v2, s[6:7]
	v_cndmask_b32_e64 v38, v38, v3, s[8:9]
	v_cndmask_b32_e64 v38, v38, v4, s[10:11]
	v_cmp_eq_u32_e64 s[12:13], 5, v52
	v_cmp_eq_u32_e64 s[14:15], 6, v52
	v_cmp_eq_u32_e64 s[16:17], 7, v52
	v_cndmask_b32_e64 v38, v38, v5, s[12:13]
	v_cndmask_b32_e64 v38, v38, v6, s[14:15]
	v_cndmask_b32_e64 v38, v38, v7, s[16:17]
	;; [unrolled: 6-line block ×4, first 2 shown]
	v_cmp_eq_u32_e64 s[30:31], 14, v52
	s_nop 1
	v_cndmask_b32_e64 v38, v38, v14, s[30:31]
	v_cndmask_b32_e64 v38, v38, v15, s[34:35]
	ds_bpermute_b32 v38, v70, v38
	s_waitcnt lgkmcnt(0)
	v_cndmask_b32_e32 v1, v1, v38, vcc
	v_cmp_eq_u32_e32 vcc, 0, v52
	v_cndmask_b32_e64 v15, v15, v38, s[34:35]
	v_cndmask_b32_e64 v14, v14, v38, s[30:31]
	v_cndmask_b32_e32 v0, v0, v38, vcc
	v_cmp_eq_u32_e32 vcc, 1, v53
	v_cndmask_b32_e64 v13, v13, v38, s[28:29]
	v_cndmask_b32_e64 v12, v12, v38, s[26:27]
	v_cndmask_b32_e64 v11, v11, v38, s[24:25]
	v_cndmask_b32_e64 v10, v10, v38, s[22:23]
	v_cndmask_b32_e64 v9, v9, v38, s[20:21]
	v_cndmask_b32_e64 v8, v8, v38, s[18:19]
	v_cndmask_b32_e64 v7, v7, v38, s[16:17]
	v_cndmask_b32_e64 v6, v6, v38, s[14:15]
	v_cndmask_b32_e64 v5, v5, v38, s[12:13]
	v_cndmask_b32_e64 v4, v4, v38, s[10:11]
	v_cndmask_b32_e64 v3, v3, v38, s[8:9]
	v_cndmask_b32_e64 v2, v2, v38, s[6:7]
	v_cndmask_b32_e32 v38, v0, v1, vcc
	v_cmp_eq_u32_e64 s[6:7], 2, v53
	v_cmp_eq_u32_e64 s[8:9], 3, v53
	v_cmp_eq_u32_e64 s[10:11], 4, v53
	v_cndmask_b32_e64 v38, v38, v2, s[6:7]
	v_cndmask_b32_e64 v38, v38, v3, s[8:9]
	v_cndmask_b32_e64 v38, v38, v4, s[10:11]
	v_cmp_eq_u32_e64 s[12:13], 5, v53
	v_cmp_eq_u32_e64 s[14:15], 6, v53
	v_cmp_eq_u32_e64 s[16:17], 7, v53
	v_cndmask_b32_e64 v38, v38, v5, s[12:13]
	v_cndmask_b32_e64 v38, v38, v6, s[14:15]
	v_cndmask_b32_e64 v38, v38, v7, s[16:17]
	v_cmp_eq_u32_e64 s[18:19], 8, v53
	v_cmp_eq_u32_e64 s[20:21], 9, v53
	v_cmp_eq_u32_e64 s[22:23], 10, v53
	v_cndmask_b32_e64 v38, v38, v8, s[18:19]
	v_cndmask_b32_e64 v38, v38, v9, s[20:21]
	v_cndmask_b32_e64 v38, v38, v10, s[22:23]
	v_cmp_eq_u32_e64 s[24:25], 11, v53
	v_cmp_eq_u32_e64 s[26:27], 12, v53
	v_cmp_eq_u32_e64 s[28:29], 13, v53
	v_cndmask_b32_e64 v38, v38, v11, s[24:25]
	v_cndmask_b32_e64 v38, v38, v12, s[26:27]
	v_cndmask_b32_e64 v38, v38, v13, s[28:29]
	v_cmp_eq_u32_e64 s[30:31], 14, v53
	v_cmp_eq_u32_e64 s[34:35], 15, v53
	s_nop 0
	v_cndmask_b32_e64 v38, v38, v14, s[30:31]
	v_cndmask_b32_e64 v38, v38, v15, s[34:35]
	ds_bpermute_b32 v38, v70, v38
	s_waitcnt lgkmcnt(0)
	v_cndmask_b32_e32 v1, v1, v38, vcc
	v_cmp_eq_u32_e32 vcc, 0, v53
	v_cndmask_b32_e64 v15, v15, v38, s[34:35]
	v_cndmask_b32_e64 v14, v14, v38, s[30:31]
	v_cndmask_b32_e32 v0, v0, v38, vcc
	v_cmp_eq_u32_e32 vcc, 1, v54
	v_cndmask_b32_e64 v13, v13, v38, s[28:29]
	v_cndmask_b32_e64 v12, v12, v38, s[26:27]
	v_cndmask_b32_e64 v11, v11, v38, s[24:25]
	v_cndmask_b32_e64 v10, v10, v38, s[22:23]
	v_cndmask_b32_e64 v9, v9, v38, s[20:21]
	v_cndmask_b32_e64 v8, v8, v38, s[18:19]
	v_cndmask_b32_e64 v7, v7, v38, s[16:17]
	v_cndmask_b32_e64 v6, v6, v38, s[14:15]
	v_cndmask_b32_e64 v5, v5, v38, s[12:13]
	v_cndmask_b32_e64 v4, v4, v38, s[10:11]
	v_cndmask_b32_e64 v3, v3, v38, s[8:9]
	v_cndmask_b32_e64 v2, v2, v38, s[6:7]
	v_cndmask_b32_e32 v38, v0, v1, vcc
	v_cmp_eq_u32_e64 s[6:7], 2, v54
	v_cmp_eq_u32_e64 s[8:9], 3, v54
	v_cmp_eq_u32_e64 s[10:11], 4, v54
	v_cndmask_b32_e64 v38, v38, v2, s[6:7]
	v_cndmask_b32_e64 v38, v38, v3, s[8:9]
	v_cndmask_b32_e64 v38, v38, v4, s[10:11]
	v_cmp_eq_u32_e64 s[12:13], 5, v54
	v_cmp_eq_u32_e64 s[14:15], 6, v54
	v_cmp_eq_u32_e64 s[16:17], 7, v54
	v_cndmask_b32_e64 v38, v38, v5, s[12:13]
	v_cndmask_b32_e64 v38, v38, v6, s[14:15]
	v_cndmask_b32_e64 v38, v38, v7, s[16:17]
	v_cmp_eq_u32_e64 s[18:19], 8, v54
	v_cmp_eq_u32_e64 s[20:21], 9, v54
	v_cmp_eq_u32_e64 s[22:23], 10, v54
	v_cndmask_b32_e64 v38, v38, v8, s[18:19]
	v_cndmask_b32_e64 v38, v38, v9, s[20:21]
	v_cndmask_b32_e64 v38, v38, v10, s[22:23]
	v_cmp_eq_u32_e64 s[24:25], 11, v54
	v_cmp_eq_u32_e64 s[26:27], 12, v54
	v_cmp_eq_u32_e64 s[28:29], 13, v54
	v_cndmask_b32_e64 v38, v38, v11, s[24:25]
	v_cndmask_b32_e64 v38, v38, v12, s[26:27]
	v_cndmask_b32_e64 v38, v38, v13, s[28:29]
	v_cmp_eq_u32_e64 s[30:31], 14, v54
	v_cmp_eq_u32_e64 s[34:35], 15, v54
	s_nop 0
	v_cndmask_b32_e64 v38, v38, v14, s[30:31]
	v_cndmask_b32_e64 v38, v38, v15, s[34:35]
	ds_bpermute_b32 v38, v70, v38
	s_waitcnt lgkmcnt(0)
	v_cndmask_b32_e32 v1, v1, v38, vcc
	v_cmp_eq_u32_e32 vcc, 0, v54
	v_cndmask_b32_e64 v15, v15, v38, s[34:35]
	v_cndmask_b32_e64 v14, v14, v38, s[30:31]
	v_cndmask_b32_e32 v0, v0, v38, vcc
	v_cmp_eq_u32_e32 vcc, 1, v55
	v_cndmask_b32_e64 v13, v13, v38, s[28:29]
	v_cndmask_b32_e64 v12, v12, v38, s[26:27]
	v_cndmask_b32_e64 v11, v11, v38, s[24:25]
	v_cndmask_b32_e64 v10, v10, v38, s[22:23]
	v_cndmask_b32_e64 v9, v9, v38, s[20:21]
	v_cndmask_b32_e64 v8, v8, v38, s[18:19]
	v_cndmask_b32_e64 v7, v7, v38, s[16:17]
	v_cndmask_b32_e64 v6, v6, v38, s[14:15]
	v_cndmask_b32_e64 v5, v5, v38, s[12:13]
	v_cndmask_b32_e64 v4, v4, v38, s[10:11]
	v_cndmask_b32_e64 v3, v3, v38, s[8:9]
	v_cndmask_b32_e64 v2, v2, v38, s[6:7]
	v_cndmask_b32_e32 v38, v0, v1, vcc
	v_cmp_eq_u32_e64 s[6:7], 2, v55
	v_cmp_eq_u32_e64 s[8:9], 3, v55
	v_cmp_eq_u32_e64 s[10:11], 4, v55
	v_cndmask_b32_e64 v38, v38, v2, s[6:7]
	v_cndmask_b32_e64 v38, v38, v3, s[8:9]
	v_cndmask_b32_e64 v38, v38, v4, s[10:11]
	v_cmp_eq_u32_e64 s[12:13], 5, v55
	v_cmp_eq_u32_e64 s[14:15], 6, v55
	v_cmp_eq_u32_e64 s[16:17], 7, v55
	v_cndmask_b32_e64 v38, v38, v5, s[12:13]
	v_cndmask_b32_e64 v38, v38, v6, s[14:15]
	v_cndmask_b32_e64 v38, v38, v7, s[16:17]
	v_cmp_eq_u32_e64 s[18:19], 8, v55
	v_cmp_eq_u32_e64 s[20:21], 9, v55
	v_cmp_eq_u32_e64 s[22:23], 10, v55
	v_cndmask_b32_e64 v38, v38, v8, s[18:19]
	v_cndmask_b32_e64 v38, v38, v9, s[20:21]
	v_cndmask_b32_e64 v38, v38, v10, s[22:23]
	v_cmp_eq_u32_e64 s[24:25], 11, v55
	v_cmp_eq_u32_e64 s[26:27], 12, v55
	v_cmp_eq_u32_e64 s[28:29], 13, v55
	v_cndmask_b32_e64 v38, v38, v11, s[24:25]
	v_cndmask_b32_e64 v38, v38, v12, s[26:27]
	v_cndmask_b32_e64 v38, v38, v13, s[28:29]
	v_cmp_eq_u32_e64 s[30:31], 14, v55
	v_cmp_eq_u32_e64 s[34:35], 15, v55
	s_nop 0
	v_cndmask_b32_e64 v38, v38, v14, s[30:31]
	v_cndmask_b32_e64 v38, v38, v15, s[34:35]
	ds_bpermute_b32 v38, v70, v38
	s_waitcnt lgkmcnt(0)
	v_cndmask_b32_e32 v1, v1, v38, vcc
	v_cmp_eq_u32_e32 vcc, 0, v55
	v_cndmask_b32_e64 v15, v15, v38, s[34:35]
	v_cndmask_b32_e64 v14, v14, v38, s[30:31]
	v_cndmask_b32_e32 v0, v0, v38, vcc
	v_cmp_eq_u32_e32 vcc, 1, v56
	v_cndmask_b32_e64 v13, v13, v38, s[28:29]
	v_cndmask_b32_e64 v12, v12, v38, s[26:27]
	v_cndmask_b32_e64 v11, v11, v38, s[24:25]
	v_cndmask_b32_e64 v10, v10, v38, s[22:23]
	v_cndmask_b32_e64 v9, v9, v38, s[20:21]
	v_cndmask_b32_e64 v8, v8, v38, s[18:19]
	v_cndmask_b32_e64 v7, v7, v38, s[16:17]
	v_cndmask_b32_e64 v6, v6, v38, s[14:15]
	v_cndmask_b32_e64 v5, v5, v38, s[12:13]
	v_cndmask_b32_e64 v4, v4, v38, s[10:11]
	v_cndmask_b32_e64 v3, v3, v38, s[8:9]
	v_cndmask_b32_e64 v2, v2, v38, s[6:7]
	v_cndmask_b32_e32 v38, v0, v1, vcc
	v_cmp_eq_u32_e64 s[6:7], 2, v56
	v_cmp_eq_u32_e64 s[8:9], 3, v56
	v_cmp_eq_u32_e64 s[10:11], 4, v56
	v_cndmask_b32_e64 v38, v38, v2, s[6:7]
	v_cndmask_b32_e64 v38, v38, v3, s[8:9]
	v_cndmask_b32_e64 v38, v38, v4, s[10:11]
	v_cmp_eq_u32_e64 s[12:13], 5, v56
	v_cmp_eq_u32_e64 s[14:15], 6, v56
	v_cmp_eq_u32_e64 s[16:17], 7, v56
	v_cndmask_b32_e64 v38, v38, v5, s[12:13]
	v_cndmask_b32_e64 v38, v38, v6, s[14:15]
	v_cndmask_b32_e64 v38, v38, v7, s[16:17]
	v_cmp_eq_u32_e64 s[18:19], 8, v56
	v_cmp_eq_u32_e64 s[20:21], 9, v56
	v_cmp_eq_u32_e64 s[22:23], 10, v56
	v_cndmask_b32_e64 v38, v38, v8, s[18:19]
	v_cndmask_b32_e64 v38, v38, v9, s[20:21]
	v_cndmask_b32_e64 v38, v38, v10, s[22:23]
	v_cmp_eq_u32_e64 s[24:25], 11, v56
	v_cmp_eq_u32_e64 s[26:27], 12, v56
	v_cmp_eq_u32_e64 s[28:29], 13, v56
	v_cndmask_b32_e64 v38, v38, v11, s[24:25]
	v_cndmask_b32_e64 v38, v38, v12, s[26:27]
	v_cndmask_b32_e64 v38, v38, v13, s[28:29]
	v_cmp_eq_u32_e64 s[30:31], 14, v56
	v_cmp_eq_u32_e64 s[34:35], 15, v56
	s_nop 0
	v_cndmask_b32_e64 v38, v38, v14, s[30:31]
	v_cndmask_b32_e64 v38, v38, v15, s[34:35]
	ds_bpermute_b32 v38, v70, v38
	s_waitcnt lgkmcnt(0)
	v_cndmask_b32_e32 v1, v1, v38, vcc
	v_cmp_eq_u32_e32 vcc, 0, v56
	v_cndmask_b32_e64 v15, v15, v38, s[34:35]
	v_cndmask_b32_e64 v14, v14, v38, s[30:31]
	;; [unrolled: 1-line block ×14, first 2 shown]
	v_cndmask_b32_e32 v38, v0, v38, vcc
	v_cmp_eq_u32_e32 vcc, 1, v57
	v_cmp_eq_u32_e64 s[6:7], 2, v57
	v_cmp_eq_u32_e64 s[8:9], 3, v57
	v_cndmask_b32_e32 v0, v38, v1, vcc
	v_cndmask_b32_e64 v0, v0, v73, s[6:7]
	v_cndmask_b32_e64 v0, v0, v72, s[8:9]
	v_cmp_eq_u32_e64 s[10:11], 4, v57
	v_cmp_eq_u32_e64 s[12:13], 5, v57
	v_cmp_eq_u32_e64 s[14:15], 6, v57
	v_cndmask_b32_e64 v0, v0, v45, s[10:11]
	v_cndmask_b32_e64 v0, v0, v44, s[12:13]
	v_cndmask_b32_e64 v0, v0, v43, s[14:15]
	v_cmp_eq_u32_e64 s[16:17], 7, v57
	v_cmp_eq_u32_e64 s[18:19], 8, v57
	v_cmp_eq_u32_e64 s[20:21], 9, v57
	v_cndmask_b32_e64 v0, v0, v42, s[16:17]
	;; [unrolled: 6-line block ×4, first 2 shown]
	v_cndmask_b32_e64 v0, v0, v14, s[30:31]
	v_cndmask_b32_e64 v0, v0, v15, s[34:35]
	ds_bpermute_b32 v74, v70, v0
	s_waitcnt lgkmcnt(0)
	v_cndmask_b32_e32 v0, v1, v74, vcc
	v_cmp_eq_u32_e32 vcc, 0, v57
	v_cndmask_b32_e64 v4, v15, v74, s[34:35]
	v_cndmask_b32_e64 v15, v73, v74, s[6:7]
	v_cndmask_b32_e32 v1, v38, v74, vcc
	v_cmp_eq_u32_e32 vcc, 1, v58
	v_cndmask_b32_e64 v5, v14, v74, s[30:31]
	v_cndmask_b32_e64 v14, v72, v74, s[8:9]
	;; [unrolled: 4-line block ×7, first 2 shown]
	v_cndmask_b32_e32 v38, v38, v13, vcc
	v_cmp_eq_u32_e32 vcc, 7, v58
	s_nop 1
	v_cndmask_b32_e32 v38, v38, v12, vcc
	v_cmp_eq_u32_e32 vcc, 8, v58
	s_nop 1
	;; [unrolled: 3-line block ×9, first 2 shown]
	v_cndmask_b32_e32 v38, v38, v4, vcc
	ds_bpermute_b32 v38, v70, v38
	v_cmp_lt_i32_e32 vcc, s76, v59
	s_and_saveexec_b64 s[60:61], vcc
	s_cbranch_execz .LBB249_29
; %bb.21:                               ;   in Loop: Header=BB249_7 Depth=1
	s_mul_i32 s6, s74, s37
	s_ashr_i32 s7, s6, 31
	s_lshl_b64 s[6:7], s[6:7], 1
	v_cmp_eq_u32_e64 s[30:31], 1, v58
	s_add_u32 s8, s48, s6
	s_addc_u32 s9, s49, s7
	s_waitcnt lgkmcnt(0)
	v_cndmask_b32_e64 v0, v0, v38, s[30:31]
	v_cmp_eq_u32_e64 s[30:31], 0, v58
	s_ashr_i32 s55, s54, 31
	s_lshl_b64 s[6:7], s[54:55], 1
	v_cndmask_b32_e64 v1, v1, v38, s[30:31]
	v_cvt_f16_f32_e32 v39, v1
	v_cvt_f16_f32_sdwa v41, v0 dst_sel:WORD_1 dst_unused:UNUSED_PAD src0_sel:DWORD
	s_add_u32 s34, s8, s6
	s_addc_u32 s35, s9, s7
	v_cmp_eq_u32_e64 s[8:9], 15, v58
	v_cmp_eq_u32_e64 s[10:11], 14, v58
	;; [unrolled: 1-line block ×10, first 2 shown]
	v_cmp_eq_u32_e32 vcc, 5, v58
	v_cmp_eq_u32_e64 s[6:7], 4, v58
	v_cmp_eq_u32_e64 s[28:29], 3, v58
	;; [unrolled: 1-line block ×3, first 2 shown]
	v_lshl_add_u64 v[0:1], s[34:35], 0, v[16:17]
	v_cmp_lt_i32_e64 s[34:35], s76, v60
	v_lshl_add_u64 v[42:43], v[18:19], 1, v[0:1]
	v_or_b32_e32 v39, v41, v39
	;;#ASMSTART
	global_atomic_pk_add_f16 v[42:43], v39, off
	
	;;#ASMEND
	s_and_b64 exec, exec, s[34:35]
	s_cbranch_execz .LBB249_29
; %bb.22:                               ;   in Loop: Header=BB249_7 Depth=1
	v_cndmask_b32_e64 v14, v14, v38, s[28:29]
	v_cndmask_b32_e64 v15, v15, v38, s[30:31]
	v_cvt_f16_f32_e32 v39, v15
	v_cvt_f16_f32_sdwa v41, v14 dst_sel:WORD_1 dst_unused:UNUSED_PAD src0_sel:DWORD
	v_cndmask_b32_e64 v4, v4, v38, s[8:9]
	v_cndmask_b32_e64 v5, v5, v38, s[10:11]
	;; [unrolled: 1-line block ×10, first 2 shown]
	v_cndmask_b32_e32 v2, v2, v38, vcc
	v_cndmask_b32_e64 v3, v3, v38, s[6:7]
	v_cmp_lt_i32_e32 vcc, s76, v61
	v_lshl_add_u64 v[14:15], v[20:21], 1, v[0:1]
	v_or_b32_e32 v38, v41, v39
	;;#ASMSTART
	global_atomic_pk_add_f16 v[14:15], v38, off
	
	;;#ASMEND
	s_and_b64 exec, exec, vcc
	s_cbranch_execz .LBB249_29
; %bb.23:                               ;   in Loop: Header=BB249_7 Depth=1
	v_cvt_f16_f32_e32 v14, v3
	v_cvt_f16_f32_sdwa v15, v2 dst_sel:WORD_1 dst_unused:UNUSED_PAD src0_sel:DWORD
	v_cmp_lt_i32_e32 vcc, s76, v62
	v_lshl_add_u64 v[2:3], v[22:23], 1, v[0:1]
	v_or_b32_e32 v14, v15, v14
	;;#ASMSTART
	global_atomic_pk_add_f16 v[2:3], v14, off
	
	;;#ASMEND
	s_and_b64 exec, exec, vcc
	s_cbranch_execz .LBB249_29
; %bb.24:                               ;   in Loop: Header=BB249_7 Depth=1
	v_cvt_f16_f32_e32 v13, v13
	v_cvt_f16_f32_sdwa v12, v12 dst_sel:WORD_1 dst_unused:UNUSED_PAD src0_sel:DWORD
	;; [unrolled: 12-line block ×6, first 2 shown]
	v_lshl_add_u64 v[0:1], v[32:33], 1, v[0:1]
	v_or_b32_e32 v2, v3, v2
	;;#ASMSTART
	global_atomic_pk_add_f16 v[0:1], v2, off
	
	;;#ASMEND
.LBB249_29:                             ;   in Loop: Header=BB249_7 Depth=1
	s_or_b64 exec, exec, s[60:61]
	v_subrev_u32_e32 v71, s77, v71
.LBB249_30:                             ;   in Loop: Header=BB249_7 Depth=1
	s_or_b64 exec, exec, s[58:59]
.LBB249_31:                             ;   in Loop: Header=BB249_7 Depth=1
	s_andn2_saveexec_b64 s[6:7], s[56:57]
	s_cbranch_execz .LBB249_40
; %bb.32:                               ;   in Loop: Header=BB249_7 Depth=1
	v_cmp_gt_i32_e32 vcc, s77, v71
	s_and_saveexec_b64 s[8:9], vcc
	s_cbranch_execz .LBB249_39
; %bb.33:                               ;   in Loop: Header=BB249_7 Depth=1
	s_mul_i32 s10, s54, s39
	s_ashr_i32 s11, s10, 31
	s_waitcnt lgkmcnt(0)
	s_add_u32 s10, s46, s10
	s_addc_u32 s11, s47, s11
	s_ashr_i32 s12, s75, 31
	s_add_u32 s10, s10, s75
	s_addc_u32 s11, s11, s12
	v_lshl_add_u64 v[0:1], s[10:11], 0, v[36:37]
	v_lshl_add_u64 v[8:9], v[0:1], 0, v[34:35]
	s_mov_b64 s[10:11], 0
	s_branch .LBB249_35
.LBB249_34:                             ;   in Loop: Header=BB249_35 Depth=2
	s_or_b64 exec, exec, s[12:13]
	v_lshl_add_u32 v12, v10, 11, v67
	;;#ASMSTART
	s_waitcnt vmcnt(1)
	;;#ASMEND
	ds_write2_b32 v12, v4, v5 offset1:32
	ds_write2_b32 v12, v6, v7 offset0:64 offset1:96
	v_add_u32_e32 v4, 0x400, v12
	v_add_u32_e32 v71, s42, v71
	;;#ASMSTART
	s_waitcnt vmcnt(0)
	;;#ASMEND
	ds_write2_b32 v4, v0, v1 offset1:32
	ds_write2_b32 v4, v2, v3 offset0:64 offset1:96
	v_add_u32_e32 v0, 1, v47
	v_add_u32_e32 v40, s42, v10
	v_cmp_le_i32_e32 vcc, s77, v71
	ds_write_b32 v11, v0 offset:48
	v_add_u32_e32 v0, 2, v47
	s_or_b64 s[10:11], vcc, s[10:11]
	v_cmp_lt_i32_e32 vcc, 3, v40
	s_nop 1
	v_cndmask_b32_e32 v47, v47, v0, vcc
	s_andn2_b64 exec, exec, s[10:11]
	s_cbranch_execz .LBB249_38
.LBB249_35:                             ;   Parent Loop BB249_7 Depth=1
                                        ; =>  This Loop Header: Depth=2
                                        ;       Child Loop BB249_37 Depth 3
	v_cmp_gt_i32_e32 vcc, 4, v40
	s_nop 1
	v_cndmask_b32_e64 v0, -4, 0, vcc
	v_add_u32_e32 v10, v0, v40
	v_lshlrev_b32_e32 v0, 6, v71
	v_ashrrev_i32_e32 v1, 31, v0
	v_lshl_add_u64 v[0:1], v[8:9], 0, v[0:1]
	v_lshlrev_b32_e32 v11, 2, v10
	;;#ASMSTART
	global_load_dwordx4 v[4:7], v[0:1], off offset:0   sc0 sc1 nt  
	global_load_dwordx4 v[0:3], v[0:1], off offset:32  sc0 sc1 nt  
	
	;;#ASMEND
	ds_read_b32 v12, v11 offset:32816
	v_add_u32_e32 v11, 0x8000, v11
	s_waitcnt lgkmcnt(0)
	v_cmp_ne_u32_e32 vcc, v12, v47
	s_and_saveexec_b64 s[12:13], vcc
	s_cbranch_execz .LBB249_34
; %bb.36:                               ;   in Loop: Header=BB249_35 Depth=2
	s_mov_b64 s[14:15], 0
.LBB249_37:                             ;   Parent Loop BB249_7 Depth=1
                                        ;     Parent Loop BB249_35 Depth=2
                                        ; =>    This Inner Loop Header: Depth=3
	;;#ASMSTART
	s_sleep 0
	;;#ASMEND
	ds_read_b32 v12, v11 offset:48
	s_waitcnt lgkmcnt(0)
	v_cmp_eq_u32_e32 vcc, v12, v47
	s_or_b64 s[14:15], vcc, s[14:15]
	s_andn2_b64 exec, exec, s[14:15]
	s_cbranch_execnz .LBB249_37
	s_branch .LBB249_34
.LBB249_38:                             ;   in Loop: Header=BB249_7 Depth=1
	s_or_b64 exec, exec, s[10:11]
.LBB249_39:                             ;   in Loop: Header=BB249_7 Depth=1
	s_or_b64 exec, exec, s[8:9]
	v_subrev_u32_e32 v71, s77, v71
.LBB249_40:                             ;   in Loop: Header=BB249_7 Depth=1
	s_or_b64 exec, exec, s[6:7]
.LBB249_41:                             ;   in Loop: Header=BB249_7 Depth=1
	s_andn2_saveexec_b64 s[6:7], s[52:53]
	s_cbranch_execz .LBB249_6
; %bb.42:                               ;   in Loop: Header=BB249_7 Depth=1
	s_mul_i32 s77, s77, 3
	v_cmp_gt_i32_e32 vcc, s77, v71
	s_and_saveexec_b64 s[8:9], vcc
	s_cbranch_execz .LBB249_5
; %bb.43:                               ;   in Loop: Header=BB249_7 Depth=1
	s_mul_i32 s74, s74, s38
	s_max_i32 s12, s76, 0
	s_ashr_i32 s10, s74, 31
	s_waitcnt lgkmcnt(0)
	s_add_u32 s11, s44, s74
	v_add_u32_e32 v2, s12, v48
	s_addc_u32 s13, s45, s10
	s_ashr_i32 s14, s75, 31
	v_cmp_gt_u32_e32 vcc, s72, v2
	s_add_u32 s10, s11, s75
	s_addc_u32 s11, s13, s14
	v_cndmask_b32_e32 v0, 0, v68, vcc
	v_ashrrev_i32_e32 v1, 31, v0
	v_lshl_add_u64 v[0:1], s[10:11], 0, v[0:1]
	v_lshl_add_u64 v[8:9], v[0:1], 0, v[34:35]
	v_sub_u32_e32 v10, 0x5f, v2
	s_mov_b64 s[10:11], 0
	s_branch .LBB249_45
.LBB249_44:                             ;   in Loop: Header=BB249_45 Depth=2
	s_or_b64 exec, exec, s[12:13]
	v_lshl_or_b32 v13, v11, 11, v69
	;;#ASMSTART
	s_waitcnt vmcnt(1)
	;;#ASMEND
	ds_write2_b32 v13, v4, v5 offset1:32
	ds_write2_b32 v13, v6, v7 offset0:64 offset1:96
	v_add_u32_e32 v4, 0x400, v13
	v_add_u32_e32 v71, s41, v71
	;;#ASMSTART
	s_waitcnt vmcnt(0)
	;;#ASMEND
	ds_write2_b32 v4, v0, v1 offset1:32
	ds_write2_b32 v4, v2, v3 offset0:64 offset1:96
	v_add_u32_e32 v0, 1, v47
	v_add_u32_e32 v40, s41, v11
	v_cmp_le_i32_e32 vcc, s77, v71
	ds_write_b32 v12, v0
	v_add_u32_e32 v0, 2, v47
	s_or_b64 s[10:11], vcc, s[10:11]
	v_cmp_lt_i32_e32 vcc, 11, v40
	s_nop 1
	v_cndmask_b32_e32 v47, v47, v0, vcc
	s_andn2_b64 exec, exec, s[10:11]
	s_cbranch_execz .LBB249_4
.LBB249_45:                             ;   Parent Loop BB249_7 Depth=1
                                        ; =>  This Loop Header: Depth=2
                                        ;       Child Loop BB249_47 Depth 3
	v_cmp_gt_i32_e32 vcc, 12, v40
	s_nop 1
	v_cndmask_b32_e64 v0, -12, 0, vcc
	v_add_u32_e32 v11, v0, v40
	v_mul_hi_i32 v0, v71, s73
	v_lshrrev_b32_e32 v1, 31, v0
	v_add_u32_e32 v0, v0, v1
	v_lshl_add_u32 v1, v0, 1, v0
	v_sub_u32_e32 v1, v71, v1
	v_lshlrev_b32_e32 v1, 5, v1
	v_cmp_le_i32_e32 vcc, v1, v10
	v_lshlrev_b32_e32 v0, 6, v0
	v_lshlrev_b32_e32 v12, 2, v11
	v_cndmask_b32_e32 v2, 0, v1, vcc
	v_ashrrev_i32_e32 v1, 31, v0
	v_mul_lo_u32 v2, v2, s38
	v_lshl_add_u64 v[0:1], v[8:9], 0, v[0:1]
	v_ashrrev_i32_e32 v3, 31, v2
	v_lshl_add_u64 v[0:1], v[0:1], 0, v[2:3]
	;;#ASMSTART
	global_load_dwordx4 v[4:7], v[0:1], off offset:0   
	global_load_dwordx4 v[0:3], v[0:1], off offset:32  
	
	;;#ASMEND
	ds_read_b32 v13, v12 offset:32768
	v_add_u32_e32 v12, 0x8000, v12
	s_waitcnt lgkmcnt(0)
	v_cmp_ne_u32_e32 vcc, v13, v47
	s_and_saveexec_b64 s[12:13], vcc
	s_cbranch_execz .LBB249_44
; %bb.46:                               ;   in Loop: Header=BB249_45 Depth=2
	s_mov_b64 s[14:15], 0
.LBB249_47:                             ;   Parent Loop BB249_7 Depth=1
                                        ;     Parent Loop BB249_45 Depth=2
                                        ; =>    This Inner Loop Header: Depth=3
	;;#ASMSTART
	s_sleep 0
	;;#ASMEND
	ds_read_b32 v13, v12
	s_waitcnt lgkmcnt(0)
	v_cmp_eq_u32_e32 vcc, v13, v47
	s_or_b64 s[14:15], vcc, s[14:15]
	s_andn2_b64 exec, exec, s[14:15]
	s_cbranch_execnz .LBB249_47
	s_branch .LBB249_44
.LBB249_48:
	s_endpgm
	.section	.rodata,"a",@progbits
	.p2align	6, 0x0
	.amdhsa_kernel _Z19_skinny_gemm_kernelILi3ELi1ELi4ELi32ELi4EEvPKhS1_P6__halfPKfiiiiiiii
		.amdhsa_group_segment_fixed_size 32832
		.amdhsa_private_segment_fixed_size 0
		.amdhsa_kernarg_size 64
		.amdhsa_user_sgpr_count 2
		.amdhsa_user_sgpr_dispatch_ptr 0
		.amdhsa_user_sgpr_queue_ptr 0
		.amdhsa_user_sgpr_kernarg_segment_ptr 1
		.amdhsa_user_sgpr_dispatch_id 0
		.amdhsa_user_sgpr_kernarg_preload_length 0
		.amdhsa_user_sgpr_kernarg_preload_offset 0
		.amdhsa_user_sgpr_private_segment_size 0
		.amdhsa_uses_dynamic_stack 0
		.amdhsa_enable_private_segment 0
		.amdhsa_system_sgpr_workgroup_id_x 1
		.amdhsa_system_sgpr_workgroup_id_y 0
		.amdhsa_system_sgpr_workgroup_id_z 0
		.amdhsa_system_sgpr_workgroup_info 0
		.amdhsa_system_vgpr_workitem_id 0
		.amdhsa_next_free_vgpr 79
		.amdhsa_next_free_sgpr 78
		.amdhsa_accum_offset 80
		.amdhsa_reserve_vcc 1
		.amdhsa_float_round_mode_32 0
		.amdhsa_float_round_mode_16_64 0
		.amdhsa_float_denorm_mode_32 3
		.amdhsa_float_denorm_mode_16_64 3
		.amdhsa_dx10_clamp 1
		.amdhsa_ieee_mode 1
		.amdhsa_fp16_overflow 0
		.amdhsa_tg_split 0
		.amdhsa_exception_fp_ieee_invalid_op 0
		.amdhsa_exception_fp_denorm_src 0
		.amdhsa_exception_fp_ieee_div_zero 0
		.amdhsa_exception_fp_ieee_overflow 0
		.amdhsa_exception_fp_ieee_underflow 0
		.amdhsa_exception_fp_ieee_inexact 0
		.amdhsa_exception_int_div_zero 0
	.end_amdhsa_kernel
	.section	.text._Z19_skinny_gemm_kernelILi3ELi1ELi4ELi32ELi4EEvPKhS1_P6__halfPKfiiiiiiii,"axG",@progbits,_Z19_skinny_gemm_kernelILi3ELi1ELi4ELi32ELi4EEvPKhS1_P6__halfPKfiiiiiiii,comdat
.Lfunc_end249:
	.size	_Z19_skinny_gemm_kernelILi3ELi1ELi4ELi32ELi4EEvPKhS1_P6__halfPKfiiiiiiii, .Lfunc_end249-_Z19_skinny_gemm_kernelILi3ELi1ELi4ELi32ELi4EEvPKhS1_P6__halfPKfiiiiiiii
                                        ; -- End function
	.set _Z19_skinny_gemm_kernelILi3ELi1ELi4ELi32ELi4EEvPKhS1_P6__halfPKfiiiiiiii.num_vgpr, 79
	.set _Z19_skinny_gemm_kernelILi3ELi1ELi4ELi32ELi4EEvPKhS1_P6__halfPKfiiiiiiii.num_agpr, 0
	.set _Z19_skinny_gemm_kernelILi3ELi1ELi4ELi32ELi4EEvPKhS1_P6__halfPKfiiiiiiii.numbered_sgpr, 78
	.set _Z19_skinny_gemm_kernelILi3ELi1ELi4ELi32ELi4EEvPKhS1_P6__halfPKfiiiiiiii.num_named_barrier, 0
	.set _Z19_skinny_gemm_kernelILi3ELi1ELi4ELi32ELi4EEvPKhS1_P6__halfPKfiiiiiiii.private_seg_size, 0
	.set _Z19_skinny_gemm_kernelILi3ELi1ELi4ELi32ELi4EEvPKhS1_P6__halfPKfiiiiiiii.uses_vcc, 1
	.set _Z19_skinny_gemm_kernelILi3ELi1ELi4ELi32ELi4EEvPKhS1_P6__halfPKfiiiiiiii.uses_flat_scratch, 0
	.set _Z19_skinny_gemm_kernelILi3ELi1ELi4ELi32ELi4EEvPKhS1_P6__halfPKfiiiiiiii.has_dyn_sized_stack, 0
	.set _Z19_skinny_gemm_kernelILi3ELi1ELi4ELi32ELi4EEvPKhS1_P6__halfPKfiiiiiiii.has_recursion, 0
	.set _Z19_skinny_gemm_kernelILi3ELi1ELi4ELi32ELi4EEvPKhS1_P6__halfPKfiiiiiiii.has_indirect_call, 0
	.section	.AMDGPU.csdata,"",@progbits
; Kernel info:
; codeLenInByte = 6064
; TotalNumSgprs: 84
; NumVgprs: 79
; NumAgprs: 0
; TotalNumVgprs: 79
; ScratchSize: 0
; MemoryBound: 0
; FloatMode: 240
; IeeeMode: 1
; LDSByteSize: 32832 bytes/workgroup (compile time only)
; SGPRBlocks: 10
; VGPRBlocks: 9
; NumSGPRsForWavesPerEU: 84
; NumVGPRsForWavesPerEU: 79
; AccumOffset: 80
; Occupancy: 6
; WaveLimiterHint : 0
; COMPUTE_PGM_RSRC2:SCRATCH_EN: 0
; COMPUTE_PGM_RSRC2:USER_SGPR: 2
; COMPUTE_PGM_RSRC2:TRAP_HANDLER: 0
; COMPUTE_PGM_RSRC2:TGID_X_EN: 1
; COMPUTE_PGM_RSRC2:TGID_Y_EN: 0
; COMPUTE_PGM_RSRC2:TGID_Z_EN: 0
; COMPUTE_PGM_RSRC2:TIDIG_COMP_CNT: 0
; COMPUTE_PGM_RSRC3_GFX90A:ACCUM_OFFSET: 19
; COMPUTE_PGM_RSRC3_GFX90A:TG_SPLIT: 0
	.section	.text._Z19_skinny_gemm_kernelILi3ELi1ELi5ELi16ELi4EEvPKhS1_P6__halfPKfiiiiiiii,"axG",@progbits,_Z19_skinny_gemm_kernelILi3ELi1ELi5ELi16ELi4EEvPKhS1_P6__halfPKfiiiiiiii,comdat
	.protected	_Z19_skinny_gemm_kernelILi3ELi1ELi5ELi16ELi4EEvPKhS1_P6__halfPKfiiiiiiii ; -- Begin function _Z19_skinny_gemm_kernelILi3ELi1ELi5ELi16ELi4EEvPKhS1_P6__halfPKfiiiiiiii
	.globl	_Z19_skinny_gemm_kernelILi3ELi1ELi5ELi16ELi4EEvPKhS1_P6__halfPKfiiiiiiii
	.p2align	8
	.type	_Z19_skinny_gemm_kernelILi3ELi1ELi5ELi16ELi4EEvPKhS1_P6__halfPKfiiiiiiii,@function
_Z19_skinny_gemm_kernelILi3ELi1ELi5ELi16ELi4EEvPKhS1_P6__halfPKfiiiiiiii: ; @_Z19_skinny_gemm_kernelILi3ELi1ELi5ELi16ELi4EEvPKhS1_P6__halfPKfiiiiiiii
; %bb.0:
	v_cmp_gt_u32_e32 vcc, 20, v0
	v_lshlrev_b32_e32 v1, 2, v0
	s_and_saveexec_b64 s[4:5], vcc
; %bb.1:
	v_mov_b32_e32 v2, 0
	ds_write_b32 v1, v2 offset:40960
; %bb.2:
	s_or_b64 exec, exec, s[4:5]
	s_load_dwordx8 s[12:19], s[0:1], 0x20
	s_waitcnt lgkmcnt(0)
	s_barrier
	s_add_i32 s3, s12, 47
	s_add_i32 s4, s13, 15
	s_mul_hi_i32 s3, s3, 0x2aaaaaab
	s_lshr_b32 s5, s3, 31
	s_ashr_i32 s33, s3, 3
	s_ashr_i32 s3, s4, 31
	s_lshr_b32 s3, s3, 28
	s_add_i32 s4, s4, s3
	s_add_i32 s33, s33, s5
	s_ashr_i32 s42, s4, 4
	s_mul_i32 s3, s42, s33
	s_mul_i32 s3, s3, s16
	s_add_i32 s4, s3, 0x12f
	s_mul_hi_i32 s4, s4, 0x6bca1af3
	s_lshr_b32 s5, s4, 31
	s_ashr_i32 s4, s4, 7
	s_add_i32 s4, s4, s5
	s_add_i32 s5, s2, 1
	s_mul_i32 s5, s4, s5
	v_cvt_f64_i32_e32 v[2:3], s3
	v_cvt_f64_u32_e32 v[4:5], s5
	v_min_f64 v[2:3], v[2:3], v[4:5]
	v_cvt_i32_f64_e32 v13, v[2:3]
	s_mul_i32 s43, s4, s2
	v_cmp_ge_i32_e32 vcc, s43, v13
	s_cbranch_vccnz .LBB250_52
; %bb.3:
	v_lshrrev_b32_e32 v2, 6, v0
	s_add_i32 s4, s18, s17
	s_load_dwordx8 s[20:27], s[0:1], 0x0
	v_cmp_le_i32_e64 s[0:1], s4, v2
	v_mov_b32_e32 v3, s17
	v_cmp_le_i32_e64 s[2:3], s17, v2
	v_mov_b32_e32 v4, s18
	v_cndmask_b32_e64 v4, 0, v4, s[0:1]
	v_cndmask_b32_e64 v3, 0, v3, s[2:3]
	s_abs_i32 s5, s16
	v_add_u32_e32 v3, v3, v4
	v_cvt_f32_u32_e32 v4, s5
	v_sub_u32_e32 v28, v2, v3
	s_ashr_i32 s6, s14, 31
	s_lshr_b32 s6, s6, 25
	v_rcp_iflag_f32_e32 v3, v4
	s_sub_i32 s9, 0, s5
	s_add_i32 s6, s14, s6
	s_ashr_i32 s6, s6, 7
	v_mul_f32_e32 v3, 0x4f7ffffe, v3
	v_cvt_u32_f32_e32 v3, v3
	s_abs_i32 s8, s6
	s_xor_b32 s7, s6, s16
	s_ashr_i32 s7, s7, 31
	v_readfirstlane_b32 s10, v3
	s_mul_i32 s9, s9, s10
	s_mul_hi_u32 s9, s10, s9
	s_add_i32 s10, s10, s9
	s_mul_hi_u32 s9, s8, s10
	s_mul_i32 s10, s9, s5
	s_sub_i32 s8, s8, s10
	s_add_i32 s10, s9, 1
	s_sub_i32 s11, s8, s5
	s_cmp_ge_u32 s8, s5
	s_cselect_b32 s9, s10, s9
	s_cselect_b32 s8, s11, s8
	s_add_i32 s10, s9, 1
	s_cmp_ge_u32 s8, s5
	s_cselect_b32 s5, s10, s9
	s_xor_b32 s5, s5, s7
	s_sub_i32 s44, s5, s7
	s_add_i32 s16, s16, -1
	s_mul_i32 s5, s44, s16
	s_add_i32 s4, s4, s19
	s_sub_i32 s45, s6, s5
	v_cmp_gt_i32_e64 s[4:5], s4, v2
	v_lshlrev_b32_e32 v2, 1, v0
	v_lshlrev_b32_e32 v3, 4, v0
	v_and_b32_e32 v1, 60, v1
	v_and_b32_e32 v2, 64, v2
	;; [unrolled: 1-line block ×3, first 2 shown]
	v_or3_b32 v33, v1, v2, v4
	v_and_b32_e32 v1, 1, v0
	v_lshrrev_b32_e32 v4, 2, v0
	s_abs_i32 s46, s33
	v_and_or_b32 v37, v4, 12, v1
	v_cvt_f32_u32_e32 v4, s46
	v_lshlrev_b32_e32 v2, 1, v1
	v_and_b32_e32 v12, 14, v0
	v_sub_u32_e32 v2, v0, v2
	v_bitop3_b32 v35, v0, 1, v0 bitop3:0xc
	v_bitop3_b32 v36, v0, 3, 1 bitop3:0x6c
	v_and_b32_e32 v20, 48, v3
	v_bfe_u32 v40, v0, 2, 4
	v_and_b32_e32 v1, 60, v0
	v_lshlrev_b32_e32 v3, 8, v0
	v_lshlrev_b32_e32 v0, 6, v0
	v_and_b32_e32 v3, 0x200, v3
	v_and_b32_e32 v0, 64, v0
	v_rcp_iflag_f32_e32 v4, v4
	s_abs_i32 s47, s42
	v_or3_b32 v41, v1, v3, v0
	v_cvt_f32_u32_e32 v1, s47
	v_mul_f32_e32 v0, 0x4f7ffffe, v4
	v_cvt_u32_f32_e32 v0, v0
	v_mad_u64_u32 v[14:15], s[6:7], s13, v37, v[12:13]
	v_rcp_iflag_f32_e32 v1, v1
	s_lshl_b32 s6, s13, 4
	v_readfirstlane_b32 s7, v0
	v_add_u32_e32 v16, s6, v14
	v_mul_f32_e32 v0, 0x4f7ffffe, v1
	v_cvt_u32_f32_e32 v0, v0
	v_add_u32_e32 v18, s6, v16
	s_sub_i32 s6, 0, s46
	s_mul_i32 s6, s6, s7
	s_mul_hi_u32 s6, s7, s6
	v_add_u32_e32 v2, 1, v2
	s_add_i32 s49, s7, s6
	s_sub_i32 s6, 0, s47
	v_readfirstlane_b32 s7, v0
	v_mbcnt_lo_u32_b32 v0, -1, 0
	v_and_b32_e32 v2, 63, v2
	s_mul_i32 s6, s6, s7
	v_mbcnt_hi_u32_b32 v0, -1, v0
	v_mul_lo_u32 v22, s15, v40
	s_mul_hi_u32 s6, s7, s6
	v_and_or_b32 v0, v0, 64, v2
	v_cndmask_b32_e64 v32, 0, 1, s[0:1]
	v_or_b32_e32 v34, 0x7800, v33
	s_ashr_i32 s11, s13, 31
	s_mov_b32 s10, s13
	v_ashrrev_i32_e32 v15, 31, v14
	v_or_b32_e32 v38, 16, v37
	v_ashrrev_i32_e32 v17, 31, v16
	v_or_b32_e32 v39, 32, v37
	v_ashrrev_i32_e32 v19, 31, v18
	v_ashrrev_i32_e32 v23, 31, v22
	v_mov_b32_e32 v21, 0
	v_or_b32_e32 v42, 0x7800, v41
	v_mul_lo_u32 v43, s14, v40
	s_ashr_i32 s48, s33, 31
	s_ashr_i32 s50, s42, 31
	s_add_i32 s51, s7, s6
	s_movk_i32 s52, 0x1800
	s_mov_b32 s53, 0x55555556
	v_lshlrev_b32_e32 v44, 2, v0
	v_mov_b32_e32 v45, v28
	s_branch .LBB250_7
.LBB250_4:                              ;   in Loop: Header=BB250_7 Depth=1
	s_or_b64 exec, exec, s[28:29]
.LBB250_5:                              ;   in Loop: Header=BB250_7 Depth=1
	s_or_b64 exec, exec, s[8:9]
	v_subrev_u32_e32 v45, s57, v45
.LBB250_6:                              ;   in Loop: Header=BB250_7 Depth=1
	s_or_b64 exec, exec, s[6:7]
	s_add_i32 s43, s43, 1
	v_cmp_ge_i32_e32 vcc, s43, v13
	s_cbranch_vccnz .LBB250_52
.LBB250_7:                              ; =>This Loop Header: Depth=1
                                        ;     Child Loop BB250_13 Depth 2
                                        ;       Child Loop BB250_15 Depth 3
                                        ;       Child Loop BB250_18 Depth 3
	;; [unrolled: 1-line block ×4, first 2 shown]
                                        ;     Child Loop BB250_39 Depth 2
                                        ;       Child Loop BB250_41 Depth 3
                                        ;     Child Loop BB250_49 Depth 2
                                        ;       Child Loop BB250_51 Depth 3
	s_abs_i32 s7, s43
	s_mul_hi_u32 s8, s7, s49
	s_mul_i32 s9, s8, s46
	s_ashr_i32 s6, s43, 31
	s_sub_i32 s7, s7, s9
	s_xor_b32 s6, s6, s48
	s_add_i32 s9, s8, 1
	s_sub_i32 s28, s7, s46
	s_cmp_ge_u32 s7, s46
	s_cselect_b32 s8, s9, s8
	s_cselect_b32 s7, s28, s7
	s_add_i32 s9, s8, 1
	s_cmp_ge_u32 s7, s46
	s_cselect_b32 s7, s9, s8
	s_xor_b32 s7, s7, s6
	s_sub_i32 s6, s7, s6
	s_abs_i32 s8, s6
	s_mul_hi_u32 s9, s8, s51
	s_mul_i32 s7, s6, s33
	s_mul_i32 s28, s9, s47
	s_sub_i32 s54, s43, s7
	s_ashr_i32 s7, s6, 31
	s_sub_i32 s8, s8, s28
	s_xor_b32 s7, s7, s50
	s_add_i32 s28, s9, 1
	s_sub_i32 s29, s8, s47
	s_cmp_ge_u32 s8, s47
	s_cselect_b32 s9, s28, s9
	s_cselect_b32 s8, s29, s8
	s_add_i32 s28, s9, 1
	s_cmp_ge_u32 s8, s47
	s_cselect_b32 s8, s28, s9
	s_xor_b32 s8, s8, s7
	s_sub_i32 s7, s8, s7
	s_mul_i32 s8, s7, s44
	s_lshl_b32 s55, s8, 7
	s_mul_i32 s54, s54, 48
	s_cmp_eq_u32 s7, s16
	s_cselect_b32 s57, s45, s44
	s_sub_i32 s8, s54, s12
	s_add_i32 s8, s8, 48
	s_max_i32 s56, s8, 0
	s_and_saveexec_b64 s[8:9], s[2:3]
	s_xor_b64 s[28:29], exec, s[8:9]
	s_cbranch_execz .LBB250_45
; %bb.8:                                ;   in Loop: Header=BB250_7 Depth=1
	s_mul_i32 s7, s7, s42
	s_sub_i32 s6, s6, s7
	s_lshl_b32 s6, s6, 4
	s_sub_i32 s31, s6, s13
	s_add_i32 s31, s31, 16
	s_max_i32 s7, s31, 0
	s_sub_i32 s30, s6, s7
	s_and_saveexec_b64 s[6:7], s[0:1]
	s_xor_b64 s[34:35], exec, s[6:7]
	s_cbranch_execz .LBB250_35
; %bb.9:                                ;   in Loop: Header=BB250_7 Depth=1
	s_and_saveexec_b64 s[36:37], s[4:5]
	s_cbranch_execz .LBB250_34
; %bb.10:                               ;   in Loop: Header=BB250_7 Depth=1
	s_waitcnt lgkmcnt(0)
	global_load_dword v46, v21, s[26:27]
	v_mov_b32_e32 v11, 0
	v_cmp_gt_i32_e32 vcc, s57, v45
	v_mov_b32_e32 v10, v11
	v_mov_b32_e32 v9, v11
	;; [unrolled: 1-line block ×11, first 2 shown]
	s_and_saveexec_b64 s[6:7], vcc
	s_cbranch_execz .LBB250_26
; %bb.11:                               ;   in Loop: Header=BB250_7 Depth=1
	v_mov_b32_e32 v0, 0
	s_mov_b64 s[8:9], 0
	v_mov_b32_e32 v1, v0
	v_mov_b32_e32 v2, v0
	;; [unrolled: 1-line block ×11, first 2 shown]
	s_branch .LBB250_13
.LBB250_12:                             ;   in Loop: Header=BB250_13 Depth=2
	s_or_b64 exec, exec, s[38:39]
	v_add_u32_e32 v51, 0x1000, v50
	ds_read2_b32 v[52:53], v51 offset1:32
	ds_read2_b32 v[54:55], v51 offset0:128 offset1:160
	v_add_u32_e32 v56, 0x1400, v50
	ds_read2_b32 v[50:51], v56 offset1:32
	v_add_u32_e32 v45, s19, v45
	s_waitcnt lgkmcnt(2)
	v_mfma_f32_16x16x32_fp8_fp8 v[0:3], v[52:53], v[28:29], v[0:3]
	v_add_u32_e32 v28, s19, v47
	v_cmp_le_i32_e32 vcc, s57, v45
	v_add_u32_e32 v29, 2, v32
	s_waitcnt lgkmcnt(1)
	v_mfma_f32_16x16x32_fp8_fp8 v[0:3], v[54:55], v[30:31], v[0:3]
	ds_read2_b32 v[30:31], v56 offset0:128 offset1:160
	s_or_b64 s[8:9], vcc, s[8:9]
	v_cmp_lt_i32_e32 vcc, 4, v28
	s_waitcnt lgkmcnt(1)
	v_mfma_f32_16x16x32_fp8_fp8 v[0:3], v[50:51], v[26:27], v[0:3]
	;;#ASMSTART
	s_waitcnt lgkmcnt(0)
	;;#ASMEND
	ds_write_b32 v48, v49 offset:40968
	v_cndmask_b32_e32 v32, v32, v29, vcc
	s_waitcnt lgkmcnt(1)
	v_mfma_f32_16x16x32_fp8_fp8 v[0:3], v[30:31], v[24:25], v[0:3]
	s_andn2_b64 exec, exec, s[8:9]
	s_cbranch_execz .LBB250_25
.LBB250_13:                             ;   Parent Loop BB250_7 Depth=1
                                        ; =>  This Loop Header: Depth=2
                                        ;       Child Loop BB250_15 Depth 3
                                        ;       Child Loop BB250_18 Depth 3
	;; [unrolled: 1-line block ×4, first 2 shown]
	v_cmp_gt_i32_e32 vcc, 5, v28
	s_nop 1
	v_cndmask_b32_e64 v24, -5, 0, vcc
	v_add_u32_e32 v47, v24, v28
	v_lshlrev_b32_e32 v24, 2, v47
	ds_read_b32 v25, v24 offset:41020
	v_add_u32_e32 v50, 0xa000, v24
	s_waitcnt lgkmcnt(0)
	v_cmp_ne_u32_e32 vcc, v25, v32
	s_and_saveexec_b64 s[38:39], vcc
	s_cbranch_execz .LBB250_16
; %bb.14:                               ;   in Loop: Header=BB250_13 Depth=2
	s_mov_b64 s[40:41], 0
.LBB250_15:                             ;   Parent Loop BB250_7 Depth=1
                                        ;     Parent Loop BB250_13 Depth=2
                                        ; =>    This Inner Loop Header: Depth=3
	;;#ASMSTART
	s_sleep 0
	;;#ASMEND
	ds_read_b32 v24, v50 offset:60
	s_waitcnt lgkmcnt(0)
	v_cmp_eq_u32_e32 vcc, v24, v32
	s_or_b64 s[40:41], vcc, s[40:41]
	s_andn2_b64 exec, exec, s[40:41]
	s_cbranch_execnz .LBB250_15
.LBB250_16:                             ;   in Loop: Header=BB250_13 Depth=2
	s_or_b64 exec, exec, s[38:39]
	v_lshl_add_u32 v24, v47, 11, v34
	ds_read2_b32 v[28:29], v24 offset1:32
	ds_read2_b32 v[30:31], v24 offset0:128 offset1:160
	v_add_u32_e32 v24, 0x400, v24
	v_mul_lo_u32 v48, v47, 12
	ds_read2_b32 v[26:27], v24 offset1:32
	ds_read2_b32 v[24:25], v24 offset0:128 offset1:160
	;;#ASMSTART
	s_waitcnt lgkmcnt(0)
	;;#ASMEND
	ds_read_b32 v51, v48 offset:40960
	v_add_u32_e32 v49, 1, v32
	ds_write_b32 v50, v49 offset:60
	s_waitcnt lgkmcnt(1)
	v_cmp_ne_u32_e32 vcc, v51, v32
	s_and_saveexec_b64 s[38:39], vcc
	s_cbranch_execz .LBB250_19
; %bb.17:                               ;   in Loop: Header=BB250_13 Depth=2
	s_mov_b64 s[40:41], 0
.LBB250_18:                             ;   Parent Loop BB250_7 Depth=1
                                        ;     Parent Loop BB250_13 Depth=2
                                        ; =>    This Inner Loop Header: Depth=3
	;;#ASMSTART
	s_sleep 0
	;;#ASMEND
	ds_read_b32 v50, v48 offset:40960
	s_waitcnt lgkmcnt(0)
	v_cmp_eq_u32_e32 vcc, v50, v32
	s_or_b64 s[40:41], vcc, s[40:41]
	s_andn2_b64 exec, exec, s[40:41]
	s_cbranch_execnz .LBB250_18
.LBB250_19:                             ;   in Loop: Header=BB250_13 Depth=2
	s_or_b64 exec, exec, s[38:39]
	v_mul_lo_u32 v50, v47, s52
	v_or_b32_e32 v51, v33, v50
	ds_read2_b32 v[52:53], v51 offset1:32
	ds_read2_b32 v[54:55], v51 offset0:128 offset1:160
	v_add_u32_e32 v51, 0x400, v51
	s_waitcnt lgkmcnt(1)
	v_mfma_f32_16x16x32_fp8_fp8 v[8:11], v[52:53], v[28:29], v[8:11]
	ds_read2_b32 v[52:53], v51 offset1:32
	s_waitcnt lgkmcnt(1)
	v_mfma_f32_16x16x32_fp8_fp8 v[8:11], v[54:55], v[30:31], v[8:11]
	ds_read2_b32 v[54:55], v51 offset0:128 offset1:160
	;;#ASMSTART
	s_waitcnt lgkmcnt(0)
	;;#ASMEND
	ds_read_b32 v51, v48 offset:40964
	ds_write_b32 v48, v49 offset:40960
	s_waitcnt lgkmcnt(3)
	v_mfma_f32_16x16x32_fp8_fp8 v[8:11], v[52:53], v[26:27], v[8:11]
	s_waitcnt lgkmcnt(1)
	v_cmp_ne_u32_e32 vcc, v51, v32
	v_mfma_f32_16x16x32_fp8_fp8 v[8:11], v[54:55], v[24:25], v[8:11]
	s_and_saveexec_b64 s[38:39], vcc
	s_cbranch_execz .LBB250_22
; %bb.20:                               ;   in Loop: Header=BB250_13 Depth=2
	s_mov_b64 s[40:41], 0
.LBB250_21:                             ;   Parent Loop BB250_7 Depth=1
                                        ;     Parent Loop BB250_13 Depth=2
                                        ; =>    This Inner Loop Header: Depth=3
	;;#ASMSTART
	s_sleep 0
	;;#ASMEND
	ds_read_b32 v51, v48 offset:40964
	s_waitcnt lgkmcnt(0)
	v_cmp_eq_u32_e32 vcc, v51, v32
	s_or_b64 s[40:41], vcc, s[40:41]
	s_andn2_b64 exec, exec, s[40:41]
	s_cbranch_execnz .LBB250_21
.LBB250_22:                             ;   in Loop: Header=BB250_13 Depth=2
	s_or_b64 exec, exec, s[38:39]
	v_add_u32_e32 v50, v33, v50
	v_add_u32_e32 v51, 0x800, v50
	ds_read2_b32 v[52:53], v51 offset1:32
	ds_read2_b32 v[54:55], v51 offset0:128 offset1:160
	v_add_u32_e32 v51, 0xc00, v50
	s_waitcnt lgkmcnt(1)
	v_mfma_f32_16x16x32_fp8_fp8 v[4:7], v[52:53], v[28:29], v[4:7]
	ds_read2_b32 v[52:53], v51 offset1:32
	s_waitcnt lgkmcnt(1)
	v_mfma_f32_16x16x32_fp8_fp8 v[4:7], v[54:55], v[30:31], v[4:7]
	ds_read2_b32 v[54:55], v51 offset0:128 offset1:160
	;;#ASMSTART
	s_waitcnt lgkmcnt(0)
	;;#ASMEND
	ds_read_b32 v51, v48 offset:40968
	ds_write_b32 v48, v49 offset:40964
	s_waitcnt lgkmcnt(3)
	v_mfma_f32_16x16x32_fp8_fp8 v[4:7], v[52:53], v[26:27], v[4:7]
	s_waitcnt lgkmcnt(1)
	v_cmp_ne_u32_e32 vcc, v51, v32
	v_mfma_f32_16x16x32_fp8_fp8 v[4:7], v[54:55], v[24:25], v[4:7]
	s_and_saveexec_b64 s[38:39], vcc
	s_cbranch_execz .LBB250_12
; %bb.23:                               ;   in Loop: Header=BB250_13 Depth=2
	s_mov_b64 s[40:41], 0
.LBB250_24:                             ;   Parent Loop BB250_7 Depth=1
                                        ;     Parent Loop BB250_13 Depth=2
                                        ; =>    This Inner Loop Header: Depth=3
	;;#ASMSTART
	s_sleep 0
	;;#ASMEND
	ds_read_b32 v51, v48 offset:40968
	s_waitcnt lgkmcnt(0)
	v_cmp_eq_u32_e32 vcc, v51, v32
	s_or_b64 s[40:41], vcc, s[40:41]
	s_andn2_b64 exec, exec, s[40:41]
	s_cbranch_execnz .LBB250_24
	s_branch .LBB250_12
.LBB250_25:                             ;   in Loop: Header=BB250_7 Depth=1
	s_or_b64 exec, exec, s[8:9]
.LBB250_26:                             ;   in Loop: Header=BB250_7 Depth=1
	s_or_b64 exec, exec, s[6:7]
	v_cmp_le_i32_e32 vcc, s31, v12
	v_cmp_eq_u32_e64 s[6:7], 3, v35
	s_waitcnt vmcnt(0)
	v_cndmask_b32_e32 v24, 0, v46, vcc
	v_pk_mul_f32 v[30:31], v[24:25], v[8:9] op_sel_hi:[0,1]
	v_cmp_eq_u32_e32 vcc, 1, v35
	v_pk_mul_f32 v[10:11], v[24:25], v[10:11] op_sel_hi:[0,1]
	v_add_u32_e32 v25, s56, v37
	v_cndmask_b32_e32 v8, v30, v31, vcc
	v_cmp_eq_u32_e32 vcc, 2, v35
	s_nop 1
	v_cndmask_b32_e32 v8, v8, v10, vcc
	v_cndmask_b32_e64 v8, v8, v11, s[6:7]
	ds_bpermute_b32 v9, v44, v8
	s_waitcnt lgkmcnt(0)
	v_cndmask_b32_e32 v10, v10, v9, vcc
	v_cmp_ne_u32_e32 vcc, 0, v35
	v_cndmask_b32_e64 v26, v11, v9, s[6:7]
	s_nop 0
	v_cndmask_b32_e32 v8, v31, v9, vcc
	v_cmp_eq_u32_e32 vcc, 0, v35
	s_nop 1
	v_cndmask_b32_e32 v9, v30, v9, vcc
	v_cmp_eq_u32_e32 vcc, 1, v36
	;; [unrolled: 3-line block ×4, first 2 shown]
	s_nop 1
	v_cndmask_b32_e32 v11, v11, v26, vcc
	ds_bpermute_b32 v11, v44, v11
	v_cmp_gt_u32_e32 vcc, 48, v25
	s_and_saveexec_b64 s[38:39], vcc
	s_cbranch_execz .LBB250_33
; %bb.27:                               ;   in Loop: Header=BB250_7 Depth=1
	v_cmp_eq_u32_e64 s[8:9], 1, v36
	v_cmp_eq_u32_e64 s[6:7], 3, v36
	v_cmp_eq_u32_e32 vcc, 2, v36
	s_waitcnt lgkmcnt(0)
	v_cndmask_b32_e64 v8, v8, v11, s[8:9]
	v_cmp_eq_u32_e64 s[8:9], 0, v36
	v_cvt_f16_f32_sdwa v29, v8 dst_sel:WORD_1 dst_unused:UNUSED_PAD src0_sel:DWORD
	s_nop 0
	v_cndmask_b32_e64 v9, v9, v11, s[8:9]
	s_mul_i32 s8, s54, s13
	s_ashr_i32 s9, s8, 31
	s_lshl_b64 s[8:9], s[8:9], 1
	s_add_u32 s40, s24, s8
	s_addc_u32 s41, s25, s9
	s_ashr_i32 s31, s30, 31
	s_lshl_b64 s[8:9], s[30:31], 1
	v_cvt_f16_f32_e32 v27, v9
	s_add_u32 s40, s40, s8
	s_addc_u32 s41, s41, s9
	v_lshl_add_u64 v[8:9], v[14:15], 1, s[40:41]
	v_cmp_gt_u32_e64 s[8:9], 46, v25
	v_or_b32_e32 v27, v29, v27
	;;#ASMSTART
	global_atomic_pk_add_f16 v[8:9], v27, off
	
	;;#ASMEND
	s_and_b64 exec, exec, s[8:9]
	s_cbranch_execz .LBB250_33
; %bb.28:                               ;   in Loop: Header=BB250_7 Depth=1
	v_mov_b32_e32 v25, v24
	v_cndmask_b32_e64 v29, v26, v11, s[6:7]
	v_mov_b32_e32 v26, v24
	v_mov_b32_e32 v27, v24
	v_pk_mul_f32 v[6:7], v[26:27], v[6:7]
	v_pk_mul_f32 v[26:27], v[24:25], v[4:5]
	v_cmp_eq_u32_e64 s[6:7], 1, v35
	v_cmp_eq_u32_e64 s[8:9], 3, v35
	v_cvt_f16_f32_sdwa v29, v29 dst_sel:WORD_1 dst_unused:UNUSED_PAD src0_sel:DWORD
	v_cndmask_b32_e64 v4, v26, v27, s[6:7]
	v_cmp_eq_u32_e64 s[6:7], 2, v35
	s_nop 1
	v_cndmask_b32_e64 v4, v4, v6, s[6:7]
	v_cndmask_b32_e64 v4, v4, v7, s[8:9]
	ds_bpermute_b32 v5, v44, v4
	v_cndmask_b32_e32 v4, v10, v11, vcc
	v_cmp_ne_u32_e32 vcc, 0, v35
	v_lshl_add_u64 v[10:11], s[10:11], 2, v[8:9]
	v_cvt_f16_f32_e32 v9, v4
	s_waitcnt lgkmcnt(0)
	v_cndmask_b32_e32 v4, v27, v5, vcc
	v_cmp_eq_u32_e32 vcc, 0, v35
	v_cndmask_b32_e64 v8, v7, v5, s[8:9]
	v_cndmask_b32_e64 v6, v6, v5, s[6:7]
	v_cndmask_b32_e32 v5, v26, v5, vcc
	v_cmp_eq_u32_e32 vcc, 1, v36
	v_or_b32_e32 v9, v29, v9
	;;#ASMSTART
	global_atomic_pk_add_f16 v[10:11], v9, off
	
	;;#ASMEND
	v_add_u32_e32 v9, s56, v38
	v_cndmask_b32_e32 v7, v5, v4, vcc
	v_cmp_eq_u32_e32 vcc, 2, v36
	s_nop 1
	v_cndmask_b32_e32 v7, v7, v6, vcc
	v_cmp_eq_u32_e32 vcc, 3, v36
	s_nop 1
	v_cndmask_b32_e32 v7, v7, v8, vcc
	ds_bpermute_b32 v7, v44, v7
	v_cmp_gt_u32_e32 vcc, 48, v9
	s_and_b64 exec, exec, vcc
	s_cbranch_execz .LBB250_33
; %bb.29:                               ;   in Loop: Header=BB250_7 Depth=1
	v_cmp_eq_u32_e32 vcc, 1, v36
	v_cmp_eq_u32_e64 s[6:7], 3, v36
	v_cmp_gt_u32_e64 s[8:9], 46, v9
	s_waitcnt lgkmcnt(0)
	v_cndmask_b32_e32 v4, v4, v7, vcc
	v_cmp_eq_u32_e32 vcc, 0, v36
	v_cvt_f16_f32_sdwa v11, v4 dst_sel:WORD_1 dst_unused:UNUSED_PAD src0_sel:DWORD
	s_nop 0
	v_cndmask_b32_e32 v5, v5, v7, vcc
	v_cvt_f16_f32_e32 v10, v5
	v_cmp_eq_u32_e32 vcc, 2, v36
	v_lshl_add_u64 v[4:5], v[16:17], 1, s[40:41]
	v_or_b32_e32 v10, v11, v10
	;;#ASMSTART
	global_atomic_pk_add_f16 v[4:5], v10, off
	
	;;#ASMEND
	s_and_b64 exec, exec, s[8:9]
	s_cbranch_execz .LBB250_33
; %bb.30:                               ;   in Loop: Header=BB250_7 Depth=1
	v_cndmask_b32_e64 v26, v8, v7, s[6:7]
	v_mov_b32_e32 v8, v24
	v_mov_b32_e32 v9, v24
	v_pk_mul_f32 v[10:11], v[24:25], v[0:1]
	v_cmp_eq_u32_e64 s[6:7], 1, v35
	v_pk_mul_f32 v[8:9], v[8:9], v[2:3]
	v_cmp_eq_u32_e64 s[8:9], 3, v35
	v_cndmask_b32_e64 v0, v10, v11, s[6:7]
	v_cmp_eq_u32_e64 s[6:7], 2, v35
	v_cvt_f16_f32_sdwa v24, v26 dst_sel:WORD_1 dst_unused:UNUSED_PAD src0_sel:DWORD
	s_nop 0
	v_cndmask_b32_e64 v0, v0, v8, s[6:7]
	v_cndmask_b32_e64 v0, v0, v9, s[8:9]
	ds_bpermute_b32 v1, v44, v0
	v_cndmask_b32_e32 v0, v6, v7, vcc
	v_cmp_ne_u32_e32 vcc, 0, v35
	v_lshl_add_u64 v[6:7], s[10:11], 2, v[4:5]
	v_cvt_f16_f32_e32 v5, v0
	s_waitcnt lgkmcnt(0)
	v_cndmask_b32_e32 v0, v11, v1, vcc
	v_cmp_eq_u32_e32 vcc, 0, v35
	v_cndmask_b32_e64 v2, v9, v1, s[8:9]
	v_cndmask_b32_e64 v3, v8, v1, s[6:7]
	v_cndmask_b32_e32 v1, v10, v1, vcc
	v_cmp_eq_u32_e32 vcc, 1, v36
	v_or_b32_e32 v5, v24, v5
	;;#ASMSTART
	global_atomic_pk_add_f16 v[6:7], v5, off
	
	;;#ASMEND
	v_add_u32_e32 v5, s56, v39
	v_cndmask_b32_e32 v4, v1, v0, vcc
	v_cmp_eq_u32_e32 vcc, 2, v36
	s_nop 1
	v_cndmask_b32_e32 v4, v4, v3, vcc
	v_cmp_eq_u32_e32 vcc, 3, v36
	s_nop 1
	v_cndmask_b32_e32 v4, v4, v2, vcc
	ds_bpermute_b32 v4, v44, v4
	v_cmp_gt_u32_e32 vcc, 48, v5
	s_and_b64 exec, exec, vcc
	s_cbranch_execz .LBB250_33
; %bb.31:                               ;   in Loop: Header=BB250_7 Depth=1
	v_cmp_eq_u32_e32 vcc, 1, v36
	v_cmp_eq_u32_e64 s[6:7], 2, v36
	v_cmp_gt_u32_e64 s[8:9], 46, v5
	s_waitcnt lgkmcnt(0)
	v_cndmask_b32_e32 v0, v0, v4, vcc
	v_cmp_eq_u32_e32 vcc, 0, v36
	v_cvt_f16_f32_sdwa v7, v0 dst_sel:WORD_1 dst_unused:UNUSED_PAD src0_sel:DWORD
	s_nop 0
	v_cndmask_b32_e32 v1, v1, v4, vcc
	v_cvt_f16_f32_e32 v6, v1
	v_cmp_eq_u32_e32 vcc, 3, v36
	v_lshl_add_u64 v[0:1], v[18:19], 1, s[40:41]
	v_or_b32_e32 v6, v7, v6
	;;#ASMSTART
	global_atomic_pk_add_f16 v[0:1], v6, off
	
	;;#ASMEND
	s_and_b64 exec, exec, s[8:9]
	s_cbranch_execz .LBB250_33
; %bb.32:                               ;   in Loop: Header=BB250_7 Depth=1
	v_cndmask_b32_e32 v2, v2, v4, vcc
	v_cndmask_b32_e64 v3, v3, v4, s[6:7]
	v_cvt_f16_f32_sdwa v2, v2 dst_sel:WORD_1 dst_unused:UNUSED_PAD src0_sel:DWORD
	v_cvt_f16_f32_e32 v3, v3
	v_lshl_add_u64 v[0:1], s[10:11], 2, v[0:1]
	v_or_b32_e32 v2, v2, v3
	;;#ASMSTART
	global_atomic_pk_add_f16 v[0:1], v2, off
	
	;;#ASMEND
.LBB250_33:                             ;   in Loop: Header=BB250_7 Depth=1
	s_or_b64 exec, exec, s[38:39]
	v_subrev_u32_e32 v45, s57, v45
.LBB250_34:                             ;   in Loop: Header=BB250_7 Depth=1
	s_or_b64 exec, exec, s[36:37]
.LBB250_35:                             ;   in Loop: Header=BB250_7 Depth=1
	s_andn2_saveexec_b64 s[6:7], s[34:35]
	s_cbranch_execz .LBB250_44
; %bb.36:                               ;   in Loop: Header=BB250_7 Depth=1
	v_cmp_gt_i32_e32 vcc, s57, v45
	s_and_saveexec_b64 s[8:9], vcc
	s_cbranch_execz .LBB250_43
; %bb.37:                               ;   in Loop: Header=BB250_7 Depth=1
	s_mul_i32 s30, s30, s15
	s_ashr_i32 s31, s30, 31
	s_waitcnt lgkmcnt(0)
	s_add_u32 s30, s22, s30
	s_addc_u32 s31, s23, s31
	s_ashr_i32 s34, s55, 31
	s_add_u32 s30, s30, s55
	s_addc_u32 s31, s31, s34
	v_lshl_add_u64 v[0:1], s[30:31], 0, v[22:23]
	v_lshl_add_u64 v[8:9], v[0:1], 0, v[20:21]
	s_mov_b64 s[30:31], 0
	s_branch .LBB250_39
.LBB250_38:                             ;   in Loop: Header=BB250_39 Depth=2
	s_or_b64 exec, exec, s[34:35]
	v_lshl_add_u32 v24, v10, 11, v42
	;;#ASMSTART
	s_waitcnt vmcnt(1)
	;;#ASMEND
	ds_write2_b32 v24, v4, v5 offset1:32
	ds_write2_b32 v24, v6, v7 offset0:64 offset1:96
	v_add_u32_e32 v4, 0x400, v24
	v_add_u32_e32 v45, s18, v45
	;;#ASMSTART
	s_waitcnt vmcnt(0)
	;;#ASMEND
	ds_write2_b32 v4, v0, v1 offset1:32
	ds_write2_b32 v4, v2, v3 offset0:64 offset1:96
	v_add_u32_e32 v0, 1, v32
	v_add_u32_e32 v28, s18, v10
	v_cmp_le_i32_e32 vcc, s57, v45
	ds_write_b32 v11, v0 offset:60
	v_add_u32_e32 v0, 2, v32
	s_or_b64 s[30:31], vcc, s[30:31]
	v_cmp_lt_i32_e32 vcc, 4, v28
	s_nop 1
	v_cndmask_b32_e32 v32, v32, v0, vcc
	s_andn2_b64 exec, exec, s[30:31]
	s_cbranch_execz .LBB250_42
.LBB250_39:                             ;   Parent Loop BB250_7 Depth=1
                                        ; =>  This Loop Header: Depth=2
                                        ;       Child Loop BB250_41 Depth 3
	v_cmp_gt_i32_e32 vcc, 5, v28
	s_nop 1
	v_cndmask_b32_e64 v0, -5, 0, vcc
	v_add_u32_e32 v10, v0, v28
	v_lshlrev_b32_e32 v0, 7, v45
	v_ashrrev_i32_e32 v1, 31, v0
	v_lshl_add_u64 v[0:1], v[8:9], 0, v[0:1]
	v_lshlrev_b32_e32 v11, 2, v10
	;;#ASMSTART
	global_load_dwordx4 v[4:7], v[0:1], off offset:0   sc0 sc1 nt  
	global_load_dwordx4 v[0:3], v[0:1], off offset:64  sc0 sc1 nt  
	
	;;#ASMEND
	ds_read_b32 v24, v11 offset:41020
	v_add_u32_e32 v11, 0xa000, v11
	s_waitcnt lgkmcnt(0)
	v_cmp_ne_u32_e32 vcc, v24, v32
	s_and_saveexec_b64 s[34:35], vcc
	s_cbranch_execz .LBB250_38
; %bb.40:                               ;   in Loop: Header=BB250_39 Depth=2
	s_mov_b64 s[36:37], 0
.LBB250_41:                             ;   Parent Loop BB250_7 Depth=1
                                        ;     Parent Loop BB250_39 Depth=2
                                        ; =>    This Inner Loop Header: Depth=3
	;;#ASMSTART
	s_sleep 0
	;;#ASMEND
	ds_read_b32 v24, v11 offset:60
	s_waitcnt lgkmcnt(0)
	v_cmp_eq_u32_e32 vcc, v24, v32
	s_or_b64 s[36:37], vcc, s[36:37]
	s_andn2_b64 exec, exec, s[36:37]
	s_cbranch_execnz .LBB250_41
	s_branch .LBB250_38
.LBB250_42:                             ;   in Loop: Header=BB250_7 Depth=1
	s_or_b64 exec, exec, s[30:31]
.LBB250_43:                             ;   in Loop: Header=BB250_7 Depth=1
	s_or_b64 exec, exec, s[8:9]
	v_subrev_u32_e32 v45, s57, v45
.LBB250_44:                             ;   in Loop: Header=BB250_7 Depth=1
	s_or_b64 exec, exec, s[6:7]
.LBB250_45:                             ;   in Loop: Header=BB250_7 Depth=1
	s_andn2_saveexec_b64 s[6:7], s[28:29]
	s_cbranch_execz .LBB250_6
; %bb.46:                               ;   in Loop: Header=BB250_7 Depth=1
	s_mul_i32 s57, s57, 3
	v_cmp_gt_i32_e32 vcc, s57, v45
	s_and_saveexec_b64 s[8:9], vcc
	s_cbranch_execz .LBB250_5
; %bb.47:                               ;   in Loop: Header=BB250_7 Depth=1
	s_mul_i32 s54, s54, s14
	s_ashr_i32 s28, s54, 31
	s_waitcnt lgkmcnt(0)
	s_add_u32 s29, s20, s54
	v_add_u32_e32 v2, s56, v40
	s_addc_u32 s30, s21, s28
	s_ashr_i32 s31, s55, 31
	v_cmp_gt_u32_e32 vcc, 48, v2
	s_add_u32 s28, s29, s55
	s_addc_u32 s29, s30, s31
	v_cndmask_b32_e32 v0, 0, v43, vcc
	v_ashrrev_i32_e32 v1, 31, v0
	v_lshl_add_u64 v[0:1], s[28:29], 0, v[0:1]
	v_lshl_add_u64 v[8:9], v[0:1], 0, v[20:21]
	v_sub_u32_e32 v10, 47, v2
	s_mov_b64 s[28:29], 0
	s_branch .LBB250_49
.LBB250_48:                             ;   in Loop: Header=BB250_49 Depth=2
	s_or_b64 exec, exec, s[30:31]
	v_lshl_or_b32 v25, v11, 11, v41
	;;#ASMSTART
	s_waitcnt vmcnt(1)
	;;#ASMEND
	ds_write2_b32 v25, v4, v5 offset1:32
	ds_write2_b32 v25, v6, v7 offset0:64 offset1:96
	v_add_u32_e32 v4, 0x400, v25
	v_add_u32_e32 v45, s17, v45
	;;#ASMSTART
	s_waitcnt vmcnt(0)
	;;#ASMEND
	ds_write2_b32 v4, v0, v1 offset1:32
	ds_write2_b32 v4, v2, v3 offset0:64 offset1:96
	v_add_u32_e32 v0, 1, v32
	v_add_u32_e32 v28, s17, v11
	v_cmp_le_i32_e32 vcc, s57, v45
	ds_write_b32 v24, v0
	v_add_u32_e32 v0, 2, v32
	s_or_b64 s[28:29], vcc, s[28:29]
	v_cmp_lt_i32_e32 vcc, 14, v28
	s_nop 1
	v_cndmask_b32_e32 v32, v32, v0, vcc
	s_andn2_b64 exec, exec, s[28:29]
	s_cbranch_execz .LBB250_4
.LBB250_49:                             ;   Parent Loop BB250_7 Depth=1
                                        ; =>  This Loop Header: Depth=2
                                        ;       Child Loop BB250_51 Depth 3
	v_cmp_gt_i32_e32 vcc, 15, v28
	s_nop 1
	v_cndmask_b32_e64 v0, -15, 0, vcc
	v_add_u32_e32 v11, v0, v28
	v_mul_hi_i32 v0, v45, s53
	v_lshrrev_b32_e32 v1, 31, v0
	v_add_u32_e32 v0, v0, v1
	v_lshl_add_u32 v1, v0, 1, v0
	v_sub_u32_e32 v1, v45, v1
	v_lshlrev_b32_e32 v1, 4, v1
	v_cmp_le_i32_e32 vcc, v1, v10
	v_lshlrev_b32_e32 v0, 7, v0
	v_lshlrev_b32_e32 v24, 2, v11
	v_cndmask_b32_e32 v2, 0, v1, vcc
	v_ashrrev_i32_e32 v1, 31, v0
	v_mul_lo_u32 v2, v2, s14
	v_lshl_add_u64 v[0:1], v[8:9], 0, v[0:1]
	v_ashrrev_i32_e32 v3, 31, v2
	v_lshl_add_u64 v[0:1], v[0:1], 0, v[2:3]
	;;#ASMSTART
	global_load_dwordx4 v[4:7], v[0:1], off offset:0   
	global_load_dwordx4 v[0:3], v[0:1], off offset:64  
	
	;;#ASMEND
	ds_read_b32 v25, v24 offset:40960
	v_add_u32_e32 v24, 0xa000, v24
	s_waitcnt lgkmcnt(0)
	v_cmp_ne_u32_e32 vcc, v25, v32
	s_and_saveexec_b64 s[30:31], vcc
	s_cbranch_execz .LBB250_48
; %bb.50:                               ;   in Loop: Header=BB250_49 Depth=2
	s_mov_b64 s[34:35], 0
.LBB250_51:                             ;   Parent Loop BB250_7 Depth=1
                                        ;     Parent Loop BB250_49 Depth=2
                                        ; =>    This Inner Loop Header: Depth=3
	;;#ASMSTART
	s_sleep 0
	;;#ASMEND
	ds_read_b32 v25, v24
	s_waitcnt lgkmcnt(0)
	v_cmp_eq_u32_e32 vcc, v25, v32
	s_or_b64 s[34:35], vcc, s[34:35]
	s_andn2_b64 exec, exec, s[34:35]
	s_cbranch_execnz .LBB250_51
	s_branch .LBB250_48
.LBB250_52:
	s_endpgm
	.section	.rodata,"a",@progbits
	.p2align	6, 0x0
	.amdhsa_kernel _Z19_skinny_gemm_kernelILi3ELi1ELi5ELi16ELi4EEvPKhS1_P6__halfPKfiiiiiiii
		.amdhsa_group_segment_fixed_size 41040
		.amdhsa_private_segment_fixed_size 0
		.amdhsa_kernarg_size 64
		.amdhsa_user_sgpr_count 2
		.amdhsa_user_sgpr_dispatch_ptr 0
		.amdhsa_user_sgpr_queue_ptr 0
		.amdhsa_user_sgpr_kernarg_segment_ptr 1
		.amdhsa_user_sgpr_dispatch_id 0
		.amdhsa_user_sgpr_kernarg_preload_length 0
		.amdhsa_user_sgpr_kernarg_preload_offset 0
		.amdhsa_user_sgpr_private_segment_size 0
		.amdhsa_uses_dynamic_stack 0
		.amdhsa_enable_private_segment 0
		.amdhsa_system_sgpr_workgroup_id_x 1
		.amdhsa_system_sgpr_workgroup_id_y 0
		.amdhsa_system_sgpr_workgroup_id_z 0
		.amdhsa_system_sgpr_workgroup_info 0
		.amdhsa_system_vgpr_workitem_id 0
		.amdhsa_next_free_vgpr 57
		.amdhsa_next_free_sgpr 58
		.amdhsa_accum_offset 60
		.amdhsa_reserve_vcc 1
		.amdhsa_float_round_mode_32 0
		.amdhsa_float_round_mode_16_64 0
		.amdhsa_float_denorm_mode_32 3
		.amdhsa_float_denorm_mode_16_64 3
		.amdhsa_dx10_clamp 1
		.amdhsa_ieee_mode 1
		.amdhsa_fp16_overflow 0
		.amdhsa_tg_split 0
		.amdhsa_exception_fp_ieee_invalid_op 0
		.amdhsa_exception_fp_denorm_src 0
		.amdhsa_exception_fp_ieee_div_zero 0
		.amdhsa_exception_fp_ieee_overflow 0
		.amdhsa_exception_fp_ieee_underflow 0
		.amdhsa_exception_fp_ieee_inexact 0
		.amdhsa_exception_int_div_zero 0
	.end_amdhsa_kernel
	.section	.text._Z19_skinny_gemm_kernelILi3ELi1ELi5ELi16ELi4EEvPKhS1_P6__halfPKfiiiiiiii,"axG",@progbits,_Z19_skinny_gemm_kernelILi3ELi1ELi5ELi16ELi4EEvPKhS1_P6__halfPKfiiiiiiii,comdat
.Lfunc_end250:
	.size	_Z19_skinny_gemm_kernelILi3ELi1ELi5ELi16ELi4EEvPKhS1_P6__halfPKfiiiiiiii, .Lfunc_end250-_Z19_skinny_gemm_kernelILi3ELi1ELi5ELi16ELi4EEvPKhS1_P6__halfPKfiiiiiiii
                                        ; -- End function
	.set _Z19_skinny_gemm_kernelILi3ELi1ELi5ELi16ELi4EEvPKhS1_P6__halfPKfiiiiiiii.num_vgpr, 57
	.set _Z19_skinny_gemm_kernelILi3ELi1ELi5ELi16ELi4EEvPKhS1_P6__halfPKfiiiiiiii.num_agpr, 0
	.set _Z19_skinny_gemm_kernelILi3ELi1ELi5ELi16ELi4EEvPKhS1_P6__halfPKfiiiiiiii.numbered_sgpr, 58
	.set _Z19_skinny_gemm_kernelILi3ELi1ELi5ELi16ELi4EEvPKhS1_P6__halfPKfiiiiiiii.num_named_barrier, 0
	.set _Z19_skinny_gemm_kernelILi3ELi1ELi5ELi16ELi4EEvPKhS1_P6__halfPKfiiiiiiii.private_seg_size, 0
	.set _Z19_skinny_gemm_kernelILi3ELi1ELi5ELi16ELi4EEvPKhS1_P6__halfPKfiiiiiiii.uses_vcc, 1
	.set _Z19_skinny_gemm_kernelILi3ELi1ELi5ELi16ELi4EEvPKhS1_P6__halfPKfiiiiiiii.uses_flat_scratch, 0
	.set _Z19_skinny_gemm_kernelILi3ELi1ELi5ELi16ELi4EEvPKhS1_P6__halfPKfiiiiiiii.has_dyn_sized_stack, 0
	.set _Z19_skinny_gemm_kernelILi3ELi1ELi5ELi16ELi4EEvPKhS1_P6__halfPKfiiiiiiii.has_recursion, 0
	.set _Z19_skinny_gemm_kernelILi3ELi1ELi5ELi16ELi4EEvPKhS1_P6__halfPKfiiiiiiii.has_indirect_call, 0
	.section	.AMDGPU.csdata,"",@progbits
; Kernel info:
; codeLenInByte = 3820
; TotalNumSgprs: 64
; NumVgprs: 57
; NumAgprs: 0
; TotalNumVgprs: 57
; ScratchSize: 0
; MemoryBound: 0
; FloatMode: 240
; IeeeMode: 1
; LDSByteSize: 41040 bytes/workgroup (compile time only)
; SGPRBlocks: 7
; VGPRBlocks: 7
; NumSGPRsForWavesPerEU: 64
; NumVGPRsForWavesPerEU: 57
; AccumOffset: 60
; Occupancy: 8
; WaveLimiterHint : 0
; COMPUTE_PGM_RSRC2:SCRATCH_EN: 0
; COMPUTE_PGM_RSRC2:USER_SGPR: 2
; COMPUTE_PGM_RSRC2:TRAP_HANDLER: 0
; COMPUTE_PGM_RSRC2:TGID_X_EN: 1
; COMPUTE_PGM_RSRC2:TGID_Y_EN: 0
; COMPUTE_PGM_RSRC2:TGID_Z_EN: 0
; COMPUTE_PGM_RSRC2:TIDIG_COMP_CNT: 0
; COMPUTE_PGM_RSRC3_GFX90A:ACCUM_OFFSET: 14
; COMPUTE_PGM_RSRC3_GFX90A:TG_SPLIT: 0
	.section	.text._Z19_skinny_gemm_kernelILi3ELi1ELi5ELi32ELi4EEvPKhS1_P6__halfPKfiiiiiiii,"axG",@progbits,_Z19_skinny_gemm_kernelILi3ELi1ELi5ELi32ELi4EEvPKhS1_P6__halfPKfiiiiiiii,comdat
	.protected	_Z19_skinny_gemm_kernelILi3ELi1ELi5ELi32ELi4EEvPKhS1_P6__halfPKfiiiiiiii ; -- Begin function _Z19_skinny_gemm_kernelILi3ELi1ELi5ELi32ELi4EEvPKhS1_P6__halfPKfiiiiiiii
	.globl	_Z19_skinny_gemm_kernelILi3ELi1ELi5ELi32ELi4EEvPKhS1_P6__halfPKfiiiiiiii
	.p2align	8
	.type	_Z19_skinny_gemm_kernelILi3ELi1ELi5ELi32ELi4EEvPKhS1_P6__halfPKfiiiiiiii,@function
_Z19_skinny_gemm_kernelILi3ELi1ELi5ELi32ELi4EEvPKhS1_P6__halfPKfiiiiiiii: ; @_Z19_skinny_gemm_kernelILi3ELi1ELi5ELi32ELi4EEvPKhS1_P6__halfPKfiiiiiiii
; %bb.0:
	v_cmp_gt_u32_e32 vcc, 20, v0
	s_and_saveexec_b64 s[4:5], vcc
; %bb.1:
	v_lshlrev_b32_e32 v1, 2, v0
	v_mov_b32_e32 v2, 0
	ds_write_b32 v1, v2 offset:40960
; %bb.2:
	s_or_b64 exec, exec, s[4:5]
	s_load_dwordx8 s[36:43], s[0:1], 0x20
	s_waitcnt lgkmcnt(0)
	s_barrier
	s_add_i32 s3, s36, 0x5f
	s_add_i32 s4, s37, 31
	s_mul_hi_i32 s3, s3, 0x2aaaaaab
	s_lshr_b32 s5, s3, 31
	s_ashr_i32 s33, s3, 4
	s_ashr_i32 s3, s4, 31
	s_lshr_b32 s3, s3, 27
	s_add_i32 s4, s4, s3
	s_add_i32 s33, s33, s5
	s_ashr_i32 s62, s4, 5
	s_mul_i32 s3, s62, s33
	s_mul_i32 s3, s3, s40
	s_add_i32 s4, s3, 0x12f
	s_mul_hi_i32 s4, s4, 0x6bca1af3
	s_lshr_b32 s5, s4, 31
	s_ashr_i32 s4, s4, 7
	s_add_i32 s4, s4, s5
	s_add_i32 s5, s2, 1
	s_mul_i32 s5, s4, s5
	v_cvt_f64_i32_e32 v[2:3], s3
	v_cvt_f64_u32_e32 v[4:5], s5
	v_min_f64 v[2:3], v[2:3], v[4:5]
	v_cvt_i32_f64_e32 v46, v[2:3]
	s_mul_i32 s63, s4, s2
	v_cmp_ge_i32_e32 vcc, s63, v46
	s_cbranch_vccnz .LBB251_48
; %bb.3:
	v_lshrrev_b32_e32 v1, 6, v0
	s_add_i32 s4, s42, s41
	s_load_dwordx8 s[44:51], s[0:1], 0x0
	v_cmp_le_i32_e64 s[0:1], s4, v1
	v_mov_b32_e32 v2, s41
	v_cmp_le_i32_e64 s[2:3], s41, v1
	v_mov_b32_e32 v3, s42
	v_cndmask_b32_e64 v3, 0, v3, s[0:1]
	v_cndmask_b32_e64 v2, 0, v2, s[2:3]
	s_abs_i32 s5, s40
	v_add_u32_e32 v2, v2, v3
	v_cvt_f32_u32_e32 v3, s5
	v_sub_u32_e32 v40, v1, v2
	s_ashr_i32 s6, s38, 31
	s_lshr_b32 s6, s6, 26
	v_rcp_iflag_f32_e32 v2, v3
	s_sub_i32 s9, 0, s5
	s_add_i32 s6, s38, s6
	s_ashr_i32 s6, s6, 6
	v_mul_f32_e32 v2, 0x4f7ffffe, v2
	v_cvt_u32_f32_e32 v2, v2
	s_abs_i32 s8, s6
	s_xor_b32 s7, s6, s40
	s_ashr_i32 s7, s7, 31
	v_readfirstlane_b32 s10, v2
	s_mul_i32 s9, s9, s10
	s_mul_hi_u32 s9, s10, s9
	s_add_i32 s10, s10, s9
	s_mul_hi_u32 s9, s8, s10
	s_mul_i32 s10, s9, s5
	s_sub_i32 s8, s8, s10
	s_add_i32 s10, s9, 1
	s_sub_i32 s11, s8, s5
	s_cmp_ge_u32 s8, s5
	s_cselect_b32 s9, s10, s9
	s_cselect_b32 s8, s11, s8
	s_add_i32 s10, s9, 1
	s_cmp_ge_u32 s8, s5
	s_cselect_b32 s5, s10, s9
	s_xor_b32 s5, s5, s7
	s_sub_i32 s64, s5, s7
	s_add_i32 s40, s40, -1
	s_mul_i32 s5, s64, s40
	s_add_i32 s4, s4, s43
	v_and_b32_e32 v48, 31, v0
	v_lshrrev_b32_e32 v2, 3, v0
	s_sub_i32 s65, s6, s5
	v_cmp_gt_i32_e64 s[4:5], s4, v1
	v_lshlrev_b32_e32 v1, 2, v48
	v_and_b32_e32 v3, 4, v2
	v_and_b32_e32 v5, 1, v0
	v_lshlrev_b32_e32 v2, 6, v3
	v_or_b32_e32 v4, 0x7800, v1
	v_or_b32_e32 v3, v3, v5
	;; [unrolled: 1-line block ×4, first 2 shown]
	v_lshlrev_b32_e32 v2, 1, v5
	v_or_b32_e32 v5, 2, v3
	v_sub_u32_e32 v60, 32, v5
	v_or_b32_e32 v5, 8, v3
	v_sub_u32_e32 v61, 32, v5
	v_or_b32_e32 v5, 10, v3
	v_sub_u32_e32 v62, 32, v5
	v_or_b32_e32 v5, 16, v3
	v_sub_u32_e32 v63, 32, v5
	v_or_b32_e32 v5, 18, v3
	v_sub_u32_e32 v59, 32, v3
	v_mul_lo_u32 v18, s37, v3
	v_sub_u32_e32 v64, 32, v5
	v_or_b32_e32 v5, 24, v3
	v_or_b32_e32 v3, 26, v3
	v_sub_u32_e32 v66, 32, v3
	v_lshrrev_b32_e32 v3, 1, v0
	s_abs_i32 s66, s33
	v_and_b32_e32 v34, 16, v3
	v_cvt_f32_u32_e32 v3, s66
	v_sub_u32_e32 v2, v0, v2
	v_add_u32_e32 v2, 1, v2
	v_and_b32_e32 v6, 63, v2
	v_bitop3_b32 v51, v0, 1, v0 bitop3:0xc
	v_bitop3_b32 v52, v0, 3, 1 bitop3:0x6c
	;; [unrolled: 1-line block ×8, first 2 shown]
	v_and_b32_e32 v2, 30, v0
	v_lshlrev_b32_e32 v0, 4, v0
	v_and_b32_e32 v0, 0x200, v0
	v_rcp_iflag_f32_e32 v3, v3
	s_abs_i32 s67, s62
	v_or_b32_e32 v69, v1, v0
	v_cvt_f32_u32_e32 v1, s67
	s_lshl_b32 s6, s37, 1
	v_add_u32_e32 v20, s6, v18
	s_mul_i32 s7, s37, 6
	v_or_b32_e32 v67, v4, v0
	v_mul_f32_e32 v0, 0x4f7ffffe, v3
	v_add_u32_e32 v22, s7, v20
	v_cvt_u32_f32_e32 v0, v0
	v_rcp_iflag_f32_e32 v1, v1
	v_add_u32_e32 v24, s6, v22
	v_add_u32_e32 v26, s7, v24
	;; [unrolled: 1-line block ×4, first 2 shown]
	v_readfirstlane_b32 s7, v0
	v_mul_f32_e32 v0, 0x4f7ffffe, v1
	v_cvt_u32_f32_e32 v0, v0
	v_add_u32_e32 v32, s6, v30
	s_sub_i32 s6, 0, s66
	s_mul_i32 s6, s6, s7
	s_mul_hi_u32 s6, s7, s6
	s_add_i32 s69, s7, s6
	s_sub_i32 s6, 0, s67
	v_readfirstlane_b32 s7, v0
	v_mbcnt_lo_u32_b32 v0, -1, 0
	s_mul_i32 s6, s6, s7
	v_mbcnt_hi_u32_b32 v0, -1, v0
	v_mov_b32_e32 v17, 0
	v_mul_lo_u32 v36, s39, v48
	s_mul_hi_u32 s6, s7, s6
	v_and_or_b32 v0, v0, 64, v6
	v_cndmask_b32_e64 v47, 0, 1, s[0:1]
	v_ashrrev_i32_e32 v19, 31, v18
	v_ashrrev_i32_e32 v21, 31, v20
	;; [unrolled: 1-line block ×6, first 2 shown]
	v_sub_u32_e32 v65, 32, v5
	v_ashrrev_i32_e32 v31, 31, v30
	v_ashrrev_i32_e32 v33, 31, v32
	;; [unrolled: 1-line block ×3, first 2 shown]
	v_mov_b32_e32 v35, v17
	v_mul_lo_u32 v68, s38, v48
	s_ashr_i32 s68, s33, 31
	s_ashr_i32 s70, s62, 31
	s_add_i32 s71, s7, s6
	s_movk_i32 s72, 0x60
	v_lshlrev_b32_e32 v16, 1, v2
	s_mov_b32 s73, 0x55555556
	v_lshlrev_b32_e32 v70, 2, v0
	v_mov_b32_e32 v71, v40
	s_branch .LBB251_7
.LBB251_4:                              ;   in Loop: Header=BB251_7 Depth=1
	s_or_b64 exec, exec, s[10:11]
.LBB251_5:                              ;   in Loop: Header=BB251_7 Depth=1
	s_or_b64 exec, exec, s[8:9]
	v_subrev_u32_e32 v71, s77, v71
.LBB251_6:                              ;   in Loop: Header=BB251_7 Depth=1
	s_or_b64 exec, exec, s[6:7]
	s_add_i32 s63, s63, 1
	v_cmp_ge_i32_e32 vcc, s63, v46
	s_cbranch_vccnz .LBB251_48
.LBB251_7:                              ; =>This Loop Header: Depth=1
                                        ;     Child Loop BB251_13 Depth 2
                                        ;       Child Loop BB251_15 Depth 3
                                        ;       Child Loop BB251_18 Depth 3
                                        ;     Child Loop BB251_35 Depth 2
                                        ;       Child Loop BB251_37 Depth 3
                                        ;     Child Loop BB251_45 Depth 2
                                        ;       Child Loop BB251_47 Depth 3
	s_abs_i32 s7, s63
	s_mul_hi_u32 s8, s7, s69
	s_mul_i32 s9, s8, s66
	s_ashr_i32 s6, s63, 31
	s_sub_i32 s7, s7, s9
	s_xor_b32 s6, s6, s68
	s_add_i32 s9, s8, 1
	s_sub_i32 s10, s7, s66
	s_cmp_ge_u32 s7, s66
	s_cselect_b32 s8, s9, s8
	s_cselect_b32 s7, s10, s7
	s_add_i32 s9, s8, 1
	s_cmp_ge_u32 s7, s66
	s_cselect_b32 s7, s9, s8
	s_xor_b32 s7, s7, s6
	s_sub_i32 s6, s7, s6
	s_abs_i32 s8, s6
	s_mul_hi_u32 s9, s8, s71
	s_mul_i32 s7, s6, s33
	s_mul_i32 s10, s9, s67
	s_sub_i32 s74, s63, s7
	s_ashr_i32 s7, s6, 31
	s_sub_i32 s8, s8, s10
	s_xor_b32 s7, s7, s70
	s_add_i32 s10, s9, 1
	s_sub_i32 s11, s8, s67
	s_cmp_ge_u32 s8, s67
	s_cselect_b32 s9, s10, s9
	s_cselect_b32 s8, s11, s8
	s_add_i32 s10, s9, 1
	s_cmp_ge_u32 s8, s67
	s_cselect_b32 s8, s10, s9
	s_xor_b32 s8, s8, s7
	s_sub_i32 s7, s8, s7
	s_mul_i32 s8, s7, s64
	s_lshl_b32 s75, s8, 6
	s_mulk_i32 s74, 0x60
	s_cmp_eq_u32 s7, s40
	s_cselect_b32 s77, s65, s64
	s_sub_i32 s76, s74, s36
	s_addk_i32 s76, 0x60
	s_and_saveexec_b64 s[8:9], s[2:3]
	s_xor_b64 s[52:53], exec, s[8:9]
	s_cbranch_execz .LBB251_41
; %bb.8:                                ;   in Loop: Header=BB251_7 Depth=1
	s_mul_i32 s7, s7, s62
	s_sub_i32 s6, s6, s7
	s_lshl_b32 s6, s6, 5
	s_sub_i32 s14, s6, s37
	s_add_i32 s14, s14, 32
	s_max_i32 s7, s14, 0
	s_sub_i32 s54, s6, s7
	s_and_saveexec_b64 s[6:7], s[0:1]
	s_xor_b64 s[56:57], exec, s[6:7]
	s_cbranch_execz .LBB251_31
; %bb.9:                                ;   in Loop: Header=BB251_7 Depth=1
	s_and_saveexec_b64 s[58:59], s[4:5]
	s_cbranch_execz .LBB251_30
; %bb.10:                               ;   in Loop: Header=BB251_7 Depth=1
	s_waitcnt lgkmcnt(0)
	global_load_dword v72, v17, s[50:51]
	v_mov_b32_e32 v15, 0
	v_cmp_gt_i32_e32 vcc, s77, v71
	v_mov_b32_e32 v14, v15
	v_mov_b32_e32 v13, v15
	;; [unrolled: 1-line block ×15, first 2 shown]
	s_and_saveexec_b64 s[6:7], vcc
	s_cbranch_execz .LBB251_20
; %bb.11:                               ;   in Loop: Header=BB251_7 Depth=1
	v_mov_b32_e32 v0, 0
	s_mov_b64 s[8:9], 0
	v_mov_b32_e32 v1, v0
	v_mov_b32_e32 v2, v0
	;; [unrolled: 1-line block ×15, first 2 shown]
	s_branch .LBB251_13
.LBB251_12:                             ;   in Loop: Header=BB251_13 Depth=2
	s_or_b64 exec, exec, s[10:11]
	v_add_u32_e32 v78, v50, v76
	ds_read2_b32 v[76:77], v78 offset1:32
	v_add_u32_e32 v71, s43, v71
	s_waitcnt lgkmcnt(0)
	v_mfma_f32_32x32x16_fp8_fp8 v[0:15], v[44:45], v[76:77], v[0:15]
	ds_read2_b32 v[44:45], v78 offset0:128 offset1:160
	s_waitcnt lgkmcnt(0)
	v_mfma_f32_32x32x16_fp8_fp8 v[0:15], v[42:43], v[44:45], v[0:15]
	v_add_u32_e32 v44, 0x400, v78
	ds_read2_b32 v[42:43], v44 offset1:32
	ds_read2_b32 v[44:45], v44 offset0:128 offset1:160
	ds_write_b32 v74, v75 offset:40964
	s_waitcnt lgkmcnt(2)
	v_mfma_f32_32x32x16_fp8_fp8 v[0:15], v[40:41], v[42:43], v[0:15]
	v_add_u32_e32 v40, s43, v73
	v_add_u32_e32 v41, 2, v47
	v_cmp_lt_i32_e32 vcc, 4, v40
	s_nop 1
	v_cndmask_b32_e32 v47, v47, v41, vcc
	v_cmp_le_i32_e32 vcc, s77, v71
	s_waitcnt lgkmcnt(1)
	v_mfma_f32_32x32x16_fp8_fp8 v[0:15], v[38:39], v[44:45], v[0:15]
	s_or_b64 s[8:9], vcc, s[8:9]
	s_andn2_b64 exec, exec, s[8:9]
	s_cbranch_execz .LBB251_19
.LBB251_13:                             ;   Parent Loop BB251_7 Depth=1
                                        ; =>  This Loop Header: Depth=2
                                        ;       Child Loop BB251_15 Depth 3
                                        ;       Child Loop BB251_18 Depth 3
	v_cmp_gt_i32_e32 vcc, 5, v40
	s_nop 1
	v_cndmask_b32_e64 v38, -5, 0, vcc
	v_add_u32_e32 v73, v38, v40
	v_lshlrev_b32_e32 v74, 3, v73
	ds_read_b32 v38, v74 offset:40960
	s_waitcnt lgkmcnt(0)
	v_cmp_ne_u32_e32 vcc, v38, v47
	s_and_saveexec_b64 s[10:11], vcc
	s_cbranch_execz .LBB251_16
; %bb.14:                               ;   in Loop: Header=BB251_13 Depth=2
	s_mov_b64 s[12:13], 0
.LBB251_15:                             ;   Parent Loop BB251_7 Depth=1
                                        ;     Parent Loop BB251_13 Depth=2
                                        ; =>    This Inner Loop Header: Depth=3
	;;#ASMSTART
	s_sleep 0
	;;#ASMEND
	ds_read_b32 v38, v74 offset:40960
	s_waitcnt lgkmcnt(0)
	v_cmp_eq_u32_e32 vcc, v38, v47
	s_or_b64 s[12:13], vcc, s[12:13]
	s_andn2_b64 exec, exec, s[12:13]
	s_cbranch_execnz .LBB251_15
.LBB251_16:                             ;   in Loop: Header=BB251_13 Depth=2
	s_or_b64 exec, exec, s[10:11]
	v_lshlrev_b32_e32 v76, 11, v73
	v_or_b32_e32 v38, v49, v76
	ds_read2_b32 v[44:45], v38 offset1:32
	ds_read2_b32 v[42:43], v38 offset0:128 offset1:160
	v_add_u32_e32 v38, 0x400, v38
	ds_read2_b32 v[40:41], v38 offset1:32
	ds_read_b32 v77, v74 offset:40964
	ds_read2_b32 v[38:39], v38 offset0:128 offset1:160
	v_add_u32_e32 v75, 1, v47
	ds_write_b32 v74, v75 offset:40960
	s_waitcnt lgkmcnt(2)
	v_cmp_ne_u32_e32 vcc, v77, v47
	s_and_saveexec_b64 s[10:11], vcc
	s_cbranch_execz .LBB251_12
; %bb.17:                               ;   in Loop: Header=BB251_13 Depth=2
	s_mov_b64 s[12:13], 0
.LBB251_18:                             ;   Parent Loop BB251_7 Depth=1
                                        ;     Parent Loop BB251_13 Depth=2
                                        ; =>    This Inner Loop Header: Depth=3
	;;#ASMSTART
	s_sleep 0
	;;#ASMEND
	ds_read_b32 v77, v74 offset:40964
	s_waitcnt lgkmcnt(0)
	v_cmp_eq_u32_e32 vcc, v77, v47
	s_or_b64 s[12:13], vcc, s[12:13]
	s_andn2_b64 exec, exec, s[12:13]
	s_cbranch_execnz .LBB251_18
	s_branch .LBB251_12
.LBB251_19:                             ;   in Loop: Header=BB251_7 Depth=1
	s_or_b64 exec, exec, s[8:9]
.LBB251_20:                             ;   in Loop: Header=BB251_7 Depth=1
	s_or_b64 exec, exec, s[6:7]
	v_cmp_le_i32_e32 vcc, s14, v48
	v_cmp_eq_u32_e64 s[6:7], 3, v51
	v_cmp_eq_u32_e64 s[8:9], 4, v51
	s_waitcnt vmcnt(0)
	v_cndmask_b32_e32 v38, 0, v72, vcc
	s_nop 1
	v_pk_mul_f32 v[0:1], v[38:39], v[0:1] op_sel_hi:[0,1]
	v_cmp_eq_u32_e32 vcc, 1, v51
	v_pk_mul_f32 v[14:15], v[38:39], v[14:15] op_sel_hi:[0,1]
	v_pk_mul_f32 v[12:13], v[38:39], v[12:13] op_sel_hi:[0,1]
	;; [unrolled: 1-line block ×7, first 2 shown]
	v_cndmask_b32_e32 v38, v0, v1, vcc
	v_cmp_eq_u32_e32 vcc, 2, v51
	v_cmp_eq_u32_e64 s[10:11], 5, v51
	v_cmp_eq_u32_e64 s[12:13], 6, v51
	v_cndmask_b32_e32 v38, v38, v2, vcc
	v_cndmask_b32_e64 v38, v38, v3, s[6:7]
	v_cndmask_b32_e64 v38, v38, v4, s[8:9]
	;; [unrolled: 1-line block ×4, first 2 shown]
	v_cmp_eq_u32_e64 s[14:15], 7, v51
	v_cmp_eq_u32_e64 s[16:17], 8, v51
	v_cmp_eq_u32_e64 s[18:19], 9, v51
	v_cndmask_b32_e64 v38, v38, v7, s[14:15]
	v_cndmask_b32_e64 v38, v38, v8, s[16:17]
	v_cndmask_b32_e64 v38, v38, v9, s[18:19]
	v_cmp_eq_u32_e64 s[20:21], 10, v51
	v_cmp_eq_u32_e64 s[22:23], 11, v51
	v_cmp_eq_u32_e64 s[24:25], 12, v51
	v_cndmask_b32_e64 v38, v38, v10, s[20:21]
	v_cndmask_b32_e64 v38, v38, v11, s[22:23]
	v_cndmask_b32_e64 v38, v38, v12, s[24:25]
	;; [unrolled: 6-line block ×3, first 2 shown]
	ds_bpermute_b32 v38, v70, v38
	v_cmp_eq_u32_e64 s[34:35], 15, v52
	s_waitcnt lgkmcnt(0)
	v_cndmask_b32_e32 v2, v2, v38, vcc
	v_cmp_ne_u32_e32 vcc, 0, v51
	v_cndmask_b32_e64 v15, v15, v38, s[30:31]
	v_cndmask_b32_e64 v14, v14, v38, s[28:29]
	v_cndmask_b32_e32 v1, v1, v38, vcc
	v_cmp_eq_u32_e32 vcc, 0, v51
	v_cndmask_b32_e64 v13, v13, v38, s[26:27]
	v_cndmask_b32_e64 v12, v12, v38, s[24:25]
	v_cndmask_b32_e32 v0, v0, v38, vcc
	v_cmp_eq_u32_e32 vcc, 1, v52
	v_cndmask_b32_e64 v11, v11, v38, s[22:23]
	v_cndmask_b32_e64 v10, v10, v38, s[20:21]
	;; [unrolled: 1-line block ×9, first 2 shown]
	v_cndmask_b32_e32 v38, v0, v1, vcc
	v_cmp_eq_u32_e64 s[6:7], 2, v52
	v_cmp_eq_u32_e64 s[8:9], 3, v52
	v_cmp_eq_u32_e64 s[10:11], 4, v52
	v_cndmask_b32_e64 v38, v38, v2, s[6:7]
	v_cndmask_b32_e64 v38, v38, v3, s[8:9]
	v_cndmask_b32_e64 v38, v38, v4, s[10:11]
	v_cmp_eq_u32_e64 s[12:13], 5, v52
	v_cmp_eq_u32_e64 s[14:15], 6, v52
	v_cmp_eq_u32_e64 s[16:17], 7, v52
	v_cndmask_b32_e64 v38, v38, v5, s[12:13]
	v_cndmask_b32_e64 v38, v38, v6, s[14:15]
	v_cndmask_b32_e64 v38, v38, v7, s[16:17]
	;; [unrolled: 6-line block ×4, first 2 shown]
	v_cmp_eq_u32_e64 s[30:31], 14, v52
	s_nop 1
	v_cndmask_b32_e64 v38, v38, v14, s[30:31]
	v_cndmask_b32_e64 v38, v38, v15, s[34:35]
	ds_bpermute_b32 v38, v70, v38
	s_waitcnt lgkmcnt(0)
	v_cndmask_b32_e32 v1, v1, v38, vcc
	v_cmp_eq_u32_e32 vcc, 0, v52
	v_cndmask_b32_e64 v15, v15, v38, s[34:35]
	v_cndmask_b32_e64 v14, v14, v38, s[30:31]
	v_cndmask_b32_e32 v0, v0, v38, vcc
	v_cmp_eq_u32_e32 vcc, 1, v53
	v_cndmask_b32_e64 v13, v13, v38, s[28:29]
	v_cndmask_b32_e64 v12, v12, v38, s[26:27]
	v_cndmask_b32_e64 v11, v11, v38, s[24:25]
	v_cndmask_b32_e64 v10, v10, v38, s[22:23]
	v_cndmask_b32_e64 v9, v9, v38, s[20:21]
	v_cndmask_b32_e64 v8, v8, v38, s[18:19]
	v_cndmask_b32_e64 v7, v7, v38, s[16:17]
	v_cndmask_b32_e64 v6, v6, v38, s[14:15]
	v_cndmask_b32_e64 v5, v5, v38, s[12:13]
	v_cndmask_b32_e64 v4, v4, v38, s[10:11]
	v_cndmask_b32_e64 v3, v3, v38, s[8:9]
	v_cndmask_b32_e64 v2, v2, v38, s[6:7]
	v_cndmask_b32_e32 v38, v0, v1, vcc
	v_cmp_eq_u32_e64 s[6:7], 2, v53
	v_cmp_eq_u32_e64 s[8:9], 3, v53
	v_cmp_eq_u32_e64 s[10:11], 4, v53
	v_cndmask_b32_e64 v38, v38, v2, s[6:7]
	v_cndmask_b32_e64 v38, v38, v3, s[8:9]
	v_cndmask_b32_e64 v38, v38, v4, s[10:11]
	v_cmp_eq_u32_e64 s[12:13], 5, v53
	v_cmp_eq_u32_e64 s[14:15], 6, v53
	v_cmp_eq_u32_e64 s[16:17], 7, v53
	v_cndmask_b32_e64 v38, v38, v5, s[12:13]
	v_cndmask_b32_e64 v38, v38, v6, s[14:15]
	v_cndmask_b32_e64 v38, v38, v7, s[16:17]
	v_cmp_eq_u32_e64 s[18:19], 8, v53
	v_cmp_eq_u32_e64 s[20:21], 9, v53
	v_cmp_eq_u32_e64 s[22:23], 10, v53
	v_cndmask_b32_e64 v38, v38, v8, s[18:19]
	v_cndmask_b32_e64 v38, v38, v9, s[20:21]
	v_cndmask_b32_e64 v38, v38, v10, s[22:23]
	v_cmp_eq_u32_e64 s[24:25], 11, v53
	v_cmp_eq_u32_e64 s[26:27], 12, v53
	v_cmp_eq_u32_e64 s[28:29], 13, v53
	v_cndmask_b32_e64 v38, v38, v11, s[24:25]
	v_cndmask_b32_e64 v38, v38, v12, s[26:27]
	v_cndmask_b32_e64 v38, v38, v13, s[28:29]
	v_cmp_eq_u32_e64 s[30:31], 14, v53
	v_cmp_eq_u32_e64 s[34:35], 15, v53
	s_nop 0
	v_cndmask_b32_e64 v38, v38, v14, s[30:31]
	v_cndmask_b32_e64 v38, v38, v15, s[34:35]
	ds_bpermute_b32 v38, v70, v38
	s_waitcnt lgkmcnt(0)
	v_cndmask_b32_e32 v1, v1, v38, vcc
	v_cmp_eq_u32_e32 vcc, 0, v53
	v_cndmask_b32_e64 v15, v15, v38, s[34:35]
	v_cndmask_b32_e64 v14, v14, v38, s[30:31]
	v_cndmask_b32_e32 v0, v0, v38, vcc
	v_cmp_eq_u32_e32 vcc, 1, v54
	v_cndmask_b32_e64 v13, v13, v38, s[28:29]
	v_cndmask_b32_e64 v12, v12, v38, s[26:27]
	v_cndmask_b32_e64 v11, v11, v38, s[24:25]
	v_cndmask_b32_e64 v10, v10, v38, s[22:23]
	v_cndmask_b32_e64 v9, v9, v38, s[20:21]
	v_cndmask_b32_e64 v8, v8, v38, s[18:19]
	v_cndmask_b32_e64 v7, v7, v38, s[16:17]
	v_cndmask_b32_e64 v6, v6, v38, s[14:15]
	v_cndmask_b32_e64 v5, v5, v38, s[12:13]
	v_cndmask_b32_e64 v4, v4, v38, s[10:11]
	v_cndmask_b32_e64 v3, v3, v38, s[8:9]
	v_cndmask_b32_e64 v2, v2, v38, s[6:7]
	v_cndmask_b32_e32 v38, v0, v1, vcc
	v_cmp_eq_u32_e64 s[6:7], 2, v54
	v_cmp_eq_u32_e64 s[8:9], 3, v54
	v_cmp_eq_u32_e64 s[10:11], 4, v54
	v_cndmask_b32_e64 v38, v38, v2, s[6:7]
	v_cndmask_b32_e64 v38, v38, v3, s[8:9]
	v_cndmask_b32_e64 v38, v38, v4, s[10:11]
	v_cmp_eq_u32_e64 s[12:13], 5, v54
	v_cmp_eq_u32_e64 s[14:15], 6, v54
	v_cmp_eq_u32_e64 s[16:17], 7, v54
	v_cndmask_b32_e64 v38, v38, v5, s[12:13]
	v_cndmask_b32_e64 v38, v38, v6, s[14:15]
	v_cndmask_b32_e64 v38, v38, v7, s[16:17]
	v_cmp_eq_u32_e64 s[18:19], 8, v54
	v_cmp_eq_u32_e64 s[20:21], 9, v54
	v_cmp_eq_u32_e64 s[22:23], 10, v54
	v_cndmask_b32_e64 v38, v38, v8, s[18:19]
	v_cndmask_b32_e64 v38, v38, v9, s[20:21]
	v_cndmask_b32_e64 v38, v38, v10, s[22:23]
	v_cmp_eq_u32_e64 s[24:25], 11, v54
	v_cmp_eq_u32_e64 s[26:27], 12, v54
	v_cmp_eq_u32_e64 s[28:29], 13, v54
	v_cndmask_b32_e64 v38, v38, v11, s[24:25]
	v_cndmask_b32_e64 v38, v38, v12, s[26:27]
	v_cndmask_b32_e64 v38, v38, v13, s[28:29]
	v_cmp_eq_u32_e64 s[30:31], 14, v54
	;; [unrolled: 50-line block ×4, first 2 shown]
	v_cmp_eq_u32_e64 s[34:35], 15, v56
	s_nop 0
	v_cndmask_b32_e64 v38, v38, v14, s[30:31]
	v_cndmask_b32_e64 v38, v38, v15, s[34:35]
	ds_bpermute_b32 v38, v70, v38
	s_waitcnt lgkmcnt(0)
	v_cndmask_b32_e32 v1, v1, v38, vcc
	v_cmp_eq_u32_e32 vcc, 0, v56
	v_cndmask_b32_e64 v15, v15, v38, s[34:35]
	v_cndmask_b32_e64 v14, v14, v38, s[30:31]
	;; [unrolled: 1-line block ×14, first 2 shown]
	v_cndmask_b32_e32 v38, v0, v38, vcc
	v_cmp_eq_u32_e32 vcc, 1, v57
	v_cmp_eq_u32_e64 s[6:7], 2, v57
	v_cmp_eq_u32_e64 s[8:9], 3, v57
	v_cndmask_b32_e32 v0, v38, v1, vcc
	v_cndmask_b32_e64 v0, v0, v73, s[6:7]
	v_cndmask_b32_e64 v0, v0, v72, s[8:9]
	v_cmp_eq_u32_e64 s[10:11], 4, v57
	v_cmp_eq_u32_e64 s[12:13], 5, v57
	v_cmp_eq_u32_e64 s[14:15], 6, v57
	v_cndmask_b32_e64 v0, v0, v45, s[10:11]
	v_cndmask_b32_e64 v0, v0, v44, s[12:13]
	v_cndmask_b32_e64 v0, v0, v43, s[14:15]
	v_cmp_eq_u32_e64 s[16:17], 7, v57
	v_cmp_eq_u32_e64 s[18:19], 8, v57
	v_cmp_eq_u32_e64 s[20:21], 9, v57
	v_cndmask_b32_e64 v0, v0, v42, s[16:17]
	v_cndmask_b32_e64 v0, v0, v41, s[18:19]
	v_cndmask_b32_e64 v0, v0, v39, s[20:21]
	v_cmp_eq_u32_e64 s[22:23], 10, v57
	v_cmp_eq_u32_e64 s[24:25], 11, v57
	v_cmp_eq_u32_e64 s[26:27], 12, v57
	v_cndmask_b32_e64 v0, v0, v10, s[22:23]
	v_cndmask_b32_e64 v0, v0, v11, s[24:25]
	v_cndmask_b32_e64 v0, v0, v12, s[26:27]
	v_cmp_eq_u32_e64 s[28:29], 13, v57
	v_cmp_eq_u32_e64 s[30:31], 14, v57
	v_cmp_eq_u32_e64 s[34:35], 15, v57
	v_cndmask_b32_e64 v0, v0, v13, s[28:29]
	v_cndmask_b32_e64 v0, v0, v14, s[30:31]
	v_cndmask_b32_e64 v0, v0, v15, s[34:35]
	ds_bpermute_b32 v74, v70, v0
	s_waitcnt lgkmcnt(0)
	v_cndmask_b32_e32 v0, v1, v74, vcc
	v_cmp_eq_u32_e32 vcc, 0, v57
	v_cndmask_b32_e64 v4, v15, v74, s[34:35]
	v_cndmask_b32_e64 v15, v73, v74, s[6:7]
	v_cndmask_b32_e32 v1, v38, v74, vcc
	v_cmp_eq_u32_e32 vcc, 1, v58
	v_cndmask_b32_e64 v5, v14, v74, s[30:31]
	v_cndmask_b32_e64 v14, v72, v74, s[8:9]
	;; [unrolled: 4-line block ×7, first 2 shown]
	v_cndmask_b32_e32 v38, v38, v13, vcc
	v_cmp_eq_u32_e32 vcc, 7, v58
	s_nop 1
	v_cndmask_b32_e32 v38, v38, v12, vcc
	v_cmp_eq_u32_e32 vcc, 8, v58
	s_nop 1
	;; [unrolled: 3-line block ×9, first 2 shown]
	v_cndmask_b32_e32 v38, v38, v4, vcc
	ds_bpermute_b32 v38, v70, v38
	v_cmp_lt_i32_e32 vcc, s76, v59
	s_and_saveexec_b64 s[60:61], vcc
	s_cbranch_execz .LBB251_29
; %bb.21:                               ;   in Loop: Header=BB251_7 Depth=1
	s_mul_i32 s6, s74, s37
	s_ashr_i32 s7, s6, 31
	s_lshl_b64 s[6:7], s[6:7], 1
	v_cmp_eq_u32_e64 s[30:31], 1, v58
	s_add_u32 s8, s48, s6
	s_addc_u32 s9, s49, s7
	s_waitcnt lgkmcnt(0)
	v_cndmask_b32_e64 v0, v0, v38, s[30:31]
	v_cmp_eq_u32_e64 s[30:31], 0, v58
	s_ashr_i32 s55, s54, 31
	s_lshl_b64 s[6:7], s[54:55], 1
	v_cndmask_b32_e64 v1, v1, v38, s[30:31]
	v_cvt_f16_f32_e32 v39, v1
	v_cvt_f16_f32_sdwa v41, v0 dst_sel:WORD_1 dst_unused:UNUSED_PAD src0_sel:DWORD
	s_add_u32 s34, s8, s6
	s_addc_u32 s35, s9, s7
	v_cmp_eq_u32_e64 s[8:9], 15, v58
	v_cmp_eq_u32_e64 s[10:11], 14, v58
	;; [unrolled: 1-line block ×10, first 2 shown]
	v_cmp_eq_u32_e32 vcc, 5, v58
	v_cmp_eq_u32_e64 s[6:7], 4, v58
	v_cmp_eq_u32_e64 s[28:29], 3, v58
	;; [unrolled: 1-line block ×3, first 2 shown]
	v_lshl_add_u64 v[0:1], s[34:35], 0, v[16:17]
	v_cmp_lt_i32_e64 s[34:35], s76, v60
	v_lshl_add_u64 v[42:43], v[18:19], 1, v[0:1]
	v_or_b32_e32 v39, v41, v39
	;;#ASMSTART
	global_atomic_pk_add_f16 v[42:43], v39, off
	
	;;#ASMEND
	s_and_b64 exec, exec, s[34:35]
	s_cbranch_execz .LBB251_29
; %bb.22:                               ;   in Loop: Header=BB251_7 Depth=1
	v_cndmask_b32_e64 v14, v14, v38, s[28:29]
	v_cndmask_b32_e64 v15, v15, v38, s[30:31]
	v_cvt_f16_f32_e32 v39, v15
	v_cvt_f16_f32_sdwa v41, v14 dst_sel:WORD_1 dst_unused:UNUSED_PAD src0_sel:DWORD
	v_cndmask_b32_e64 v4, v4, v38, s[8:9]
	v_cndmask_b32_e64 v5, v5, v38, s[10:11]
	;; [unrolled: 1-line block ×10, first 2 shown]
	v_cndmask_b32_e32 v2, v2, v38, vcc
	v_cndmask_b32_e64 v3, v3, v38, s[6:7]
	v_cmp_lt_i32_e32 vcc, s76, v61
	v_lshl_add_u64 v[14:15], v[20:21], 1, v[0:1]
	v_or_b32_e32 v38, v41, v39
	;;#ASMSTART
	global_atomic_pk_add_f16 v[14:15], v38, off
	
	;;#ASMEND
	s_and_b64 exec, exec, vcc
	s_cbranch_execz .LBB251_29
; %bb.23:                               ;   in Loop: Header=BB251_7 Depth=1
	v_cvt_f16_f32_e32 v14, v3
	v_cvt_f16_f32_sdwa v15, v2 dst_sel:WORD_1 dst_unused:UNUSED_PAD src0_sel:DWORD
	v_cmp_lt_i32_e32 vcc, s76, v62
	v_lshl_add_u64 v[2:3], v[22:23], 1, v[0:1]
	v_or_b32_e32 v14, v15, v14
	;;#ASMSTART
	global_atomic_pk_add_f16 v[2:3], v14, off
	
	;;#ASMEND
	s_and_b64 exec, exec, vcc
	s_cbranch_execz .LBB251_29
; %bb.24:                               ;   in Loop: Header=BB251_7 Depth=1
	v_cvt_f16_f32_e32 v13, v13
	v_cvt_f16_f32_sdwa v12, v12 dst_sel:WORD_1 dst_unused:UNUSED_PAD src0_sel:DWORD
	;; [unrolled: 12-line block ×6, first 2 shown]
	v_lshl_add_u64 v[0:1], v[32:33], 1, v[0:1]
	v_or_b32_e32 v2, v3, v2
	;;#ASMSTART
	global_atomic_pk_add_f16 v[0:1], v2, off
	
	;;#ASMEND
.LBB251_29:                             ;   in Loop: Header=BB251_7 Depth=1
	s_or_b64 exec, exec, s[60:61]
	v_subrev_u32_e32 v71, s77, v71
.LBB251_30:                             ;   in Loop: Header=BB251_7 Depth=1
	s_or_b64 exec, exec, s[58:59]
.LBB251_31:                             ;   in Loop: Header=BB251_7 Depth=1
	s_andn2_saveexec_b64 s[6:7], s[56:57]
	s_cbranch_execz .LBB251_40
; %bb.32:                               ;   in Loop: Header=BB251_7 Depth=1
	v_cmp_gt_i32_e32 vcc, s77, v71
	s_and_saveexec_b64 s[8:9], vcc
	s_cbranch_execz .LBB251_39
; %bb.33:                               ;   in Loop: Header=BB251_7 Depth=1
	s_mul_i32 s10, s54, s39
	s_ashr_i32 s11, s10, 31
	s_waitcnt lgkmcnt(0)
	s_add_u32 s10, s46, s10
	s_addc_u32 s11, s47, s11
	s_ashr_i32 s12, s75, 31
	s_add_u32 s10, s10, s75
	s_addc_u32 s11, s11, s12
	v_lshl_add_u64 v[0:1], s[10:11], 0, v[36:37]
	v_lshl_add_u64 v[8:9], v[0:1], 0, v[34:35]
	s_mov_b64 s[10:11], 0
	s_branch .LBB251_35
.LBB251_34:                             ;   in Loop: Header=BB251_35 Depth=2
	s_or_b64 exec, exec, s[12:13]
	v_lshl_add_u32 v12, v10, 11, v67
	;;#ASMSTART
	s_waitcnt vmcnt(1)
	;;#ASMEND
	ds_write2_b32 v12, v4, v5 offset1:32
	ds_write2_b32 v12, v6, v7 offset0:64 offset1:96
	v_add_u32_e32 v4, 0x400, v12
	v_add_u32_e32 v71, s42, v71
	;;#ASMSTART
	s_waitcnt vmcnt(0)
	;;#ASMEND
	ds_write2_b32 v4, v0, v1 offset1:32
	ds_write2_b32 v4, v2, v3 offset0:64 offset1:96
	v_add_u32_e32 v0, 1, v47
	v_add_u32_e32 v40, s42, v10
	v_cmp_le_i32_e32 vcc, s77, v71
	ds_write_b32 v11, v0 offset:60
	v_add_u32_e32 v0, 2, v47
	s_or_b64 s[10:11], vcc, s[10:11]
	v_cmp_lt_i32_e32 vcc, 4, v40
	s_nop 1
	v_cndmask_b32_e32 v47, v47, v0, vcc
	s_andn2_b64 exec, exec, s[10:11]
	s_cbranch_execz .LBB251_38
.LBB251_35:                             ;   Parent Loop BB251_7 Depth=1
                                        ; =>  This Loop Header: Depth=2
                                        ;       Child Loop BB251_37 Depth 3
	v_cmp_gt_i32_e32 vcc, 5, v40
	s_nop 1
	v_cndmask_b32_e64 v0, -5, 0, vcc
	v_add_u32_e32 v10, v0, v40
	v_lshlrev_b32_e32 v0, 6, v71
	v_ashrrev_i32_e32 v1, 31, v0
	v_lshl_add_u64 v[0:1], v[8:9], 0, v[0:1]
	v_lshlrev_b32_e32 v11, 2, v10
	;;#ASMSTART
	global_load_dwordx4 v[4:7], v[0:1], off offset:0   sc0 sc1 nt  
	global_load_dwordx4 v[0:3], v[0:1], off offset:32  sc0 sc1 nt  
	
	;;#ASMEND
	ds_read_b32 v12, v11 offset:41020
	v_add_u32_e32 v11, 0xa000, v11
	s_waitcnt lgkmcnt(0)
	v_cmp_ne_u32_e32 vcc, v12, v47
	s_and_saveexec_b64 s[12:13], vcc
	s_cbranch_execz .LBB251_34
; %bb.36:                               ;   in Loop: Header=BB251_35 Depth=2
	s_mov_b64 s[14:15], 0
.LBB251_37:                             ;   Parent Loop BB251_7 Depth=1
                                        ;     Parent Loop BB251_35 Depth=2
                                        ; =>    This Inner Loop Header: Depth=3
	;;#ASMSTART
	s_sleep 0
	;;#ASMEND
	ds_read_b32 v12, v11 offset:60
	s_waitcnt lgkmcnt(0)
	v_cmp_eq_u32_e32 vcc, v12, v47
	s_or_b64 s[14:15], vcc, s[14:15]
	s_andn2_b64 exec, exec, s[14:15]
	s_cbranch_execnz .LBB251_37
	s_branch .LBB251_34
.LBB251_38:                             ;   in Loop: Header=BB251_7 Depth=1
	s_or_b64 exec, exec, s[10:11]
.LBB251_39:                             ;   in Loop: Header=BB251_7 Depth=1
	s_or_b64 exec, exec, s[8:9]
	v_subrev_u32_e32 v71, s77, v71
.LBB251_40:                             ;   in Loop: Header=BB251_7 Depth=1
	s_or_b64 exec, exec, s[6:7]
.LBB251_41:                             ;   in Loop: Header=BB251_7 Depth=1
	s_andn2_saveexec_b64 s[6:7], s[52:53]
	s_cbranch_execz .LBB251_6
; %bb.42:                               ;   in Loop: Header=BB251_7 Depth=1
	s_mul_i32 s77, s77, 3
	v_cmp_gt_i32_e32 vcc, s77, v71
	s_and_saveexec_b64 s[8:9], vcc
	s_cbranch_execz .LBB251_5
; %bb.43:                               ;   in Loop: Header=BB251_7 Depth=1
	s_mul_i32 s74, s74, s38
	s_max_i32 s12, s76, 0
	s_ashr_i32 s10, s74, 31
	s_waitcnt lgkmcnt(0)
	s_add_u32 s11, s44, s74
	v_add_u32_e32 v2, s12, v48
	s_addc_u32 s13, s45, s10
	s_ashr_i32 s14, s75, 31
	v_cmp_gt_u32_e32 vcc, s72, v2
	s_add_u32 s10, s11, s75
	s_addc_u32 s11, s13, s14
	v_cndmask_b32_e32 v0, 0, v68, vcc
	v_ashrrev_i32_e32 v1, 31, v0
	v_lshl_add_u64 v[0:1], s[10:11], 0, v[0:1]
	v_lshl_add_u64 v[8:9], v[0:1], 0, v[34:35]
	v_sub_u32_e32 v10, 0x5f, v2
	s_mov_b64 s[10:11], 0
	s_branch .LBB251_45
.LBB251_44:                             ;   in Loop: Header=BB251_45 Depth=2
	s_or_b64 exec, exec, s[12:13]
	v_lshl_or_b32 v13, v11, 11, v69
	;;#ASMSTART
	s_waitcnt vmcnt(1)
	;;#ASMEND
	ds_write2_b32 v13, v4, v5 offset1:32
	ds_write2_b32 v13, v6, v7 offset0:64 offset1:96
	v_add_u32_e32 v4, 0x400, v13
	v_add_u32_e32 v71, s41, v71
	;;#ASMSTART
	s_waitcnt vmcnt(0)
	;;#ASMEND
	ds_write2_b32 v4, v0, v1 offset1:32
	ds_write2_b32 v4, v2, v3 offset0:64 offset1:96
	v_add_u32_e32 v0, 1, v47
	v_add_u32_e32 v40, s41, v11
	v_cmp_le_i32_e32 vcc, s77, v71
	ds_write_b32 v12, v0
	v_add_u32_e32 v0, 2, v47
	s_or_b64 s[10:11], vcc, s[10:11]
	v_cmp_lt_i32_e32 vcc, 14, v40
	s_nop 1
	v_cndmask_b32_e32 v47, v47, v0, vcc
	s_andn2_b64 exec, exec, s[10:11]
	s_cbranch_execz .LBB251_4
.LBB251_45:                             ;   Parent Loop BB251_7 Depth=1
                                        ; =>  This Loop Header: Depth=2
                                        ;       Child Loop BB251_47 Depth 3
	v_cmp_gt_i32_e32 vcc, 15, v40
	s_nop 1
	v_cndmask_b32_e64 v0, -15, 0, vcc
	v_add_u32_e32 v11, v0, v40
	v_mul_hi_i32 v0, v71, s73
	v_lshrrev_b32_e32 v1, 31, v0
	v_add_u32_e32 v0, v0, v1
	v_lshl_add_u32 v1, v0, 1, v0
	v_sub_u32_e32 v1, v71, v1
	v_lshlrev_b32_e32 v1, 5, v1
	v_cmp_le_i32_e32 vcc, v1, v10
	v_lshlrev_b32_e32 v0, 6, v0
	v_lshlrev_b32_e32 v12, 2, v11
	v_cndmask_b32_e32 v2, 0, v1, vcc
	v_ashrrev_i32_e32 v1, 31, v0
	v_mul_lo_u32 v2, v2, s38
	v_lshl_add_u64 v[0:1], v[8:9], 0, v[0:1]
	v_ashrrev_i32_e32 v3, 31, v2
	v_lshl_add_u64 v[0:1], v[0:1], 0, v[2:3]
	;;#ASMSTART
	global_load_dwordx4 v[4:7], v[0:1], off offset:0   
	global_load_dwordx4 v[0:3], v[0:1], off offset:32  
	
	;;#ASMEND
	ds_read_b32 v13, v12 offset:40960
	v_add_u32_e32 v12, 0xa000, v12
	s_waitcnt lgkmcnt(0)
	v_cmp_ne_u32_e32 vcc, v13, v47
	s_and_saveexec_b64 s[12:13], vcc
	s_cbranch_execz .LBB251_44
; %bb.46:                               ;   in Loop: Header=BB251_45 Depth=2
	s_mov_b64 s[14:15], 0
.LBB251_47:                             ;   Parent Loop BB251_7 Depth=1
                                        ;     Parent Loop BB251_45 Depth=2
                                        ; =>    This Inner Loop Header: Depth=3
	;;#ASMSTART
	s_sleep 0
	;;#ASMEND
	ds_read_b32 v13, v12
	s_waitcnt lgkmcnt(0)
	v_cmp_eq_u32_e32 vcc, v13, v47
	s_or_b64 s[14:15], vcc, s[14:15]
	s_andn2_b64 exec, exec, s[14:15]
	s_cbranch_execnz .LBB251_47
	s_branch .LBB251_44
.LBB251_48:
	s_endpgm
	.section	.rodata,"a",@progbits
	.p2align	6, 0x0
	.amdhsa_kernel _Z19_skinny_gemm_kernelILi3ELi1ELi5ELi32ELi4EEvPKhS1_P6__halfPKfiiiiiiii
		.amdhsa_group_segment_fixed_size 41040
		.amdhsa_private_segment_fixed_size 0
		.amdhsa_kernarg_size 64
		.amdhsa_user_sgpr_count 2
		.amdhsa_user_sgpr_dispatch_ptr 0
		.amdhsa_user_sgpr_queue_ptr 0
		.amdhsa_user_sgpr_kernarg_segment_ptr 1
		.amdhsa_user_sgpr_dispatch_id 0
		.amdhsa_user_sgpr_kernarg_preload_length 0
		.amdhsa_user_sgpr_kernarg_preload_offset 0
		.amdhsa_user_sgpr_private_segment_size 0
		.amdhsa_uses_dynamic_stack 0
		.amdhsa_enable_private_segment 0
		.amdhsa_system_sgpr_workgroup_id_x 1
		.amdhsa_system_sgpr_workgroup_id_y 0
		.amdhsa_system_sgpr_workgroup_id_z 0
		.amdhsa_system_sgpr_workgroup_info 0
		.amdhsa_system_vgpr_workitem_id 0
		.amdhsa_next_free_vgpr 79
		.amdhsa_next_free_sgpr 78
		.amdhsa_accum_offset 80
		.amdhsa_reserve_vcc 1
		.amdhsa_float_round_mode_32 0
		.amdhsa_float_round_mode_16_64 0
		.amdhsa_float_denorm_mode_32 3
		.amdhsa_float_denorm_mode_16_64 3
		.amdhsa_dx10_clamp 1
		.amdhsa_ieee_mode 1
		.amdhsa_fp16_overflow 0
		.amdhsa_tg_split 0
		.amdhsa_exception_fp_ieee_invalid_op 0
		.amdhsa_exception_fp_denorm_src 0
		.amdhsa_exception_fp_ieee_div_zero 0
		.amdhsa_exception_fp_ieee_overflow 0
		.amdhsa_exception_fp_ieee_underflow 0
		.amdhsa_exception_fp_ieee_inexact 0
		.amdhsa_exception_int_div_zero 0
	.end_amdhsa_kernel
	.section	.text._Z19_skinny_gemm_kernelILi3ELi1ELi5ELi32ELi4EEvPKhS1_P6__halfPKfiiiiiiii,"axG",@progbits,_Z19_skinny_gemm_kernelILi3ELi1ELi5ELi32ELi4EEvPKhS1_P6__halfPKfiiiiiiii,comdat
.Lfunc_end251:
	.size	_Z19_skinny_gemm_kernelILi3ELi1ELi5ELi32ELi4EEvPKhS1_P6__halfPKfiiiiiiii, .Lfunc_end251-_Z19_skinny_gemm_kernelILi3ELi1ELi5ELi32ELi4EEvPKhS1_P6__halfPKfiiiiiiii
                                        ; -- End function
	.set _Z19_skinny_gemm_kernelILi3ELi1ELi5ELi32ELi4EEvPKhS1_P6__halfPKfiiiiiiii.num_vgpr, 79
	.set _Z19_skinny_gemm_kernelILi3ELi1ELi5ELi32ELi4EEvPKhS1_P6__halfPKfiiiiiiii.num_agpr, 0
	.set _Z19_skinny_gemm_kernelILi3ELi1ELi5ELi32ELi4EEvPKhS1_P6__halfPKfiiiiiiii.numbered_sgpr, 78
	.set _Z19_skinny_gemm_kernelILi3ELi1ELi5ELi32ELi4EEvPKhS1_P6__halfPKfiiiiiiii.num_named_barrier, 0
	.set _Z19_skinny_gemm_kernelILi3ELi1ELi5ELi32ELi4EEvPKhS1_P6__halfPKfiiiiiiii.private_seg_size, 0
	.set _Z19_skinny_gemm_kernelILi3ELi1ELi5ELi32ELi4EEvPKhS1_P6__halfPKfiiiiiiii.uses_vcc, 1
	.set _Z19_skinny_gemm_kernelILi3ELi1ELi5ELi32ELi4EEvPKhS1_P6__halfPKfiiiiiiii.uses_flat_scratch, 0
	.set _Z19_skinny_gemm_kernelILi3ELi1ELi5ELi32ELi4EEvPKhS1_P6__halfPKfiiiiiiii.has_dyn_sized_stack, 0
	.set _Z19_skinny_gemm_kernelILi3ELi1ELi5ELi32ELi4EEvPKhS1_P6__halfPKfiiiiiiii.has_recursion, 0
	.set _Z19_skinny_gemm_kernelILi3ELi1ELi5ELi32ELi4EEvPKhS1_P6__halfPKfiiiiiiii.has_indirect_call, 0
	.section	.AMDGPU.csdata,"",@progbits
; Kernel info:
; codeLenInByte = 6064
; TotalNumSgprs: 84
; NumVgprs: 79
; NumAgprs: 0
; TotalNumVgprs: 79
; ScratchSize: 0
; MemoryBound: 0
; FloatMode: 240
; IeeeMode: 1
; LDSByteSize: 41040 bytes/workgroup (compile time only)
; SGPRBlocks: 10
; VGPRBlocks: 9
; NumSGPRsForWavesPerEU: 84
; NumVGPRsForWavesPerEU: 79
; AccumOffset: 80
; Occupancy: 6
; WaveLimiterHint : 0
; COMPUTE_PGM_RSRC2:SCRATCH_EN: 0
; COMPUTE_PGM_RSRC2:USER_SGPR: 2
; COMPUTE_PGM_RSRC2:TRAP_HANDLER: 0
; COMPUTE_PGM_RSRC2:TGID_X_EN: 1
; COMPUTE_PGM_RSRC2:TGID_Y_EN: 0
; COMPUTE_PGM_RSRC2:TGID_Z_EN: 0
; COMPUTE_PGM_RSRC2:TIDIG_COMP_CNT: 0
; COMPUTE_PGM_RSRC3_GFX90A:ACCUM_OFFSET: 19
; COMPUTE_PGM_RSRC3_GFX90A:TG_SPLIT: 0
	.section	.text._Z19_skinny_gemm_kernelILi3ELi1ELi6ELi16ELi4EEvPKhS1_P6__halfPKfiiiiiiii,"axG",@progbits,_Z19_skinny_gemm_kernelILi3ELi1ELi6ELi16ELi4EEvPKhS1_P6__halfPKfiiiiiiii,comdat
	.protected	_Z19_skinny_gemm_kernelILi3ELi1ELi6ELi16ELi4EEvPKhS1_P6__halfPKfiiiiiiii ; -- Begin function _Z19_skinny_gemm_kernelILi3ELi1ELi6ELi16ELi4EEvPKhS1_P6__halfPKfiiiiiiii
	.globl	_Z19_skinny_gemm_kernelILi3ELi1ELi6ELi16ELi4EEvPKhS1_P6__halfPKfiiiiiiii
	.p2align	8
	.type	_Z19_skinny_gemm_kernelILi3ELi1ELi6ELi16ELi4EEvPKhS1_P6__halfPKfiiiiiiii,@function
_Z19_skinny_gemm_kernelILi3ELi1ELi6ELi16ELi4EEvPKhS1_P6__halfPKfiiiiiiii: ; @_Z19_skinny_gemm_kernelILi3ELi1ELi6ELi16ELi4EEvPKhS1_P6__halfPKfiiiiiiii
; %bb.0:
	v_cmp_gt_u32_e32 vcc, 24, v0
	v_lshlrev_b32_e32 v1, 2, v0
	s_and_saveexec_b64 s[4:5], vcc
; %bb.1:
	v_mov_b32_e32 v2, 0
	ds_write_b32 v1, v2 offset:49152
; %bb.2:
	s_or_b64 exec, exec, s[4:5]
	s_load_dwordx8 s[12:19], s[0:1], 0x20
	s_waitcnt lgkmcnt(0)
	s_barrier
	s_add_i32 s3, s12, 47
	s_add_i32 s4, s13, 15
	s_mul_hi_i32 s3, s3, 0x2aaaaaab
	s_lshr_b32 s5, s3, 31
	s_ashr_i32 s33, s3, 3
	s_ashr_i32 s3, s4, 31
	s_lshr_b32 s3, s3, 28
	s_add_i32 s4, s4, s3
	s_add_i32 s33, s33, s5
	s_ashr_i32 s42, s4, 4
	s_mul_i32 s3, s42, s33
	s_mul_i32 s3, s3, s16
	s_add_i32 s4, s3, 0x12f
	s_mul_hi_i32 s4, s4, 0x6bca1af3
	s_lshr_b32 s5, s4, 31
	s_ashr_i32 s4, s4, 7
	s_add_i32 s4, s4, s5
	s_add_i32 s5, s2, 1
	s_mul_i32 s5, s4, s5
	v_cvt_f64_i32_e32 v[2:3], s3
	v_cvt_f64_u32_e32 v[4:5], s5
	v_min_f64 v[2:3], v[2:3], v[4:5]
	v_cvt_i32_f64_e32 v13, v[2:3]
	s_mul_i32 s43, s4, s2
	v_cmp_ge_i32_e32 vcc, s43, v13
	s_cbranch_vccnz .LBB252_52
; %bb.3:
	v_lshrrev_b32_e32 v2, 6, v0
	s_add_i32 s4, s18, s17
	s_load_dwordx8 s[20:27], s[0:1], 0x0
	v_cmp_le_i32_e64 s[0:1], s4, v2
	v_mov_b32_e32 v3, s17
	v_cmp_le_i32_e64 s[2:3], s17, v2
	v_mov_b32_e32 v4, s18
	v_cndmask_b32_e64 v4, 0, v4, s[0:1]
	v_cndmask_b32_e64 v3, 0, v3, s[2:3]
	s_abs_i32 s5, s16
	v_add_u32_e32 v3, v3, v4
	v_cvt_f32_u32_e32 v4, s5
	v_sub_u32_e32 v28, v2, v3
	s_ashr_i32 s6, s14, 31
	s_lshr_b32 s6, s6, 25
	v_rcp_iflag_f32_e32 v3, v4
	s_sub_i32 s9, 0, s5
	s_add_i32 s6, s14, s6
	s_ashr_i32 s6, s6, 7
	v_mul_f32_e32 v3, 0x4f7ffffe, v3
	v_cvt_u32_f32_e32 v3, v3
	s_abs_i32 s8, s6
	s_xor_b32 s7, s6, s16
	s_ashr_i32 s7, s7, 31
	v_readfirstlane_b32 s10, v3
	s_mul_i32 s9, s9, s10
	s_mul_hi_u32 s9, s10, s9
	s_add_i32 s10, s10, s9
	s_mul_hi_u32 s9, s8, s10
	s_mul_i32 s10, s9, s5
	s_sub_i32 s8, s8, s10
	s_add_i32 s10, s9, 1
	s_sub_i32 s11, s8, s5
	s_cmp_ge_u32 s8, s5
	s_cselect_b32 s9, s10, s9
	s_cselect_b32 s8, s11, s8
	s_add_i32 s10, s9, 1
	s_cmp_ge_u32 s8, s5
	s_cselect_b32 s5, s10, s9
	s_xor_b32 s5, s5, s7
	s_sub_i32 s44, s5, s7
	s_add_i32 s16, s16, -1
	s_mul_i32 s5, s44, s16
	s_add_i32 s4, s4, s19
	s_sub_i32 s45, s6, s5
	v_cmp_gt_i32_e64 s[4:5], s4, v2
	v_lshlrev_b32_e32 v2, 1, v0
	v_lshlrev_b32_e32 v3, 4, v0
	v_and_b32_e32 v1, 60, v1
	v_and_b32_e32 v2, 64, v2
	;; [unrolled: 1-line block ×3, first 2 shown]
	v_or3_b32 v33, v1, v2, v4
	v_and_b32_e32 v1, 1, v0
	v_lshrrev_b32_e32 v4, 2, v0
	s_abs_i32 s46, s33
	v_and_or_b32 v37, v4, 12, v1
	v_cvt_f32_u32_e32 v4, s46
	v_lshlrev_b32_e32 v2, 1, v1
	v_and_b32_e32 v12, 14, v0
	v_sub_u32_e32 v2, v0, v2
	v_bitop3_b32 v35, v0, 1, v0 bitop3:0xc
	v_bitop3_b32 v36, v0, 3, 1 bitop3:0x6c
	v_and_b32_e32 v20, 48, v3
	v_bfe_u32 v40, v0, 2, 4
	v_and_b32_e32 v1, 60, v0
	v_lshlrev_b32_e32 v3, 8, v0
	v_lshlrev_b32_e32 v0, 6, v0
	v_and_b32_e32 v3, 0x200, v3
	v_and_b32_e32 v0, 64, v0
	v_rcp_iflag_f32_e32 v4, v4
	s_abs_i32 s47, s42
	v_or3_b32 v41, v1, v3, v0
	v_cvt_f32_u32_e32 v1, s47
	v_mul_f32_e32 v0, 0x4f7ffffe, v4
	v_cvt_u32_f32_e32 v0, v0
	v_mad_u64_u32 v[14:15], s[6:7], s13, v37, v[12:13]
	v_rcp_iflag_f32_e32 v1, v1
	s_lshl_b32 s6, s13, 4
	v_readfirstlane_b32 s7, v0
	v_add_u32_e32 v16, s6, v14
	v_mul_f32_e32 v0, 0x4f7ffffe, v1
	v_cvt_u32_f32_e32 v0, v0
	v_add_u32_e32 v18, s6, v16
	s_sub_i32 s6, 0, s46
	s_mul_i32 s6, s6, s7
	s_mul_hi_u32 s6, s7, s6
	v_add_u32_e32 v2, 1, v2
	s_add_i32 s49, s7, s6
	s_sub_i32 s6, 0, s47
	v_readfirstlane_b32 s7, v0
	v_mbcnt_lo_u32_b32 v0, -1, 0
	v_and_b32_e32 v2, 63, v2
	s_mul_i32 s6, s6, s7
	v_mbcnt_hi_u32_b32 v0, -1, v0
	v_mul_lo_u32 v22, s15, v40
	s_mul_hi_u32 s6, s7, s6
	v_and_or_b32 v0, v0, 64, v2
	v_cndmask_b32_e64 v32, 0, 1, s[0:1]
	v_or_b32_e32 v34, 0x9000, v33
	s_ashr_i32 s11, s13, 31
	s_mov_b32 s10, s13
	v_ashrrev_i32_e32 v15, 31, v14
	v_or_b32_e32 v38, 16, v37
	v_ashrrev_i32_e32 v17, 31, v16
	v_or_b32_e32 v39, 32, v37
	v_ashrrev_i32_e32 v19, 31, v18
	v_ashrrev_i32_e32 v23, 31, v22
	v_mov_b32_e32 v21, 0
	v_or_b32_e32 v42, 0x9000, v41
	v_mul_lo_u32 v43, s14, v40
	s_ashr_i32 s48, s33, 31
	s_ashr_i32 s50, s42, 31
	s_add_i32 s51, s7, s6
	s_movk_i32 s52, 0x1800
	s_mov_b32 s53, 0x55555556
	v_lshlrev_b32_e32 v44, 2, v0
	v_not_b32_e32 v45, 17
	v_mov_b32_e32 v46, v28
	s_branch .LBB252_7
.LBB252_4:                              ;   in Loop: Header=BB252_7 Depth=1
	s_or_b64 exec, exec, s[28:29]
.LBB252_5:                              ;   in Loop: Header=BB252_7 Depth=1
	s_or_b64 exec, exec, s[8:9]
	v_subrev_u32_e32 v46, s57, v46
.LBB252_6:                              ;   in Loop: Header=BB252_7 Depth=1
	s_or_b64 exec, exec, s[6:7]
	s_add_i32 s43, s43, 1
	v_cmp_ge_i32_e32 vcc, s43, v13
	s_cbranch_vccnz .LBB252_52
.LBB252_7:                              ; =>This Loop Header: Depth=1
                                        ;     Child Loop BB252_13 Depth 2
                                        ;       Child Loop BB252_15 Depth 3
                                        ;       Child Loop BB252_18 Depth 3
	;; [unrolled: 1-line block ×4, first 2 shown]
                                        ;     Child Loop BB252_39 Depth 2
                                        ;       Child Loop BB252_41 Depth 3
                                        ;     Child Loop BB252_49 Depth 2
                                        ;       Child Loop BB252_51 Depth 3
	s_abs_i32 s7, s43
	s_mul_hi_u32 s8, s7, s49
	s_mul_i32 s9, s8, s46
	s_ashr_i32 s6, s43, 31
	s_sub_i32 s7, s7, s9
	s_xor_b32 s6, s6, s48
	s_add_i32 s9, s8, 1
	s_sub_i32 s28, s7, s46
	s_cmp_ge_u32 s7, s46
	s_cselect_b32 s8, s9, s8
	s_cselect_b32 s7, s28, s7
	s_add_i32 s9, s8, 1
	s_cmp_ge_u32 s7, s46
	s_cselect_b32 s7, s9, s8
	s_xor_b32 s7, s7, s6
	s_sub_i32 s6, s7, s6
	s_abs_i32 s8, s6
	s_mul_hi_u32 s9, s8, s51
	s_mul_i32 s7, s6, s33
	s_mul_i32 s28, s9, s47
	s_sub_i32 s54, s43, s7
	s_ashr_i32 s7, s6, 31
	s_sub_i32 s8, s8, s28
	s_xor_b32 s7, s7, s50
	s_add_i32 s28, s9, 1
	s_sub_i32 s29, s8, s47
	s_cmp_ge_u32 s8, s47
	s_cselect_b32 s9, s28, s9
	s_cselect_b32 s8, s29, s8
	s_add_i32 s28, s9, 1
	s_cmp_ge_u32 s8, s47
	s_cselect_b32 s8, s28, s9
	s_xor_b32 s8, s8, s7
	s_sub_i32 s7, s8, s7
	s_mul_i32 s8, s7, s44
	s_lshl_b32 s55, s8, 7
	s_mul_i32 s54, s54, 48
	s_cmp_eq_u32 s7, s16
	s_cselect_b32 s57, s45, s44
	s_sub_i32 s8, s54, s12
	s_add_i32 s8, s8, 48
	s_max_i32 s56, s8, 0
	s_and_saveexec_b64 s[8:9], s[2:3]
	s_xor_b64 s[28:29], exec, s[8:9]
	s_cbranch_execz .LBB252_45
; %bb.8:                                ;   in Loop: Header=BB252_7 Depth=1
	s_mul_i32 s7, s7, s42
	s_sub_i32 s6, s6, s7
	s_lshl_b32 s6, s6, 4
	s_sub_i32 s31, s6, s13
	s_add_i32 s31, s31, 16
	s_max_i32 s7, s31, 0
	s_sub_i32 s30, s6, s7
	s_and_saveexec_b64 s[6:7], s[0:1]
	s_xor_b64 s[34:35], exec, s[6:7]
	s_cbranch_execz .LBB252_35
; %bb.9:                                ;   in Loop: Header=BB252_7 Depth=1
	s_and_saveexec_b64 s[36:37], s[4:5]
	s_cbranch_execz .LBB252_34
; %bb.10:                               ;   in Loop: Header=BB252_7 Depth=1
	s_waitcnt lgkmcnt(0)
	global_load_dword v47, v21, s[26:27]
	v_mov_b32_e32 v11, 0
	v_cmp_gt_i32_e32 vcc, s57, v46
	v_mov_b32_e32 v10, v11
	v_mov_b32_e32 v9, v11
	;; [unrolled: 1-line block ×11, first 2 shown]
	s_and_saveexec_b64 s[6:7], vcc
	s_cbranch_execz .LBB252_26
; %bb.11:                               ;   in Loop: Header=BB252_7 Depth=1
	v_mov_b32_e32 v0, 0
	s_mov_b64 s[8:9], 0
	v_mov_b32_e32 v1, v0
	v_mov_b32_e32 v2, v0
	v_mov_b32_e32 v3, v0
	v_mov_b32_e32 v4, v0
	v_mov_b32_e32 v5, v0
	v_mov_b32_e32 v6, v0
	v_mov_b32_e32 v7, v0
	v_mov_b32_e32 v8, v0
	v_mov_b32_e32 v9, v0
	v_mov_b32_e32 v10, v0
	v_mov_b32_e32 v11, v0
	s_branch .LBB252_13
.LBB252_12:                             ;   in Loop: Header=BB252_13 Depth=2
	s_or_b64 exec, exec, s[38:39]
	v_add_u32_e32 v54, 0x1000, v51
	ds_read2_b32 v[52:53], v54 offset1:32
	ds_read2_b32 v[54:55], v54 offset0:128 offset1:160
	v_add_u32_e32 v51, 0x1400, v51
	v_add_u32_e32 v46, s19, v46
	v_cmp_le_i32_e32 vcc, s57, v46
	s_waitcnt lgkmcnt(1)
	v_mfma_f32_16x16x32_fp8_fp8 v[0:3], v[52:53], v[28:29], v[0:3]
	ds_read2_b32 v[52:53], v51 offset1:32
	v_add_u32_e32 v28, s19, v48
	v_add_u32_e32 v29, 2, v32
	s_waitcnt lgkmcnt(1)
	v_mfma_f32_16x16x32_fp8_fp8 v[0:3], v[54:55], v[30:31], v[0:3]
	ds_read2_b32 v[30:31], v51 offset0:128 offset1:160
	s_or_b64 s[8:9], vcc, s[8:9]
	v_cmp_lt_i32_e32 vcc, 5, v28
	;;#ASMSTART
	s_waitcnt lgkmcnt(0)
	;;#ASMEND
	s_waitcnt lgkmcnt(1)
	v_mfma_f32_16x16x32_fp8_fp8 v[0:3], v[52:53], v[26:27], v[0:3]
	v_cndmask_b32_e32 v32, v32, v29, vcc
	ds_write_b32 v50, v49 offset:49160
	s_waitcnt lgkmcnt(1)
	v_mfma_f32_16x16x32_fp8_fp8 v[0:3], v[30:31], v[24:25], v[0:3]
	s_andn2_b64 exec, exec, s[8:9]
	s_cbranch_execz .LBB252_25
.LBB252_13:                             ;   Parent Loop BB252_7 Depth=1
                                        ; =>  This Loop Header: Depth=2
                                        ;       Child Loop BB252_15 Depth 3
                                        ;       Child Loop BB252_18 Depth 3
	;; [unrolled: 1-line block ×4, first 2 shown]
	v_cmp_gt_i32_e32 vcc, 6, v28
	s_nop 1
	v_cndmask_b32_e64 v24, -6, 0, vcc
	v_add_u32_e32 v48, v24, v28
	v_lshlrev_b32_e32 v24, 2, v48
	ds_read_b32 v25, v24 offset:49224
	v_add_u32_e32 v50, 0xc000, v24
	s_waitcnt lgkmcnt(0)
	v_cmp_ne_u32_e32 vcc, v25, v32
	s_and_saveexec_b64 s[38:39], vcc
	s_cbranch_execz .LBB252_16
; %bb.14:                               ;   in Loop: Header=BB252_13 Depth=2
	s_mov_b64 s[40:41], 0
.LBB252_15:                             ;   Parent Loop BB252_7 Depth=1
                                        ;     Parent Loop BB252_13 Depth=2
                                        ; =>    This Inner Loop Header: Depth=3
	;;#ASMSTART
	s_sleep 0
	;;#ASMEND
	ds_read_b32 v24, v50 offset:72
	s_waitcnt lgkmcnt(0)
	v_cmp_eq_u32_e32 vcc, v24, v32
	s_or_b64 s[40:41], vcc, s[40:41]
	s_andn2_b64 exec, exec, s[40:41]
	s_cbranch_execnz .LBB252_15
.LBB252_16:                             ;   in Loop: Header=BB252_13 Depth=2
	s_or_b64 exec, exec, s[38:39]
	v_lshl_add_u32 v24, v48, 11, v34
	ds_read2_b32 v[28:29], v24 offset1:32
	ds_read2_b32 v[30:31], v24 offset0:128 offset1:160
	v_add_u32_e32 v24, 0x400, v24
	v_add_u32_e32 v49, 1, v32
	ds_read2_b32 v[26:27], v24 offset1:32
	ds_read2_b32 v[24:25], v24 offset0:128 offset1:160
	;;#ASMSTART
	s_waitcnt lgkmcnt(0)
	;;#ASMEND
	ds_write_b32 v50, v49 offset:72
	v_mul_lo_u32 v50, v48, 12
	ds_read_b32 v51, v50 offset:49152
	s_waitcnt lgkmcnt(0)
	v_cmp_ne_u32_e32 vcc, v51, v32
	s_and_saveexec_b64 s[38:39], vcc
	s_cbranch_execz .LBB252_19
; %bb.17:                               ;   in Loop: Header=BB252_13 Depth=2
	s_mov_b64 s[40:41], 0
.LBB252_18:                             ;   Parent Loop BB252_7 Depth=1
                                        ;     Parent Loop BB252_13 Depth=2
                                        ; =>    This Inner Loop Header: Depth=3
	;;#ASMSTART
	s_sleep 0
	;;#ASMEND
	ds_read_b32 v51, v50 offset:49152
	s_waitcnt lgkmcnt(0)
	v_cmp_eq_u32_e32 vcc, v51, v32
	s_or_b64 s[40:41], vcc, s[40:41]
	s_andn2_b64 exec, exec, s[40:41]
	s_cbranch_execnz .LBB252_18
.LBB252_19:                             ;   in Loop: Header=BB252_13 Depth=2
	s_or_b64 exec, exec, s[38:39]
	v_mul_lo_u32 v51, v48, s52
	v_or_b32_e32 v56, v33, v51
	ds_read2_b32 v[52:53], v56 offset1:32
	ds_read2_b32 v[54:55], v56 offset0:128 offset1:160
	v_add_u32_e32 v56, 0x400, v56
	s_waitcnt lgkmcnt(1)
	v_mfma_f32_16x16x32_fp8_fp8 v[8:11], v[52:53], v[28:29], v[8:11]
	ds_read2_b32 v[52:53], v56 offset1:32
	s_waitcnt lgkmcnt(1)
	v_mfma_f32_16x16x32_fp8_fp8 v[8:11], v[54:55], v[30:31], v[8:11]
	ds_read2_b32 v[54:55], v56 offset0:128 offset1:160
	;;#ASMSTART
	s_waitcnt lgkmcnt(0)
	;;#ASMEND
	ds_write_b32 v50, v49 offset:49152
	s_waitcnt lgkmcnt(2)
	v_mfma_f32_16x16x32_fp8_fp8 v[8:11], v[52:53], v[26:27], v[8:11]
	ds_read_b32 v52, v50 offset:49156
	s_waitcnt lgkmcnt(0)
	v_cmp_ne_u32_e32 vcc, v52, v32
	v_mfma_f32_16x16x32_fp8_fp8 v[8:11], v[54:55], v[24:25], v[8:11]
	s_and_saveexec_b64 s[38:39], vcc
	s_cbranch_execz .LBB252_22
; %bb.20:                               ;   in Loop: Header=BB252_13 Depth=2
	s_mov_b64 s[40:41], 0
.LBB252_21:                             ;   Parent Loop BB252_7 Depth=1
                                        ;     Parent Loop BB252_13 Depth=2
                                        ; =>    This Inner Loop Header: Depth=3
	;;#ASMSTART
	s_sleep 0
	;;#ASMEND
	ds_read_b32 v52, v50 offset:49156
	s_waitcnt lgkmcnt(0)
	v_cmp_eq_u32_e32 vcc, v52, v32
	s_or_b64 s[40:41], vcc, s[40:41]
	s_andn2_b64 exec, exec, s[40:41]
	s_cbranch_execnz .LBB252_21
.LBB252_22:                             ;   in Loop: Header=BB252_13 Depth=2
	s_or_b64 exec, exec, s[38:39]
	v_add_u32_e32 v51, v33, v51
	v_add_u32_e32 v54, 0x800, v51
	ds_read2_b32 v[52:53], v54 offset1:32
	ds_read2_b32 v[54:55], v54 offset0:128 offset1:160
	v_add_u32_e32 v56, 0xc00, v51
	s_waitcnt lgkmcnt(1)
	v_mfma_f32_16x16x32_fp8_fp8 v[4:7], v[52:53], v[28:29], v[4:7]
	ds_read2_b32 v[52:53], v56 offset1:32
	s_waitcnt lgkmcnt(1)
	v_mfma_f32_16x16x32_fp8_fp8 v[4:7], v[54:55], v[30:31], v[4:7]
	ds_read2_b32 v[54:55], v56 offset0:128 offset1:160
	;;#ASMSTART
	s_waitcnt lgkmcnt(0)
	;;#ASMEND
	ds_write_b32 v50, v49 offset:49156
	s_waitcnt lgkmcnt(2)
	v_mfma_f32_16x16x32_fp8_fp8 v[4:7], v[52:53], v[26:27], v[4:7]
	ds_read_b32 v52, v50 offset:49160
	s_waitcnt lgkmcnt(0)
	v_cmp_ne_u32_e32 vcc, v52, v32
	v_mfma_f32_16x16x32_fp8_fp8 v[4:7], v[54:55], v[24:25], v[4:7]
	s_and_saveexec_b64 s[38:39], vcc
	s_cbranch_execz .LBB252_12
; %bb.23:                               ;   in Loop: Header=BB252_13 Depth=2
	s_mov_b64 s[40:41], 0
.LBB252_24:                             ;   Parent Loop BB252_7 Depth=1
                                        ;     Parent Loop BB252_13 Depth=2
                                        ; =>    This Inner Loop Header: Depth=3
	;;#ASMSTART
	s_sleep 0
	;;#ASMEND
	ds_read_b32 v52, v50 offset:49160
	s_waitcnt lgkmcnt(0)
	v_cmp_eq_u32_e32 vcc, v52, v32
	s_or_b64 s[40:41], vcc, s[40:41]
	s_andn2_b64 exec, exec, s[40:41]
	s_cbranch_execnz .LBB252_24
	s_branch .LBB252_12
.LBB252_25:                             ;   in Loop: Header=BB252_7 Depth=1
	s_or_b64 exec, exec, s[8:9]
.LBB252_26:                             ;   in Loop: Header=BB252_7 Depth=1
	s_or_b64 exec, exec, s[6:7]
	v_cmp_le_i32_e32 vcc, s31, v12
	v_cmp_eq_u32_e64 s[6:7], 3, v35
	s_waitcnt vmcnt(0)
	v_cndmask_b32_e32 v24, 0, v47, vcc
	v_pk_mul_f32 v[30:31], v[24:25], v[8:9] op_sel_hi:[0,1]
	v_cmp_eq_u32_e32 vcc, 1, v35
	v_pk_mul_f32 v[10:11], v[24:25], v[10:11] op_sel_hi:[0,1]
	v_add_u32_e32 v25, s56, v37
	v_cndmask_b32_e32 v8, v30, v31, vcc
	v_cmp_eq_u32_e32 vcc, 2, v35
	s_nop 1
	v_cndmask_b32_e32 v8, v8, v10, vcc
	v_cndmask_b32_e64 v8, v8, v11, s[6:7]
	ds_bpermute_b32 v9, v44, v8
	s_waitcnt lgkmcnt(0)
	v_cndmask_b32_e32 v10, v10, v9, vcc
	v_cmp_ne_u32_e32 vcc, 0, v35
	v_cndmask_b32_e64 v26, v11, v9, s[6:7]
	s_nop 0
	v_cndmask_b32_e32 v8, v31, v9, vcc
	v_cmp_eq_u32_e32 vcc, 0, v35
	s_nop 1
	v_cndmask_b32_e32 v9, v30, v9, vcc
	v_cmp_eq_u32_e32 vcc, 1, v36
	;; [unrolled: 3-line block ×4, first 2 shown]
	s_nop 1
	v_cndmask_b32_e32 v11, v11, v26, vcc
	ds_bpermute_b32 v11, v44, v11
	v_cmp_gt_u32_e32 vcc, 48, v25
	s_and_saveexec_b64 s[38:39], vcc
	s_cbranch_execz .LBB252_33
; %bb.27:                               ;   in Loop: Header=BB252_7 Depth=1
	v_cmp_eq_u32_e64 s[8:9], 1, v36
	v_cmp_eq_u32_e64 s[6:7], 3, v36
	v_cmp_eq_u32_e32 vcc, 2, v36
	s_waitcnt lgkmcnt(0)
	v_cndmask_b32_e64 v8, v8, v11, s[8:9]
	v_cmp_eq_u32_e64 s[8:9], 0, v36
	v_cvt_f16_f32_sdwa v29, v8 dst_sel:WORD_1 dst_unused:UNUSED_PAD src0_sel:DWORD
	s_nop 0
	v_cndmask_b32_e64 v9, v9, v11, s[8:9]
	s_mul_i32 s8, s54, s13
	s_ashr_i32 s9, s8, 31
	s_lshl_b64 s[8:9], s[8:9], 1
	s_add_u32 s40, s24, s8
	s_addc_u32 s41, s25, s9
	s_ashr_i32 s31, s30, 31
	s_lshl_b64 s[8:9], s[30:31], 1
	v_cvt_f16_f32_e32 v27, v9
	s_add_u32 s40, s40, s8
	s_addc_u32 s41, s41, s9
	v_lshl_add_u64 v[8:9], v[14:15], 1, s[40:41]
	v_cmp_gt_u32_e64 s[8:9], 46, v25
	v_or_b32_e32 v27, v29, v27
	;;#ASMSTART
	global_atomic_pk_add_f16 v[8:9], v27, off
	
	;;#ASMEND
	s_and_b64 exec, exec, s[8:9]
	s_cbranch_execz .LBB252_33
; %bb.28:                               ;   in Loop: Header=BB252_7 Depth=1
	v_mov_b32_e32 v25, v24
	v_cndmask_b32_e64 v29, v26, v11, s[6:7]
	v_mov_b32_e32 v26, v24
	v_mov_b32_e32 v27, v24
	v_pk_mul_f32 v[6:7], v[26:27], v[6:7]
	v_pk_mul_f32 v[26:27], v[24:25], v[4:5]
	v_cmp_eq_u32_e64 s[6:7], 1, v35
	v_cmp_eq_u32_e64 s[8:9], 3, v35
	v_cvt_f16_f32_sdwa v29, v29 dst_sel:WORD_1 dst_unused:UNUSED_PAD src0_sel:DWORD
	v_cndmask_b32_e64 v4, v26, v27, s[6:7]
	v_cmp_eq_u32_e64 s[6:7], 2, v35
	s_nop 1
	v_cndmask_b32_e64 v4, v4, v6, s[6:7]
	v_cndmask_b32_e64 v4, v4, v7, s[8:9]
	ds_bpermute_b32 v5, v44, v4
	v_cndmask_b32_e32 v4, v10, v11, vcc
	v_cmp_ne_u32_e32 vcc, 0, v35
	v_lshl_add_u64 v[10:11], s[10:11], 2, v[8:9]
	v_cvt_f16_f32_e32 v9, v4
	s_waitcnt lgkmcnt(0)
	v_cndmask_b32_e32 v4, v27, v5, vcc
	v_cmp_eq_u32_e32 vcc, 0, v35
	v_cndmask_b32_e64 v8, v7, v5, s[8:9]
	v_cndmask_b32_e64 v6, v6, v5, s[6:7]
	v_cndmask_b32_e32 v5, v26, v5, vcc
	v_cmp_eq_u32_e32 vcc, 1, v36
	v_or_b32_e32 v9, v29, v9
	;;#ASMSTART
	global_atomic_pk_add_f16 v[10:11], v9, off
	
	;;#ASMEND
	v_add_u32_e32 v9, s56, v38
	v_cndmask_b32_e32 v7, v5, v4, vcc
	v_cmp_eq_u32_e32 vcc, 2, v36
	s_nop 1
	v_cndmask_b32_e32 v7, v7, v6, vcc
	v_cmp_eq_u32_e32 vcc, 3, v36
	s_nop 1
	v_cndmask_b32_e32 v7, v7, v8, vcc
	ds_bpermute_b32 v7, v44, v7
	v_cmp_gt_u32_e32 vcc, 48, v9
	s_and_b64 exec, exec, vcc
	s_cbranch_execz .LBB252_33
; %bb.29:                               ;   in Loop: Header=BB252_7 Depth=1
	v_cmp_eq_u32_e32 vcc, 1, v36
	v_cmp_eq_u32_e64 s[6:7], 3, v36
	v_cmp_gt_u32_e64 s[8:9], 46, v9
	s_waitcnt lgkmcnt(0)
	v_cndmask_b32_e32 v4, v4, v7, vcc
	v_cmp_eq_u32_e32 vcc, 0, v36
	v_cvt_f16_f32_sdwa v11, v4 dst_sel:WORD_1 dst_unused:UNUSED_PAD src0_sel:DWORD
	s_nop 0
	v_cndmask_b32_e32 v5, v5, v7, vcc
	v_cvt_f16_f32_e32 v10, v5
	v_cmp_eq_u32_e32 vcc, 2, v36
	v_lshl_add_u64 v[4:5], v[16:17], 1, s[40:41]
	v_or_b32_e32 v10, v11, v10
	;;#ASMSTART
	global_atomic_pk_add_f16 v[4:5], v10, off
	
	;;#ASMEND
	s_and_b64 exec, exec, s[8:9]
	s_cbranch_execz .LBB252_33
; %bb.30:                               ;   in Loop: Header=BB252_7 Depth=1
	v_cndmask_b32_e64 v26, v8, v7, s[6:7]
	v_mov_b32_e32 v8, v24
	v_mov_b32_e32 v9, v24
	v_pk_mul_f32 v[10:11], v[24:25], v[0:1]
	v_cmp_eq_u32_e64 s[6:7], 1, v35
	v_pk_mul_f32 v[8:9], v[8:9], v[2:3]
	v_cmp_eq_u32_e64 s[8:9], 3, v35
	v_cndmask_b32_e64 v0, v10, v11, s[6:7]
	v_cmp_eq_u32_e64 s[6:7], 2, v35
	v_cvt_f16_f32_sdwa v24, v26 dst_sel:WORD_1 dst_unused:UNUSED_PAD src0_sel:DWORD
	s_nop 0
	v_cndmask_b32_e64 v0, v0, v8, s[6:7]
	v_cndmask_b32_e64 v0, v0, v9, s[8:9]
	ds_bpermute_b32 v1, v44, v0
	v_cndmask_b32_e32 v0, v6, v7, vcc
	v_cmp_ne_u32_e32 vcc, 0, v35
	v_lshl_add_u64 v[6:7], s[10:11], 2, v[4:5]
	v_cvt_f16_f32_e32 v5, v0
	s_waitcnt lgkmcnt(0)
	v_cndmask_b32_e32 v0, v11, v1, vcc
	v_cmp_eq_u32_e32 vcc, 0, v35
	v_cndmask_b32_e64 v2, v9, v1, s[8:9]
	v_cndmask_b32_e64 v3, v8, v1, s[6:7]
	v_cndmask_b32_e32 v1, v10, v1, vcc
	v_cmp_eq_u32_e32 vcc, 1, v36
	v_or_b32_e32 v5, v24, v5
	;;#ASMSTART
	global_atomic_pk_add_f16 v[6:7], v5, off
	
	;;#ASMEND
	v_add_u32_e32 v5, s56, v39
	v_cndmask_b32_e32 v4, v1, v0, vcc
	v_cmp_eq_u32_e32 vcc, 2, v36
	s_nop 1
	v_cndmask_b32_e32 v4, v4, v3, vcc
	v_cmp_eq_u32_e32 vcc, 3, v36
	s_nop 1
	v_cndmask_b32_e32 v4, v4, v2, vcc
	ds_bpermute_b32 v4, v44, v4
	v_cmp_gt_u32_e32 vcc, 48, v5
	s_and_b64 exec, exec, vcc
	s_cbranch_execz .LBB252_33
; %bb.31:                               ;   in Loop: Header=BB252_7 Depth=1
	v_cmp_eq_u32_e32 vcc, 1, v36
	v_cmp_eq_u32_e64 s[6:7], 2, v36
	v_cmp_gt_u32_e64 s[8:9], 46, v5
	s_waitcnt lgkmcnt(0)
	v_cndmask_b32_e32 v0, v0, v4, vcc
	v_cmp_eq_u32_e32 vcc, 0, v36
	v_cvt_f16_f32_sdwa v7, v0 dst_sel:WORD_1 dst_unused:UNUSED_PAD src0_sel:DWORD
	s_nop 0
	v_cndmask_b32_e32 v1, v1, v4, vcc
	v_cvt_f16_f32_e32 v6, v1
	v_cmp_eq_u32_e32 vcc, 3, v36
	v_lshl_add_u64 v[0:1], v[18:19], 1, s[40:41]
	v_or_b32_e32 v6, v7, v6
	;;#ASMSTART
	global_atomic_pk_add_f16 v[0:1], v6, off
	
	;;#ASMEND
	s_and_b64 exec, exec, s[8:9]
	s_cbranch_execz .LBB252_33
; %bb.32:                               ;   in Loop: Header=BB252_7 Depth=1
	v_cndmask_b32_e32 v2, v2, v4, vcc
	v_cndmask_b32_e64 v3, v3, v4, s[6:7]
	v_cvt_f16_f32_sdwa v2, v2 dst_sel:WORD_1 dst_unused:UNUSED_PAD src0_sel:DWORD
	v_cvt_f16_f32_e32 v3, v3
	v_lshl_add_u64 v[0:1], s[10:11], 2, v[0:1]
	v_or_b32_e32 v2, v2, v3
	;;#ASMSTART
	global_atomic_pk_add_f16 v[0:1], v2, off
	
	;;#ASMEND
.LBB252_33:                             ;   in Loop: Header=BB252_7 Depth=1
	s_or_b64 exec, exec, s[38:39]
	v_subrev_u32_e32 v46, s57, v46
.LBB252_34:                             ;   in Loop: Header=BB252_7 Depth=1
	s_or_b64 exec, exec, s[36:37]
.LBB252_35:                             ;   in Loop: Header=BB252_7 Depth=1
	s_andn2_saveexec_b64 s[6:7], s[34:35]
	s_cbranch_execz .LBB252_44
; %bb.36:                               ;   in Loop: Header=BB252_7 Depth=1
	v_cmp_gt_i32_e32 vcc, s57, v46
	s_and_saveexec_b64 s[8:9], vcc
	s_cbranch_execz .LBB252_43
; %bb.37:                               ;   in Loop: Header=BB252_7 Depth=1
	s_mul_i32 s30, s30, s15
	s_ashr_i32 s31, s30, 31
	s_waitcnt lgkmcnt(0)
	s_add_u32 s30, s22, s30
	s_addc_u32 s31, s23, s31
	s_ashr_i32 s34, s55, 31
	s_add_u32 s30, s30, s55
	s_addc_u32 s31, s31, s34
	v_lshl_add_u64 v[0:1], s[30:31], 0, v[22:23]
	v_lshl_add_u64 v[8:9], v[0:1], 0, v[20:21]
	s_mov_b64 s[30:31], 0
	s_branch .LBB252_39
.LBB252_38:                             ;   in Loop: Header=BB252_39 Depth=2
	s_or_b64 exec, exec, s[34:35]
	v_lshl_add_u32 v24, v10, 11, v42
	;;#ASMSTART
	s_waitcnt vmcnt(1)
	;;#ASMEND
	ds_write2_b32 v24, v4, v5 offset1:32
	ds_write2_b32 v24, v6, v7 offset0:64 offset1:96
	v_add_u32_e32 v4, 0x400, v24
	v_add_u32_e32 v46, s18, v46
	;;#ASMSTART
	s_waitcnt vmcnt(0)
	;;#ASMEND
	ds_write2_b32 v4, v0, v1 offset1:32
	ds_write2_b32 v4, v2, v3 offset0:64 offset1:96
	v_add_u32_e32 v0, 1, v32
	v_add_u32_e32 v28, s18, v10
	v_cmp_le_i32_e32 vcc, s57, v46
	ds_write_b32 v11, v0 offset:72
	v_add_u32_e32 v0, 2, v32
	s_or_b64 s[30:31], vcc, s[30:31]
	v_cmp_lt_i32_e32 vcc, 5, v28
	s_nop 1
	v_cndmask_b32_e32 v32, v32, v0, vcc
	s_andn2_b64 exec, exec, s[30:31]
	s_cbranch_execz .LBB252_42
.LBB252_39:                             ;   Parent Loop BB252_7 Depth=1
                                        ; =>  This Loop Header: Depth=2
                                        ;       Child Loop BB252_41 Depth 3
	v_cmp_gt_i32_e32 vcc, 6, v28
	s_nop 1
	v_cndmask_b32_e64 v0, -6, 0, vcc
	v_add_u32_e32 v10, v0, v28
	v_lshlrev_b32_e32 v0, 7, v46
	v_ashrrev_i32_e32 v1, 31, v0
	v_lshl_add_u64 v[0:1], v[8:9], 0, v[0:1]
	v_lshlrev_b32_e32 v11, 2, v10
	;;#ASMSTART
	global_load_dwordx4 v[4:7], v[0:1], off offset:0   sc0 sc1 nt  
	global_load_dwordx4 v[0:3], v[0:1], off offset:64  sc0 sc1 nt  
	
	;;#ASMEND
	ds_read_b32 v24, v11 offset:49224
	v_add_u32_e32 v11, 0xc000, v11
	s_waitcnt lgkmcnt(0)
	v_cmp_ne_u32_e32 vcc, v24, v32
	s_and_saveexec_b64 s[34:35], vcc
	s_cbranch_execz .LBB252_38
; %bb.40:                               ;   in Loop: Header=BB252_39 Depth=2
	s_mov_b64 s[36:37], 0
.LBB252_41:                             ;   Parent Loop BB252_7 Depth=1
                                        ;     Parent Loop BB252_39 Depth=2
                                        ; =>    This Inner Loop Header: Depth=3
	;;#ASMSTART
	s_sleep 0
	;;#ASMEND
	ds_read_b32 v24, v11 offset:72
	s_waitcnt lgkmcnt(0)
	v_cmp_eq_u32_e32 vcc, v24, v32
	s_or_b64 s[36:37], vcc, s[36:37]
	s_andn2_b64 exec, exec, s[36:37]
	s_cbranch_execnz .LBB252_41
	s_branch .LBB252_38
.LBB252_42:                             ;   in Loop: Header=BB252_7 Depth=1
	s_or_b64 exec, exec, s[30:31]
.LBB252_43:                             ;   in Loop: Header=BB252_7 Depth=1
	s_or_b64 exec, exec, s[8:9]
	v_subrev_u32_e32 v46, s57, v46
.LBB252_44:                             ;   in Loop: Header=BB252_7 Depth=1
	s_or_b64 exec, exec, s[6:7]
.LBB252_45:                             ;   in Loop: Header=BB252_7 Depth=1
	s_andn2_saveexec_b64 s[6:7], s[28:29]
	s_cbranch_execz .LBB252_6
; %bb.46:                               ;   in Loop: Header=BB252_7 Depth=1
	s_mul_i32 s57, s57, 3
	v_cmp_gt_i32_e32 vcc, s57, v46
	s_and_saveexec_b64 s[8:9], vcc
	s_cbranch_execz .LBB252_5
; %bb.47:                               ;   in Loop: Header=BB252_7 Depth=1
	s_mul_i32 s54, s54, s14
	s_ashr_i32 s28, s54, 31
	s_waitcnt lgkmcnt(0)
	s_add_u32 s29, s20, s54
	v_add_u32_e32 v2, s56, v40
	s_addc_u32 s30, s21, s28
	s_ashr_i32 s31, s55, 31
	v_cmp_gt_u32_e32 vcc, 48, v2
	s_add_u32 s28, s29, s55
	s_addc_u32 s29, s30, s31
	v_cndmask_b32_e32 v0, 0, v43, vcc
	v_ashrrev_i32_e32 v1, 31, v0
	v_lshl_add_u64 v[0:1], s[28:29], 0, v[0:1]
	v_lshl_add_u64 v[8:9], v[0:1], 0, v[20:21]
	v_sub_u32_e32 v10, 47, v2
	s_mov_b64 s[28:29], 0
	s_branch .LBB252_49
.LBB252_48:                             ;   in Loop: Header=BB252_49 Depth=2
	s_or_b64 exec, exec, s[30:31]
	v_lshl_or_b32 v25, v11, 11, v41
	;;#ASMSTART
	s_waitcnt vmcnt(1)
	;;#ASMEND
	ds_write2_b32 v25, v4, v5 offset1:32
	ds_write2_b32 v25, v6, v7 offset0:64 offset1:96
	v_add_u32_e32 v4, 0x400, v25
	v_add_u32_e32 v46, s17, v46
	;;#ASMSTART
	s_waitcnt vmcnt(0)
	;;#ASMEND
	ds_write2_b32 v4, v0, v1 offset1:32
	ds_write2_b32 v4, v2, v3 offset0:64 offset1:96
	v_add_u32_e32 v0, 1, v32
	v_add_u32_e32 v28, s17, v11
	v_cmp_le_i32_e32 vcc, s57, v46
	ds_write_b32 v24, v0
	v_add_u32_e32 v0, 2, v32
	s_or_b64 s[28:29], vcc, s[28:29]
	v_cmp_lt_i32_e32 vcc, 17, v28
	s_nop 1
	v_cndmask_b32_e32 v32, v32, v0, vcc
	s_andn2_b64 exec, exec, s[28:29]
	s_cbranch_execz .LBB252_4
.LBB252_49:                             ;   Parent Loop BB252_7 Depth=1
                                        ; =>  This Loop Header: Depth=2
                                        ;       Child Loop BB252_51 Depth 3
	v_cmp_gt_i32_e32 vcc, 18, v28
	s_nop 1
	v_cndmask_b32_e64 v0, v45, 0, vcc
	v_add_u32_e32 v11, v0, v28
	v_mul_hi_i32 v0, v46, s53
	v_lshrrev_b32_e32 v1, 31, v0
	v_add_u32_e32 v0, v0, v1
	v_lshl_add_u32 v1, v0, 1, v0
	v_sub_u32_e32 v1, v46, v1
	v_lshlrev_b32_e32 v1, 4, v1
	v_cmp_le_i32_e32 vcc, v1, v10
	v_lshlrev_b32_e32 v0, 7, v0
	v_lshlrev_b32_e32 v24, 2, v11
	v_cndmask_b32_e32 v2, 0, v1, vcc
	v_ashrrev_i32_e32 v1, 31, v0
	v_mul_lo_u32 v2, v2, s14
	v_lshl_add_u64 v[0:1], v[8:9], 0, v[0:1]
	v_ashrrev_i32_e32 v3, 31, v2
	v_lshl_add_u64 v[0:1], v[0:1], 0, v[2:3]
	;;#ASMSTART
	global_load_dwordx4 v[4:7], v[0:1], off offset:0   
	global_load_dwordx4 v[0:3], v[0:1], off offset:64  
	
	;;#ASMEND
	ds_read_b32 v25, v24 offset:49152
	v_add_u32_e32 v24, 0xc000, v24
	s_waitcnt lgkmcnt(0)
	v_cmp_ne_u32_e32 vcc, v25, v32
	s_and_saveexec_b64 s[30:31], vcc
	s_cbranch_execz .LBB252_48
; %bb.50:                               ;   in Loop: Header=BB252_49 Depth=2
	s_mov_b64 s[34:35], 0
.LBB252_51:                             ;   Parent Loop BB252_7 Depth=1
                                        ;     Parent Loop BB252_49 Depth=2
                                        ; =>    This Inner Loop Header: Depth=3
	;;#ASMSTART
	s_sleep 0
	;;#ASMEND
	ds_read_b32 v25, v24
	s_waitcnt lgkmcnt(0)
	v_cmp_eq_u32_e32 vcc, v25, v32
	s_or_b64 s[34:35], vcc, s[34:35]
	s_andn2_b64 exec, exec, s[34:35]
	s_cbranch_execnz .LBB252_51
	s_branch .LBB252_48
.LBB252_52:
	s_endpgm
	.section	.rodata,"a",@progbits
	.p2align	6, 0x0
	.amdhsa_kernel _Z19_skinny_gemm_kernelILi3ELi1ELi6ELi16ELi4EEvPKhS1_P6__halfPKfiiiiiiii
		.amdhsa_group_segment_fixed_size 49248
		.amdhsa_private_segment_fixed_size 0
		.amdhsa_kernarg_size 64
		.amdhsa_user_sgpr_count 2
		.amdhsa_user_sgpr_dispatch_ptr 0
		.amdhsa_user_sgpr_queue_ptr 0
		.amdhsa_user_sgpr_kernarg_segment_ptr 1
		.amdhsa_user_sgpr_dispatch_id 0
		.amdhsa_user_sgpr_kernarg_preload_length 0
		.amdhsa_user_sgpr_kernarg_preload_offset 0
		.amdhsa_user_sgpr_private_segment_size 0
		.amdhsa_uses_dynamic_stack 0
		.amdhsa_enable_private_segment 0
		.amdhsa_system_sgpr_workgroup_id_x 1
		.amdhsa_system_sgpr_workgroup_id_y 0
		.amdhsa_system_sgpr_workgroup_id_z 0
		.amdhsa_system_sgpr_workgroup_info 0
		.amdhsa_system_vgpr_workitem_id 0
		.amdhsa_next_free_vgpr 57
		.amdhsa_next_free_sgpr 58
		.amdhsa_accum_offset 60
		.amdhsa_reserve_vcc 1
		.amdhsa_float_round_mode_32 0
		.amdhsa_float_round_mode_16_64 0
		.amdhsa_float_denorm_mode_32 3
		.amdhsa_float_denorm_mode_16_64 3
		.amdhsa_dx10_clamp 1
		.amdhsa_ieee_mode 1
		.amdhsa_fp16_overflow 0
		.amdhsa_tg_split 0
		.amdhsa_exception_fp_ieee_invalid_op 0
		.amdhsa_exception_fp_denorm_src 0
		.amdhsa_exception_fp_ieee_div_zero 0
		.amdhsa_exception_fp_ieee_overflow 0
		.amdhsa_exception_fp_ieee_underflow 0
		.amdhsa_exception_fp_ieee_inexact 0
		.amdhsa_exception_int_div_zero 0
	.end_amdhsa_kernel
	.section	.text._Z19_skinny_gemm_kernelILi3ELi1ELi6ELi16ELi4EEvPKhS1_P6__halfPKfiiiiiiii,"axG",@progbits,_Z19_skinny_gemm_kernelILi3ELi1ELi6ELi16ELi4EEvPKhS1_P6__halfPKfiiiiiiii,comdat
.Lfunc_end252:
	.size	_Z19_skinny_gemm_kernelILi3ELi1ELi6ELi16ELi4EEvPKhS1_P6__halfPKfiiiiiiii, .Lfunc_end252-_Z19_skinny_gemm_kernelILi3ELi1ELi6ELi16ELi4EEvPKhS1_P6__halfPKfiiiiiiii
                                        ; -- End function
	.set _Z19_skinny_gemm_kernelILi3ELi1ELi6ELi16ELi4EEvPKhS1_P6__halfPKfiiiiiiii.num_vgpr, 57
	.set _Z19_skinny_gemm_kernelILi3ELi1ELi6ELi16ELi4EEvPKhS1_P6__halfPKfiiiiiiii.num_agpr, 0
	.set _Z19_skinny_gemm_kernelILi3ELi1ELi6ELi16ELi4EEvPKhS1_P6__halfPKfiiiiiiii.numbered_sgpr, 58
	.set _Z19_skinny_gemm_kernelILi3ELi1ELi6ELi16ELi4EEvPKhS1_P6__halfPKfiiiiiiii.num_named_barrier, 0
	.set _Z19_skinny_gemm_kernelILi3ELi1ELi6ELi16ELi4EEvPKhS1_P6__halfPKfiiiiiiii.private_seg_size, 0
	.set _Z19_skinny_gemm_kernelILi3ELi1ELi6ELi16ELi4EEvPKhS1_P6__halfPKfiiiiiiii.uses_vcc, 1
	.set _Z19_skinny_gemm_kernelILi3ELi1ELi6ELi16ELi4EEvPKhS1_P6__halfPKfiiiiiiii.uses_flat_scratch, 0
	.set _Z19_skinny_gemm_kernelILi3ELi1ELi6ELi16ELi4EEvPKhS1_P6__halfPKfiiiiiiii.has_dyn_sized_stack, 0
	.set _Z19_skinny_gemm_kernelILi3ELi1ELi6ELi16ELi4EEvPKhS1_P6__halfPKfiiiiiiii.has_recursion, 0
	.set _Z19_skinny_gemm_kernelILi3ELi1ELi6ELi16ELi4EEvPKhS1_P6__halfPKfiiiiiiii.has_indirect_call, 0
	.section	.AMDGPU.csdata,"",@progbits
; Kernel info:
; codeLenInByte = 3824
; TotalNumSgprs: 64
; NumVgprs: 57
; NumAgprs: 0
; TotalNumVgprs: 57
; ScratchSize: 0
; MemoryBound: 0
; FloatMode: 240
; IeeeMode: 1
; LDSByteSize: 49248 bytes/workgroup (compile time only)
; SGPRBlocks: 7
; VGPRBlocks: 7
; NumSGPRsForWavesPerEU: 64
; NumVGPRsForWavesPerEU: 57
; AccumOffset: 60
; Occupancy: 8
; WaveLimiterHint : 0
; COMPUTE_PGM_RSRC2:SCRATCH_EN: 0
; COMPUTE_PGM_RSRC2:USER_SGPR: 2
; COMPUTE_PGM_RSRC2:TRAP_HANDLER: 0
; COMPUTE_PGM_RSRC2:TGID_X_EN: 1
; COMPUTE_PGM_RSRC2:TGID_Y_EN: 0
; COMPUTE_PGM_RSRC2:TGID_Z_EN: 0
; COMPUTE_PGM_RSRC2:TIDIG_COMP_CNT: 0
; COMPUTE_PGM_RSRC3_GFX90A:ACCUM_OFFSET: 14
; COMPUTE_PGM_RSRC3_GFX90A:TG_SPLIT: 0
	.section	.text._Z19_skinny_gemm_kernelILi3ELi1ELi6ELi32ELi4EEvPKhS1_P6__halfPKfiiiiiiii,"axG",@progbits,_Z19_skinny_gemm_kernelILi3ELi1ELi6ELi32ELi4EEvPKhS1_P6__halfPKfiiiiiiii,comdat
	.protected	_Z19_skinny_gemm_kernelILi3ELi1ELi6ELi32ELi4EEvPKhS1_P6__halfPKfiiiiiiii ; -- Begin function _Z19_skinny_gemm_kernelILi3ELi1ELi6ELi32ELi4EEvPKhS1_P6__halfPKfiiiiiiii
	.globl	_Z19_skinny_gemm_kernelILi3ELi1ELi6ELi32ELi4EEvPKhS1_P6__halfPKfiiiiiiii
	.p2align	8
	.type	_Z19_skinny_gemm_kernelILi3ELi1ELi6ELi32ELi4EEvPKhS1_P6__halfPKfiiiiiiii,@function
_Z19_skinny_gemm_kernelILi3ELi1ELi6ELi32ELi4EEvPKhS1_P6__halfPKfiiiiiiii: ; @_Z19_skinny_gemm_kernelILi3ELi1ELi6ELi32ELi4EEvPKhS1_P6__halfPKfiiiiiiii
; %bb.0:
	v_cmp_gt_u32_e32 vcc, 24, v0
	s_and_saveexec_b64 s[4:5], vcc
; %bb.1:
	v_lshlrev_b32_e32 v1, 2, v0
	v_mov_b32_e32 v2, 0
	ds_write_b32 v1, v2 offset:49152
; %bb.2:
	s_or_b64 exec, exec, s[4:5]
	s_load_dwordx8 s[36:43], s[0:1], 0x20
	s_waitcnt lgkmcnt(0)
	s_barrier
	s_add_i32 s3, s36, 0x5f
	s_add_i32 s4, s37, 31
	s_mul_hi_i32 s3, s3, 0x2aaaaaab
	s_lshr_b32 s5, s3, 31
	s_ashr_i32 s33, s3, 4
	s_ashr_i32 s3, s4, 31
	s_lshr_b32 s3, s3, 27
	s_add_i32 s4, s4, s3
	s_add_i32 s33, s33, s5
	s_ashr_i32 s62, s4, 5
	s_mul_i32 s3, s62, s33
	s_mul_i32 s3, s3, s40
	s_add_i32 s4, s3, 0x12f
	s_mul_hi_i32 s4, s4, 0x6bca1af3
	s_lshr_b32 s5, s4, 31
	s_ashr_i32 s4, s4, 7
	s_add_i32 s4, s4, s5
	s_add_i32 s5, s2, 1
	s_mul_i32 s5, s4, s5
	v_cvt_f64_i32_e32 v[2:3], s3
	v_cvt_f64_u32_e32 v[4:5], s5
	v_min_f64 v[2:3], v[2:3], v[4:5]
	v_cvt_i32_f64_e32 v46, v[2:3]
	s_mul_i32 s63, s4, s2
	v_cmp_ge_i32_e32 vcc, s63, v46
	s_cbranch_vccnz .LBB253_48
; %bb.3:
	v_lshrrev_b32_e32 v1, 6, v0
	s_add_i32 s4, s42, s41
	s_load_dwordx8 s[44:51], s[0:1], 0x0
	v_cmp_le_i32_e64 s[0:1], s4, v1
	v_mov_b32_e32 v2, s41
	v_cmp_le_i32_e64 s[2:3], s41, v1
	v_mov_b32_e32 v3, s42
	v_cndmask_b32_e64 v3, 0, v3, s[0:1]
	v_cndmask_b32_e64 v2, 0, v2, s[2:3]
	s_abs_i32 s5, s40
	v_add_u32_e32 v2, v2, v3
	v_cvt_f32_u32_e32 v3, s5
	v_sub_u32_e32 v40, v1, v2
	s_ashr_i32 s6, s38, 31
	s_lshr_b32 s6, s6, 26
	v_rcp_iflag_f32_e32 v2, v3
	s_sub_i32 s9, 0, s5
	s_add_i32 s6, s38, s6
	s_ashr_i32 s6, s6, 6
	v_mul_f32_e32 v2, 0x4f7ffffe, v2
	v_cvt_u32_f32_e32 v2, v2
	s_abs_i32 s8, s6
	s_xor_b32 s7, s6, s40
	s_ashr_i32 s7, s7, 31
	v_readfirstlane_b32 s10, v2
	s_mul_i32 s9, s9, s10
	s_mul_hi_u32 s9, s10, s9
	s_add_i32 s10, s10, s9
	s_mul_hi_u32 s9, s8, s10
	s_mul_i32 s10, s9, s5
	s_sub_i32 s8, s8, s10
	s_add_i32 s10, s9, 1
	s_sub_i32 s11, s8, s5
	s_cmp_ge_u32 s8, s5
	s_cselect_b32 s9, s10, s9
	s_cselect_b32 s8, s11, s8
	s_add_i32 s10, s9, 1
	s_cmp_ge_u32 s8, s5
	s_cselect_b32 s5, s10, s9
	s_xor_b32 s5, s5, s7
	s_sub_i32 s64, s5, s7
	s_add_i32 s40, s40, -1
	s_mul_i32 s5, s64, s40
	s_add_i32 s4, s4, s43
	v_and_b32_e32 v48, 31, v0
	v_lshrrev_b32_e32 v2, 3, v0
	s_sub_i32 s65, s6, s5
	v_cmp_gt_i32_e64 s[4:5], s4, v1
	v_lshlrev_b32_e32 v1, 2, v48
	v_and_b32_e32 v3, 4, v2
	v_and_b32_e32 v5, 1, v0
	v_lshlrev_b32_e32 v2, 6, v3
	v_or_b32_e32 v4, 0x9000, v1
	v_or_b32_e32 v3, v3, v5
	;; [unrolled: 1-line block ×4, first 2 shown]
	v_lshlrev_b32_e32 v2, 1, v5
	v_or_b32_e32 v5, 2, v3
	v_sub_u32_e32 v60, 32, v5
	v_or_b32_e32 v5, 8, v3
	v_sub_u32_e32 v61, 32, v5
	;; [unrolled: 2-line block ×5, first 2 shown]
	v_mul_lo_u32 v18, s37, v3
	v_sub_u32_e32 v64, 32, v5
	v_or_b32_e32 v5, 24, v3
	v_or_b32_e32 v3, 26, v3
	v_sub_u32_e32 v66, 32, v3
	v_lshrrev_b32_e32 v3, 1, v0
	s_abs_i32 s66, s33
	v_and_b32_e32 v34, 16, v3
	v_cvt_f32_u32_e32 v3, s66
	v_sub_u32_e32 v2, v0, v2
	v_add_u32_e32 v2, 1, v2
	v_and_b32_e32 v6, 63, v2
	v_bitop3_b32 v51, v0, 1, v0 bitop3:0xc
	v_bitop3_b32 v52, v0, 3, 1 bitop3:0x6c
	;; [unrolled: 1-line block ×8, first 2 shown]
	v_and_b32_e32 v2, 30, v0
	v_lshlrev_b32_e32 v0, 4, v0
	v_and_b32_e32 v0, 0x200, v0
	v_rcp_iflag_f32_e32 v3, v3
	s_abs_i32 s67, s62
	v_or_b32_e32 v69, v1, v0
	v_cvt_f32_u32_e32 v1, s67
	s_lshl_b32 s6, s37, 1
	v_add_u32_e32 v20, s6, v18
	s_mul_i32 s7, s37, 6
	v_or_b32_e32 v67, v4, v0
	v_mul_f32_e32 v0, 0x4f7ffffe, v3
	v_add_u32_e32 v22, s7, v20
	v_cvt_u32_f32_e32 v0, v0
	v_rcp_iflag_f32_e32 v1, v1
	v_add_u32_e32 v24, s6, v22
	v_add_u32_e32 v26, s7, v24
	;; [unrolled: 1-line block ×4, first 2 shown]
	v_readfirstlane_b32 s7, v0
	v_mul_f32_e32 v0, 0x4f7ffffe, v1
	v_cvt_u32_f32_e32 v0, v0
	v_add_u32_e32 v32, s6, v30
	s_sub_i32 s6, 0, s66
	s_mul_i32 s6, s6, s7
	s_mul_hi_u32 s6, s7, s6
	s_add_i32 s69, s7, s6
	s_sub_i32 s6, 0, s67
	v_readfirstlane_b32 s7, v0
	v_mbcnt_lo_u32_b32 v0, -1, 0
	s_mul_i32 s6, s6, s7
	v_mbcnt_hi_u32_b32 v0, -1, v0
	v_mov_b32_e32 v17, 0
	v_mul_lo_u32 v36, s39, v48
	s_mul_hi_u32 s6, s7, s6
	v_and_or_b32 v0, v0, 64, v6
	v_cndmask_b32_e64 v47, 0, 1, s[0:1]
	v_ashrrev_i32_e32 v19, 31, v18
	v_ashrrev_i32_e32 v21, 31, v20
	;; [unrolled: 1-line block ×6, first 2 shown]
	v_sub_u32_e32 v65, 32, v5
	v_ashrrev_i32_e32 v31, 31, v30
	v_ashrrev_i32_e32 v33, 31, v32
	;; [unrolled: 1-line block ×3, first 2 shown]
	v_mov_b32_e32 v35, v17
	v_mul_lo_u32 v68, s38, v48
	s_ashr_i32 s68, s33, 31
	s_ashr_i32 s70, s62, 31
	s_add_i32 s71, s7, s6
	s_movk_i32 s72, 0x60
	v_lshlrev_b32_e32 v16, 1, v2
	s_mov_b32 s73, 0x55555556
	v_lshlrev_b32_e32 v70, 2, v0
	v_not_b32_e32 v71, 17
	v_mov_b32_e32 v72, v40
	s_branch .LBB253_7
.LBB253_4:                              ;   in Loop: Header=BB253_7 Depth=1
	s_or_b64 exec, exec, s[10:11]
.LBB253_5:                              ;   in Loop: Header=BB253_7 Depth=1
	s_or_b64 exec, exec, s[8:9]
	v_subrev_u32_e32 v72, s77, v72
.LBB253_6:                              ;   in Loop: Header=BB253_7 Depth=1
	s_or_b64 exec, exec, s[6:7]
	s_add_i32 s63, s63, 1
	v_cmp_ge_i32_e32 vcc, s63, v46
	s_cbranch_vccnz .LBB253_48
.LBB253_7:                              ; =>This Loop Header: Depth=1
                                        ;     Child Loop BB253_13 Depth 2
                                        ;       Child Loop BB253_15 Depth 3
                                        ;       Child Loop BB253_18 Depth 3
                                        ;     Child Loop BB253_35 Depth 2
                                        ;       Child Loop BB253_37 Depth 3
                                        ;     Child Loop BB253_45 Depth 2
                                        ;       Child Loop BB253_47 Depth 3
	s_abs_i32 s7, s63
	s_mul_hi_u32 s8, s7, s69
	s_mul_i32 s9, s8, s66
	s_ashr_i32 s6, s63, 31
	s_sub_i32 s7, s7, s9
	s_xor_b32 s6, s6, s68
	s_add_i32 s9, s8, 1
	s_sub_i32 s10, s7, s66
	s_cmp_ge_u32 s7, s66
	s_cselect_b32 s8, s9, s8
	s_cselect_b32 s7, s10, s7
	s_add_i32 s9, s8, 1
	s_cmp_ge_u32 s7, s66
	s_cselect_b32 s7, s9, s8
	s_xor_b32 s7, s7, s6
	s_sub_i32 s6, s7, s6
	s_abs_i32 s8, s6
	s_mul_hi_u32 s9, s8, s71
	s_mul_i32 s7, s6, s33
	s_mul_i32 s10, s9, s67
	s_sub_i32 s74, s63, s7
	s_ashr_i32 s7, s6, 31
	s_sub_i32 s8, s8, s10
	s_xor_b32 s7, s7, s70
	s_add_i32 s10, s9, 1
	s_sub_i32 s11, s8, s67
	s_cmp_ge_u32 s8, s67
	s_cselect_b32 s9, s10, s9
	s_cselect_b32 s8, s11, s8
	s_add_i32 s10, s9, 1
	s_cmp_ge_u32 s8, s67
	s_cselect_b32 s8, s10, s9
	s_xor_b32 s8, s8, s7
	s_sub_i32 s7, s8, s7
	s_mul_i32 s8, s7, s64
	s_lshl_b32 s75, s8, 6
	s_mulk_i32 s74, 0x60
	s_cmp_eq_u32 s7, s40
	s_cselect_b32 s77, s65, s64
	s_sub_i32 s76, s74, s36
	s_addk_i32 s76, 0x60
	s_and_saveexec_b64 s[8:9], s[2:3]
	s_xor_b64 s[52:53], exec, s[8:9]
	s_cbranch_execz .LBB253_41
; %bb.8:                                ;   in Loop: Header=BB253_7 Depth=1
	s_mul_i32 s7, s7, s62
	s_sub_i32 s6, s6, s7
	s_lshl_b32 s6, s6, 5
	s_sub_i32 s14, s6, s37
	s_add_i32 s14, s14, 32
	s_max_i32 s7, s14, 0
	s_sub_i32 s54, s6, s7
	s_and_saveexec_b64 s[6:7], s[0:1]
	s_xor_b64 s[56:57], exec, s[6:7]
	s_cbranch_execz .LBB253_31
; %bb.9:                                ;   in Loop: Header=BB253_7 Depth=1
	s_and_saveexec_b64 s[58:59], s[4:5]
	s_cbranch_execz .LBB253_30
; %bb.10:                               ;   in Loop: Header=BB253_7 Depth=1
	s_waitcnt lgkmcnt(0)
	global_load_dword v73, v17, s[50:51]
	v_mov_b32_e32 v15, 0
	v_cmp_gt_i32_e32 vcc, s77, v72
	v_mov_b32_e32 v14, v15
	v_mov_b32_e32 v13, v15
	;; [unrolled: 1-line block ×15, first 2 shown]
	s_and_saveexec_b64 s[6:7], vcc
	s_cbranch_execz .LBB253_20
; %bb.11:                               ;   in Loop: Header=BB253_7 Depth=1
	v_mov_b32_e32 v0, 0
	s_mov_b64 s[8:9], 0
	v_mov_b32_e32 v1, v0
	v_mov_b32_e32 v2, v0
	;; [unrolled: 1-line block ×15, first 2 shown]
	s_branch .LBB253_13
.LBB253_12:                             ;   in Loop: Header=BB253_13 Depth=2
	s_or_b64 exec, exec, s[10:11]
	v_add_u32_e32 v77, v50, v77
	ds_read2_b32 v[78:79], v77 offset1:32
	v_add_u32_e32 v72, s43, v72
	s_waitcnt lgkmcnt(0)
	v_mfma_f32_32x32x16_fp8_fp8 v[0:15], v[44:45], v[78:79], v[0:15]
	ds_read2_b32 v[44:45], v77 offset0:128 offset1:160
	s_waitcnt lgkmcnt(0)
	v_mfma_f32_32x32x16_fp8_fp8 v[0:15], v[42:43], v[44:45], v[0:15]
	v_add_u32_e32 v44, 0x400, v77
	ds_read2_b32 v[42:43], v44 offset1:32
	ds_read2_b32 v[44:45], v44 offset0:128 offset1:160
	ds_write_b32 v75, v76 offset:49156
	s_waitcnt lgkmcnt(2)
	v_mfma_f32_32x32x16_fp8_fp8 v[0:15], v[40:41], v[42:43], v[0:15]
	v_add_u32_e32 v40, s43, v74
	v_add_u32_e32 v41, 2, v47
	v_cmp_lt_i32_e32 vcc, 5, v40
	s_nop 1
	v_cndmask_b32_e32 v47, v47, v41, vcc
	v_cmp_le_i32_e32 vcc, s77, v72
	s_waitcnt lgkmcnt(1)
	v_mfma_f32_32x32x16_fp8_fp8 v[0:15], v[38:39], v[44:45], v[0:15]
	s_or_b64 s[8:9], vcc, s[8:9]
	s_andn2_b64 exec, exec, s[8:9]
	s_cbranch_execz .LBB253_19
.LBB253_13:                             ;   Parent Loop BB253_7 Depth=1
                                        ; =>  This Loop Header: Depth=2
                                        ;       Child Loop BB253_15 Depth 3
                                        ;       Child Loop BB253_18 Depth 3
	v_cmp_gt_i32_e32 vcc, 6, v40
	s_nop 1
	v_cndmask_b32_e64 v38, -6, 0, vcc
	v_add_u32_e32 v74, v38, v40
	v_lshlrev_b32_e32 v75, 3, v74
	ds_read_b32 v38, v75 offset:49152
	s_waitcnt lgkmcnt(0)
	v_cmp_ne_u32_e32 vcc, v38, v47
	s_and_saveexec_b64 s[10:11], vcc
	s_cbranch_execz .LBB253_16
; %bb.14:                               ;   in Loop: Header=BB253_13 Depth=2
	s_mov_b64 s[12:13], 0
.LBB253_15:                             ;   Parent Loop BB253_7 Depth=1
                                        ;     Parent Loop BB253_13 Depth=2
                                        ; =>    This Inner Loop Header: Depth=3
	;;#ASMSTART
	s_sleep 0
	;;#ASMEND
	ds_read_b32 v38, v75 offset:49152
	s_waitcnt lgkmcnt(0)
	v_cmp_eq_u32_e32 vcc, v38, v47
	s_or_b64 s[12:13], vcc, s[12:13]
	s_andn2_b64 exec, exec, s[12:13]
	s_cbranch_execnz .LBB253_15
.LBB253_16:                             ;   in Loop: Header=BB253_13 Depth=2
	s_or_b64 exec, exec, s[10:11]
	v_lshlrev_b32_e32 v77, 11, v74
	v_or_b32_e32 v38, v49, v77
	ds_read2_b32 v[44:45], v38 offset1:32
	ds_read2_b32 v[42:43], v38 offset0:128 offset1:160
	v_add_u32_e32 v38, 0x400, v38
	ds_read2_b32 v[40:41], v38 offset1:32
	ds_read_b32 v78, v75 offset:49156
	ds_read2_b32 v[38:39], v38 offset0:128 offset1:160
	v_add_u32_e32 v76, 1, v47
	ds_write_b32 v75, v76 offset:49152
	s_waitcnt lgkmcnt(2)
	v_cmp_ne_u32_e32 vcc, v78, v47
	s_and_saveexec_b64 s[10:11], vcc
	s_cbranch_execz .LBB253_12
; %bb.17:                               ;   in Loop: Header=BB253_13 Depth=2
	s_mov_b64 s[12:13], 0
.LBB253_18:                             ;   Parent Loop BB253_7 Depth=1
                                        ;     Parent Loop BB253_13 Depth=2
                                        ; =>    This Inner Loop Header: Depth=3
	;;#ASMSTART
	s_sleep 0
	;;#ASMEND
	ds_read_b32 v78, v75 offset:49156
	s_waitcnt lgkmcnt(0)
	v_cmp_eq_u32_e32 vcc, v78, v47
	s_or_b64 s[12:13], vcc, s[12:13]
	s_andn2_b64 exec, exec, s[12:13]
	s_cbranch_execnz .LBB253_18
	s_branch .LBB253_12
.LBB253_19:                             ;   in Loop: Header=BB253_7 Depth=1
	s_or_b64 exec, exec, s[8:9]
.LBB253_20:                             ;   in Loop: Header=BB253_7 Depth=1
	s_or_b64 exec, exec, s[6:7]
	v_cmp_le_i32_e32 vcc, s14, v48
	v_cmp_eq_u32_e64 s[6:7], 3, v51
	v_cmp_eq_u32_e64 s[8:9], 4, v51
	s_waitcnt vmcnt(0)
	v_cndmask_b32_e32 v38, 0, v73, vcc
	s_nop 1
	v_pk_mul_f32 v[0:1], v[38:39], v[0:1] op_sel_hi:[0,1]
	v_cmp_eq_u32_e32 vcc, 1, v51
	v_pk_mul_f32 v[14:15], v[38:39], v[14:15] op_sel_hi:[0,1]
	v_pk_mul_f32 v[12:13], v[38:39], v[12:13] op_sel_hi:[0,1]
	;; [unrolled: 1-line block ×7, first 2 shown]
	v_cndmask_b32_e32 v38, v0, v1, vcc
	v_cmp_eq_u32_e32 vcc, 2, v51
	v_cmp_eq_u32_e64 s[10:11], 5, v51
	v_cmp_eq_u32_e64 s[12:13], 6, v51
	v_cndmask_b32_e32 v38, v38, v2, vcc
	v_cndmask_b32_e64 v38, v38, v3, s[6:7]
	v_cndmask_b32_e64 v38, v38, v4, s[8:9]
	;; [unrolled: 1-line block ×4, first 2 shown]
	v_cmp_eq_u32_e64 s[14:15], 7, v51
	v_cmp_eq_u32_e64 s[16:17], 8, v51
	v_cmp_eq_u32_e64 s[18:19], 9, v51
	v_cndmask_b32_e64 v38, v38, v7, s[14:15]
	v_cndmask_b32_e64 v38, v38, v8, s[16:17]
	v_cndmask_b32_e64 v38, v38, v9, s[18:19]
	v_cmp_eq_u32_e64 s[20:21], 10, v51
	v_cmp_eq_u32_e64 s[22:23], 11, v51
	v_cmp_eq_u32_e64 s[24:25], 12, v51
	v_cndmask_b32_e64 v38, v38, v10, s[20:21]
	v_cndmask_b32_e64 v38, v38, v11, s[22:23]
	v_cndmask_b32_e64 v38, v38, v12, s[24:25]
	;; [unrolled: 6-line block ×3, first 2 shown]
	ds_bpermute_b32 v38, v70, v38
	v_cmp_eq_u32_e64 s[34:35], 15, v52
	s_waitcnt lgkmcnt(0)
	v_cndmask_b32_e32 v2, v2, v38, vcc
	v_cmp_ne_u32_e32 vcc, 0, v51
	v_cndmask_b32_e64 v15, v15, v38, s[30:31]
	v_cndmask_b32_e64 v14, v14, v38, s[28:29]
	v_cndmask_b32_e32 v1, v1, v38, vcc
	v_cmp_eq_u32_e32 vcc, 0, v51
	v_cndmask_b32_e64 v13, v13, v38, s[26:27]
	v_cndmask_b32_e64 v12, v12, v38, s[24:25]
	v_cndmask_b32_e32 v0, v0, v38, vcc
	v_cmp_eq_u32_e32 vcc, 1, v52
	v_cndmask_b32_e64 v11, v11, v38, s[22:23]
	v_cndmask_b32_e64 v10, v10, v38, s[20:21]
	;; [unrolled: 1-line block ×9, first 2 shown]
	v_cndmask_b32_e32 v38, v0, v1, vcc
	v_cmp_eq_u32_e64 s[6:7], 2, v52
	v_cmp_eq_u32_e64 s[8:9], 3, v52
	v_cmp_eq_u32_e64 s[10:11], 4, v52
	v_cndmask_b32_e64 v38, v38, v2, s[6:7]
	v_cndmask_b32_e64 v38, v38, v3, s[8:9]
	v_cndmask_b32_e64 v38, v38, v4, s[10:11]
	v_cmp_eq_u32_e64 s[12:13], 5, v52
	v_cmp_eq_u32_e64 s[14:15], 6, v52
	v_cmp_eq_u32_e64 s[16:17], 7, v52
	v_cndmask_b32_e64 v38, v38, v5, s[12:13]
	v_cndmask_b32_e64 v38, v38, v6, s[14:15]
	v_cndmask_b32_e64 v38, v38, v7, s[16:17]
	;; [unrolled: 6-line block ×4, first 2 shown]
	v_cmp_eq_u32_e64 s[30:31], 14, v52
	s_nop 1
	v_cndmask_b32_e64 v38, v38, v14, s[30:31]
	v_cndmask_b32_e64 v38, v38, v15, s[34:35]
	ds_bpermute_b32 v38, v70, v38
	s_waitcnt lgkmcnt(0)
	v_cndmask_b32_e32 v1, v1, v38, vcc
	v_cmp_eq_u32_e32 vcc, 0, v52
	v_cndmask_b32_e64 v15, v15, v38, s[34:35]
	v_cndmask_b32_e64 v14, v14, v38, s[30:31]
	v_cndmask_b32_e32 v0, v0, v38, vcc
	v_cmp_eq_u32_e32 vcc, 1, v53
	v_cndmask_b32_e64 v13, v13, v38, s[28:29]
	v_cndmask_b32_e64 v12, v12, v38, s[26:27]
	v_cndmask_b32_e64 v11, v11, v38, s[24:25]
	v_cndmask_b32_e64 v10, v10, v38, s[22:23]
	v_cndmask_b32_e64 v9, v9, v38, s[20:21]
	v_cndmask_b32_e64 v8, v8, v38, s[18:19]
	v_cndmask_b32_e64 v7, v7, v38, s[16:17]
	v_cndmask_b32_e64 v6, v6, v38, s[14:15]
	v_cndmask_b32_e64 v5, v5, v38, s[12:13]
	v_cndmask_b32_e64 v4, v4, v38, s[10:11]
	v_cndmask_b32_e64 v3, v3, v38, s[8:9]
	v_cndmask_b32_e64 v2, v2, v38, s[6:7]
	v_cndmask_b32_e32 v38, v0, v1, vcc
	v_cmp_eq_u32_e64 s[6:7], 2, v53
	v_cmp_eq_u32_e64 s[8:9], 3, v53
	v_cmp_eq_u32_e64 s[10:11], 4, v53
	v_cndmask_b32_e64 v38, v38, v2, s[6:7]
	v_cndmask_b32_e64 v38, v38, v3, s[8:9]
	v_cndmask_b32_e64 v38, v38, v4, s[10:11]
	v_cmp_eq_u32_e64 s[12:13], 5, v53
	v_cmp_eq_u32_e64 s[14:15], 6, v53
	v_cmp_eq_u32_e64 s[16:17], 7, v53
	v_cndmask_b32_e64 v38, v38, v5, s[12:13]
	v_cndmask_b32_e64 v38, v38, v6, s[14:15]
	v_cndmask_b32_e64 v38, v38, v7, s[16:17]
	v_cmp_eq_u32_e64 s[18:19], 8, v53
	v_cmp_eq_u32_e64 s[20:21], 9, v53
	v_cmp_eq_u32_e64 s[22:23], 10, v53
	v_cndmask_b32_e64 v38, v38, v8, s[18:19]
	v_cndmask_b32_e64 v38, v38, v9, s[20:21]
	v_cndmask_b32_e64 v38, v38, v10, s[22:23]
	v_cmp_eq_u32_e64 s[24:25], 11, v53
	v_cmp_eq_u32_e64 s[26:27], 12, v53
	v_cmp_eq_u32_e64 s[28:29], 13, v53
	v_cndmask_b32_e64 v38, v38, v11, s[24:25]
	v_cndmask_b32_e64 v38, v38, v12, s[26:27]
	v_cndmask_b32_e64 v38, v38, v13, s[28:29]
	v_cmp_eq_u32_e64 s[30:31], 14, v53
	v_cmp_eq_u32_e64 s[34:35], 15, v53
	s_nop 0
	v_cndmask_b32_e64 v38, v38, v14, s[30:31]
	v_cndmask_b32_e64 v38, v38, v15, s[34:35]
	ds_bpermute_b32 v38, v70, v38
	s_waitcnt lgkmcnt(0)
	v_cndmask_b32_e32 v1, v1, v38, vcc
	v_cmp_eq_u32_e32 vcc, 0, v53
	v_cndmask_b32_e64 v15, v15, v38, s[34:35]
	v_cndmask_b32_e64 v14, v14, v38, s[30:31]
	v_cndmask_b32_e32 v0, v0, v38, vcc
	v_cmp_eq_u32_e32 vcc, 1, v54
	v_cndmask_b32_e64 v13, v13, v38, s[28:29]
	v_cndmask_b32_e64 v12, v12, v38, s[26:27]
	v_cndmask_b32_e64 v11, v11, v38, s[24:25]
	v_cndmask_b32_e64 v10, v10, v38, s[22:23]
	v_cndmask_b32_e64 v9, v9, v38, s[20:21]
	v_cndmask_b32_e64 v8, v8, v38, s[18:19]
	v_cndmask_b32_e64 v7, v7, v38, s[16:17]
	v_cndmask_b32_e64 v6, v6, v38, s[14:15]
	v_cndmask_b32_e64 v5, v5, v38, s[12:13]
	v_cndmask_b32_e64 v4, v4, v38, s[10:11]
	v_cndmask_b32_e64 v3, v3, v38, s[8:9]
	v_cndmask_b32_e64 v2, v2, v38, s[6:7]
	v_cndmask_b32_e32 v38, v0, v1, vcc
	v_cmp_eq_u32_e64 s[6:7], 2, v54
	v_cmp_eq_u32_e64 s[8:9], 3, v54
	v_cmp_eq_u32_e64 s[10:11], 4, v54
	v_cndmask_b32_e64 v38, v38, v2, s[6:7]
	v_cndmask_b32_e64 v38, v38, v3, s[8:9]
	v_cndmask_b32_e64 v38, v38, v4, s[10:11]
	v_cmp_eq_u32_e64 s[12:13], 5, v54
	v_cmp_eq_u32_e64 s[14:15], 6, v54
	v_cmp_eq_u32_e64 s[16:17], 7, v54
	v_cndmask_b32_e64 v38, v38, v5, s[12:13]
	v_cndmask_b32_e64 v38, v38, v6, s[14:15]
	v_cndmask_b32_e64 v38, v38, v7, s[16:17]
	v_cmp_eq_u32_e64 s[18:19], 8, v54
	v_cmp_eq_u32_e64 s[20:21], 9, v54
	v_cmp_eq_u32_e64 s[22:23], 10, v54
	v_cndmask_b32_e64 v38, v38, v8, s[18:19]
	v_cndmask_b32_e64 v38, v38, v9, s[20:21]
	v_cndmask_b32_e64 v38, v38, v10, s[22:23]
	v_cmp_eq_u32_e64 s[24:25], 11, v54
	v_cmp_eq_u32_e64 s[26:27], 12, v54
	v_cmp_eq_u32_e64 s[28:29], 13, v54
	v_cndmask_b32_e64 v38, v38, v11, s[24:25]
	v_cndmask_b32_e64 v38, v38, v12, s[26:27]
	v_cndmask_b32_e64 v38, v38, v13, s[28:29]
	v_cmp_eq_u32_e64 s[30:31], 14, v54
	v_cmp_eq_u32_e64 s[34:35], 15, v54
	s_nop 0
	v_cndmask_b32_e64 v38, v38, v14, s[30:31]
	v_cndmask_b32_e64 v38, v38, v15, s[34:35]
	ds_bpermute_b32 v38, v70, v38
	s_waitcnt lgkmcnt(0)
	v_cndmask_b32_e32 v1, v1, v38, vcc
	v_cmp_eq_u32_e32 vcc, 0, v54
	v_cndmask_b32_e64 v15, v15, v38, s[34:35]
	v_cndmask_b32_e64 v14, v14, v38, s[30:31]
	v_cndmask_b32_e32 v0, v0, v38, vcc
	v_cmp_eq_u32_e32 vcc, 1, v55
	v_cndmask_b32_e64 v13, v13, v38, s[28:29]
	v_cndmask_b32_e64 v12, v12, v38, s[26:27]
	v_cndmask_b32_e64 v11, v11, v38, s[24:25]
	v_cndmask_b32_e64 v10, v10, v38, s[22:23]
	v_cndmask_b32_e64 v9, v9, v38, s[20:21]
	v_cndmask_b32_e64 v8, v8, v38, s[18:19]
	v_cndmask_b32_e64 v7, v7, v38, s[16:17]
	v_cndmask_b32_e64 v6, v6, v38, s[14:15]
	v_cndmask_b32_e64 v5, v5, v38, s[12:13]
	v_cndmask_b32_e64 v4, v4, v38, s[10:11]
	v_cndmask_b32_e64 v3, v3, v38, s[8:9]
	v_cndmask_b32_e64 v2, v2, v38, s[6:7]
	v_cndmask_b32_e32 v38, v0, v1, vcc
	v_cmp_eq_u32_e64 s[6:7], 2, v55
	v_cmp_eq_u32_e64 s[8:9], 3, v55
	v_cmp_eq_u32_e64 s[10:11], 4, v55
	v_cndmask_b32_e64 v38, v38, v2, s[6:7]
	v_cndmask_b32_e64 v38, v38, v3, s[8:9]
	v_cndmask_b32_e64 v38, v38, v4, s[10:11]
	v_cmp_eq_u32_e64 s[12:13], 5, v55
	v_cmp_eq_u32_e64 s[14:15], 6, v55
	v_cmp_eq_u32_e64 s[16:17], 7, v55
	v_cndmask_b32_e64 v38, v38, v5, s[12:13]
	v_cndmask_b32_e64 v38, v38, v6, s[14:15]
	v_cndmask_b32_e64 v38, v38, v7, s[16:17]
	v_cmp_eq_u32_e64 s[18:19], 8, v55
	v_cmp_eq_u32_e64 s[20:21], 9, v55
	v_cmp_eq_u32_e64 s[22:23], 10, v55
	v_cndmask_b32_e64 v38, v38, v8, s[18:19]
	v_cndmask_b32_e64 v38, v38, v9, s[20:21]
	v_cndmask_b32_e64 v38, v38, v10, s[22:23]
	v_cmp_eq_u32_e64 s[24:25], 11, v55
	v_cmp_eq_u32_e64 s[26:27], 12, v55
	v_cmp_eq_u32_e64 s[28:29], 13, v55
	v_cndmask_b32_e64 v38, v38, v11, s[24:25]
	v_cndmask_b32_e64 v38, v38, v12, s[26:27]
	v_cndmask_b32_e64 v38, v38, v13, s[28:29]
	v_cmp_eq_u32_e64 s[30:31], 14, v55
	v_cmp_eq_u32_e64 s[34:35], 15, v55
	s_nop 0
	v_cndmask_b32_e64 v38, v38, v14, s[30:31]
	v_cndmask_b32_e64 v38, v38, v15, s[34:35]
	ds_bpermute_b32 v38, v70, v38
	s_waitcnt lgkmcnt(0)
	v_cndmask_b32_e32 v1, v1, v38, vcc
	v_cmp_eq_u32_e32 vcc, 0, v55
	v_cndmask_b32_e64 v15, v15, v38, s[34:35]
	v_cndmask_b32_e64 v14, v14, v38, s[30:31]
	v_cndmask_b32_e32 v0, v0, v38, vcc
	v_cmp_eq_u32_e32 vcc, 1, v56
	v_cndmask_b32_e64 v13, v13, v38, s[28:29]
	v_cndmask_b32_e64 v12, v12, v38, s[26:27]
	v_cndmask_b32_e64 v11, v11, v38, s[24:25]
	v_cndmask_b32_e64 v10, v10, v38, s[22:23]
	v_cndmask_b32_e64 v9, v9, v38, s[20:21]
	v_cndmask_b32_e64 v8, v8, v38, s[18:19]
	v_cndmask_b32_e64 v7, v7, v38, s[16:17]
	v_cndmask_b32_e64 v6, v6, v38, s[14:15]
	v_cndmask_b32_e64 v5, v5, v38, s[12:13]
	v_cndmask_b32_e64 v4, v4, v38, s[10:11]
	v_cndmask_b32_e64 v3, v3, v38, s[8:9]
	v_cndmask_b32_e64 v2, v2, v38, s[6:7]
	v_cndmask_b32_e32 v38, v0, v1, vcc
	v_cmp_eq_u32_e64 s[6:7], 2, v56
	v_cmp_eq_u32_e64 s[8:9], 3, v56
	v_cmp_eq_u32_e64 s[10:11], 4, v56
	v_cndmask_b32_e64 v38, v38, v2, s[6:7]
	v_cndmask_b32_e64 v38, v38, v3, s[8:9]
	v_cndmask_b32_e64 v38, v38, v4, s[10:11]
	v_cmp_eq_u32_e64 s[12:13], 5, v56
	v_cmp_eq_u32_e64 s[14:15], 6, v56
	v_cmp_eq_u32_e64 s[16:17], 7, v56
	v_cndmask_b32_e64 v38, v38, v5, s[12:13]
	v_cndmask_b32_e64 v38, v38, v6, s[14:15]
	v_cndmask_b32_e64 v38, v38, v7, s[16:17]
	v_cmp_eq_u32_e64 s[18:19], 8, v56
	v_cmp_eq_u32_e64 s[20:21], 9, v56
	v_cmp_eq_u32_e64 s[22:23], 10, v56
	v_cndmask_b32_e64 v38, v38, v8, s[18:19]
	v_cndmask_b32_e64 v38, v38, v9, s[20:21]
	v_cndmask_b32_e64 v38, v38, v10, s[22:23]
	v_cmp_eq_u32_e64 s[24:25], 11, v56
	v_cmp_eq_u32_e64 s[26:27], 12, v56
	v_cmp_eq_u32_e64 s[28:29], 13, v56
	v_cndmask_b32_e64 v38, v38, v11, s[24:25]
	v_cndmask_b32_e64 v38, v38, v12, s[26:27]
	v_cndmask_b32_e64 v38, v38, v13, s[28:29]
	v_cmp_eq_u32_e64 s[30:31], 14, v56
	v_cmp_eq_u32_e64 s[34:35], 15, v56
	s_nop 0
	v_cndmask_b32_e64 v38, v38, v14, s[30:31]
	v_cndmask_b32_e64 v38, v38, v15, s[34:35]
	ds_bpermute_b32 v38, v70, v38
	s_waitcnt lgkmcnt(0)
	v_cndmask_b32_e32 v1, v1, v38, vcc
	v_cmp_eq_u32_e32 vcc, 0, v56
	v_cndmask_b32_e64 v15, v15, v38, s[34:35]
	v_cndmask_b32_e64 v14, v14, v38, s[30:31]
	v_cndmask_b32_e64 v13, v13, v38, s[28:29]
	v_cndmask_b32_e64 v12, v12, v38, s[26:27]
	v_cndmask_b32_e64 v11, v11, v38, s[24:25]
	v_cndmask_b32_e64 v10, v10, v38, s[22:23]
	v_cndmask_b32_e64 v39, v9, v38, s[20:21]
	v_cndmask_b32_e64 v41, v8, v38, s[18:19]
	v_cndmask_b32_e64 v42, v7, v38, s[16:17]
	v_cndmask_b32_e64 v43, v6, v38, s[14:15]
	v_cndmask_b32_e64 v44, v5, v38, s[12:13]
	v_cndmask_b32_e64 v45, v4, v38, s[10:11]
	v_cndmask_b32_e64 v73, v3, v38, s[8:9]
	v_cndmask_b32_e64 v74, v2, v38, s[6:7]
	v_cndmask_b32_e32 v38, v0, v38, vcc
	v_cmp_eq_u32_e32 vcc, 1, v57
	v_cmp_eq_u32_e64 s[6:7], 2, v57
	v_cmp_eq_u32_e64 s[8:9], 3, v57
	v_cndmask_b32_e32 v0, v38, v1, vcc
	v_cndmask_b32_e64 v0, v0, v74, s[6:7]
	v_cndmask_b32_e64 v0, v0, v73, s[8:9]
	v_cmp_eq_u32_e64 s[10:11], 4, v57
	v_cmp_eq_u32_e64 s[12:13], 5, v57
	v_cmp_eq_u32_e64 s[14:15], 6, v57
	v_cndmask_b32_e64 v0, v0, v45, s[10:11]
	v_cndmask_b32_e64 v0, v0, v44, s[12:13]
	v_cndmask_b32_e64 v0, v0, v43, s[14:15]
	v_cmp_eq_u32_e64 s[16:17], 7, v57
	v_cmp_eq_u32_e64 s[18:19], 8, v57
	v_cmp_eq_u32_e64 s[20:21], 9, v57
	v_cndmask_b32_e64 v0, v0, v42, s[16:17]
	;; [unrolled: 6-line block ×4, first 2 shown]
	v_cndmask_b32_e64 v0, v0, v14, s[30:31]
	v_cndmask_b32_e64 v0, v0, v15, s[34:35]
	ds_bpermute_b32 v75, v70, v0
	s_waitcnt lgkmcnt(0)
	v_cndmask_b32_e32 v0, v1, v75, vcc
	v_cmp_eq_u32_e32 vcc, 0, v57
	v_cndmask_b32_e64 v4, v15, v75, s[34:35]
	v_cndmask_b32_e64 v15, v74, v75, s[6:7]
	v_cndmask_b32_e32 v1, v38, v75, vcc
	v_cmp_eq_u32_e32 vcc, 1, v58
	v_cndmask_b32_e64 v5, v14, v75, s[30:31]
	v_cndmask_b32_e64 v14, v73, v75, s[8:9]
	;; [unrolled: 4-line block ×7, first 2 shown]
	v_cndmask_b32_e32 v38, v38, v13, vcc
	v_cmp_eq_u32_e32 vcc, 7, v58
	s_nop 1
	v_cndmask_b32_e32 v38, v38, v12, vcc
	v_cmp_eq_u32_e32 vcc, 8, v58
	s_nop 1
	;; [unrolled: 3-line block ×9, first 2 shown]
	v_cndmask_b32_e32 v38, v38, v4, vcc
	ds_bpermute_b32 v38, v70, v38
	v_cmp_lt_i32_e32 vcc, s76, v59
	s_and_saveexec_b64 s[60:61], vcc
	s_cbranch_execz .LBB253_29
; %bb.21:                               ;   in Loop: Header=BB253_7 Depth=1
	s_mul_i32 s6, s74, s37
	s_ashr_i32 s7, s6, 31
	s_lshl_b64 s[6:7], s[6:7], 1
	v_cmp_eq_u32_e64 s[30:31], 1, v58
	s_add_u32 s8, s48, s6
	s_addc_u32 s9, s49, s7
	s_waitcnt lgkmcnt(0)
	v_cndmask_b32_e64 v0, v0, v38, s[30:31]
	v_cmp_eq_u32_e64 s[30:31], 0, v58
	s_ashr_i32 s55, s54, 31
	s_lshl_b64 s[6:7], s[54:55], 1
	v_cndmask_b32_e64 v1, v1, v38, s[30:31]
	v_cvt_f16_f32_e32 v39, v1
	v_cvt_f16_f32_sdwa v41, v0 dst_sel:WORD_1 dst_unused:UNUSED_PAD src0_sel:DWORD
	s_add_u32 s34, s8, s6
	s_addc_u32 s35, s9, s7
	v_cmp_eq_u32_e64 s[8:9], 15, v58
	v_cmp_eq_u32_e64 s[10:11], 14, v58
	;; [unrolled: 1-line block ×10, first 2 shown]
	v_cmp_eq_u32_e32 vcc, 5, v58
	v_cmp_eq_u32_e64 s[6:7], 4, v58
	v_cmp_eq_u32_e64 s[28:29], 3, v58
	v_cmp_eq_u32_e64 s[30:31], 2, v58
	v_lshl_add_u64 v[0:1], s[34:35], 0, v[16:17]
	v_cmp_lt_i32_e64 s[34:35], s76, v60
	v_lshl_add_u64 v[42:43], v[18:19], 1, v[0:1]
	v_or_b32_e32 v39, v41, v39
	;;#ASMSTART
	global_atomic_pk_add_f16 v[42:43], v39, off
	
	;;#ASMEND
	s_and_b64 exec, exec, s[34:35]
	s_cbranch_execz .LBB253_29
; %bb.22:                               ;   in Loop: Header=BB253_7 Depth=1
	v_cndmask_b32_e64 v14, v14, v38, s[28:29]
	v_cndmask_b32_e64 v15, v15, v38, s[30:31]
	v_cvt_f16_f32_e32 v39, v15
	v_cvt_f16_f32_sdwa v41, v14 dst_sel:WORD_1 dst_unused:UNUSED_PAD src0_sel:DWORD
	v_cndmask_b32_e64 v4, v4, v38, s[8:9]
	v_cndmask_b32_e64 v5, v5, v38, s[10:11]
	;; [unrolled: 1-line block ×10, first 2 shown]
	v_cndmask_b32_e32 v2, v2, v38, vcc
	v_cndmask_b32_e64 v3, v3, v38, s[6:7]
	v_cmp_lt_i32_e32 vcc, s76, v61
	v_lshl_add_u64 v[14:15], v[20:21], 1, v[0:1]
	v_or_b32_e32 v38, v41, v39
	;;#ASMSTART
	global_atomic_pk_add_f16 v[14:15], v38, off
	
	;;#ASMEND
	s_and_b64 exec, exec, vcc
	s_cbranch_execz .LBB253_29
; %bb.23:                               ;   in Loop: Header=BB253_7 Depth=1
	v_cvt_f16_f32_e32 v14, v3
	v_cvt_f16_f32_sdwa v15, v2 dst_sel:WORD_1 dst_unused:UNUSED_PAD src0_sel:DWORD
	v_cmp_lt_i32_e32 vcc, s76, v62
	v_lshl_add_u64 v[2:3], v[22:23], 1, v[0:1]
	v_or_b32_e32 v14, v15, v14
	;;#ASMSTART
	global_atomic_pk_add_f16 v[2:3], v14, off
	
	;;#ASMEND
	s_and_b64 exec, exec, vcc
	s_cbranch_execz .LBB253_29
; %bb.24:                               ;   in Loop: Header=BB253_7 Depth=1
	v_cvt_f16_f32_e32 v13, v13
	v_cvt_f16_f32_sdwa v12, v12 dst_sel:WORD_1 dst_unused:UNUSED_PAD src0_sel:DWORD
	;; [unrolled: 12-line block ×6, first 2 shown]
	v_lshl_add_u64 v[0:1], v[32:33], 1, v[0:1]
	v_or_b32_e32 v2, v3, v2
	;;#ASMSTART
	global_atomic_pk_add_f16 v[0:1], v2, off
	
	;;#ASMEND
.LBB253_29:                             ;   in Loop: Header=BB253_7 Depth=1
	s_or_b64 exec, exec, s[60:61]
	v_subrev_u32_e32 v72, s77, v72
.LBB253_30:                             ;   in Loop: Header=BB253_7 Depth=1
	s_or_b64 exec, exec, s[58:59]
.LBB253_31:                             ;   in Loop: Header=BB253_7 Depth=1
	s_andn2_saveexec_b64 s[6:7], s[56:57]
	s_cbranch_execz .LBB253_40
; %bb.32:                               ;   in Loop: Header=BB253_7 Depth=1
	v_cmp_gt_i32_e32 vcc, s77, v72
	s_and_saveexec_b64 s[8:9], vcc
	s_cbranch_execz .LBB253_39
; %bb.33:                               ;   in Loop: Header=BB253_7 Depth=1
	s_mul_i32 s10, s54, s39
	s_ashr_i32 s11, s10, 31
	s_waitcnt lgkmcnt(0)
	s_add_u32 s10, s46, s10
	s_addc_u32 s11, s47, s11
	s_ashr_i32 s12, s75, 31
	s_add_u32 s10, s10, s75
	s_addc_u32 s11, s11, s12
	v_lshl_add_u64 v[0:1], s[10:11], 0, v[36:37]
	v_lshl_add_u64 v[8:9], v[0:1], 0, v[34:35]
	s_mov_b64 s[10:11], 0
	s_branch .LBB253_35
.LBB253_34:                             ;   in Loop: Header=BB253_35 Depth=2
	s_or_b64 exec, exec, s[12:13]
	v_lshl_add_u32 v12, v10, 11, v67
	;;#ASMSTART
	s_waitcnt vmcnt(1)
	;;#ASMEND
	ds_write2_b32 v12, v4, v5 offset1:32
	ds_write2_b32 v12, v6, v7 offset0:64 offset1:96
	v_add_u32_e32 v4, 0x400, v12
	v_add_u32_e32 v72, s42, v72
	;;#ASMSTART
	s_waitcnt vmcnt(0)
	;;#ASMEND
	ds_write2_b32 v4, v0, v1 offset1:32
	ds_write2_b32 v4, v2, v3 offset0:64 offset1:96
	v_add_u32_e32 v0, 1, v47
	v_add_u32_e32 v40, s42, v10
	v_cmp_le_i32_e32 vcc, s77, v72
	ds_write_b32 v11, v0 offset:72
	v_add_u32_e32 v0, 2, v47
	s_or_b64 s[10:11], vcc, s[10:11]
	v_cmp_lt_i32_e32 vcc, 5, v40
	s_nop 1
	v_cndmask_b32_e32 v47, v47, v0, vcc
	s_andn2_b64 exec, exec, s[10:11]
	s_cbranch_execz .LBB253_38
.LBB253_35:                             ;   Parent Loop BB253_7 Depth=1
                                        ; =>  This Loop Header: Depth=2
                                        ;       Child Loop BB253_37 Depth 3
	v_cmp_gt_i32_e32 vcc, 6, v40
	s_nop 1
	v_cndmask_b32_e64 v0, -6, 0, vcc
	v_add_u32_e32 v10, v0, v40
	v_lshlrev_b32_e32 v0, 6, v72
	v_ashrrev_i32_e32 v1, 31, v0
	v_lshl_add_u64 v[0:1], v[8:9], 0, v[0:1]
	v_lshlrev_b32_e32 v11, 2, v10
	;;#ASMSTART
	global_load_dwordx4 v[4:7], v[0:1], off offset:0   sc0 sc1 nt  
	global_load_dwordx4 v[0:3], v[0:1], off offset:32  sc0 sc1 nt  
	
	;;#ASMEND
	ds_read_b32 v12, v11 offset:49224
	v_add_u32_e32 v11, 0xc000, v11
	s_waitcnt lgkmcnt(0)
	v_cmp_ne_u32_e32 vcc, v12, v47
	s_and_saveexec_b64 s[12:13], vcc
	s_cbranch_execz .LBB253_34
; %bb.36:                               ;   in Loop: Header=BB253_35 Depth=2
	s_mov_b64 s[14:15], 0
.LBB253_37:                             ;   Parent Loop BB253_7 Depth=1
                                        ;     Parent Loop BB253_35 Depth=2
                                        ; =>    This Inner Loop Header: Depth=3
	;;#ASMSTART
	s_sleep 0
	;;#ASMEND
	ds_read_b32 v12, v11 offset:72
	s_waitcnt lgkmcnt(0)
	v_cmp_eq_u32_e32 vcc, v12, v47
	s_or_b64 s[14:15], vcc, s[14:15]
	s_andn2_b64 exec, exec, s[14:15]
	s_cbranch_execnz .LBB253_37
	s_branch .LBB253_34
.LBB253_38:                             ;   in Loop: Header=BB253_7 Depth=1
	s_or_b64 exec, exec, s[10:11]
.LBB253_39:                             ;   in Loop: Header=BB253_7 Depth=1
	s_or_b64 exec, exec, s[8:9]
	v_subrev_u32_e32 v72, s77, v72
.LBB253_40:                             ;   in Loop: Header=BB253_7 Depth=1
	s_or_b64 exec, exec, s[6:7]
.LBB253_41:                             ;   in Loop: Header=BB253_7 Depth=1
	s_andn2_saveexec_b64 s[6:7], s[52:53]
	s_cbranch_execz .LBB253_6
; %bb.42:                               ;   in Loop: Header=BB253_7 Depth=1
	s_mul_i32 s77, s77, 3
	v_cmp_gt_i32_e32 vcc, s77, v72
	s_and_saveexec_b64 s[8:9], vcc
	s_cbranch_execz .LBB253_5
; %bb.43:                               ;   in Loop: Header=BB253_7 Depth=1
	s_mul_i32 s74, s74, s38
	s_max_i32 s12, s76, 0
	s_ashr_i32 s10, s74, 31
	s_waitcnt lgkmcnt(0)
	s_add_u32 s11, s44, s74
	v_add_u32_e32 v2, s12, v48
	s_addc_u32 s13, s45, s10
	s_ashr_i32 s14, s75, 31
	v_cmp_gt_u32_e32 vcc, s72, v2
	s_add_u32 s10, s11, s75
	s_addc_u32 s11, s13, s14
	v_cndmask_b32_e32 v0, 0, v68, vcc
	v_ashrrev_i32_e32 v1, 31, v0
	v_lshl_add_u64 v[0:1], s[10:11], 0, v[0:1]
	v_lshl_add_u64 v[8:9], v[0:1], 0, v[34:35]
	v_sub_u32_e32 v10, 0x5f, v2
	s_mov_b64 s[10:11], 0
	s_branch .LBB253_45
.LBB253_44:                             ;   in Loop: Header=BB253_45 Depth=2
	s_or_b64 exec, exec, s[12:13]
	v_lshl_or_b32 v13, v11, 11, v69
	;;#ASMSTART
	s_waitcnt vmcnt(1)
	;;#ASMEND
	ds_write2_b32 v13, v4, v5 offset1:32
	ds_write2_b32 v13, v6, v7 offset0:64 offset1:96
	v_add_u32_e32 v4, 0x400, v13
	v_add_u32_e32 v72, s41, v72
	;;#ASMSTART
	s_waitcnt vmcnt(0)
	;;#ASMEND
	ds_write2_b32 v4, v0, v1 offset1:32
	ds_write2_b32 v4, v2, v3 offset0:64 offset1:96
	v_add_u32_e32 v0, 1, v47
	v_add_u32_e32 v40, s41, v11
	v_cmp_le_i32_e32 vcc, s77, v72
	ds_write_b32 v12, v0
	v_add_u32_e32 v0, 2, v47
	s_or_b64 s[10:11], vcc, s[10:11]
	v_cmp_lt_i32_e32 vcc, 17, v40
	s_nop 1
	v_cndmask_b32_e32 v47, v47, v0, vcc
	s_andn2_b64 exec, exec, s[10:11]
	s_cbranch_execz .LBB253_4
.LBB253_45:                             ;   Parent Loop BB253_7 Depth=1
                                        ; =>  This Loop Header: Depth=2
                                        ;       Child Loop BB253_47 Depth 3
	v_cmp_gt_i32_e32 vcc, 18, v40
	s_nop 1
	v_cndmask_b32_e64 v0, v71, 0, vcc
	v_add_u32_e32 v11, v0, v40
	v_mul_hi_i32 v0, v72, s73
	v_lshrrev_b32_e32 v1, 31, v0
	v_add_u32_e32 v0, v0, v1
	v_lshl_add_u32 v1, v0, 1, v0
	v_sub_u32_e32 v1, v72, v1
	v_lshlrev_b32_e32 v1, 5, v1
	v_cmp_le_i32_e32 vcc, v1, v10
	v_lshlrev_b32_e32 v0, 6, v0
	v_lshlrev_b32_e32 v12, 2, v11
	v_cndmask_b32_e32 v2, 0, v1, vcc
	v_ashrrev_i32_e32 v1, 31, v0
	v_mul_lo_u32 v2, v2, s38
	v_lshl_add_u64 v[0:1], v[8:9], 0, v[0:1]
	v_ashrrev_i32_e32 v3, 31, v2
	v_lshl_add_u64 v[0:1], v[0:1], 0, v[2:3]
	;;#ASMSTART
	global_load_dwordx4 v[4:7], v[0:1], off offset:0   
	global_load_dwordx4 v[0:3], v[0:1], off offset:32  
	
	;;#ASMEND
	ds_read_b32 v13, v12 offset:49152
	v_add_u32_e32 v12, 0xc000, v12
	s_waitcnt lgkmcnt(0)
	v_cmp_ne_u32_e32 vcc, v13, v47
	s_and_saveexec_b64 s[12:13], vcc
	s_cbranch_execz .LBB253_44
; %bb.46:                               ;   in Loop: Header=BB253_45 Depth=2
	s_mov_b64 s[14:15], 0
.LBB253_47:                             ;   Parent Loop BB253_7 Depth=1
                                        ;     Parent Loop BB253_45 Depth=2
                                        ; =>    This Inner Loop Header: Depth=3
	;;#ASMSTART
	s_sleep 0
	;;#ASMEND
	ds_read_b32 v13, v12
	s_waitcnt lgkmcnt(0)
	v_cmp_eq_u32_e32 vcc, v13, v47
	s_or_b64 s[14:15], vcc, s[14:15]
	s_andn2_b64 exec, exec, s[14:15]
	s_cbranch_execnz .LBB253_47
	s_branch .LBB253_44
.LBB253_48:
	s_endpgm
	.section	.rodata,"a",@progbits
	.p2align	6, 0x0
	.amdhsa_kernel _Z19_skinny_gemm_kernelILi3ELi1ELi6ELi32ELi4EEvPKhS1_P6__halfPKfiiiiiiii
		.amdhsa_group_segment_fixed_size 49248
		.amdhsa_private_segment_fixed_size 0
		.amdhsa_kernarg_size 64
		.amdhsa_user_sgpr_count 2
		.amdhsa_user_sgpr_dispatch_ptr 0
		.amdhsa_user_sgpr_queue_ptr 0
		.amdhsa_user_sgpr_kernarg_segment_ptr 1
		.amdhsa_user_sgpr_dispatch_id 0
		.amdhsa_user_sgpr_kernarg_preload_length 0
		.amdhsa_user_sgpr_kernarg_preload_offset 0
		.amdhsa_user_sgpr_private_segment_size 0
		.amdhsa_uses_dynamic_stack 0
		.amdhsa_enable_private_segment 0
		.amdhsa_system_sgpr_workgroup_id_x 1
		.amdhsa_system_sgpr_workgroup_id_y 0
		.amdhsa_system_sgpr_workgroup_id_z 0
		.amdhsa_system_sgpr_workgroup_info 0
		.amdhsa_system_vgpr_workitem_id 0
		.amdhsa_next_free_vgpr 80
		.amdhsa_next_free_sgpr 78
		.amdhsa_accum_offset 80
		.amdhsa_reserve_vcc 1
		.amdhsa_float_round_mode_32 0
		.amdhsa_float_round_mode_16_64 0
		.amdhsa_float_denorm_mode_32 3
		.amdhsa_float_denorm_mode_16_64 3
		.amdhsa_dx10_clamp 1
		.amdhsa_ieee_mode 1
		.amdhsa_fp16_overflow 0
		.amdhsa_tg_split 0
		.amdhsa_exception_fp_ieee_invalid_op 0
		.amdhsa_exception_fp_denorm_src 0
		.amdhsa_exception_fp_ieee_div_zero 0
		.amdhsa_exception_fp_ieee_overflow 0
		.amdhsa_exception_fp_ieee_underflow 0
		.amdhsa_exception_fp_ieee_inexact 0
		.amdhsa_exception_int_div_zero 0
	.end_amdhsa_kernel
	.section	.text._Z19_skinny_gemm_kernelILi3ELi1ELi6ELi32ELi4EEvPKhS1_P6__halfPKfiiiiiiii,"axG",@progbits,_Z19_skinny_gemm_kernelILi3ELi1ELi6ELi32ELi4EEvPKhS1_P6__halfPKfiiiiiiii,comdat
.Lfunc_end253:
	.size	_Z19_skinny_gemm_kernelILi3ELi1ELi6ELi32ELi4EEvPKhS1_P6__halfPKfiiiiiiii, .Lfunc_end253-_Z19_skinny_gemm_kernelILi3ELi1ELi6ELi32ELi4EEvPKhS1_P6__halfPKfiiiiiiii
                                        ; -- End function
	.set _Z19_skinny_gemm_kernelILi3ELi1ELi6ELi32ELi4EEvPKhS1_P6__halfPKfiiiiiiii.num_vgpr, 80
	.set _Z19_skinny_gemm_kernelILi3ELi1ELi6ELi32ELi4EEvPKhS1_P6__halfPKfiiiiiiii.num_agpr, 0
	.set _Z19_skinny_gemm_kernelILi3ELi1ELi6ELi32ELi4EEvPKhS1_P6__halfPKfiiiiiiii.numbered_sgpr, 78
	.set _Z19_skinny_gemm_kernelILi3ELi1ELi6ELi32ELi4EEvPKhS1_P6__halfPKfiiiiiiii.num_named_barrier, 0
	.set _Z19_skinny_gemm_kernelILi3ELi1ELi6ELi32ELi4EEvPKhS1_P6__halfPKfiiiiiiii.private_seg_size, 0
	.set _Z19_skinny_gemm_kernelILi3ELi1ELi6ELi32ELi4EEvPKhS1_P6__halfPKfiiiiiiii.uses_vcc, 1
	.set _Z19_skinny_gemm_kernelILi3ELi1ELi6ELi32ELi4EEvPKhS1_P6__halfPKfiiiiiiii.uses_flat_scratch, 0
	.set _Z19_skinny_gemm_kernelILi3ELi1ELi6ELi32ELi4EEvPKhS1_P6__halfPKfiiiiiiii.has_dyn_sized_stack, 0
	.set _Z19_skinny_gemm_kernelILi3ELi1ELi6ELi32ELi4EEvPKhS1_P6__halfPKfiiiiiiii.has_recursion, 0
	.set _Z19_skinny_gemm_kernelILi3ELi1ELi6ELi32ELi4EEvPKhS1_P6__halfPKfiiiiiiii.has_indirect_call, 0
	.section	.AMDGPU.csdata,"",@progbits
; Kernel info:
; codeLenInByte = 6068
; TotalNumSgprs: 84
; NumVgprs: 80
; NumAgprs: 0
; TotalNumVgprs: 80
; ScratchSize: 0
; MemoryBound: 0
; FloatMode: 240
; IeeeMode: 1
; LDSByteSize: 49248 bytes/workgroup (compile time only)
; SGPRBlocks: 10
; VGPRBlocks: 9
; NumSGPRsForWavesPerEU: 84
; NumVGPRsForWavesPerEU: 80
; AccumOffset: 80
; Occupancy: 6
; WaveLimiterHint : 0
; COMPUTE_PGM_RSRC2:SCRATCH_EN: 0
; COMPUTE_PGM_RSRC2:USER_SGPR: 2
; COMPUTE_PGM_RSRC2:TRAP_HANDLER: 0
; COMPUTE_PGM_RSRC2:TGID_X_EN: 1
; COMPUTE_PGM_RSRC2:TGID_Y_EN: 0
; COMPUTE_PGM_RSRC2:TGID_Z_EN: 0
; COMPUTE_PGM_RSRC2:TIDIG_COMP_CNT: 0
; COMPUTE_PGM_RSRC3_GFX90A:ACCUM_OFFSET: 19
; COMPUTE_PGM_RSRC3_GFX90A:TG_SPLIT: 0
	.section	.text._Z19_skinny_gemm_kernelILi3ELi2ELi1ELi16ELi4EEvPKhS1_P6__halfPKfiiiiiiii,"axG",@progbits,_Z19_skinny_gemm_kernelILi3ELi2ELi1ELi16ELi4EEvPKhS1_P6__halfPKfiiiiiiii,comdat
	.protected	_Z19_skinny_gemm_kernelILi3ELi2ELi1ELi16ELi4EEvPKhS1_P6__halfPKfiiiiiiii ; -- Begin function _Z19_skinny_gemm_kernelILi3ELi2ELi1ELi16ELi4EEvPKhS1_P6__halfPKfiiiiiiii
	.globl	_Z19_skinny_gemm_kernelILi3ELi2ELi1ELi16ELi4EEvPKhS1_P6__halfPKfiiiiiiii
	.p2align	8
	.type	_Z19_skinny_gemm_kernelILi3ELi2ELi1ELi16ELi4EEvPKhS1_P6__halfPKfiiiiiiii,@function
_Z19_skinny_gemm_kernelILi3ELi2ELi1ELi16ELi4EEvPKhS1_P6__halfPKfiiiiiiii: ; @_Z19_skinny_gemm_kernelILi3ELi2ELi1ELi16ELi4EEvPKhS1_P6__halfPKfiiiiiiii
; %bb.0:
	v_cmp_gt_u32_e32 vcc, 5, v0
	v_lshlrev_b32_e32 v1, 2, v0
	s_and_saveexec_b64 s[4:5], vcc
; %bb.1:
	v_mov_b32_e32 v2, 0
	ds_write_b32 v1, v2 offset:10240
; %bb.2:
	s_or_b64 exec, exec, s[4:5]
	s_load_dwordx8 s[16:23], s[0:1], 0x20
	s_waitcnt lgkmcnt(0)
	s_barrier
	s_add_i32 s3, s16, 47
	s_add_i32 s4, s17, 31
	s_mul_hi_i32 s3, s3, 0x2aaaaaab
	s_lshr_b32 s5, s3, 31
	s_ashr_i32 s33, s3, 3
	s_ashr_i32 s3, s4, 31
	s_lshr_b32 s3, s3, 27
	s_add_i32 s4, s4, s3
	s_add_i32 s33, s33, s5
	s_ashr_i32 s48, s4, 5
	s_mul_i32 s3, s48, s33
	s_mul_i32 s3, s3, s20
	s_add_i32 s4, s3, 0x12f
	s_mul_hi_i32 s4, s4, 0x6bca1af3
	s_lshr_b32 s5, s4, 31
	s_ashr_i32 s4, s4, 7
	s_add_i32 s4, s4, s5
	s_add_i32 s5, s2, 1
	s_mul_i32 s5, s4, s5
	v_cvt_f64_i32_e32 v[2:3], s3
	v_cvt_f64_u32_e32 v[4:5], s5
	v_min_f64 v[2:3], v[2:3], v[4:5]
	v_cvt_i32_f64_e32 v25, v[2:3]
	s_mul_i32 s49, s4, s2
	v_cmp_ge_i32_e32 vcc, s49, v25
	s_cbranch_vccnz .LBB254_55
; %bb.3:
	v_lshrrev_b32_e32 v2, 6, v0
	s_add_i32 s4, s22, s21
	s_load_dwordx8 s[24:31], s[0:1], 0x0
	v_cmp_le_i32_e64 s[0:1], s4, v2
	v_mov_b32_e32 v3, s21
	v_cmp_le_i32_e64 s[2:3], s21, v2
	v_mov_b32_e32 v4, s22
	v_cndmask_b32_e64 v4, 0, v4, s[0:1]
	v_cndmask_b32_e64 v3, 0, v3, s[2:3]
	s_abs_i32 s5, s20
	v_add_u32_e32 v3, v3, v4
	v_cvt_f32_u32_e32 v4, s5
	v_sub_u32_e32 v40, v2, v3
	s_ashr_i32 s6, s18, 31
	s_lshr_b32 s6, s6, 25
	v_rcp_iflag_f32_e32 v3, v4
	s_sub_i32 s9, 0, s5
	s_add_i32 s6, s18, s6
	s_ashr_i32 s6, s6, 7
	v_mul_f32_e32 v3, 0x4f7ffffe, v3
	v_cvt_u32_f32_e32 v3, v3
	s_abs_i32 s8, s6
	s_xor_b32 s7, s6, s20
	s_ashr_i32 s7, s7, 31
	v_readfirstlane_b32 s10, v3
	s_mul_i32 s9, s9, s10
	s_mul_hi_u32 s9, s10, s9
	s_add_i32 s10, s10, s9
	s_mul_hi_u32 s9, s8, s10
	s_mul_i32 s10, s9, s5
	s_sub_i32 s8, s8, s10
	s_add_i32 s10, s9, 1
	s_sub_i32 s11, s8, s5
	s_cmp_ge_u32 s8, s5
	s_cselect_b32 s9, s10, s9
	s_cselect_b32 s8, s11, s8
	s_add_i32 s10, s9, 1
	s_cmp_ge_u32 s8, s5
	s_cselect_b32 s5, s10, s9
	s_xor_b32 s5, s5, s7
	s_sub_i32 s50, s5, s7
	s_add_i32 s20, s20, -1
	s_mul_i32 s5, s50, s20
	s_add_i32 s4, s4, s23
	s_sub_i32 s51, s6, s5
	v_cmp_gt_i32_e64 s[4:5], s4, v2
	v_lshlrev_b32_e32 v2, 1, v0
	v_lshlrev_b32_e32 v3, 4, v0
	v_and_b32_e32 v1, 60, v1
	v_and_b32_e32 v2, 64, v2
	v_and_b32_e32 v4, 0x100, v3
	v_or3_b32 v67, v1, v2, v4
	v_and_b32_e32 v1, 1, v0
	v_lshrrev_b32_e32 v4, 2, v0
	s_abs_i32 s53, s33
	v_and_or_b32 v72, v4, 12, v1
	v_cvt_f32_u32_e32 v4, s53
	v_lshlrev_b32_e32 v2, 1, v1
	v_and_b32_e32 v24, 14, v0
	v_sub_u32_e32 v2, v0, v2
	v_bitop3_b32 v69, v0, 1, v0 bitop3:0xc
	v_bitop3_b32 v70, v0, 3, 1 bitop3:0x6c
	v_and_b32_e32 v32, 48, v3
	v_bfe_u32 v75, v0, 2, 4
	v_and_b32_e32 v1, 60, v0
	v_lshlrev_b32_e32 v3, 8, v0
	v_lshlrev_b32_e32 v0, 6, v0
	v_and_b32_e32 v3, 0x200, v3
	v_and_b32_e32 v0, 64, v0
	v_or3_b32 v76, v1, v3, v0
	v_rcp_iflag_f32_e32 v0, v4
	s_abs_i32 s55, s48
	v_cvt_f32_u32_e32 v1, s55
	v_mad_u64_u32 v[26:27], s[6:7], s17, v72, v[24:25]
	v_mul_f32_e32 v0, 0x4f7ffffe, v0
	v_cvt_u32_f32_e32 v0, v0
	v_rcp_iflag_f32_e32 v1, v1
	s_lshl_b32 s6, s17, 4
	v_add_u32_e32 v28, s6, v26
	v_readfirstlane_b32 s7, v0
	v_mul_f32_e32 v0, 0x4f7ffffe, v1
	v_cvt_u32_f32_e32 v0, v0
	v_add_u32_e32 v30, s6, v28
	s_sub_i32 s6, 0, s53
	s_mul_i32 s6, s6, s7
	s_mul_hi_u32 s6, s7, s6
	v_add_u32_e32 v2, 1, v2
	s_add_i32 s57, s7, s6
	s_sub_i32 s6, 0, s55
	v_readfirstlane_b32 s7, v0
	v_mbcnt_lo_u32_b32 v0, -1, 0
	v_and_b32_e32 v2, 63, v2
	s_mul_i32 s6, s6, s7
	v_mbcnt_hi_u32_b32 v0, -1, v0
	v_mul_lo_u32 v34, s19, v75
	s_mul_hi_u32 s6, s7, s6
	v_and_or_b32 v0, v0, 64, v2
	v_cndmask_b32_e64 v66, 0, 1, s[0:1]
	s_movk_i32 s52, 0x1800
	v_or_b32_e32 v68, 0x1800, v67
	s_ashr_i32 s35, s17, 31
	s_mov_b32 s34, s17
	v_or_b32_e32 v71, 16, v24
	v_ashrrev_i32_e32 v27, 31, v26
	v_or_b32_e32 v73, 16, v72
	v_ashrrev_i32_e32 v29, 31, v28
	;; [unrolled: 2-line block ×3, first 2 shown]
	v_ashrrev_i32_e32 v35, 31, v34
	v_mov_b32_e32 v33, 0
	v_or_b32_e32 v77, 0x1800, v76
	s_lshl_b32 s54, s19, 4
	v_mul_lo_u32 v78, s18, v75
	s_ashr_i32 s56, s33, 31
	s_ashr_i32 s58, s48, 31
	s_add_i32 s59, s7, s6
	s_mov_b32 s60, 0x55555556
	v_lshlrev_b32_e32 v79, 2, v0
	v_mov_b32_e32 v80, v40
	s_branch .LBB254_7
.LBB254_4:                              ;   in Loop: Header=BB254_7 Depth=1
	s_or_b64 exec, exec, s[10:11]
.LBB254_5:                              ;   in Loop: Header=BB254_7 Depth=1
	s_or_b64 exec, exec, s[8:9]
	v_subrev_u32_e32 v80, s64, v80
.LBB254_6:                              ;   in Loop: Header=BB254_7 Depth=1
	s_or_b64 exec, exec, s[6:7]
	s_add_i32 s49, s49, 1
	v_cmp_ge_i32_e32 vcc, s49, v25
	s_cbranch_vccnz .LBB254_55
.LBB254_7:                              ; =>This Loop Header: Depth=1
                                        ;     Child Loop BB254_13 Depth 2
                                        ;       Child Loop BB254_15 Depth 3
                                        ;       Child Loop BB254_18 Depth 3
	;; [unrolled: 1-line block ×5, first 2 shown]
                                        ;     Child Loop BB254_42 Depth 2
                                        ;       Child Loop BB254_44 Depth 3
                                        ;     Child Loop BB254_52 Depth 2
                                        ;       Child Loop BB254_54 Depth 3
	s_abs_i32 s7, s49
	s_mul_hi_u32 s8, s7, s57
	s_mul_i32 s9, s8, s53
	s_ashr_i32 s6, s49, 31
	s_sub_i32 s7, s7, s9
	s_xor_b32 s6, s6, s56
	s_add_i32 s9, s8, 1
	s_sub_i32 s10, s7, s53
	s_cmp_ge_u32 s7, s53
	s_cselect_b32 s8, s9, s8
	s_cselect_b32 s7, s10, s7
	s_add_i32 s9, s8, 1
	s_cmp_ge_u32 s7, s53
	s_cselect_b32 s7, s9, s8
	s_xor_b32 s7, s7, s6
	s_sub_i32 s6, s7, s6
	s_abs_i32 s8, s6
	s_mul_hi_u32 s9, s8, s59
	s_mul_i32 s7, s6, s33
	s_mul_i32 s10, s9, s55
	s_sub_i32 s61, s49, s7
	s_ashr_i32 s7, s6, 31
	s_sub_i32 s8, s8, s10
	s_xor_b32 s7, s7, s58
	s_add_i32 s10, s9, 1
	s_sub_i32 s11, s8, s55
	s_cmp_ge_u32 s8, s55
	s_cselect_b32 s9, s10, s9
	s_cselect_b32 s8, s11, s8
	s_add_i32 s10, s9, 1
	s_cmp_ge_u32 s8, s55
	s_cselect_b32 s8, s10, s9
	s_xor_b32 s8, s8, s7
	s_sub_i32 s7, s8, s7
	s_mul_i32 s8, s7, s50
	s_lshl_b32 s62, s8, 7
	s_mul_i32 s61, s61, 48
	s_cmp_eq_u32 s7, s20
	s_cselect_b32 s64, s51, s50
	s_sub_i32 s8, s61, s16
	s_add_i32 s8, s8, 48
	s_max_i32 s63, s8, 0
	s_and_saveexec_b64 s[8:9], s[2:3]
	s_xor_b64 s[36:37], exec, s[8:9]
	s_cbranch_execz .LBB254_48
; %bb.8:                                ;   in Loop: Header=BB254_7 Depth=1
	s_mul_i32 s7, s7, s48
	s_sub_i32 s6, s6, s7
	s_lshl_b32 s6, s6, 5
	s_sub_i32 s14, s6, s17
	s_add_i32 s14, s14, 32
	s_max_i32 s7, s14, 0
	s_sub_i32 s38, s6, s7
	s_and_saveexec_b64 s[6:7], s[0:1]
	s_xor_b64 s[40:41], exec, s[6:7]
	s_cbranch_execz .LBB254_38
; %bb.9:                                ;   in Loop: Header=BB254_7 Depth=1
	s_and_saveexec_b64 s[42:43], s[4:5]
	s_cbranch_execz .LBB254_37
; %bb.10:                               ;   in Loop: Header=BB254_7 Depth=1
	s_waitcnt lgkmcnt(0)
	global_load_dword v81, v33, s[30:31]
	v_mov_b32_e32 v23, 0
	v_cmp_gt_i32_e32 vcc, s64, v80
	v_mov_b32_e32 v22, v23
	v_mov_b32_e32 v21, v23
	;; [unrolled: 1-line block ×23, first 2 shown]
	s_and_saveexec_b64 s[6:7], vcc
	s_cbranch_execz .LBB254_29
; %bb.11:                               ;   in Loop: Header=BB254_7 Depth=1
	v_mov_b32_e32 v0, 0
	s_mov_b64 s[8:9], 0
	v_mov_b32_e32 v1, v0
	v_mov_b32_e32 v2, v0
	;; [unrolled: 1-line block ×23, first 2 shown]
	s_branch .LBB254_13
.LBB254_12:                             ;   in Loop: Header=BB254_13 Depth=2
	s_or_b64 exec, exec, s[10:11]
	v_add_u32_e32 v42, 0x800, v84
	ds_read2_b32 v[40:41], v42 offset1:32
	v_add_u32_e32 v44, 0xc00, v84
	v_add_u32_e32 v80, s23, v80
	s_waitcnt lgkmcnt(0)
	v_mfma_f32_16x16x32_fp8_fp8 v[16:19], v[36:37], v[40:41], v[16:19]
	ds_read2_b32 v[36:37], v42 offset0:128 offset1:160
	ds_read2_b32 v[42:43], v44 offset1:32
	ds_read2_b32 v[44:45], v44 offset0:128 offset1:160
	v_mfma_f32_16x16x32_fp8_fp8 v[8:11], v[52:53], v[40:41], v[8:11]
	;;#ASMSTART
	s_waitcnt lgkmcnt(0)
	;;#ASMEND
	ds_write_b32 v83, v85 offset:10256
	v_mfma_f32_16x16x32_fp8_fp8 v[0:3], v[60:61], v[40:41], v[0:3]
	v_add_u32_e32 v40, s23, v82
	v_cmp_lt_i32_e32 vcc, 0, v40
	s_waitcnt lgkmcnt(3)
	v_mfma_f32_16x16x32_fp8_fp8 v[16:19], v[46:47], v[36:37], v[16:19]
	v_mfma_f32_16x16x32_fp8_fp8 v[8:11], v[54:55], v[36:37], v[8:11]
	;; [unrolled: 1-line block ×3, first 2 shown]
	v_add_u32_e32 v36, 2, v66
	v_cndmask_b32_e32 v66, v66, v36, vcc
	v_cmp_le_i32_e32 vcc, s64, v80
	s_waitcnt lgkmcnt(2)
	v_mfma_f32_16x16x32_fp8_fp8 v[16:19], v[48:49], v[42:43], v[16:19]
	s_or_b64 s[8:9], vcc, s[8:9]
	v_mfma_f32_16x16x32_fp8_fp8 v[8:11], v[56:57], v[42:43], v[8:11]
	v_mfma_f32_16x16x32_fp8_fp8 v[0:3], v[64:65], v[42:43], v[0:3]
	s_waitcnt lgkmcnt(1)
	v_mfma_f32_16x16x32_fp8_fp8 v[16:19], v[50:51], v[44:45], v[16:19]
	v_mfma_f32_16x16x32_fp8_fp8 v[8:11], v[58:59], v[44:45], v[8:11]
	;; [unrolled: 1-line block ×3, first 2 shown]
	s_andn2_b64 exec, exec, s[8:9]
	s_cbranch_execz .LBB254_28
.LBB254_13:                             ;   Parent Loop BB254_7 Depth=1
                                        ; =>  This Loop Header: Depth=2
                                        ;       Child Loop BB254_15 Depth 3
                                        ;       Child Loop BB254_18 Depth 3
	;; [unrolled: 1-line block ×5, first 2 shown]
	v_cmp_lt_i32_e32 vcc, 0, v40
	s_nop 1
	v_subbrev_co_u32_e32 v82, vcc, 0, v40, vcc
	v_lshlrev_b32_e32 v83, 3, v82
	ds_read_b32 v36, v83 offset:10252
	s_waitcnt lgkmcnt(0)
	v_cmp_ne_u32_e32 vcc, v36, v66
	s_and_saveexec_b64 s[10:11], vcc
	s_cbranch_execz .LBB254_16
; %bb.14:                               ;   in Loop: Header=BB254_13 Depth=2
	s_mov_b64 s[12:13], 0
.LBB254_15:                             ;   Parent Loop BB254_7 Depth=1
                                        ;     Parent Loop BB254_13 Depth=2
                                        ; =>    This Inner Loop Header: Depth=3
	;;#ASMSTART
	s_sleep 0
	;;#ASMEND
	ds_read_b32 v36, v83 offset:10252
	s_waitcnt lgkmcnt(0)
	v_cmp_eq_u32_e32 vcc, v36, v66
	s_or_b64 s[12:13], vcc, s[12:13]
	s_andn2_b64 exec, exec, s[12:13]
	s_cbranch_execnz .LBB254_15
.LBB254_16:                             ;   in Loop: Header=BB254_13 Depth=2
	s_or_b64 exec, exec, s[10:11]
	v_lshlrev_b32_e32 v36, 12, v82
	v_add_u32_e32 v84, v68, v36
	v_add_u32_e32 v36, 0x400, v84
	;; [unrolled: 1-line block ×3, first 2 shown]
	ds_read2_b32 v[38:39], v84 offset1:32
	ds_read2_b32 v[40:41], v84 offset0:128 offset1:160
	ds_read2_b32 v[44:45], v36 offset1:32
	ds_read2_b32 v[42:43], v36 offset0:128 offset1:160
	;;#ASMSTART
	s_waitcnt lgkmcnt(0)
	;;#ASMEND
	ds_write_b32 v83, v85 offset:10252
	v_mul_lo_u32 v86, v82, 12
	ds_read_b32 v36, v86 offset:10240
	s_waitcnt lgkmcnt(0)
	v_cmp_ne_u32_e32 vcc, v36, v66
	s_and_saveexec_b64 s[10:11], vcc
	s_cbranch_execz .LBB254_19
; %bb.17:                               ;   in Loop: Header=BB254_13 Depth=2
	s_mov_b64 s[12:13], 0
.LBB254_18:                             ;   Parent Loop BB254_7 Depth=1
                                        ;     Parent Loop BB254_13 Depth=2
                                        ; =>    This Inner Loop Header: Depth=3
	;;#ASMSTART
	s_sleep 0
	;;#ASMEND
	ds_read_b32 v36, v86 offset:10240
	s_waitcnt lgkmcnt(0)
	v_cmp_eq_u32_e32 vcc, v36, v66
	s_or_b64 s[12:13], vcc, s[12:13]
	s_andn2_b64 exec, exec, s[12:13]
	s_cbranch_execnz .LBB254_18
.LBB254_19:                             ;   in Loop: Header=BB254_13 Depth=2
	s_or_b64 exec, exec, s[10:11]
	v_mul_lo_u32 v52, v82, s52
	v_or_b32_e32 v48, v67, v52
	ds_read2_b32 v[36:37], v48 offset1:32
	ds_read2_b32 v[46:47], v48 offset0:128 offset1:160
	v_add_u32_e32 v50, 0x400, v48
	ds_read2_b32 v[48:49], v50 offset1:32
	ds_read2_b32 v[50:51], v50 offset0:128 offset1:160
	ds_read_b32 v53, v86 offset:10244
	ds_write_b32 v86, v85 offset:10240
	s_waitcnt lgkmcnt(5)
	v_mfma_f32_16x16x32_fp8_fp8 v[20:23], v[36:37], v[38:39], v[20:23]
	s_waitcnt lgkmcnt(1)
	v_cmp_ne_u32_e32 vcc, v53, v66
	v_mfma_f32_16x16x32_fp8_fp8 v[20:23], v[46:47], v[40:41], v[20:23]
	v_mfma_f32_16x16x32_fp8_fp8 v[20:23], v[48:49], v[44:45], v[20:23]
	;; [unrolled: 1-line block ×3, first 2 shown]
	s_and_saveexec_b64 s[10:11], vcc
	s_cbranch_execz .LBB254_22
; %bb.20:                               ;   in Loop: Header=BB254_13 Depth=2
	s_mov_b64 s[12:13], 0
.LBB254_21:                             ;   Parent Loop BB254_7 Depth=1
                                        ;     Parent Loop BB254_13 Depth=2
                                        ; =>    This Inner Loop Header: Depth=3
	;;#ASMSTART
	s_sleep 0
	;;#ASMEND
	ds_read_b32 v53, v86 offset:10244
	s_waitcnt lgkmcnt(0)
	v_cmp_eq_u32_e32 vcc, v53, v66
	s_or_b64 s[12:13], vcc, s[12:13]
	s_andn2_b64 exec, exec, s[12:13]
	s_cbranch_execnz .LBB254_21
.LBB254_22:                             ;   in Loop: Header=BB254_13 Depth=2
	s_or_b64 exec, exec, s[10:11]
	v_add_u32_e32 v64, v67, v52
	v_add_u32_e32 v54, 0x800, v64
	ds_read2_b32 v[52:53], v54 offset1:32
	ds_read2_b32 v[54:55], v54 offset0:128 offset1:160
	v_add_u32_e32 v58, 0xc00, v64
	ds_read2_b32 v[56:57], v58 offset1:32
	ds_read2_b32 v[58:59], v58 offset0:128 offset1:160
	ds_read_b32 v60, v86 offset:10248
	ds_write_b32 v86, v85 offset:10244
	s_waitcnt lgkmcnt(5)
	v_mfma_f32_16x16x32_fp8_fp8 v[12:15], v[52:53], v[38:39], v[12:15]
	s_waitcnt lgkmcnt(1)
	v_cmp_ne_u32_e32 vcc, v60, v66
	v_mfma_f32_16x16x32_fp8_fp8 v[12:15], v[54:55], v[40:41], v[12:15]
	v_mfma_f32_16x16x32_fp8_fp8 v[12:15], v[56:57], v[44:45], v[12:15]
	;; [unrolled: 1-line block ×3, first 2 shown]
	s_and_saveexec_b64 s[10:11], vcc
	s_cbranch_execz .LBB254_25
; %bb.23:                               ;   in Loop: Header=BB254_13 Depth=2
	s_mov_b64 s[12:13], 0
.LBB254_24:                             ;   Parent Loop BB254_7 Depth=1
                                        ;     Parent Loop BB254_13 Depth=2
                                        ; =>    This Inner Loop Header: Depth=3
	;;#ASMSTART
	s_sleep 0
	;;#ASMEND
	ds_read_b32 v60, v86 offset:10248
	s_waitcnt lgkmcnt(0)
	v_cmp_eq_u32_e32 vcc, v60, v66
	s_or_b64 s[12:13], vcc, s[12:13]
	s_andn2_b64 exec, exec, s[12:13]
	s_cbranch_execnz .LBB254_24
.LBB254_25:                             ;   in Loop: Header=BB254_13 Depth=2
	s_or_b64 exec, exec, s[10:11]
	v_add_u32_e32 v62, 0x1000, v64
	ds_read2_b32 v[60:61], v62 offset1:32
	ds_read2_b32 v[62:63], v62 offset0:128 offset1:160
	v_add_u32_e32 v87, 0x1400, v64
	ds_read2_b32 v[64:65], v87 offset1:32
	ds_write_b32 v86, v85 offset:10248
	s_waitcnt lgkmcnt(3)
	v_mfma_f32_16x16x32_fp8_fp8 v[4:7], v[60:61], v[38:39], v[4:7]
	ds_read2_b32 v[38:39], v87 offset0:128 offset1:160
	s_waitcnt lgkmcnt(3)
	v_mfma_f32_16x16x32_fp8_fp8 v[4:7], v[62:63], v[40:41], v[4:7]
	ds_read_b32 v40, v83 offset:10256
	s_waitcnt lgkmcnt(0)
	v_cmp_ne_u32_e32 vcc, v40, v66
	v_mfma_f32_16x16x32_fp8_fp8 v[4:7], v[64:65], v[44:45], v[4:7]
	v_mfma_f32_16x16x32_fp8_fp8 v[4:7], v[38:39], v[42:43], v[4:7]
	s_and_saveexec_b64 s[10:11], vcc
	s_cbranch_execz .LBB254_12
; %bb.26:                               ;   in Loop: Header=BB254_13 Depth=2
	s_mov_b64 s[12:13], 0
.LBB254_27:                             ;   Parent Loop BB254_7 Depth=1
                                        ;     Parent Loop BB254_13 Depth=2
                                        ; =>    This Inner Loop Header: Depth=3
	;;#ASMSTART
	s_sleep 0
	;;#ASMEND
	ds_read_b32 v40, v83 offset:10256
	s_waitcnt lgkmcnt(0)
	v_cmp_eq_u32_e32 vcc, v40, v66
	s_or_b64 s[12:13], vcc, s[12:13]
	s_andn2_b64 exec, exec, s[12:13]
	s_cbranch_execnz .LBB254_27
	s_branch .LBB254_12
.LBB254_28:                             ;   in Loop: Header=BB254_7 Depth=1
	s_or_b64 exec, exec, s[8:9]
.LBB254_29:                             ;   in Loop: Header=BB254_7 Depth=1
	s_or_b64 exec, exec, s[6:7]
	v_cmp_le_i32_e32 vcc, s14, v24
	v_cmp_eq_u32_e64 s[6:7], 2, v69
	v_cmp_eq_u32_e64 s[8:9], 3, v69
	s_waitcnt vmcnt(0)
	v_cndmask_b32_e32 v36, 0, v81, vcc
	v_pk_mul_f32 v[20:21], v[36:37], v[20:21] op_sel_hi:[0,1]
	v_cmp_eq_u32_e32 vcc, 1, v69
	v_pk_mul_f32 v[38:39], v[36:37], v[22:23] op_sel_hi:[0,1]
	v_cmp_eq_u32_e64 s[10:11], 0, v69
	v_cndmask_b32_e32 v22, v20, v21, vcc
	v_cndmask_b32_e64 v22, v22, v38, s[6:7]
	v_cndmask_b32_e64 v22, v22, v39, s[8:9]
	ds_bpermute_b32 v37, v79, v22
	v_cmp_le_i32_e64 s[14:15], s14, v71
	v_cmp_eq_u32_e64 s[12:13], 1, v70
	v_add_u32_e32 v41, s63, v72
	s_waitcnt lgkmcnt(0)
	v_cndmask_b32_e64 v22, v39, v37, s[8:9]
	v_cndmask_b32_e64 v23, v38, v37, s[6:7]
	v_cndmask_b32_e32 v21, v21, v37, vcc
	v_cndmask_b32_e64 v37, v20, v37, s[10:11]
	v_cndmask_b32_e64 v20, 0, v81, s[14:15]
	v_pk_mul_f32 v[44:45], v[20:21], v[16:17] op_sel_hi:[0,1]
	v_pk_mul_f32 v[42:43], v[20:21], v[18:19] op_sel_hi:[0,1]
	v_cndmask_b32_e32 v16, v44, v45, vcc
	v_cndmask_b32_e64 v16, v16, v42, s[6:7]
	v_cndmask_b32_e64 v16, v16, v43, s[8:9]
	ds_bpermute_b32 v17, v79, v16
	v_cndmask_b32_e64 v38, v37, v21, s[12:13]
	v_cmp_eq_u32_e32 vcc, 2, v70
	v_cmp_eq_u32_e64 s[14:15], 3, v70
	s_waitcnt lgkmcnt(0)
	v_cndmask_b32_e64 v19, v42, v17, s[6:7]
	v_cndmask_b32_e32 v16, v38, v23, vcc
	v_cndmask_b32_e64 v16, v16, v22, s[14:15]
	v_cmp_ne_u32_e64 s[6:7], 0, v69
	ds_bpermute_b32 v38, v79, v16
	v_cndmask_b32_e64 v18, v43, v17, s[8:9]
	v_cndmask_b32_e64 v16, v45, v17, s[6:7]
	;; [unrolled: 1-line block ×4, first 2 shown]
	v_cndmask_b32_e32 v39, v39, v19, vcc
	v_cndmask_b32_e64 v39, v39, v18, s[14:15]
	ds_bpermute_b32 v39, v79, v39
	v_cmp_gt_u32_e32 vcc, 48, v41
	s_and_saveexec_b64 s[44:45], vcc
	s_cbranch_execz .LBB254_36
; %bb.30:                               ;   in Loop: Header=BB254_7 Depth=1
	v_cmp_eq_u32_e64 s[8:9], 1, v70
	v_cmp_eq_u32_e64 s[10:11], 0, v70
	v_cmp_eq_u32_e32 vcc, 3, v70
	s_waitcnt lgkmcnt(1)
	v_cndmask_b32_e64 v21, v21, v38, s[8:9]
	s_waitcnt lgkmcnt(0)
	v_cndmask_b32_e64 v42, v16, v39, s[8:9]
	s_mul_i32 s8, s61, s17
	s_ashr_i32 s9, s8, 31
	s_lshl_b64 s[8:9], s[8:9], 1
	v_cndmask_b32_e64 v37, v37, v38, s[10:11]
	v_cndmask_b32_e64 v43, v17, v39, s[10:11]
	s_add_u32 s10, s28, s8
	s_addc_u32 s11, s29, s9
	s_ashr_i32 s39, s38, 31
	v_cvt_f16_f32_e32 v37, v37
	v_cvt_f16_f32_sdwa v21, v21 dst_sel:WORD_1 dst_unused:UNUSED_PAD src0_sel:DWORD
	s_lshl_b64 s[8:9], s[38:39], 1
	v_cvt_f16_f32_e32 v44, v43
	v_cvt_f16_f32_sdwa v45, v42 dst_sel:WORD_1 dst_unused:UNUSED_PAD src0_sel:DWORD
	s_add_u32 s46, s10, s8
	s_addc_u32 s47, s11, s9
	v_cmp_eq_u32_e64 s[6:7], 2, v70
	v_lshl_add_u64 v[16:17], v[26:27], 1, s[46:47]
	v_or_b32_e32 v21, v21, v37
	v_cmp_gt_u32_e64 s[8:9], 46, v41
	;;#ASMSTART
	global_atomic_pk_add_f16 v[16:17], v21, off
	
	;;#ASMEND
	v_lshl_add_u64 v[42:43], v[16:17], 0, 32
	v_or_b32_e32 v21, v45, v44
	;;#ASMSTART
	global_atomic_pk_add_f16 v[42:43], v21, off
	
	;;#ASMEND
	s_and_b64 exec, exec, s[8:9]
	s_cbranch_execz .LBB254_36
; %bb.31:                               ;   in Loop: Header=BB254_7 Depth=1
	v_mov_b32_e32 v37, v36
	v_cndmask_b32_e32 v22, v22, v38, vcc
	v_cndmask_b32_e64 v23, v23, v38, s[6:7]
	v_cndmask_b32_e32 v38, v18, v39, vcc
	v_cndmask_b32_e64 v39, v19, v39, s[6:7]
	v_mov_b32_e32 v18, v36
	v_mov_b32_e32 v19, v36
	v_pk_mul_f32 v[14:15], v[18:19], v[14:15]
	v_pk_mul_f32 v[18:19], v[36:37], v[12:13]
	v_cmp_eq_u32_e32 vcc, 1, v69
	v_cmp_eq_u32_e64 s[6:7], 2, v69
	v_cmp_eq_u32_e64 s[8:9], 3, v69
	v_cndmask_b32_e32 v12, v18, v19, vcc
	v_cndmask_b32_e64 v12, v12, v14, s[6:7]
	v_cndmask_b32_e64 v12, v12, v15, s[8:9]
	v_cvt_f16_f32_e32 v23, v23
	v_cvt_f16_f32_sdwa v22, v22 dst_sel:WORD_1 dst_unused:UNUSED_PAD src0_sel:DWORD
	ds_bpermute_b32 v41, v79, v12
	v_mov_b32_e32 v21, v20
	v_lshl_add_u64 v[16:17], s[34:35], 2, v[16:17]
	v_or_b32_e32 v22, v22, v23
	v_cmp_eq_u32_e64 s[10:11], 0, v69
	;;#ASMSTART
	global_atomic_pk_add_f16 v[16:17], v22, off
	
	;;#ASMEND
	v_cvt_f16_f32_e32 v42, v39
	v_cvt_f16_f32_sdwa v43, v38 dst_sel:WORD_1 dst_unused:UNUSED_PAD src0_sel:DWORD
	v_lshl_add_u64 v[22:23], v[16:17], 0, 32
	s_waitcnt lgkmcnt(0)
	v_cndmask_b32_e64 v12, v15, v41, s[8:9]
	v_cndmask_b32_e32 v15, v19, v41, vcc
	v_cndmask_b32_e64 v16, v18, v41, s[10:11]
	v_mov_b32_e32 v18, v20
	v_mov_b32_e32 v19, v20
	v_pk_mul_f32 v[38:39], v[20:21], v[8:9]
	v_pk_mul_f32 v[18:19], v[18:19], v[10:11]
	v_cndmask_b32_e32 v8, v38, v39, vcc
	v_cndmask_b32_e64 v8, v8, v18, s[6:7]
	v_cndmask_b32_e64 v8, v8, v19, s[8:9]
	ds_bpermute_b32 v9, v79, v8
	v_cmp_eq_u32_e64 s[12:13], 1, v70
	v_cndmask_b32_e64 v13, v14, v41, s[6:7]
	v_cmp_eq_u32_e32 vcc, 2, v70
	v_cndmask_b32_e64 v14, v16, v15, s[12:13]
	v_cmp_eq_u32_e64 s[14:15], 3, v70
	v_cndmask_b32_e32 v8, v14, v13, vcc
	s_waitcnt lgkmcnt(0)
	v_cndmask_b32_e64 v11, v18, v9, s[6:7]
	v_cndmask_b32_e64 v8, v8, v12, s[14:15]
	v_cmp_ne_u32_e64 s[6:7], 0, v69
	ds_bpermute_b32 v14, v79, v8
	v_cndmask_b32_e64 v10, v19, v9, s[8:9]
	v_cndmask_b32_e64 v8, v39, v9, s[6:7]
	;; [unrolled: 1-line block ×4, first 2 shown]
	v_cndmask_b32_e32 v17, v17, v11, vcc
	v_cndmask_b32_e64 v17, v17, v10, s[14:15]
	ds_bpermute_b32 v17, v79, v17
	v_or_b32_e32 v18, v43, v42
	;;#ASMSTART
	global_atomic_pk_add_f16 v[22:23], v18, off
	
	;;#ASMEND
	v_add_u32_e32 v18, s63, v73
	v_cmp_gt_u32_e32 vcc, 48, v18
	s_and_b64 exec, exec, vcc
	s_cbranch_execz .LBB254_36
; %bb.32:                               ;   in Loop: Header=BB254_7 Depth=1
	v_cmp_eq_u32_e64 s[8:9], 1, v70
	v_cmp_eq_u32_e64 s[10:11], 0, v70
	v_cmp_eq_u32_e32 vcc, 3, v70
	s_waitcnt lgkmcnt(1)
	v_cndmask_b32_e64 v15, v15, v14, s[8:9]
	v_cndmask_b32_e64 v16, v16, v14, s[10:11]
	s_waitcnt lgkmcnt(0)
	v_cndmask_b32_e64 v19, v8, v17, s[8:9]
	v_cndmask_b32_e64 v22, v9, v17, s[10:11]
	v_cvt_f16_f32_e32 v16, v16
	v_cvt_f16_f32_sdwa v15, v15 dst_sel:WORD_1 dst_unused:UNUSED_PAD src0_sel:DWORD
	v_cvt_f16_f32_e32 v38, v22
	v_cvt_f16_f32_sdwa v19, v19 dst_sel:WORD_1 dst_unused:UNUSED_PAD src0_sel:DWORD
	v_cmp_eq_u32_e64 s[6:7], 2, v70
	v_lshl_add_u64 v[8:9], v[28:29], 1, s[46:47]
	v_or_b32_e32 v15, v15, v16
	v_cmp_gt_u32_e64 s[8:9], 46, v18
	;;#ASMSTART
	global_atomic_pk_add_f16 v[8:9], v15, off
	
	;;#ASMEND
	v_lshl_add_u64 v[22:23], v[8:9], 0, 32
	v_or_b32_e32 v15, v19, v38
	;;#ASMSTART
	global_atomic_pk_add_f16 v[22:23], v15, off
	
	;;#ASMEND
	s_and_b64 exec, exec, s[8:9]
	s_cbranch_execz .LBB254_36
; %bb.33:                               ;   in Loop: Header=BB254_7 Depth=1
	v_cndmask_b32_e32 v12, v12, v14, vcc
	v_cndmask_b32_e64 v13, v13, v14, s[6:7]
	v_cndmask_b32_e32 v14, v10, v17, vcc
	v_cndmask_b32_e64 v15, v11, v17, s[6:7]
	v_mov_b32_e32 v10, v36
	v_mov_b32_e32 v11, v36
	v_pk_mul_f32 v[6:7], v[10:11], v[6:7]
	v_pk_mul_f32 v[10:11], v[36:37], v[4:5]
	v_cmp_eq_u32_e32 vcc, 1, v69
	v_cmp_eq_u32_e64 s[6:7], 2, v69
	v_cmp_eq_u32_e64 s[8:9], 3, v69
	v_cndmask_b32_e32 v4, v10, v11, vcc
	v_cndmask_b32_e64 v4, v4, v6, s[6:7]
	v_cndmask_b32_e64 v4, v4, v7, s[8:9]
	v_cvt_f16_f32_e32 v13, v13
	v_cvt_f16_f32_sdwa v12, v12 dst_sel:WORD_1 dst_unused:UNUSED_PAD src0_sel:DWORD
	ds_bpermute_b32 v16, v79, v4
	v_lshl_add_u64 v[8:9], s[34:35], 2, v[8:9]
	v_cmp_eq_u32_e64 s[10:11], 0, v69
	v_or_b32_e32 v12, v12, v13
	;;#ASMSTART
	global_atomic_pk_add_f16 v[8:9], v12, off
	
	;;#ASMEND
	v_lshl_add_u64 v[12:13], v[8:9], 0, 32
	s_waitcnt lgkmcnt(0)
	v_cndmask_b32_e64 v4, v7, v16, s[8:9]
	v_cndmask_b32_e64 v5, v6, v16, s[6:7]
	v_cndmask_b32_e32 v6, v11, v16, vcc
	v_cndmask_b32_e64 v7, v10, v16, s[10:11]
	v_mov_b32_e32 v8, v20
	v_mov_b32_e32 v9, v20
	v_pk_mul_f32 v[10:11], v[20:21], v[0:1]
	v_pk_mul_f32 v[8:9], v[8:9], v[2:3]
	v_cndmask_b32_e32 v0, v10, v11, vcc
	v_cndmask_b32_e64 v0, v0, v8, s[6:7]
	v_cndmask_b32_e64 v0, v0, v9, s[8:9]
	ds_bpermute_b32 v1, v79, v0
	v_cmp_eq_u32_e64 s[12:13], 1, v70
	v_cmp_eq_u32_e32 vcc, 2, v70
	v_cmp_eq_u32_e64 s[14:15], 3, v70
	v_cndmask_b32_e64 v16, v7, v6, s[12:13]
	v_cndmask_b32_e32 v0, v16, v5, vcc
	v_cndmask_b32_e64 v0, v0, v4, s[14:15]
	s_waitcnt lgkmcnt(0)
	v_cndmask_b32_e64 v8, v8, v1, s[6:7]
	v_cmp_ne_u32_e64 s[6:7], 0, v69
	ds_bpermute_b32 v2, v79, v0
	v_cndmask_b32_e64 v3, v9, v1, s[8:9]
	v_cndmask_b32_e64 v0, v11, v1, s[6:7]
	v_cndmask_b32_e64 v1, v10, v1, s[10:11]
	v_cndmask_b32_e64 v9, v1, v0, s[12:13]
	v_cvt_f16_f32_e32 v15, v15
	v_cvt_f16_f32_sdwa v14, v14 dst_sel:WORD_1 dst_unused:UNUSED_PAD src0_sel:DWORD
	v_cndmask_b32_e32 v9, v9, v8, vcc
	v_cndmask_b32_e64 v9, v9, v3, s[14:15]
	ds_bpermute_b32 v9, v79, v9
	v_or_b32_e32 v10, v14, v15
	;;#ASMSTART
	global_atomic_pk_add_f16 v[12:13], v10, off
	
	;;#ASMEND
	v_add_u32_e32 v10, s63, v74
	v_cmp_gt_u32_e32 vcc, 48, v10
	s_and_b64 exec, exec, vcc
	s_cbranch_execz .LBB254_36
; %bb.34:                               ;   in Loop: Header=BB254_7 Depth=1
	v_cmp_eq_u32_e64 s[8:9], 1, v70
	v_cmp_eq_u32_e64 s[10:11], 0, v70
	v_cmp_eq_u32_e32 vcc, 3, v70
	s_waitcnt lgkmcnt(1)
	v_cndmask_b32_e64 v6, v6, v2, s[8:9]
	v_cndmask_b32_e64 v7, v7, v2, s[10:11]
	s_waitcnt lgkmcnt(0)
	v_cndmask_b32_e64 v11, v0, v9, s[8:9]
	v_cndmask_b32_e64 v12, v1, v9, s[10:11]
	v_cvt_f16_f32_e32 v7, v7
	v_cvt_f16_f32_sdwa v6, v6 dst_sel:WORD_1 dst_unused:UNUSED_PAD src0_sel:DWORD
	v_cvt_f16_f32_e32 v12, v12
	v_cvt_f16_f32_sdwa v11, v11 dst_sel:WORD_1 dst_unused:UNUSED_PAD src0_sel:DWORD
	v_cmp_eq_u32_e64 s[6:7], 2, v70
	v_lshl_add_u64 v[0:1], v[30:31], 1, s[46:47]
	v_or_b32_e32 v6, v6, v7
	v_cmp_gt_u32_e64 s[8:9], 46, v10
	;;#ASMSTART
	global_atomic_pk_add_f16 v[0:1], v6, off
	
	;;#ASMEND
	v_lshl_add_u64 v[6:7], v[0:1], 0, 32
	v_or_b32_e32 v11, v11, v12
	;;#ASMSTART
	global_atomic_pk_add_f16 v[6:7], v11, off
	
	;;#ASMEND
	s_and_b64 exec, exec, s[8:9]
	s_cbranch_execz .LBB254_36
; %bb.35:                               ;   in Loop: Header=BB254_7 Depth=1
	v_cndmask_b32_e32 v4, v4, v2, vcc
	v_cndmask_b32_e64 v2, v5, v2, s[6:7]
	v_cndmask_b32_e32 v3, v3, v9, vcc
	v_cndmask_b32_e64 v5, v8, v9, s[6:7]
	v_cvt_f16_f32_e32 v2, v2
	v_cvt_f16_f32_sdwa v4, v4 dst_sel:WORD_1 dst_unused:UNUSED_PAD src0_sel:DWORD
	v_cvt_f16_f32_e32 v5, v5
	v_cvt_f16_f32_sdwa v3, v3 dst_sel:WORD_1 dst_unused:UNUSED_PAD src0_sel:DWORD
	v_lshl_add_u64 v[0:1], s[34:35], 2, v[0:1]
	v_or_b32_e32 v2, v4, v2
	;;#ASMSTART
	global_atomic_pk_add_f16 v[0:1], v2, off
	
	;;#ASMEND
	v_lshl_add_u64 v[0:1], v[0:1], 0, 32
	v_or_b32_e32 v2, v3, v5
	;;#ASMSTART
	global_atomic_pk_add_f16 v[0:1], v2, off
	
	;;#ASMEND
.LBB254_36:                             ;   in Loop: Header=BB254_7 Depth=1
	s_or_b64 exec, exec, s[44:45]
	v_subrev_u32_e32 v80, s64, v80
.LBB254_37:                             ;   in Loop: Header=BB254_7 Depth=1
	s_or_b64 exec, exec, s[42:43]
.LBB254_38:                             ;   in Loop: Header=BB254_7 Depth=1
	s_andn2_saveexec_b64 s[6:7], s[40:41]
	s_cbranch_execz .LBB254_47
; %bb.39:                               ;   in Loop: Header=BB254_7 Depth=1
	s_lshl_b32 s39, s64, 1
	v_cmp_gt_i32_e32 vcc, s39, v80
	s_and_saveexec_b64 s[8:9], vcc
	s_cbranch_execz .LBB254_46
; %bb.40:                               ;   in Loop: Header=BB254_7 Depth=1
	s_mul_i32 s10, s38, s19
	s_ashr_i32 s11, s10, 31
	s_waitcnt lgkmcnt(0)
	s_add_u32 s10, s26, s10
	s_addc_u32 s11, s27, s11
	s_ashr_i32 s12, s62, 31
	s_add_u32 s10, s10, s62
	s_addc_u32 s11, s11, s12
	v_lshl_add_u64 v[0:1], s[10:11], 0, v[34:35]
	v_lshl_add_u64 v[8:9], v[0:1], 0, v[32:33]
	s_mov_b64 s[10:11], 0
	s_branch .LBB254_42
.LBB254_41:                             ;   in Loop: Header=BB254_42 Depth=2
	s_or_b64 exec, exec, s[12:13]
	v_lshl_add_u32 v12, v10, 11, v77
	;;#ASMSTART
	s_waitcnt vmcnt(1)
	;;#ASMEND
	ds_write2_b32 v12, v4, v5 offset1:32
	ds_write2_b32 v12, v6, v7 offset0:64 offset1:96
	v_add_u32_e32 v4, 0x400, v12
	v_add_u32_e32 v80, s22, v80
	;;#ASMSTART
	s_waitcnt vmcnt(0)
	;;#ASMEND
	ds_write2_b32 v4, v0, v1 offset1:32
	ds_write2_b32 v4, v2, v3 offset0:64 offset1:96
	v_add_u32_e32 v0, 1, v66
	v_add_u32_e32 v40, s22, v10
	v_cmp_le_i32_e32 vcc, s39, v80
	ds_write_b32 v11, v0 offset:12
	v_add_u32_e32 v0, 2, v66
	s_or_b64 s[10:11], vcc, s[10:11]
	v_cmp_lt_i32_e32 vcc, 1, v40
	s_nop 1
	v_cndmask_b32_e32 v66, v66, v0, vcc
	s_andn2_b64 exec, exec, s[10:11]
	s_cbranch_execz .LBB254_45
.LBB254_42:                             ;   Parent Loop BB254_7 Depth=1
                                        ; =>  This Loop Header: Depth=2
                                        ;       Child Loop BB254_44 Depth 3
	v_cmp_gt_i32_e32 vcc, 2, v40
	s_nop 1
	v_cndmask_b32_e64 v0, -2, 0, vcc
	v_add_u32_e32 v10, v0, v40
	v_lshrrev_b32_e32 v0, 31, v80
	v_add_u32_e32 v0, v80, v0
	v_and_b32_e32 v1, -2, v0
	v_lshlrev_b32_e32 v0, 6, v0
	v_sub_u32_e32 v2, v80, v1
	v_and_b32_e32 v0, 0xffffff80, v0
	v_ashrrev_i32_e32 v1, 31, v0
	v_mul_lo_u32 v2, s54, v2
	v_lshl_add_u64 v[0:1], v[8:9], 0, v[0:1]
	v_ashrrev_i32_e32 v3, 31, v2
	v_lshl_add_u64 v[0:1], v[0:1], 0, v[2:3]
	v_lshlrev_b32_e32 v11, 2, v10
	;;#ASMSTART
	global_load_dwordx4 v[4:7], v[0:1], off offset:0   sc0 sc1 nt  
	global_load_dwordx4 v[0:3], v[0:1], off offset:64  sc0 sc1 nt  
	
	;;#ASMEND
	ds_read_b32 v12, v11 offset:10252
	v_add_u32_e32 v11, 0x2800, v11
	s_waitcnt lgkmcnt(0)
	v_cmp_ne_u32_e32 vcc, v12, v66
	s_and_saveexec_b64 s[12:13], vcc
	s_cbranch_execz .LBB254_41
; %bb.43:                               ;   in Loop: Header=BB254_42 Depth=2
	s_mov_b64 s[14:15], 0
.LBB254_44:                             ;   Parent Loop BB254_7 Depth=1
                                        ;     Parent Loop BB254_42 Depth=2
                                        ; =>    This Inner Loop Header: Depth=3
	;;#ASMSTART
	s_sleep 0
	;;#ASMEND
	ds_read_b32 v12, v11 offset:12
	s_waitcnt lgkmcnt(0)
	v_cmp_eq_u32_e32 vcc, v12, v66
	s_or_b64 s[14:15], vcc, s[14:15]
	s_andn2_b64 exec, exec, s[14:15]
	s_cbranch_execnz .LBB254_44
	s_branch .LBB254_41
.LBB254_45:                             ;   in Loop: Header=BB254_7 Depth=1
	s_or_b64 exec, exec, s[10:11]
.LBB254_46:                             ;   in Loop: Header=BB254_7 Depth=1
	s_or_b64 exec, exec, s[8:9]
	v_subrev_u32_e32 v80, s39, v80
.LBB254_47:                             ;   in Loop: Header=BB254_7 Depth=1
	s_or_b64 exec, exec, s[6:7]
.LBB254_48:                             ;   in Loop: Header=BB254_7 Depth=1
	s_andn2_saveexec_b64 s[6:7], s[36:37]
	s_cbranch_execz .LBB254_6
; %bb.49:                               ;   in Loop: Header=BB254_7 Depth=1
	s_mul_i32 s64, s64, 3
	v_cmp_gt_i32_e32 vcc, s64, v80
	s_and_saveexec_b64 s[8:9], vcc
	s_cbranch_execz .LBB254_5
; %bb.50:                               ;   in Loop: Header=BB254_7 Depth=1
	s_mul_i32 s61, s61, s18
	s_ashr_i32 s10, s61, 31
	s_waitcnt lgkmcnt(0)
	s_add_u32 s11, s24, s61
	v_add_u32_e32 v2, s63, v75
	s_addc_u32 s12, s25, s10
	s_ashr_i32 s13, s62, 31
	v_cmp_gt_u32_e32 vcc, 48, v2
	s_add_u32 s10, s11, s62
	s_addc_u32 s11, s12, s13
	v_cndmask_b32_e32 v0, 0, v78, vcc
	v_ashrrev_i32_e32 v1, 31, v0
	v_lshl_add_u64 v[0:1], s[10:11], 0, v[0:1]
	v_lshl_add_u64 v[8:9], v[0:1], 0, v[32:33]
	v_sub_u32_e32 v10, 47, v2
	s_mov_b64 s[10:11], 0
	s_branch .LBB254_52
.LBB254_51:                             ;   in Loop: Header=BB254_52 Depth=2
	s_or_b64 exec, exec, s[12:13]
	v_lshl_or_b32 v13, v11, 11, v76
	;;#ASMSTART
	s_waitcnt vmcnt(1)
	;;#ASMEND
	ds_write2_b32 v13, v4, v5 offset1:32
	ds_write2_b32 v13, v6, v7 offset0:64 offset1:96
	v_add_u32_e32 v4, 0x400, v13
	v_add_u32_e32 v80, s21, v80
	;;#ASMSTART
	s_waitcnt vmcnt(0)
	;;#ASMEND
	ds_write2_b32 v4, v0, v1 offset1:32
	ds_write2_b32 v4, v2, v3 offset0:64 offset1:96
	v_add_u32_e32 v0, 1, v66
	v_add_u32_e32 v40, s21, v11
	v_cmp_le_i32_e32 vcc, s64, v80
	ds_write_b32 v12, v0
	v_add_u32_e32 v0, 2, v66
	s_or_b64 s[10:11], vcc, s[10:11]
	v_cmp_lt_i32_e32 vcc, 2, v40
	s_nop 1
	v_cndmask_b32_e32 v66, v66, v0, vcc
	s_andn2_b64 exec, exec, s[10:11]
	s_cbranch_execz .LBB254_4
.LBB254_52:                             ;   Parent Loop BB254_7 Depth=1
                                        ; =>  This Loop Header: Depth=2
                                        ;       Child Loop BB254_54 Depth 3
	v_cmp_gt_i32_e32 vcc, 3, v40
	s_nop 1
	v_cndmask_b32_e64 v0, -3, 0, vcc
	v_add_u32_e32 v11, v0, v40
	v_mul_hi_i32 v0, v80, s60
	v_lshrrev_b32_e32 v1, 31, v0
	v_add_u32_e32 v0, v0, v1
	v_lshl_add_u32 v1, v0, 1, v0
	v_sub_u32_e32 v1, v80, v1
	v_lshlrev_b32_e32 v1, 4, v1
	v_cmp_le_i32_e32 vcc, v1, v10
	v_lshlrev_b32_e32 v0, 7, v0
	v_lshlrev_b32_e32 v12, 2, v11
	v_cndmask_b32_e32 v2, 0, v1, vcc
	v_ashrrev_i32_e32 v1, 31, v0
	v_mul_lo_u32 v2, v2, s18
	v_lshl_add_u64 v[0:1], v[8:9], 0, v[0:1]
	v_ashrrev_i32_e32 v3, 31, v2
	v_lshl_add_u64 v[0:1], v[0:1], 0, v[2:3]
	;;#ASMSTART
	global_load_dwordx4 v[4:7], v[0:1], off offset:0   
	global_load_dwordx4 v[0:3], v[0:1], off offset:64  
	
	;;#ASMEND
	ds_read_b32 v13, v12 offset:10240
	v_add_u32_e32 v12, 0x2800, v12
	s_waitcnt lgkmcnt(0)
	v_cmp_ne_u32_e32 vcc, v13, v66
	s_and_saveexec_b64 s[12:13], vcc
	s_cbranch_execz .LBB254_51
; %bb.53:                               ;   in Loop: Header=BB254_52 Depth=2
	s_mov_b64 s[14:15], 0
.LBB254_54:                             ;   Parent Loop BB254_7 Depth=1
                                        ;     Parent Loop BB254_52 Depth=2
                                        ; =>    This Inner Loop Header: Depth=3
	;;#ASMSTART
	s_sleep 0
	;;#ASMEND
	ds_read_b32 v13, v12
	s_waitcnt lgkmcnt(0)
	v_cmp_eq_u32_e32 vcc, v13, v66
	s_or_b64 s[14:15], vcc, s[14:15]
	s_andn2_b64 exec, exec, s[14:15]
	s_cbranch_execnz .LBB254_54
	s_branch .LBB254_51
.LBB254_55:
	s_endpgm
	.section	.rodata,"a",@progbits
	.p2align	6, 0x0
	.amdhsa_kernel _Z19_skinny_gemm_kernelILi3ELi2ELi1ELi16ELi4EEvPKhS1_P6__halfPKfiiiiiiii
		.amdhsa_group_segment_fixed_size 10260
		.amdhsa_private_segment_fixed_size 0
		.amdhsa_kernarg_size 64
		.amdhsa_user_sgpr_count 2
		.amdhsa_user_sgpr_dispatch_ptr 0
		.amdhsa_user_sgpr_queue_ptr 0
		.amdhsa_user_sgpr_kernarg_segment_ptr 1
		.amdhsa_user_sgpr_dispatch_id 0
		.amdhsa_user_sgpr_kernarg_preload_length 0
		.amdhsa_user_sgpr_kernarg_preload_offset 0
		.amdhsa_user_sgpr_private_segment_size 0
		.amdhsa_uses_dynamic_stack 0
		.amdhsa_enable_private_segment 0
		.amdhsa_system_sgpr_workgroup_id_x 1
		.amdhsa_system_sgpr_workgroup_id_y 0
		.amdhsa_system_sgpr_workgroup_id_z 0
		.amdhsa_system_sgpr_workgroup_info 0
		.amdhsa_system_vgpr_workitem_id 0
		.amdhsa_next_free_vgpr 88
		.amdhsa_next_free_sgpr 65
		.amdhsa_accum_offset 88
		.amdhsa_reserve_vcc 1
		.amdhsa_float_round_mode_32 0
		.amdhsa_float_round_mode_16_64 0
		.amdhsa_float_denorm_mode_32 3
		.amdhsa_float_denorm_mode_16_64 3
		.amdhsa_dx10_clamp 1
		.amdhsa_ieee_mode 1
		.amdhsa_fp16_overflow 0
		.amdhsa_tg_split 0
		.amdhsa_exception_fp_ieee_invalid_op 0
		.amdhsa_exception_fp_denorm_src 0
		.amdhsa_exception_fp_ieee_div_zero 0
		.amdhsa_exception_fp_ieee_overflow 0
		.amdhsa_exception_fp_ieee_underflow 0
		.amdhsa_exception_fp_ieee_inexact 0
		.amdhsa_exception_int_div_zero 0
	.end_amdhsa_kernel
	.section	.text._Z19_skinny_gemm_kernelILi3ELi2ELi1ELi16ELi4EEvPKhS1_P6__halfPKfiiiiiiii,"axG",@progbits,_Z19_skinny_gemm_kernelILi3ELi2ELi1ELi16ELi4EEvPKhS1_P6__halfPKfiiiiiiii,comdat
.Lfunc_end254:
	.size	_Z19_skinny_gemm_kernelILi3ELi2ELi1ELi16ELi4EEvPKhS1_P6__halfPKfiiiiiiii, .Lfunc_end254-_Z19_skinny_gemm_kernelILi3ELi2ELi1ELi16ELi4EEvPKhS1_P6__halfPKfiiiiiiii
                                        ; -- End function
	.set _Z19_skinny_gemm_kernelILi3ELi2ELi1ELi16ELi4EEvPKhS1_P6__halfPKfiiiiiiii.num_vgpr, 88
	.set _Z19_skinny_gemm_kernelILi3ELi2ELi1ELi16ELi4EEvPKhS1_P6__halfPKfiiiiiiii.num_agpr, 0
	.set _Z19_skinny_gemm_kernelILi3ELi2ELi1ELi16ELi4EEvPKhS1_P6__halfPKfiiiiiiii.numbered_sgpr, 65
	.set _Z19_skinny_gemm_kernelILi3ELi2ELi1ELi16ELi4EEvPKhS1_P6__halfPKfiiiiiiii.num_named_barrier, 0
	.set _Z19_skinny_gemm_kernelILi3ELi2ELi1ELi16ELi4EEvPKhS1_P6__halfPKfiiiiiiii.private_seg_size, 0
	.set _Z19_skinny_gemm_kernelILi3ELi2ELi1ELi16ELi4EEvPKhS1_P6__halfPKfiiiiiiii.uses_vcc, 1
	.set _Z19_skinny_gemm_kernelILi3ELi2ELi1ELi16ELi4EEvPKhS1_P6__halfPKfiiiiiiii.uses_flat_scratch, 0
	.set _Z19_skinny_gemm_kernelILi3ELi2ELi1ELi16ELi4EEvPKhS1_P6__halfPKfiiiiiiii.has_dyn_sized_stack, 0
	.set _Z19_skinny_gemm_kernelILi3ELi2ELi1ELi16ELi4EEvPKhS1_P6__halfPKfiiiiiiii.has_recursion, 0
	.set _Z19_skinny_gemm_kernelILi3ELi2ELi1ELi16ELi4EEvPKhS1_P6__halfPKfiiiiiiii.has_indirect_call, 0
	.section	.AMDGPU.csdata,"",@progbits
; Kernel info:
; codeLenInByte = 4892
; TotalNumSgprs: 71
; NumVgprs: 88
; NumAgprs: 0
; TotalNumVgprs: 88
; ScratchSize: 0
; MemoryBound: 0
; FloatMode: 240
; IeeeMode: 1
; LDSByteSize: 10260 bytes/workgroup (compile time only)
; SGPRBlocks: 8
; VGPRBlocks: 10
; NumSGPRsForWavesPerEU: 71
; NumVGPRsForWavesPerEU: 88
; AccumOffset: 88
; Occupancy: 5
; WaveLimiterHint : 0
; COMPUTE_PGM_RSRC2:SCRATCH_EN: 0
; COMPUTE_PGM_RSRC2:USER_SGPR: 2
; COMPUTE_PGM_RSRC2:TRAP_HANDLER: 0
; COMPUTE_PGM_RSRC2:TGID_X_EN: 1
; COMPUTE_PGM_RSRC2:TGID_Y_EN: 0
; COMPUTE_PGM_RSRC2:TGID_Z_EN: 0
; COMPUTE_PGM_RSRC2:TIDIG_COMP_CNT: 0
; COMPUTE_PGM_RSRC3_GFX90A:ACCUM_OFFSET: 21
; COMPUTE_PGM_RSRC3_GFX90A:TG_SPLIT: 0
	.section	.text._Z19_skinny_gemm_kernelILi3ELi2ELi1ELi16ELi8EEvPKhS1_P6__halfPKfiiiiiiii,"axG",@progbits,_Z19_skinny_gemm_kernelILi3ELi2ELi1ELi16ELi8EEvPKhS1_P6__halfPKfiiiiiiii,comdat
	.protected	_Z19_skinny_gemm_kernelILi3ELi2ELi1ELi16ELi8EEvPKhS1_P6__halfPKfiiiiiiii ; -- Begin function _Z19_skinny_gemm_kernelILi3ELi2ELi1ELi16ELi8EEvPKhS1_P6__halfPKfiiiiiiii
	.globl	_Z19_skinny_gemm_kernelILi3ELi2ELi1ELi16ELi8EEvPKhS1_P6__halfPKfiiiiiiii
	.p2align	8
	.type	_Z19_skinny_gemm_kernelILi3ELi2ELi1ELi16ELi8EEvPKhS1_P6__halfPKfiiiiiiii,@function
_Z19_skinny_gemm_kernelILi3ELi2ELi1ELi16ELi8EEvPKhS1_P6__halfPKfiiiiiiii: ; @_Z19_skinny_gemm_kernelILi3ELi2ELi1ELi16ELi8EEvPKhS1_P6__halfPKfiiiiiiii
; %bb.0:
	v_cmp_gt_u32_e32 vcc, 5, v0
	v_lshlrev_b32_e32 v1, 2, v0
	s_and_saveexec_b64 s[4:5], vcc
; %bb.1:
	v_mov_b32_e32 v2, 0
	ds_write_b32 v1, v2 offset:20480
; %bb.2:
	s_or_b64 exec, exec, s[4:5]
	s_load_dwordx8 s[16:23], s[0:1], 0x20
	s_waitcnt lgkmcnt(0)
	s_barrier
	s_add_i32 s3, s16, 47
	s_add_i32 s4, s17, 31
	s_mul_hi_i32 s3, s3, 0x2aaaaaab
	s_lshr_b32 s5, s3, 31
	s_ashr_i32 s33, s3, 3
	s_ashr_i32 s3, s4, 31
	s_lshr_b32 s3, s3, 27
	s_add_i32 s4, s4, s3
	s_add_i32 s33, s33, s5
	s_ashr_i32 s48, s4, 5
	s_mul_i32 s3, s48, s33
	s_mul_i32 s3, s3, s20
	s_add_i32 s4, s3, 0x12f
	s_mul_hi_i32 s4, s4, 0x6bca1af3
	s_lshr_b32 s5, s4, 31
	s_ashr_i32 s4, s4, 7
	s_add_i32 s4, s4, s5
	s_add_i32 s5, s2, 1
	s_mul_i32 s5, s4, s5
	v_cvt_f64_i32_e32 v[2:3], s3
	v_cvt_f64_u32_e32 v[4:5], s5
	v_min_f64 v[2:3], v[2:3], v[4:5]
	v_cvt_i32_f64_e32 v25, v[2:3]
	s_mul_i32 s49, s4, s2
	v_cmp_ge_i32_e32 vcc, s49, v25
	s_cbranch_vccnz .LBB255_55
; %bb.3:
	v_lshrrev_b32_e32 v2, 6, v0
	s_add_i32 s4, s22, s21
	s_load_dwordx8 s[24:31], s[0:1], 0x0
	v_cmp_le_i32_e64 s[0:1], s4, v2
	v_mov_b32_e32 v3, s21
	v_cmp_le_i32_e64 s[2:3], s21, v2
	v_mov_b32_e32 v4, s22
	v_cndmask_b32_e64 v4, 0, v4, s[0:1]
	v_cndmask_b32_e64 v3, 0, v3, s[2:3]
	s_abs_i32 s5, s20
	v_add_u32_e32 v3, v3, v4
	v_cvt_f32_u32_e32 v4, s5
	v_sub_u32_e32 v42, v2, v3
	s_ashr_i32 s6, s18, 31
	s_lshr_b32 s6, s6, 24
	v_rcp_iflag_f32_e32 v3, v4
	s_sub_i32 s9, 0, s5
	s_add_i32 s6, s18, s6
	s_ashr_i32 s6, s6, 8
	v_mul_f32_e32 v3, 0x4f7ffffe, v3
	v_cvt_u32_f32_e32 v3, v3
	s_abs_i32 s8, s6
	s_xor_b32 s7, s6, s20
	s_ashr_i32 s7, s7, 31
	v_readfirstlane_b32 s10, v3
	s_mul_i32 s9, s9, s10
	s_mul_hi_u32 s9, s10, s9
	s_add_i32 s10, s10, s9
	s_mul_hi_u32 s9, s8, s10
	s_mul_i32 s10, s9, s5
	s_sub_i32 s8, s8, s10
	s_add_i32 s10, s9, 1
	s_sub_i32 s11, s8, s5
	s_cmp_ge_u32 s8, s5
	s_cselect_b32 s9, s10, s9
	s_cselect_b32 s8, s11, s8
	s_add_i32 s10, s9, 1
	s_cmp_ge_u32 s8, s5
	s_cselect_b32 s5, s10, s9
	s_xor_b32 s5, s5, s7
	s_sub_i32 s50, s5, s7
	s_add_i32 s20, s20, -1
	s_mul_i32 s5, s50, s20
	s_add_i32 s4, s4, s23
	s_sub_i32 s51, s6, s5
	v_cmp_gt_i32_e64 s[4:5], s4, v2
	v_lshlrev_b32_e32 v2, 1, v0
	v_lshlrev_b32_e32 v3, 4, v0
	v_and_b32_e32 v1, 60, v1
	v_and_b32_e32 v2, 64, v2
	;; [unrolled: 1-line block ×3, first 2 shown]
	v_or3_b32 v93, v1, v2, v4
	v_and_b32_e32 v1, 1, v0
	v_lshrrev_b32_e32 v4, 2, v0
	s_abs_i32 s53, s33
	v_and_or_b32 v98, v4, 12, v1
	v_cvt_f32_u32_e32 v4, s53
	v_lshlrev_b32_e32 v2, 1, v1
	v_and_b32_e32 v24, 14, v0
	v_sub_u32_e32 v2, v0, v2
	v_bitop3_b32 v95, v0, 1, v0 bitop3:0xc
	v_bitop3_b32 v96, v0, 3, 1 bitop3:0x6c
	v_and_b32_e32 v32, 48, v3
	v_bfe_u32 v101, v0, 2, 4
	v_and_b32_e32 v1, 60, v0
	v_lshlrev_b32_e32 v3, 8, v0
	v_lshlrev_b32_e32 v0, 6, v0
	v_and_b32_e32 v3, 0x200, v3
	v_and_b32_e32 v0, 64, v0
	v_or3_b32 v102, v1, v3, v0
	v_rcp_iflag_f32_e32 v0, v4
	s_abs_i32 s55, s48
	v_cvt_f32_u32_e32 v1, s55
	v_mad_u64_u32 v[26:27], s[6:7], s17, v98, v[24:25]
	v_mul_f32_e32 v0, 0x4f7ffffe, v0
	v_cvt_u32_f32_e32 v0, v0
	v_rcp_iflag_f32_e32 v1, v1
	s_lshl_b32 s6, s17, 4
	v_add_u32_e32 v28, s6, v26
	v_readfirstlane_b32 s7, v0
	v_mul_f32_e32 v0, 0x4f7ffffe, v1
	v_cvt_u32_f32_e32 v0, v0
	v_add_u32_e32 v30, s6, v28
	s_sub_i32 s6, 0, s53
	s_mul_i32 s6, s6, s7
	s_mul_hi_u32 s6, s7, s6
	v_add_u32_e32 v2, 1, v2
	s_add_i32 s57, s7, s6
	s_sub_i32 s6, 0, s55
	v_readfirstlane_b32 s7, v0
	v_mbcnt_lo_u32_b32 v0, -1, 0
	v_and_b32_e32 v2, 63, v2
	s_mul_i32 s6, s6, s7
	v_mbcnt_hi_u32_b32 v0, -1, v0
	v_mul_lo_u32 v34, s19, v101
	s_mul_hi_u32 s6, s7, s6
	v_and_or_b32 v0, v0, 64, v2
	v_cndmask_b32_e64 v92, 0, 1, s[0:1]
	s_movk_i32 s52, 0x3000
	v_or_b32_e32 v94, 0x3000, v93
	s_ashr_i32 s35, s17, 31
	s_mov_b32 s34, s17
	v_or_b32_e32 v97, 16, v24
	v_ashrrev_i32_e32 v27, 31, v26
	v_or_b32_e32 v99, 16, v98
	v_ashrrev_i32_e32 v29, 31, v28
	;; [unrolled: 2-line block ×3, first 2 shown]
	v_ashrrev_i32_e32 v35, 31, v34
	v_mov_b32_e32 v33, 0
	v_or_b32_e32 v103, 0x3000, v102
	s_lshl_b32 s54, s19, 4
	v_mul_lo_u32 v104, s18, v101
	s_ashr_i32 s56, s33, 31
	s_ashr_i32 s58, s48, 31
	s_add_i32 s59, s7, s6
	s_mov_b32 s60, 0x55555556
	v_lshlrev_b32_e32 v105, 2, v0
	v_mov_b32_e32 v106, v42
	s_branch .LBB255_7
.LBB255_4:                              ;   in Loop: Header=BB255_7 Depth=1
	s_or_b64 exec, exec, s[10:11]
.LBB255_5:                              ;   in Loop: Header=BB255_7 Depth=1
	s_or_b64 exec, exec, s[8:9]
	v_subrev_u32_e32 v106, s64, v106
.LBB255_6:                              ;   in Loop: Header=BB255_7 Depth=1
	s_or_b64 exec, exec, s[6:7]
	s_add_i32 s49, s49, 1
	v_cmp_ge_i32_e32 vcc, s49, v25
	s_cbranch_vccnz .LBB255_55
.LBB255_7:                              ; =>This Loop Header: Depth=1
                                        ;     Child Loop BB255_13 Depth 2
                                        ;       Child Loop BB255_15 Depth 3
                                        ;       Child Loop BB255_18 Depth 3
	;; [unrolled: 1-line block ×5, first 2 shown]
                                        ;     Child Loop BB255_42 Depth 2
                                        ;       Child Loop BB255_44 Depth 3
                                        ;     Child Loop BB255_52 Depth 2
                                        ;       Child Loop BB255_54 Depth 3
	s_abs_i32 s7, s49
	s_mul_hi_u32 s8, s7, s57
	s_mul_i32 s9, s8, s53
	s_ashr_i32 s6, s49, 31
	s_sub_i32 s7, s7, s9
	s_xor_b32 s6, s6, s56
	s_add_i32 s9, s8, 1
	s_sub_i32 s10, s7, s53
	s_cmp_ge_u32 s7, s53
	s_cselect_b32 s8, s9, s8
	s_cselect_b32 s7, s10, s7
	s_add_i32 s9, s8, 1
	s_cmp_ge_u32 s7, s53
	s_cselect_b32 s7, s9, s8
	s_xor_b32 s7, s7, s6
	s_sub_i32 s6, s7, s6
	s_abs_i32 s8, s6
	s_mul_hi_u32 s9, s8, s59
	s_mul_i32 s7, s6, s33
	s_mul_i32 s10, s9, s55
	s_sub_i32 s61, s49, s7
	s_ashr_i32 s7, s6, 31
	s_sub_i32 s8, s8, s10
	s_xor_b32 s7, s7, s58
	s_add_i32 s10, s9, 1
	s_sub_i32 s11, s8, s55
	s_cmp_ge_u32 s8, s55
	s_cselect_b32 s9, s10, s9
	s_cselect_b32 s8, s11, s8
	s_add_i32 s10, s9, 1
	s_cmp_ge_u32 s8, s55
	s_cselect_b32 s8, s10, s9
	s_xor_b32 s8, s8, s7
	s_sub_i32 s7, s8, s7
	s_mul_i32 s8, s7, s50
	s_lshl_b32 s62, s8, 8
	s_mul_i32 s61, s61, 48
	s_cmp_eq_u32 s7, s20
	s_cselect_b32 s64, s51, s50
	s_sub_i32 s8, s61, s16
	s_add_i32 s8, s8, 48
	s_max_i32 s63, s8, 0
	s_and_saveexec_b64 s[8:9], s[2:3]
	s_xor_b64 s[36:37], exec, s[8:9]
	s_cbranch_execz .LBB255_48
; %bb.8:                                ;   in Loop: Header=BB255_7 Depth=1
	s_mul_i32 s7, s7, s48
	s_sub_i32 s6, s6, s7
	s_lshl_b32 s6, s6, 5
	s_sub_i32 s14, s6, s17
	s_add_i32 s14, s14, 32
	s_max_i32 s7, s14, 0
	s_sub_i32 s38, s6, s7
	s_and_saveexec_b64 s[6:7], s[0:1]
	s_xor_b64 s[40:41], exec, s[6:7]
	s_cbranch_execz .LBB255_38
; %bb.9:                                ;   in Loop: Header=BB255_7 Depth=1
	s_and_saveexec_b64 s[42:43], s[4:5]
	s_cbranch_execz .LBB255_37
; %bb.10:                               ;   in Loop: Header=BB255_7 Depth=1
	s_waitcnt lgkmcnt(0)
	global_load_dword v107, v33, s[30:31]
	v_mov_b32_e32 v23, 0
	v_cmp_gt_i32_e32 vcc, s64, v106
	v_mov_b32_e32 v22, v23
	v_mov_b32_e32 v21, v23
	;; [unrolled: 1-line block ×23, first 2 shown]
	s_and_saveexec_b64 s[6:7], vcc
	s_cbranch_execz .LBB255_29
; %bb.11:                               ;   in Loop: Header=BB255_7 Depth=1
	v_mov_b32_e32 v0, 0
	s_mov_b64 s[8:9], 0
	v_mov_b32_e32 v1, v0
	v_mov_b32_e32 v2, v0
	;; [unrolled: 1-line block ×23, first 2 shown]
	s_branch .LBB255_13
.LBB255_12:                             ;   in Loop: Header=BB255_13 Depth=2
	s_or_b64 exec, exec, s[10:11]
	v_add_u32_e32 v48, 0x1000, v110
	ds_read2_b32 v[46:47], v48 offset1:32
	v_add_u32_e32 v50, 0x1400, v110
	v_add_u32_e32 v106, s23, v106
	s_waitcnt lgkmcnt(0)
	v_mfma_f32_16x16x32_fp8_fp8 v[16:19], v[36:37], v[46:47], v[16:19]
	ds_read2_b32 v[36:37], v48 offset0:128 offset1:160
	ds_read2_b32 v[48:49], v50 offset1:32
	ds_read2_b32 v[50:51], v50 offset0:128 offset1:160
	v_mfma_f32_16x16x32_fp8_fp8 v[8:11], v[68:69], v[46:47], v[8:11]
	v_mfma_f32_16x16x32_fp8_fp8 v[0:3], v[84:85], v[46:47], v[0:3]
	s_waitcnt lgkmcnt(2)
	v_mfma_f32_16x16x32_fp8_fp8 v[16:19], v[54:55], v[36:37], v[16:19]
	v_add_u32_e32 v54, 0x1800, v110
	ds_read2_b32 v[52:53], v54 offset1:32
	ds_read2_b32 v[54:55], v54 offset0:128 offset1:160
	v_mfma_f32_16x16x32_fp8_fp8 v[8:11], v[70:71], v[36:37], v[8:11]
	v_mfma_f32_16x16x32_fp8_fp8 v[0:3], v[86:87], v[36:37], v[0:3]
	v_add_u32_e32 v36, 2, v92
	s_waitcnt lgkmcnt(3)
	v_mfma_f32_16x16x32_fp8_fp8 v[16:19], v[60:61], v[48:49], v[16:19]
	v_add_u32_e32 v60, 0x1c00, v110
	v_mfma_f32_16x16x32_fp8_fp8 v[8:11], v[72:73], v[48:49], v[8:11]
	v_mfma_f32_16x16x32_fp8_fp8 v[0:3], v[88:89], v[48:49], v[0:3]
	s_waitcnt lgkmcnt(2)
	v_mfma_f32_16x16x32_fp8_fp8 v[16:19], v[56:57], v[50:51], v[16:19]
	ds_read2_b32 v[56:57], v60 offset1:32
	v_mfma_f32_16x16x32_fp8_fp8 v[8:11], v[74:75], v[50:51], v[8:11]
	v_mfma_f32_16x16x32_fp8_fp8 v[0:3], v[90:91], v[50:51], v[0:3]
	s_waitcnt lgkmcnt(2)
	v_mfma_f32_16x16x32_fp8_fp8 v[16:19], v[62:63], v[52:53], v[16:19]
	v_mfma_f32_16x16x32_fp8_fp8 v[8:11], v[76:77], v[52:53], v[8:11]
	;; [unrolled: 1-line block ×3, first 2 shown]
	v_add_u32_e32 v42, s23, v108
	v_cmp_lt_i32_e32 vcc, 0, v42
	s_waitcnt lgkmcnt(1)
	v_mfma_f32_16x16x32_fp8_fp8 v[16:19], v[58:59], v[54:55], v[16:19]
	ds_read2_b32 v[58:59], v60 offset0:128 offset1:160
	v_cndmask_b32_e32 v92, v92, v36, vcc
	v_cmp_le_i32_e32 vcc, s64, v106
	v_mfma_f32_16x16x32_fp8_fp8 v[8:11], v[78:79], v[54:55], v[8:11]
	s_or_b64 s[8:9], vcc, s[8:9]
	;;#ASMSTART
	s_waitcnt lgkmcnt(0)
	;;#ASMEND
	ds_write_b32 v109, v111 offset:20496
	v_mfma_f32_16x16x32_fp8_fp8 v[0:3], v[44:45], v[54:55], v[0:3]
	s_waitcnt lgkmcnt(2)
	v_mfma_f32_16x16x32_fp8_fp8 v[16:19], v[64:65], v[56:57], v[16:19]
	v_mfma_f32_16x16x32_fp8_fp8 v[8:11], v[80:81], v[56:57], v[8:11]
	;; [unrolled: 1-line block ×3, first 2 shown]
	s_waitcnt lgkmcnt(1)
	v_mfma_f32_16x16x32_fp8_fp8 v[16:19], v[66:67], v[58:59], v[16:19]
	v_mfma_f32_16x16x32_fp8_fp8 v[8:11], v[82:83], v[58:59], v[8:11]
	;; [unrolled: 1-line block ×3, first 2 shown]
	s_andn2_b64 exec, exec, s[8:9]
	s_cbranch_execz .LBB255_28
.LBB255_13:                             ;   Parent Loop BB255_7 Depth=1
                                        ; =>  This Loop Header: Depth=2
                                        ;       Child Loop BB255_15 Depth 3
                                        ;       Child Loop BB255_18 Depth 3
	;; [unrolled: 1-line block ×5, first 2 shown]
	v_cmp_lt_i32_e32 vcc, 0, v42
	s_nop 1
	v_subbrev_co_u32_e32 v108, vcc, 0, v42, vcc
	v_lshlrev_b32_e32 v109, 3, v108
	ds_read_b32 v36, v109 offset:20492
	s_waitcnt lgkmcnt(0)
	v_cmp_ne_u32_e32 vcc, v36, v92
	s_and_saveexec_b64 s[10:11], vcc
	s_cbranch_execz .LBB255_16
; %bb.14:                               ;   in Loop: Header=BB255_13 Depth=2
	s_mov_b64 s[12:13], 0
.LBB255_15:                             ;   Parent Loop BB255_7 Depth=1
                                        ;     Parent Loop BB255_13 Depth=2
                                        ; =>    This Inner Loop Header: Depth=3
	;;#ASMSTART
	s_sleep 0
	;;#ASMEND
	ds_read_b32 v36, v109 offset:20492
	s_waitcnt lgkmcnt(0)
	v_cmp_eq_u32_e32 vcc, v36, v92
	s_or_b64 s[12:13], vcc, s[12:13]
	s_andn2_b64 exec, exec, s[12:13]
	s_cbranch_execnz .LBB255_15
.LBB255_16:                             ;   in Loop: Header=BB255_13 Depth=2
	s_or_b64 exec, exec, s[10:11]
	v_lshlrev_b32_e32 v36, 13, v108
	v_add_u32_e32 v110, v94, v36
	v_add_u32_e32 v36, 0x400, v110
	ds_read2_b32 v[38:39], v110 offset1:32
	ds_read2_b32 v[40:41], v110 offset0:128 offset1:160
	ds_read2_b32 v[42:43], v36 offset1:32
	ds_read2_b32 v[44:45], v36 offset0:128 offset1:160
	v_add_u32_e32 v36, 0x800, v110
	ds_read2_b32 v[46:47], v36 offset1:32
	ds_read2_b32 v[48:49], v36 offset0:128 offset1:160
	v_add_u32_e32 v36, 0xc00, v110
	v_add_u32_e32 v111, 1, v92
	ds_read2_b32 v[52:53], v36 offset1:32
	ds_read2_b32 v[50:51], v36 offset0:128 offset1:160
	;;#ASMSTART
	s_waitcnt lgkmcnt(0)
	;;#ASMEND
	ds_write_b32 v109, v111 offset:20492
	v_mul_lo_u32 v112, v108, 12
	ds_read_b32 v36, v112 offset:20480
	s_waitcnt lgkmcnt(0)
	v_cmp_ne_u32_e32 vcc, v36, v92
	s_and_saveexec_b64 s[10:11], vcc
	s_cbranch_execz .LBB255_19
; %bb.17:                               ;   in Loop: Header=BB255_13 Depth=2
	s_mov_b64 s[12:13], 0
.LBB255_18:                             ;   Parent Loop BB255_7 Depth=1
                                        ;     Parent Loop BB255_13 Depth=2
                                        ; =>    This Inner Loop Header: Depth=3
	;;#ASMSTART
	s_sleep 0
	;;#ASMEND
	ds_read_b32 v36, v112 offset:20480
	s_waitcnt lgkmcnt(0)
	v_cmp_eq_u32_e32 vcc, v36, v92
	s_or_b64 s[12:13], vcc, s[12:13]
	s_andn2_b64 exec, exec, s[12:13]
	s_cbranch_execnz .LBB255_18
.LBB255_19:                             ;   in Loop: Header=BB255_13 Depth=2
	s_or_b64 exec, exec, s[10:11]
	v_mul_lo_u32 v68, v108, s52
	v_or_b32_e32 v64, v93, v68
	ds_read2_b32 v[36:37], v64 offset1:32
	ds_read2_b32 v[54:55], v64 offset0:128 offset1:160
	v_add_u32_e32 v56, 0x400, v64
	ds_read2_b32 v[60:61], v56 offset1:32
	ds_read2_b32 v[56:57], v56 offset0:128 offset1:160
	v_add_u32_e32 v58, 0x800, v64
	;; [unrolled: 3-line block ×3, first 2 shown]
	s_waitcnt lgkmcnt(5)
	v_mfma_f32_16x16x32_fp8_fp8 v[20:23], v[36:37], v[38:39], v[20:23]
	ds_read2_b32 v[64:65], v66 offset1:32
	ds_read2_b32 v[66:67], v66 offset0:128 offset1:160
	ds_read_b32 v69, v112 offset:20484
	ds_write_b32 v112, v111 offset:20480
	s_waitcnt lgkmcnt(8)
	v_mfma_f32_16x16x32_fp8_fp8 v[20:23], v[54:55], v[40:41], v[20:23]
	s_waitcnt lgkmcnt(1)
	v_cmp_ne_u32_e32 vcc, v69, v92
	v_mfma_f32_16x16x32_fp8_fp8 v[20:23], v[60:61], v[42:43], v[20:23]
	v_mfma_f32_16x16x32_fp8_fp8 v[20:23], v[56:57], v[44:45], v[20:23]
	;; [unrolled: 1-line block ×6, first 2 shown]
	s_and_saveexec_b64 s[10:11], vcc
	s_cbranch_execz .LBB255_22
; %bb.20:                               ;   in Loop: Header=BB255_13 Depth=2
	s_mov_b64 s[12:13], 0
.LBB255_21:                             ;   Parent Loop BB255_7 Depth=1
                                        ;     Parent Loop BB255_13 Depth=2
                                        ; =>    This Inner Loop Header: Depth=3
	;;#ASMSTART
	s_sleep 0
	;;#ASMEND
	ds_read_b32 v69, v112 offset:20484
	s_waitcnt lgkmcnt(0)
	v_cmp_eq_u32_e32 vcc, v69, v92
	s_or_b64 s[12:13], vcc, s[12:13]
	s_andn2_b64 exec, exec, s[12:13]
	s_cbranch_execnz .LBB255_21
.LBB255_22:                             ;   in Loop: Header=BB255_13 Depth=2
	s_or_b64 exec, exec, s[10:11]
	v_add_u32_e32 v113, v93, v68
	v_add_u32_e32 v70, 0x1000, v113
	ds_read2_b32 v[68:69], v70 offset1:32
	ds_read2_b32 v[70:71], v70 offset0:128 offset1:160
	v_add_u32_e32 v74, 0x1400, v113
	ds_read2_b32 v[72:73], v74 offset1:32
	ds_read2_b32 v[74:75], v74 offset0:128 offset1:160
	;; [unrolled: 3-line block ×3, first 2 shown]
	v_add_u32_e32 v82, 0x1c00, v113
	s_waitcnt lgkmcnt(5)
	v_mfma_f32_16x16x32_fp8_fp8 v[12:15], v[68:69], v[38:39], v[12:15]
	ds_read2_b32 v[80:81], v82 offset1:32
	ds_read2_b32 v[82:83], v82 offset0:128 offset1:160
	ds_read_b32 v84, v112 offset:20488
	ds_write_b32 v112, v111 offset:20484
	s_waitcnt lgkmcnt(8)
	v_mfma_f32_16x16x32_fp8_fp8 v[12:15], v[70:71], v[40:41], v[12:15]
	s_waitcnt lgkmcnt(1)
	v_cmp_ne_u32_e32 vcc, v84, v92
	v_mfma_f32_16x16x32_fp8_fp8 v[12:15], v[72:73], v[42:43], v[12:15]
	v_mfma_f32_16x16x32_fp8_fp8 v[12:15], v[74:75], v[44:45], v[12:15]
	;; [unrolled: 1-line block ×6, first 2 shown]
	s_and_saveexec_b64 s[10:11], vcc
	s_cbranch_execz .LBB255_25
; %bb.23:                               ;   in Loop: Header=BB255_13 Depth=2
	s_mov_b64 s[12:13], 0
.LBB255_24:                             ;   Parent Loop BB255_7 Depth=1
                                        ;     Parent Loop BB255_13 Depth=2
                                        ; =>    This Inner Loop Header: Depth=3
	;;#ASMSTART
	s_sleep 0
	;;#ASMEND
	ds_read_b32 v84, v112 offset:20488
	s_waitcnt lgkmcnt(0)
	v_cmp_eq_u32_e32 vcc, v84, v92
	s_or_b64 s[12:13], vcc, s[12:13]
	s_andn2_b64 exec, exec, s[12:13]
	s_cbranch_execnz .LBB255_24
.LBB255_25:                             ;   in Loop: Header=BB255_13 Depth=2
	s_or_b64 exec, exec, s[10:11]
	v_add_u32_e32 v86, 0x2000, v113
	ds_read2_b32 v[84:85], v86 offset1:32
	ds_read2_b32 v[86:87], v86 offset0:128 offset1:160
	v_add_u32_e32 v90, 0x2400, v113
	ds_read2_b32 v[88:89], v90 offset1:32
	ds_read2_b32 v[90:91], v90 offset0:128 offset1:160
	s_waitcnt lgkmcnt(3)
	v_mfma_f32_16x16x32_fp8_fp8 v[4:7], v[84:85], v[38:39], v[4:7]
	v_add_u32_e32 v38, 0x2800, v113
	ds_write_b32 v112, v111 offset:20488
	s_waitcnt lgkmcnt(3)
	v_mfma_f32_16x16x32_fp8_fp8 v[4:7], v[86:87], v[40:41], v[4:7]
	s_waitcnt lgkmcnt(2)
	v_mfma_f32_16x16x32_fp8_fp8 v[4:7], v[88:89], v[42:43], v[4:7]
	ds_read2_b32 v[42:43], v38 offset1:32
	s_waitcnt lgkmcnt(2)
	v_mfma_f32_16x16x32_fp8_fp8 v[4:7], v[90:91], v[44:45], v[4:7]
	ds_read2_b32 v[44:45], v38 offset0:128 offset1:160
	v_add_u32_e32 v38, 0x2c00, v113
	ds_read2_b32 v[40:41], v38 offset1:32
	ds_read2_b32 v[38:39], v38 offset0:128 offset1:160
	s_waitcnt lgkmcnt(3)
	v_mfma_f32_16x16x32_fp8_fp8 v[4:7], v[42:43], v[46:47], v[4:7]
	ds_read_b32 v46, v109 offset:20496
	s_waitcnt lgkmcnt(0)
	v_cmp_ne_u32_e32 vcc, v46, v92
	v_mfma_f32_16x16x32_fp8_fp8 v[4:7], v[44:45], v[48:49], v[4:7]
	v_mfma_f32_16x16x32_fp8_fp8 v[4:7], v[40:41], v[52:53], v[4:7]
	;; [unrolled: 1-line block ×3, first 2 shown]
	s_and_saveexec_b64 s[10:11], vcc
	s_cbranch_execz .LBB255_12
; %bb.26:                               ;   in Loop: Header=BB255_13 Depth=2
	s_mov_b64 s[12:13], 0
.LBB255_27:                             ;   Parent Loop BB255_7 Depth=1
                                        ;     Parent Loop BB255_13 Depth=2
                                        ; =>    This Inner Loop Header: Depth=3
	;;#ASMSTART
	s_sleep 0
	;;#ASMEND
	ds_read_b32 v46, v109 offset:20496
	s_waitcnt lgkmcnt(0)
	v_cmp_eq_u32_e32 vcc, v46, v92
	s_or_b64 s[12:13], vcc, s[12:13]
	s_andn2_b64 exec, exec, s[12:13]
	s_cbranch_execnz .LBB255_27
	s_branch .LBB255_12
.LBB255_28:                             ;   in Loop: Header=BB255_7 Depth=1
	s_or_b64 exec, exec, s[8:9]
.LBB255_29:                             ;   in Loop: Header=BB255_7 Depth=1
	s_or_b64 exec, exec, s[6:7]
	v_cmp_le_i32_e32 vcc, s14, v24
	v_cmp_eq_u32_e64 s[6:7], 2, v95
	v_cmp_eq_u32_e64 s[8:9], 3, v95
	s_waitcnt vmcnt(0)
	v_cndmask_b32_e32 v36, 0, v107, vcc
	v_pk_mul_f32 v[20:21], v[36:37], v[20:21] op_sel_hi:[0,1]
	v_cmp_eq_u32_e32 vcc, 1, v95
	v_pk_mul_f32 v[38:39], v[36:37], v[22:23] op_sel_hi:[0,1]
	v_cmp_eq_u32_e64 s[10:11], 0, v95
	v_cndmask_b32_e32 v22, v20, v21, vcc
	v_cndmask_b32_e64 v22, v22, v38, s[6:7]
	v_cndmask_b32_e64 v22, v22, v39, s[8:9]
	ds_bpermute_b32 v37, v105, v22
	v_cmp_le_i32_e64 s[14:15], s14, v97
	v_cmp_eq_u32_e64 s[12:13], 1, v96
	s_waitcnt lgkmcnt(0)
	v_cndmask_b32_e64 v22, v39, v37, s[8:9]
	v_cndmask_b32_e64 v23, v38, v37, s[6:7]
	v_cndmask_b32_e32 v21, v21, v37, vcc
	v_cndmask_b32_e64 v37, v20, v37, s[10:11]
	v_cndmask_b32_e64 v20, 0, v107, s[14:15]
	v_pk_mul_f32 v[44:45], v[20:21], v[16:17] op_sel_hi:[0,1]
	v_pk_mul_f32 v[40:41], v[20:21], v[18:19] op_sel_hi:[0,1]
	v_cndmask_b32_e32 v16, v44, v45, vcc
	v_cndmask_b32_e64 v16, v16, v40, s[6:7]
	v_cndmask_b32_e64 v16, v16, v41, s[8:9]
	ds_bpermute_b32 v17, v105, v16
	v_cndmask_b32_e64 v38, v37, v21, s[12:13]
	v_cmp_eq_u32_e32 vcc, 2, v96
	v_cmp_eq_u32_e64 s[14:15], 3, v96
	s_waitcnt lgkmcnt(0)
	v_cndmask_b32_e64 v19, v40, v17, s[6:7]
	v_cndmask_b32_e32 v16, v38, v23, vcc
	v_cndmask_b32_e64 v16, v16, v22, s[14:15]
	v_cmp_ne_u32_e64 s[6:7], 0, v95
	ds_bpermute_b32 v38, v105, v16
	v_cndmask_b32_e64 v18, v41, v17, s[8:9]
	v_cndmask_b32_e64 v16, v45, v17, s[6:7]
	;; [unrolled: 1-line block ×4, first 2 shown]
	v_cndmask_b32_e32 v39, v39, v19, vcc
	v_cndmask_b32_e64 v39, v39, v18, s[14:15]
	ds_bpermute_b32 v39, v105, v39
	v_add_u32_e32 v40, s63, v98
	v_cmp_gt_u32_e32 vcc, 48, v40
	s_and_saveexec_b64 s[44:45], vcc
	s_cbranch_execz .LBB255_36
; %bb.30:                               ;   in Loop: Header=BB255_7 Depth=1
	v_cmp_eq_u32_e64 s[8:9], 1, v96
	v_cmp_eq_u32_e64 s[10:11], 0, v96
	v_cmp_eq_u32_e32 vcc, 3, v96
	s_waitcnt lgkmcnt(1)
	v_cndmask_b32_e64 v21, v21, v38, s[8:9]
	s_waitcnt lgkmcnt(0)
	v_cndmask_b32_e64 v41, v16, v39, s[8:9]
	s_mul_i32 s8, s61, s17
	s_ashr_i32 s9, s8, 31
	s_lshl_b64 s[8:9], s[8:9], 1
	v_cndmask_b32_e64 v37, v37, v38, s[10:11]
	v_cndmask_b32_e64 v43, v17, v39, s[10:11]
	s_add_u32 s10, s28, s8
	s_addc_u32 s11, s29, s9
	s_ashr_i32 s39, s38, 31
	v_cvt_f16_f32_e32 v37, v37
	v_cvt_f16_f32_sdwa v21, v21 dst_sel:WORD_1 dst_unused:UNUSED_PAD src0_sel:DWORD
	s_lshl_b64 s[8:9], s[38:39], 1
	v_cvt_f16_f32_e32 v43, v43
	v_cvt_f16_f32_sdwa v41, v41 dst_sel:WORD_1 dst_unused:UNUSED_PAD src0_sel:DWORD
	s_add_u32 s46, s10, s8
	s_addc_u32 s47, s11, s9
	v_cmp_eq_u32_e64 s[6:7], 2, v96
	v_lshl_add_u64 v[16:17], v[26:27], 1, s[46:47]
	v_or_b32_e32 v21, v21, v37
	v_cmp_gt_u32_e64 s[8:9], 46, v40
	;;#ASMSTART
	global_atomic_pk_add_f16 v[16:17], v21, off
	
	;;#ASMEND
	v_lshl_add_u64 v[44:45], v[16:17], 0, 32
	v_or_b32_e32 v21, v41, v43
	;;#ASMSTART
	global_atomic_pk_add_f16 v[44:45], v21, off
	
	;;#ASMEND
	s_and_b64 exec, exec, s[8:9]
	s_cbranch_execz .LBB255_36
; %bb.31:                               ;   in Loop: Header=BB255_7 Depth=1
	v_mov_b32_e32 v37, v36
	v_cndmask_b32_e32 v22, v22, v38, vcc
	v_cndmask_b32_e64 v23, v23, v38, s[6:7]
	v_cndmask_b32_e32 v38, v18, v39, vcc
	v_cndmask_b32_e64 v39, v19, v39, s[6:7]
	v_mov_b32_e32 v18, v36
	v_mov_b32_e32 v19, v36
	v_pk_mul_f32 v[14:15], v[18:19], v[14:15]
	v_pk_mul_f32 v[18:19], v[36:37], v[12:13]
	v_cmp_eq_u32_e32 vcc, 1, v95
	v_cmp_eq_u32_e64 s[6:7], 2, v95
	v_cmp_eq_u32_e64 s[8:9], 3, v95
	v_cndmask_b32_e32 v12, v18, v19, vcc
	v_cndmask_b32_e64 v12, v12, v14, s[6:7]
	v_cndmask_b32_e64 v12, v12, v15, s[8:9]
	v_cvt_f16_f32_e32 v23, v23
	v_cvt_f16_f32_sdwa v22, v22 dst_sel:WORD_1 dst_unused:UNUSED_PAD src0_sel:DWORD
	ds_bpermute_b32 v40, v105, v12
	v_mov_b32_e32 v21, v20
	v_lshl_add_u64 v[16:17], s[34:35], 2, v[16:17]
	v_or_b32_e32 v22, v22, v23
	v_cmp_eq_u32_e64 s[10:11], 0, v95
	;;#ASMSTART
	global_atomic_pk_add_f16 v[16:17], v22, off
	
	;;#ASMEND
	v_cvt_f16_f32_e32 v41, v39
	v_cvt_f16_f32_sdwa v43, v38 dst_sel:WORD_1 dst_unused:UNUSED_PAD src0_sel:DWORD
	v_lshl_add_u64 v[22:23], v[16:17], 0, 32
	s_waitcnt lgkmcnt(0)
	v_cndmask_b32_e64 v12, v15, v40, s[8:9]
	v_cndmask_b32_e32 v15, v19, v40, vcc
	v_cndmask_b32_e64 v16, v18, v40, s[10:11]
	v_mov_b32_e32 v18, v20
	v_mov_b32_e32 v19, v20
	v_pk_mul_f32 v[38:39], v[20:21], v[8:9]
	v_pk_mul_f32 v[18:19], v[18:19], v[10:11]
	v_cndmask_b32_e32 v8, v38, v39, vcc
	v_cndmask_b32_e64 v8, v8, v18, s[6:7]
	v_cndmask_b32_e64 v8, v8, v19, s[8:9]
	ds_bpermute_b32 v9, v105, v8
	v_cmp_eq_u32_e64 s[12:13], 1, v96
	v_cndmask_b32_e64 v13, v14, v40, s[6:7]
	v_cmp_eq_u32_e32 vcc, 2, v96
	v_cndmask_b32_e64 v14, v16, v15, s[12:13]
	v_cmp_eq_u32_e64 s[14:15], 3, v96
	v_cndmask_b32_e32 v8, v14, v13, vcc
	s_waitcnt lgkmcnt(0)
	v_cndmask_b32_e64 v11, v18, v9, s[6:7]
	v_cndmask_b32_e64 v8, v8, v12, s[14:15]
	v_cmp_ne_u32_e64 s[6:7], 0, v95
	ds_bpermute_b32 v14, v105, v8
	v_cndmask_b32_e64 v10, v19, v9, s[8:9]
	v_cndmask_b32_e64 v8, v39, v9, s[6:7]
	;; [unrolled: 1-line block ×4, first 2 shown]
	v_cndmask_b32_e32 v17, v17, v11, vcc
	v_cndmask_b32_e64 v17, v17, v10, s[14:15]
	ds_bpermute_b32 v17, v105, v17
	v_or_b32_e32 v18, v43, v41
	;;#ASMSTART
	global_atomic_pk_add_f16 v[22:23], v18, off
	
	;;#ASMEND
	v_add_u32_e32 v18, s63, v99
	v_cmp_gt_u32_e32 vcc, 48, v18
	s_and_b64 exec, exec, vcc
	s_cbranch_execz .LBB255_36
; %bb.32:                               ;   in Loop: Header=BB255_7 Depth=1
	v_cmp_eq_u32_e64 s[8:9], 1, v96
	v_cmp_eq_u32_e64 s[10:11], 0, v96
	v_cmp_eq_u32_e32 vcc, 3, v96
	s_waitcnt lgkmcnt(1)
	v_cndmask_b32_e64 v15, v15, v14, s[8:9]
	v_cndmask_b32_e64 v16, v16, v14, s[10:11]
	s_waitcnt lgkmcnt(0)
	v_cndmask_b32_e64 v19, v8, v17, s[8:9]
	v_cndmask_b32_e64 v22, v9, v17, s[10:11]
	v_cvt_f16_f32_e32 v16, v16
	v_cvt_f16_f32_sdwa v15, v15 dst_sel:WORD_1 dst_unused:UNUSED_PAD src0_sel:DWORD
	v_cvt_f16_f32_e32 v38, v22
	v_cvt_f16_f32_sdwa v19, v19 dst_sel:WORD_1 dst_unused:UNUSED_PAD src0_sel:DWORD
	v_cmp_eq_u32_e64 s[6:7], 2, v96
	v_lshl_add_u64 v[8:9], v[28:29], 1, s[46:47]
	v_or_b32_e32 v15, v15, v16
	v_cmp_gt_u32_e64 s[8:9], 46, v18
	;;#ASMSTART
	global_atomic_pk_add_f16 v[8:9], v15, off
	
	;;#ASMEND
	v_lshl_add_u64 v[22:23], v[8:9], 0, 32
	v_or_b32_e32 v15, v19, v38
	;;#ASMSTART
	global_atomic_pk_add_f16 v[22:23], v15, off
	
	;;#ASMEND
	s_and_b64 exec, exec, s[8:9]
	s_cbranch_execz .LBB255_36
; %bb.33:                               ;   in Loop: Header=BB255_7 Depth=1
	v_cndmask_b32_e32 v12, v12, v14, vcc
	v_cndmask_b32_e64 v13, v13, v14, s[6:7]
	v_cndmask_b32_e32 v14, v10, v17, vcc
	v_cndmask_b32_e64 v15, v11, v17, s[6:7]
	v_mov_b32_e32 v10, v36
	v_mov_b32_e32 v11, v36
	v_pk_mul_f32 v[6:7], v[10:11], v[6:7]
	v_pk_mul_f32 v[10:11], v[36:37], v[4:5]
	v_cmp_eq_u32_e32 vcc, 1, v95
	v_cmp_eq_u32_e64 s[6:7], 2, v95
	v_cmp_eq_u32_e64 s[8:9], 3, v95
	v_cndmask_b32_e32 v4, v10, v11, vcc
	v_cndmask_b32_e64 v4, v4, v6, s[6:7]
	v_cndmask_b32_e64 v4, v4, v7, s[8:9]
	v_cvt_f16_f32_e32 v13, v13
	v_cvt_f16_f32_sdwa v12, v12 dst_sel:WORD_1 dst_unused:UNUSED_PAD src0_sel:DWORD
	ds_bpermute_b32 v16, v105, v4
	v_lshl_add_u64 v[8:9], s[34:35], 2, v[8:9]
	v_cmp_eq_u32_e64 s[10:11], 0, v95
	v_or_b32_e32 v12, v12, v13
	;;#ASMSTART
	global_atomic_pk_add_f16 v[8:9], v12, off
	
	;;#ASMEND
	v_lshl_add_u64 v[12:13], v[8:9], 0, 32
	s_waitcnt lgkmcnt(0)
	v_cndmask_b32_e64 v4, v7, v16, s[8:9]
	v_cndmask_b32_e64 v5, v6, v16, s[6:7]
	v_cndmask_b32_e32 v6, v11, v16, vcc
	v_cndmask_b32_e64 v7, v10, v16, s[10:11]
	v_mov_b32_e32 v8, v20
	v_mov_b32_e32 v9, v20
	v_pk_mul_f32 v[10:11], v[20:21], v[0:1]
	v_pk_mul_f32 v[8:9], v[8:9], v[2:3]
	v_cndmask_b32_e32 v0, v10, v11, vcc
	v_cndmask_b32_e64 v0, v0, v8, s[6:7]
	v_cndmask_b32_e64 v0, v0, v9, s[8:9]
	ds_bpermute_b32 v1, v105, v0
	v_cmp_eq_u32_e64 s[12:13], 1, v96
	v_cmp_eq_u32_e32 vcc, 2, v96
	v_cmp_eq_u32_e64 s[14:15], 3, v96
	v_cndmask_b32_e64 v16, v7, v6, s[12:13]
	v_cndmask_b32_e32 v0, v16, v5, vcc
	v_cndmask_b32_e64 v0, v0, v4, s[14:15]
	s_waitcnt lgkmcnt(0)
	v_cndmask_b32_e64 v8, v8, v1, s[6:7]
	v_cmp_ne_u32_e64 s[6:7], 0, v95
	ds_bpermute_b32 v2, v105, v0
	v_cndmask_b32_e64 v3, v9, v1, s[8:9]
	v_cndmask_b32_e64 v0, v11, v1, s[6:7]
	;; [unrolled: 1-line block ×4, first 2 shown]
	v_cvt_f16_f32_e32 v15, v15
	v_cvt_f16_f32_sdwa v14, v14 dst_sel:WORD_1 dst_unused:UNUSED_PAD src0_sel:DWORD
	v_cndmask_b32_e32 v9, v9, v8, vcc
	v_cndmask_b32_e64 v9, v9, v3, s[14:15]
	ds_bpermute_b32 v9, v105, v9
	v_or_b32_e32 v10, v14, v15
	;;#ASMSTART
	global_atomic_pk_add_f16 v[12:13], v10, off
	
	;;#ASMEND
	v_add_u32_e32 v10, s63, v100
	v_cmp_gt_u32_e32 vcc, 48, v10
	s_and_b64 exec, exec, vcc
	s_cbranch_execz .LBB255_36
; %bb.34:                               ;   in Loop: Header=BB255_7 Depth=1
	v_cmp_eq_u32_e64 s[8:9], 1, v96
	v_cmp_eq_u32_e64 s[10:11], 0, v96
	v_cmp_eq_u32_e32 vcc, 3, v96
	s_waitcnt lgkmcnt(1)
	v_cndmask_b32_e64 v6, v6, v2, s[8:9]
	v_cndmask_b32_e64 v7, v7, v2, s[10:11]
	s_waitcnt lgkmcnt(0)
	v_cndmask_b32_e64 v11, v0, v9, s[8:9]
	v_cndmask_b32_e64 v12, v1, v9, s[10:11]
	v_cvt_f16_f32_e32 v7, v7
	v_cvt_f16_f32_sdwa v6, v6 dst_sel:WORD_1 dst_unused:UNUSED_PAD src0_sel:DWORD
	v_cvt_f16_f32_e32 v12, v12
	v_cvt_f16_f32_sdwa v11, v11 dst_sel:WORD_1 dst_unused:UNUSED_PAD src0_sel:DWORD
	v_cmp_eq_u32_e64 s[6:7], 2, v96
	v_lshl_add_u64 v[0:1], v[30:31], 1, s[46:47]
	v_or_b32_e32 v6, v6, v7
	v_cmp_gt_u32_e64 s[8:9], 46, v10
	;;#ASMSTART
	global_atomic_pk_add_f16 v[0:1], v6, off
	
	;;#ASMEND
	v_lshl_add_u64 v[6:7], v[0:1], 0, 32
	v_or_b32_e32 v11, v11, v12
	;;#ASMSTART
	global_atomic_pk_add_f16 v[6:7], v11, off
	
	;;#ASMEND
	s_and_b64 exec, exec, s[8:9]
	s_cbranch_execz .LBB255_36
; %bb.35:                               ;   in Loop: Header=BB255_7 Depth=1
	v_cndmask_b32_e32 v4, v4, v2, vcc
	v_cndmask_b32_e64 v2, v5, v2, s[6:7]
	v_cndmask_b32_e32 v3, v3, v9, vcc
	v_cndmask_b32_e64 v5, v8, v9, s[6:7]
	v_cvt_f16_f32_e32 v2, v2
	v_cvt_f16_f32_sdwa v4, v4 dst_sel:WORD_1 dst_unused:UNUSED_PAD src0_sel:DWORD
	v_cvt_f16_f32_e32 v5, v5
	v_cvt_f16_f32_sdwa v3, v3 dst_sel:WORD_1 dst_unused:UNUSED_PAD src0_sel:DWORD
	v_lshl_add_u64 v[0:1], s[34:35], 2, v[0:1]
	v_or_b32_e32 v2, v4, v2
	;;#ASMSTART
	global_atomic_pk_add_f16 v[0:1], v2, off
	
	;;#ASMEND
	v_lshl_add_u64 v[0:1], v[0:1], 0, 32
	v_or_b32_e32 v2, v3, v5
	;;#ASMSTART
	global_atomic_pk_add_f16 v[0:1], v2, off
	
	;;#ASMEND
.LBB255_36:                             ;   in Loop: Header=BB255_7 Depth=1
	s_or_b64 exec, exec, s[44:45]
	v_subrev_u32_e32 v106, s64, v106
.LBB255_37:                             ;   in Loop: Header=BB255_7 Depth=1
	s_or_b64 exec, exec, s[42:43]
.LBB255_38:                             ;   in Loop: Header=BB255_7 Depth=1
	s_andn2_saveexec_b64 s[6:7], s[40:41]
	s_cbranch_execz .LBB255_47
; %bb.39:                               ;   in Loop: Header=BB255_7 Depth=1
	s_lshl_b32 s39, s64, 1
	v_cmp_gt_i32_e32 vcc, s39, v106
	s_and_saveexec_b64 s[8:9], vcc
	s_cbranch_execz .LBB255_46
; %bb.40:                               ;   in Loop: Header=BB255_7 Depth=1
	s_mul_i32 s10, s38, s19
	s_ashr_i32 s11, s10, 31
	s_waitcnt lgkmcnt(0)
	s_add_u32 s10, s26, s10
	s_addc_u32 s11, s27, s11
	s_ashr_i32 s12, s62, 31
	s_add_u32 s10, s10, s62
	s_addc_u32 s11, s11, s12
	v_lshl_add_u64 v[0:1], s[10:11], 0, v[34:35]
	v_lshl_add_u64 v[16:17], v[0:1], 0, v[32:33]
	s_mov_b64 s[10:11], 0
	s_branch .LBB255_42
.LBB255_41:                             ;   in Loop: Header=BB255_42 Depth=2
	s_or_b64 exec, exec, s[12:13]
	v_lshl_add_u32 v20, v18, 12, v103
	;;#ASMSTART
	s_waitcnt vmcnt(3)
	;;#ASMEND
	ds_write2_b32 v20, v12, v13 offset1:32
	ds_write2_b32 v20, v14, v15 offset0:64 offset1:96
	v_add_u32_e32 v12, 0x400, v20
	;;#ASMSTART
	s_waitcnt vmcnt(2)
	;;#ASMEND
	ds_write2_b32 v12, v8, v9 offset1:32
	ds_write2_b32 v12, v10, v11 offset0:64 offset1:96
	v_add_u32_e32 v8, 0x800, v20
	;; [unrolled: 6-line block ×3, first 2 shown]
	v_add_u32_e32 v106, s22, v106
	;;#ASMSTART
	s_waitcnt vmcnt(0)
	;;#ASMEND
	ds_write2_b32 v4, v0, v1 offset1:32
	ds_write2_b32 v4, v2, v3 offset0:64 offset1:96
	v_add_u32_e32 v0, 1, v92
	v_add_u32_e32 v42, s22, v18
	v_cmp_le_i32_e32 vcc, s39, v106
	ds_write_b32 v19, v0 offset:12
	v_add_u32_e32 v0, 2, v92
	s_or_b64 s[10:11], vcc, s[10:11]
	v_cmp_lt_i32_e32 vcc, 1, v42
	s_nop 1
	v_cndmask_b32_e32 v92, v92, v0, vcc
	s_andn2_b64 exec, exec, s[10:11]
	s_cbranch_execz .LBB255_45
.LBB255_42:                             ;   Parent Loop BB255_7 Depth=1
                                        ; =>  This Loop Header: Depth=2
                                        ;       Child Loop BB255_44 Depth 3
	v_cmp_gt_i32_e32 vcc, 2, v42
	s_nop 1
	v_cndmask_b32_e64 v0, -2, 0, vcc
	v_add_u32_e32 v18, v0, v42
	v_lshrrev_b32_e32 v0, 31, v106
	v_add_u32_e32 v0, v106, v0
	v_and_b32_e32 v1, -2, v0
	v_lshlrev_b32_e32 v0, 7, v0
	v_sub_u32_e32 v2, v106, v1
	v_and_b32_e32 v0, 0xffffff00, v0
	v_ashrrev_i32_e32 v1, 31, v0
	v_mul_lo_u32 v2, s54, v2
	v_lshl_add_u64 v[0:1], v[16:17], 0, v[0:1]
	v_ashrrev_i32_e32 v3, 31, v2
	v_lshl_add_u64 v[0:1], v[0:1], 0, v[2:3]
	v_lshlrev_b32_e32 v19, 2, v18
	;;#ASMSTART
	global_load_dwordx4 v[12:15], v[0:1], off offset:0    sc0 sc1 nt  
	global_load_dwordx4 v[8:11], v[0:1], off offset:64   sc0 sc1 nt  
	global_load_dwordx4 v[4:7], v[0:1], off offset:128  sc0 sc1 nt  
	global_load_dwordx4 v[0:3], v[0:1], off offset:192  sc0 sc1 nt  
	
	;;#ASMEND
	ds_read_b32 v20, v19 offset:20492
	v_add_u32_e32 v19, 0x5000, v19
	s_waitcnt lgkmcnt(0)
	v_cmp_ne_u32_e32 vcc, v20, v92
	s_and_saveexec_b64 s[12:13], vcc
	s_cbranch_execz .LBB255_41
; %bb.43:                               ;   in Loop: Header=BB255_42 Depth=2
	s_mov_b64 s[14:15], 0
.LBB255_44:                             ;   Parent Loop BB255_7 Depth=1
                                        ;     Parent Loop BB255_42 Depth=2
                                        ; =>    This Inner Loop Header: Depth=3
	;;#ASMSTART
	s_sleep 0
	;;#ASMEND
	ds_read_b32 v20, v19 offset:12
	s_waitcnt lgkmcnt(0)
	v_cmp_eq_u32_e32 vcc, v20, v92
	s_or_b64 s[14:15], vcc, s[14:15]
	s_andn2_b64 exec, exec, s[14:15]
	s_cbranch_execnz .LBB255_44
	s_branch .LBB255_41
.LBB255_45:                             ;   in Loop: Header=BB255_7 Depth=1
	s_or_b64 exec, exec, s[10:11]
.LBB255_46:                             ;   in Loop: Header=BB255_7 Depth=1
	s_or_b64 exec, exec, s[8:9]
	v_subrev_u32_e32 v106, s39, v106
.LBB255_47:                             ;   in Loop: Header=BB255_7 Depth=1
	s_or_b64 exec, exec, s[6:7]
.LBB255_48:                             ;   in Loop: Header=BB255_7 Depth=1
	s_andn2_saveexec_b64 s[6:7], s[36:37]
	s_cbranch_execz .LBB255_6
; %bb.49:                               ;   in Loop: Header=BB255_7 Depth=1
	s_mul_i32 s64, s64, 3
	v_cmp_gt_i32_e32 vcc, s64, v106
	s_and_saveexec_b64 s[8:9], vcc
	s_cbranch_execz .LBB255_5
; %bb.50:                               ;   in Loop: Header=BB255_7 Depth=1
	s_mul_i32 s61, s61, s18
	s_ashr_i32 s10, s61, 31
	s_waitcnt lgkmcnt(0)
	s_add_u32 s11, s24, s61
	v_add_u32_e32 v2, s63, v101
	s_addc_u32 s12, s25, s10
	s_ashr_i32 s13, s62, 31
	v_cmp_gt_u32_e32 vcc, 48, v2
	s_add_u32 s10, s11, s62
	s_addc_u32 s11, s12, s13
	v_cndmask_b32_e32 v0, 0, v104, vcc
	v_ashrrev_i32_e32 v1, 31, v0
	v_lshl_add_u64 v[0:1], s[10:11], 0, v[0:1]
	v_lshl_add_u64 v[16:17], v[0:1], 0, v[32:33]
	v_sub_u32_e32 v18, 47, v2
	s_mov_b64 s[10:11], 0
	s_branch .LBB255_52
.LBB255_51:                             ;   in Loop: Header=BB255_52 Depth=2
	s_or_b64 exec, exec, s[12:13]
	v_lshl_or_b32 v21, v19, 12, v102
	;;#ASMSTART
	s_waitcnt vmcnt(3)
	;;#ASMEND
	ds_write2_b32 v21, v12, v13 offset1:32
	ds_write2_b32 v21, v14, v15 offset0:64 offset1:96
	v_add_u32_e32 v12, 0x400, v21
	;;#ASMSTART
	s_waitcnt vmcnt(2)
	;;#ASMEND
	ds_write2_b32 v12, v8, v9 offset1:32
	ds_write2_b32 v12, v10, v11 offset0:64 offset1:96
	v_add_u32_e32 v8, 0x800, v21
	;; [unrolled: 6-line block ×3, first 2 shown]
	v_add_u32_e32 v106, s21, v106
	;;#ASMSTART
	s_waitcnt vmcnt(0)
	;;#ASMEND
	ds_write2_b32 v4, v0, v1 offset1:32
	ds_write2_b32 v4, v2, v3 offset0:64 offset1:96
	v_add_u32_e32 v0, 1, v92
	v_add_u32_e32 v42, s21, v19
	v_cmp_le_i32_e32 vcc, s64, v106
	ds_write_b32 v20, v0
	v_add_u32_e32 v0, 2, v92
	s_or_b64 s[10:11], vcc, s[10:11]
	v_cmp_lt_i32_e32 vcc, 2, v42
	s_nop 1
	v_cndmask_b32_e32 v92, v92, v0, vcc
	s_andn2_b64 exec, exec, s[10:11]
	s_cbranch_execz .LBB255_4
.LBB255_52:                             ;   Parent Loop BB255_7 Depth=1
                                        ; =>  This Loop Header: Depth=2
                                        ;       Child Loop BB255_54 Depth 3
	v_cmp_gt_i32_e32 vcc, 3, v42
	s_nop 1
	v_cndmask_b32_e64 v0, -3, 0, vcc
	v_add_u32_e32 v19, v0, v42
	v_mul_hi_i32 v0, v106, s60
	v_lshrrev_b32_e32 v1, 31, v0
	v_add_u32_e32 v0, v0, v1
	v_lshl_add_u32 v1, v0, 1, v0
	v_sub_u32_e32 v1, v106, v1
	v_lshlrev_b32_e32 v1, 4, v1
	v_cmp_le_i32_e32 vcc, v1, v18
	v_lshlrev_b32_e32 v0, 8, v0
	v_lshlrev_b32_e32 v20, 2, v19
	v_cndmask_b32_e32 v2, 0, v1, vcc
	v_ashrrev_i32_e32 v1, 31, v0
	v_mul_lo_u32 v2, v2, s18
	v_lshl_add_u64 v[0:1], v[16:17], 0, v[0:1]
	v_ashrrev_i32_e32 v3, 31, v2
	v_lshl_add_u64 v[0:1], v[0:1], 0, v[2:3]
	;;#ASMSTART
	global_load_dwordx4 v[12:15], v[0:1], off offset:0    
	global_load_dwordx4 v[8:11], v[0:1], off offset:64   
	;; [unrolled: 1-line block ×4, first 2 shown]
	
	;;#ASMEND
	ds_read_b32 v21, v20 offset:20480
	v_add_u32_e32 v20, 0x5000, v20
	s_waitcnt lgkmcnt(0)
	v_cmp_ne_u32_e32 vcc, v21, v92
	s_and_saveexec_b64 s[12:13], vcc
	s_cbranch_execz .LBB255_51
; %bb.53:                               ;   in Loop: Header=BB255_52 Depth=2
	s_mov_b64 s[14:15], 0
.LBB255_54:                             ;   Parent Loop BB255_7 Depth=1
                                        ;     Parent Loop BB255_52 Depth=2
                                        ; =>    This Inner Loop Header: Depth=3
	;;#ASMSTART
	s_sleep 0
	;;#ASMEND
	ds_read_b32 v21, v20
	s_waitcnt lgkmcnt(0)
	v_cmp_eq_u32_e32 vcc, v21, v92
	s_or_b64 s[14:15], vcc, s[14:15]
	s_andn2_b64 exec, exec, s[14:15]
	s_cbranch_execnz .LBB255_54
	s_branch .LBB255_51
.LBB255_55:
	s_endpgm
	.section	.rodata,"a",@progbits
	.p2align	6, 0x0
	.amdhsa_kernel _Z19_skinny_gemm_kernelILi3ELi2ELi1ELi16ELi8EEvPKhS1_P6__halfPKfiiiiiiii
		.amdhsa_group_segment_fixed_size 20500
		.amdhsa_private_segment_fixed_size 0
		.amdhsa_kernarg_size 64
		.amdhsa_user_sgpr_count 2
		.amdhsa_user_sgpr_dispatch_ptr 0
		.amdhsa_user_sgpr_queue_ptr 0
		.amdhsa_user_sgpr_kernarg_segment_ptr 1
		.amdhsa_user_sgpr_dispatch_id 0
		.amdhsa_user_sgpr_kernarg_preload_length 0
		.amdhsa_user_sgpr_kernarg_preload_offset 0
		.amdhsa_user_sgpr_private_segment_size 0
		.amdhsa_uses_dynamic_stack 0
		.amdhsa_enable_private_segment 0
		.amdhsa_system_sgpr_workgroup_id_x 1
		.amdhsa_system_sgpr_workgroup_id_y 0
		.amdhsa_system_sgpr_workgroup_id_z 0
		.amdhsa_system_sgpr_workgroup_info 0
		.amdhsa_system_vgpr_workitem_id 0
		.amdhsa_next_free_vgpr 114
		.amdhsa_next_free_sgpr 65
		.amdhsa_accum_offset 116
		.amdhsa_reserve_vcc 1
		.amdhsa_float_round_mode_32 0
		.amdhsa_float_round_mode_16_64 0
		.amdhsa_float_denorm_mode_32 3
		.amdhsa_float_denorm_mode_16_64 3
		.amdhsa_dx10_clamp 1
		.amdhsa_ieee_mode 1
		.amdhsa_fp16_overflow 0
		.amdhsa_tg_split 0
		.amdhsa_exception_fp_ieee_invalid_op 0
		.amdhsa_exception_fp_denorm_src 0
		.amdhsa_exception_fp_ieee_div_zero 0
		.amdhsa_exception_fp_ieee_overflow 0
		.amdhsa_exception_fp_ieee_underflow 0
		.amdhsa_exception_fp_ieee_inexact 0
		.amdhsa_exception_int_div_zero 0
	.end_amdhsa_kernel
	.section	.text._Z19_skinny_gemm_kernelILi3ELi2ELi1ELi16ELi8EEvPKhS1_P6__halfPKfiiiiiiii,"axG",@progbits,_Z19_skinny_gemm_kernelILi3ELi2ELi1ELi16ELi8EEvPKhS1_P6__halfPKfiiiiiiii,comdat
.Lfunc_end255:
	.size	_Z19_skinny_gemm_kernelILi3ELi2ELi1ELi16ELi8EEvPKhS1_P6__halfPKfiiiiiiii, .Lfunc_end255-_Z19_skinny_gemm_kernelILi3ELi2ELi1ELi16ELi8EEvPKhS1_P6__halfPKfiiiiiiii
                                        ; -- End function
	.set _Z19_skinny_gemm_kernelILi3ELi2ELi1ELi16ELi8EEvPKhS1_P6__halfPKfiiiiiiii.num_vgpr, 114
	.set _Z19_skinny_gemm_kernelILi3ELi2ELi1ELi16ELi8EEvPKhS1_P6__halfPKfiiiiiiii.num_agpr, 0
	.set _Z19_skinny_gemm_kernelILi3ELi2ELi1ELi16ELi8EEvPKhS1_P6__halfPKfiiiiiiii.numbered_sgpr, 65
	.set _Z19_skinny_gemm_kernelILi3ELi2ELi1ELi16ELi8EEvPKhS1_P6__halfPKfiiiiiiii.num_named_barrier, 0
	.set _Z19_skinny_gemm_kernelILi3ELi2ELi1ELi16ELi8EEvPKhS1_P6__halfPKfiiiiiiii.private_seg_size, 0
	.set _Z19_skinny_gemm_kernelILi3ELi2ELi1ELi16ELi8EEvPKhS1_P6__halfPKfiiiiiiii.uses_vcc, 1
	.set _Z19_skinny_gemm_kernelILi3ELi2ELi1ELi16ELi8EEvPKhS1_P6__halfPKfiiiiiiii.uses_flat_scratch, 0
	.set _Z19_skinny_gemm_kernelILi3ELi2ELi1ELi16ELi8EEvPKhS1_P6__halfPKfiiiiiiii.has_dyn_sized_stack, 0
	.set _Z19_skinny_gemm_kernelILi3ELi2ELi1ELi16ELi8EEvPKhS1_P6__halfPKfiiiiiiii.has_recursion, 0
	.set _Z19_skinny_gemm_kernelILi3ELi2ELi1ELi16ELi8EEvPKhS1_P6__halfPKfiiiiiiii.has_indirect_call, 0
	.section	.AMDGPU.csdata,"",@progbits
; Kernel info:
; codeLenInByte = 5584
; TotalNumSgprs: 71
; NumVgprs: 114
; NumAgprs: 0
; TotalNumVgprs: 114
; ScratchSize: 0
; MemoryBound: 0
; FloatMode: 240
; IeeeMode: 1
; LDSByteSize: 20500 bytes/workgroup (compile time only)
; SGPRBlocks: 8
; VGPRBlocks: 14
; NumSGPRsForWavesPerEU: 71
; NumVGPRsForWavesPerEU: 114
; AccumOffset: 116
; Occupancy: 4
; WaveLimiterHint : 0
; COMPUTE_PGM_RSRC2:SCRATCH_EN: 0
; COMPUTE_PGM_RSRC2:USER_SGPR: 2
; COMPUTE_PGM_RSRC2:TRAP_HANDLER: 0
; COMPUTE_PGM_RSRC2:TGID_X_EN: 1
; COMPUTE_PGM_RSRC2:TGID_Y_EN: 0
; COMPUTE_PGM_RSRC2:TGID_Z_EN: 0
; COMPUTE_PGM_RSRC2:TIDIG_COMP_CNT: 0
; COMPUTE_PGM_RSRC3_GFX90A:ACCUM_OFFSET: 28
; COMPUTE_PGM_RSRC3_GFX90A:TG_SPLIT: 0
	.section	.text._Z19_skinny_gemm_kernelILi3ELi2ELi1ELi32ELi4EEvPKhS1_P6__halfPKfiiiiiiii,"axG",@progbits,_Z19_skinny_gemm_kernelILi3ELi2ELi1ELi32ELi4EEvPKhS1_P6__halfPKfiiiiiiii,comdat
	.protected	_Z19_skinny_gemm_kernelILi3ELi2ELi1ELi32ELi4EEvPKhS1_P6__halfPKfiiiiiiii ; -- Begin function _Z19_skinny_gemm_kernelILi3ELi2ELi1ELi32ELi4EEvPKhS1_P6__halfPKfiiiiiiii
	.globl	_Z19_skinny_gemm_kernelILi3ELi2ELi1ELi32ELi4EEvPKhS1_P6__halfPKfiiiiiiii
	.p2align	8
	.type	_Z19_skinny_gemm_kernelILi3ELi2ELi1ELi32ELi4EEvPKhS1_P6__halfPKfiiiiiiii,@function
_Z19_skinny_gemm_kernelILi3ELi2ELi1ELi32ELi4EEvPKhS1_P6__halfPKfiiiiiiii: ; @_Z19_skinny_gemm_kernelILi3ELi2ELi1ELi32ELi4EEvPKhS1_P6__halfPKfiiiiiiii
; %bb.0:
	v_cmp_gt_u32_e32 vcc, 5, v0
	s_and_saveexec_b64 s[4:5], vcc
; %bb.1:
	v_lshlrev_b32_e32 v1, 2, v0
	v_mov_b32_e32 v2, 0
	ds_write_b32 v1, v2 offset:10240
; %bb.2:
	s_or_b64 exec, exec, s[4:5]
	s_load_dwordx8 s[16:23], s[0:1], 0x20
	s_waitcnt lgkmcnt(0)
	s_barrier
	s_add_i32 s3, s16, 0x5f
	s_mul_hi_i32 s3, s3, 0x2aaaaaab
	s_add_i32 s4, s17, 63
	s_lshr_b32 s5, s3, 31
	s_ashr_i32 s3, s3, 4
	s_add_i32 s38, s3, s5
	s_ashr_i32 s3, s4, 31
	s_lshr_b32 s3, s3, 26
	s_add_i32 s4, s4, s3
	s_ashr_i32 s11, s4, 6
	s_mul_i32 s3, s11, s38
	s_mul_i32 s3, s3, s20
	s_add_i32 s4, s3, 0x12f
	s_mul_hi_i32 s4, s4, 0x6bca1af3
	s_lshr_b32 s5, s4, 31
	s_ashr_i32 s4, s4, 7
	s_add_i32 s4, s4, s5
	s_add_i32 s5, s2, 1
	s_mul_i32 s5, s4, s5
	v_cvt_f64_i32_e32 v[2:3], s3
	v_cvt_f64_u32_e32 v[4:5], s5
	v_min_f64 v[2:3], v[2:3], v[4:5]
	v_cvt_i32_f64_e32 v62, v[2:3]
	s_mul_i32 s33, s4, s2
	v_cmp_ge_i32_e32 vcc, s33, v62
	s_cbranch_vccnz .LBB256_51
; %bb.3:
	s_load_dwordx8 s[44:51], s[0:1], 0x0
	v_lshrrev_b32_e32 v1, 6, v0
	s_add_i32 s0, s22, s21
	v_cmp_le_i32_e64 s[12:13], s0, v1
	v_mov_b32_e32 v2, s21
	v_cmp_le_i32_e64 s[14:15], s21, v1
	v_mov_b32_e32 v3, s22
	v_cndmask_b32_e64 v3, 0, v3, s[12:13]
	v_cndmask_b32_e64 v2, 0, v2, s[14:15]
	s_abs_i32 s1, s20
	v_add_u32_e32 v2, v2, v3
	v_cvt_f32_u32_e32 v3, s1
	v_sub_u32_e32 v56, v1, v2
	s_ashr_i32 s2, s18, 31
	s_lshr_b32 s2, s2, 26
	v_rcp_iflag_f32_e32 v2, v3
	s_sub_i32 s5, 0, s1
	s_add_i32 s2, s18, s2
	s_ashr_i32 s2, s2, 6
	v_mul_f32_e32 v2, 0x4f7ffffe, v2
	v_cvt_u32_f32_e32 v2, v2
	s_abs_i32 s4, s2
	s_xor_b32 s3, s2, s20
	s_ashr_i32 s3, s3, 31
	v_readfirstlane_b32 s6, v2
	s_mul_i32 s5, s5, s6
	s_mul_hi_u32 s5, s6, s5
	s_add_i32 s6, s6, s5
	s_mul_hi_u32 s5, s4, s6
	s_mul_i32 s6, s5, s1
	s_sub_i32 s4, s4, s6
	s_add_i32 s6, s5, 1
	s_sub_i32 s7, s4, s1
	s_cmp_ge_u32 s4, s1
	s_cselect_b32 s5, s6, s5
	s_cselect_b32 s4, s7, s4
	s_add_i32 s6, s5, 1
	s_cmp_ge_u32 s4, s1
	s_cselect_b32 s1, s6, s5
	s_add_i32 s0, s0, s23
	v_and_b32_e32 v64, 31, v0
	v_lshrrev_b32_e32 v2, 3, v0
	v_cmp_gt_i32_e64 s[28:29], s0, v1
	v_lshlrev_b32_e32 v1, 2, v64
	v_and_b32_e32 v3, 4, v2
	v_and_b32_e32 v5, 1, v0
	v_lshlrev_b32_e32 v2, 6, v3
	v_or_b32_e32 v4, 0x1800, v1
	v_or_b32_e32 v3, v3, v5
	;; [unrolled: 1-line block ×4, first 2 shown]
	v_lshlrev_b32_e32 v2, 1, v5
	v_or_b32_e32 v5, 2, v3
	v_sub_u32_e32 v77, 32, v5
	v_or_b32_e32 v5, 8, v3
	v_sub_u32_e32 v78, 32, v5
	;; [unrolled: 2-line block ×5, first 2 shown]
	v_mul_lo_u32 v34, s17, v3
	v_sub_u32_e32 v81, 32, v5
	v_or_b32_e32 v5, 24, v3
	v_or_b32_e32 v3, 26, v3
	v_sub_u32_e32 v83, 32, v3
	v_lshrrev_b32_e32 v3, 1, v0
	s_abs_i32 s39, s38
	v_and_b32_e32 v50, 16, v3
	v_cvt_f32_u32_e32 v3, s39
                                        ; implicit-def: $vgpr99 : SGPR spill to VGPR lane
	v_sub_u32_e32 v2, v0, v2
	v_writelane_b32 v99, s11, 0
	v_add_u32_e32 v2, 1, v2
	s_waitcnt lgkmcnt(0)
	v_writelane_b32 v99, s44, 1
	v_and_b32_e32 v6, 63, v2
	v_bitop3_b32 v67, v0, 1, v0 bitop3:0xc
	v_bitop3_b32 v68, v0, 3, 1 bitop3:0x6c
	;; [unrolled: 1-line block ×8, first 2 shown]
	v_and_b32_e32 v2, 30, v0
	v_lshlrev_b32_e32 v0, 4, v0
	v_writelane_b32 v99, s45, 2
	s_add_i32 s25, s20, -1
	v_and_b32_e32 v0, 0x200, v0
	v_rcp_iflag_f32_e32 v3, v3
	s_abs_i32 s20, s11
	v_writelane_b32 v99, s46, 3
	s_xor_b32 s1, s1, s3
	v_or_b32_e32 v86, v1, v0
	v_cvt_f32_u32_e32 v1, s20
	v_writelane_b32 v99, s47, 4
	s_sub_i32 s24, s1, s3
	v_writelane_b32 v99, s48, 5
	s_mul_i32 s1, s24, s25
	s_lshl_b32 s0, s17, 1
	v_writelane_b32 v99, s49, 6
	s_sub_i32 s26, s2, s1
	v_add_u32_e32 v36, s0, v34
	s_mul_i32 s1, s17, 6
	v_or_b32_e32 v84, v4, v0
	v_mul_f32_e32 v0, 0x4f7ffffe, v3
	v_writelane_b32 v99, s50, 7
	v_add_u32_e32 v38, s1, v36
	v_cvt_u32_f32_e32 v0, v0
	v_rcp_iflag_f32_e32 v1, v1
	v_writelane_b32 v99, s51, 8
	v_cndmask_b32_e64 v63, 0, 1, s[12:13]
	v_add_u32_e32 v40, s0, v38
	v_writelane_b32 v99, s12, 9
	v_add_u32_e32 v42, s1, v40
	v_add_u32_e32 v44, s0, v42
	v_writelane_b32 v99, s13, 10
	v_writelane_b32 v99, s14, 11
	v_add_u32_e32 v46, s1, v44
	v_readfirstlane_b32 s1, v0
	v_mul_f32_e32 v0, 0x4f7ffffe, v1
	v_writelane_b32 v99, s15, 12
	v_cvt_u32_f32_e32 v0, v0
	v_writelane_b32 v99, s24, 13
	v_add_u32_e32 v48, s0, v46
	s_sub_i32 s0, 0, s39
	v_writelane_b32 v99, s25, 14
	s_mul_i32 s0, s0, s1
	v_writelane_b32 v99, s26, 15
	s_mul_hi_u32 s0, s1, s0
	v_writelane_b32 v99, s28, 16
	s_ashr_i32 s27, s38, 31
	s_add_i32 s30, s1, s0
	s_sub_i32 s0, 0, s20
	v_readfirstlane_b32 s1, v0
	v_writelane_b32 v99, s29, 17
	s_mul_i32 s0, s0, s1
	v_writelane_b32 v99, s27, 18
	s_ashr_i32 s31, s11, 31
	s_mul_hi_u32 s0, s1, s0
	v_mbcnt_lo_u32_b32 v0, -1, 0
	v_writelane_b32 v99, s30, 19
	s_add_i32 s34, s1, s0
	v_mbcnt_hi_u32_b32 v0, -1, v0
	v_writelane_b32 v99, s31, 20
	v_mov_b32_e32 v33, 0
	v_mul_lo_u32 v52, s19, v64
	v_and_or_b32 v0, v0, 64, v6
	v_writelane_b32 v99, s34, 21
	v_or_b32_e32 v75, 32, v64
	v_ashrrev_i32_e32 v35, 31, v34
	v_ashrrev_i32_e32 v37, 31, v36
	;; [unrolled: 1-line block ×6, first 2 shown]
	v_sub_u32_e32 v82, 32, v5
	v_ashrrev_i32_e32 v47, 31, v46
	v_ashrrev_i32_e32 v49, 31, v48
	;; [unrolled: 1-line block ×3, first 2 shown]
	v_mov_b32_e32 v51, v33
	s_lshl_b32 s97, s19, 5
	v_mul_lo_u32 v85, s18, v64
	v_lshlrev_b32_e32 v32, 1, v2
	v_lshlrev_b32_e32 v87, 2, v0
	v_mov_b32_e32 v88, v56
	v_writelane_b32 v99, s38, 22
	v_writelane_b32 v99, s39, 23
	s_branch .LBB256_7
.LBB256_4:                              ;   in Loop: Header=BB256_7 Depth=1
	s_or_b64 exec, exec, s[4:5]
.LBB256_5:                              ;   in Loop: Header=BB256_7 Depth=1
	s_or_b64 exec, exec, s[2:3]
	v_subrev_u32_e32 v88, s96, v88
.LBB256_6:                              ;   in Loop: Header=BB256_7 Depth=1
	s_or_b64 exec, exec, s[0:1]
	s_add_i32 s33, s33, 1
	v_cmp_ge_i32_e32 vcc, s33, v62
	s_cbranch_vccnz .LBB256_51
.LBB256_7:                              ; =>This Loop Header: Depth=1
                                        ;     Child Loop BB256_13 Depth 2
                                        ;       Child Loop BB256_15 Depth 3
                                        ;       Child Loop BB256_18 Depth 3
                                        ;       Child Loop BB256_21 Depth 3
                                        ;     Child Loop BB256_38 Depth 2
                                        ;       Child Loop BB256_40 Depth 3
                                        ;     Child Loop BB256_48 Depth 2
                                        ;       Child Loop BB256_50 Depth 3
	s_abs_i32 s1, s33
	s_mul_hi_u32 s2, s1, s30
	s_mul_i32 s3, s2, s39
	s_ashr_i32 s0, s33, 31
	s_sub_i32 s1, s1, s3
	s_xor_b32 s0, s0, s27
	s_add_i32 s3, s2, 1
	s_sub_i32 s4, s1, s39
	s_cmp_ge_u32 s1, s39
	s_cselect_b32 s2, s3, s2
	s_cselect_b32 s1, s4, s1
	s_add_i32 s3, s2, 1
	s_cmp_ge_u32 s1, s39
	s_cselect_b32 s1, s3, s2
	s_xor_b32 s1, s1, s0
	s_sub_i32 s0, s1, s0
	s_abs_i32 s2, s0
	s_mul_i32 s1, s0, s38
	s_mul_hi_u32 s3, s2, s34
	s_sub_i32 s1, s33, s1
	s_mul_i32 s4, s3, s20
	s_mul_i32 s52, s1, 0x60
	s_ashr_i32 s1, s0, 31
	s_sub_i32 s2, s2, s4
	s_xor_b32 s1, s1, s31
	s_add_i32 s4, s3, 1
	s_sub_i32 s5, s2, s20
	s_cmp_ge_u32 s2, s20
	s_cselect_b32 s3, s4, s3
	s_cselect_b32 s2, s5, s2
	s_add_i32 s4, s3, 1
	s_cmp_ge_u32 s2, s20
	s_cselect_b32 s2, s4, s3
	s_xor_b32 s2, s2, s1
	s_sub_i32 s1, s2, s1
	s_mul_i32 s2, s1, s24
	s_lshl_b32 s35, s2, 6
	s_cmp_eq_u32 s1, s25
	s_cselect_b32 s96, s26, s24
	s_sub_i32 s2, s52, s16
	s_add_i32 s53, s2, 0x60
	s_and_saveexec_b64 s[2:3], s[14:15]
	s_xor_b64 s[36:37], exec, s[2:3]
	s_cbranch_execz .LBB256_44
; %bb.8:                                ;   in Loop: Header=BB256_7 Depth=1
	s_mul_i32 s1, s1, s11
	s_sub_i32 s0, s0, s1
	s_lshl_b32 s0, s0, 6
	s_sub_i32 s90, s0, s17
	s_add_i32 s90, s90, 64
	s_max_i32 s1, s90, 0
	s_sub_i32 s54, s0, s1
	s_and_saveexec_b64 s[0:1], s[12:13]
	s_xor_b64 s[4:5], exec, s[0:1]
	s_cbranch_execz .LBB256_34
; %bb.9:                                ;   in Loop: Header=BB256_7 Depth=1
	s_and_saveexec_b64 s[2:3], s[28:29]
	s_cbranch_execz .LBB256_33
; %bb.10:                               ;   in Loop: Header=BB256_7 Depth=1
	global_load_dword v89, v33, s[50:51]
	v_writelane_b32 v99, s2, 24
	v_mov_b32_e32 v31, 0
	v_cmp_gt_i32_e32 vcc, s96, v88
	v_writelane_b32 v99, s3, 25
	v_writelane_b32 v99, s4, 26
	v_mov_b32_e32 v30, v31
	v_mov_b32_e32 v29, v31
	v_mov_b32_e32 v28, v31
	v_mov_b32_e32 v27, v31
	v_mov_b32_e32 v26, v31
	v_mov_b32_e32 v25, v31
	v_mov_b32_e32 v24, v31
	v_mov_b32_e32 v23, v31
	v_mov_b32_e32 v22, v31
	v_mov_b32_e32 v21, v31
	v_mov_b32_e32 v20, v31
	v_mov_b32_e32 v19, v31
	s_waitcnt lgkmcnt(1)
	v_mov_b32_e32 v18, v31
	v_mov_b32_e32 v17, v31
	;; [unrolled: 1-line block ×19, first 2 shown]
	v_writelane_b32 v99, s5, 27
	s_and_saveexec_b64 s[0:1], vcc
	s_cbranch_execz .LBB256_23
; %bb.11:                               ;   in Loop: Header=BB256_7 Depth=1
	v_mov_b32_e32 v0, 0
	s_mov_b64 s[2:3], 0
	v_mov_b32_e32 v1, v0
	v_mov_b32_e32 v2, v0
	;; [unrolled: 1-line block ×31, first 2 shown]
	s_branch .LBB256_13
.LBB256_12:                             ;   in Loop: Header=BB256_13 Depth=2
	s_or_b64 exec, exec, s[4:5]
	v_add_u32_e32 v96, 0x800, v93
	ds_read2_b32 v[94:95], v96 offset1:32
	v_add_u32_e32 v88, s23, v88
	s_waitcnt lgkmcnt(0)
	v_mfma_f32_32x32x16_fp8_fp8 v[0:15], v[60:61], v[94:95], v[0:15]
	ds_read2_b32 v[60:61], v96 offset0:128 offset1:160
	s_waitcnt lgkmcnt(0)
	v_mfma_f32_32x32x16_fp8_fp8 v[0:15], v[58:59], v[60:61], v[0:15]
	v_add_u32_e32 v60, 0xc00, v93
	ds_read2_b32 v[58:59], v60 offset1:32
	ds_read2_b32 v[60:61], v60 offset0:128 offset1:160
	ds_write_b32 v91, v92 offset:10252
	s_waitcnt lgkmcnt(2)
	v_mfma_f32_32x32x16_fp8_fp8 v[0:15], v[56:57], v[58:59], v[0:15]
	v_add_u32_e32 v56, s23, v90
	v_add_u32_e32 v57, 2, v63
	v_cmp_lt_i32_e32 vcc, 0, v56
	s_nop 1
	v_cndmask_b32_e32 v63, v63, v57, vcc
	v_cmp_le_i32_e32 vcc, s96, v88
	s_waitcnt lgkmcnt(1)
	v_mfma_f32_32x32x16_fp8_fp8 v[0:15], v[54:55], v[60:61], v[0:15]
	s_or_b64 s[2:3], vcc, s[2:3]
	s_andn2_b64 exec, exec, s[2:3]
	s_cbranch_execz .LBB256_22
.LBB256_13:                             ;   Parent Loop BB256_7 Depth=1
                                        ; =>  This Loop Header: Depth=2
                                        ;       Child Loop BB256_15 Depth 3
                                        ;       Child Loop BB256_18 Depth 3
	;; [unrolled: 1-line block ×3, first 2 shown]
	v_cmp_lt_i32_e32 vcc, 0, v56
	s_nop 1
	v_subbrev_co_u32_e32 v90, vcc, 0, v56, vcc
	v_lshlrev_b32_e32 v91, 4, v90
	ds_read_b32 v54, v91 offset:10240
	s_waitcnt lgkmcnt(0)
	v_cmp_ne_u32_e32 vcc, v54, v63
	s_and_saveexec_b64 s[4:5], vcc
	s_cbranch_execz .LBB256_16
; %bb.14:                               ;   in Loop: Header=BB256_13 Depth=2
	s_mov_b64 s[6:7], 0
.LBB256_15:                             ;   Parent Loop BB256_7 Depth=1
                                        ;     Parent Loop BB256_13 Depth=2
                                        ; =>    This Inner Loop Header: Depth=3
	;;#ASMSTART
	s_sleep 0
	;;#ASMEND
	ds_read_b32 v54, v91 offset:10240
	s_waitcnt lgkmcnt(0)
	v_cmp_eq_u32_e32 vcc, v54, v63
	s_or_b64 s[6:7], vcc, s[6:7]
	s_andn2_b64 exec, exec, s[6:7]
	s_cbranch_execnz .LBB256_15
.LBB256_16:                             ;   in Loop: Header=BB256_13 Depth=2
	s_or_b64 exec, exec, s[4:5]
	v_lshl_or_b32 v54, v90, 11, v65
	ds_read2_b32 v[60:61], v54 offset1:32
	ds_read2_b32 v[58:59], v54 offset0:128 offset1:160
	v_add_u32_e32 v54, 0x400, v54
	ds_read2_b32 v[56:57], v54 offset1:32
	ds_read_b32 v93, v91 offset:10244
	ds_read2_b32 v[54:55], v54 offset0:128 offset1:160
	v_add_u32_e32 v92, 1, v63
	ds_write_b32 v91, v92 offset:10240
	s_waitcnt lgkmcnt(2)
	v_cmp_ne_u32_e32 vcc, v93, v63
	s_and_saveexec_b64 s[4:5], vcc
	s_cbranch_execz .LBB256_19
; %bb.17:                               ;   in Loop: Header=BB256_13 Depth=2
	s_mov_b64 s[6:7], 0
.LBB256_18:                             ;   Parent Loop BB256_7 Depth=1
                                        ;     Parent Loop BB256_13 Depth=2
                                        ; =>    This Inner Loop Header: Depth=3
	;;#ASMSTART
	s_sleep 0
	;;#ASMEND
	ds_read_b32 v93, v91 offset:10244
	s_waitcnt lgkmcnt(0)
	v_cmp_eq_u32_e32 vcc, v93, v63
	s_or_b64 s[6:7], vcc, s[6:7]
	s_andn2_b64 exec, exec, s[6:7]
	s_cbranch_execnz .LBB256_18
.LBB256_19:                             ;   in Loop: Header=BB256_13 Depth=2
	s_or_b64 exec, exec, s[4:5]
	v_lshlrev_b32_e32 v93, 12, v90
	v_add_u32_e32 v93, v66, v93
	ds_read2_b32 v[94:95], v93 offset1:32
	v_add_u32_e32 v96, 0x400, v93
	ds_write_b32 v91, v92 offset:10244
	s_waitcnt lgkmcnt(1)
	v_mfma_f32_32x32x16_fp8_fp8 v[16:31], v[60:61], v[94:95], v[16:31]
	ds_read2_b32 v[94:95], v93 offset0:128 offset1:160
	s_waitcnt lgkmcnt(0)
	v_mfma_f32_32x32x16_fp8_fp8 v[16:31], v[58:59], v[94:95], v[16:31]
	ds_read2_b32 v[94:95], v96 offset1:32
	s_waitcnt lgkmcnt(0)
	v_mfma_f32_32x32x16_fp8_fp8 v[16:31], v[56:57], v[94:95], v[16:31]
	ds_read2_b32 v[94:95], v96 offset0:128 offset1:160
	ds_read_b32 v96, v91 offset:10252
	s_waitcnt lgkmcnt(0)
	v_cmp_ne_u32_e32 vcc, v96, v63
	v_mfma_f32_32x32x16_fp8_fp8 v[16:31], v[54:55], v[94:95], v[16:31]
	s_and_saveexec_b64 s[4:5], vcc
	s_cbranch_execz .LBB256_12
; %bb.20:                               ;   in Loop: Header=BB256_13 Depth=2
	s_mov_b64 s[6:7], 0
.LBB256_21:                             ;   Parent Loop BB256_7 Depth=1
                                        ;     Parent Loop BB256_13 Depth=2
                                        ; =>    This Inner Loop Header: Depth=3
	;;#ASMSTART
	s_sleep 0
	;;#ASMEND
	ds_read_b32 v94, v91 offset:10252
	s_waitcnt lgkmcnt(0)
	v_cmp_eq_u32_e32 vcc, v94, v63
	s_or_b64 s[6:7], vcc, s[6:7]
	s_andn2_b64 exec, exec, s[6:7]
	s_cbranch_execnz .LBB256_21
	s_branch .LBB256_12
.LBB256_22:                             ;   in Loop: Header=BB256_7 Depth=1
	s_or_b64 exec, exec, s[2:3]
.LBB256_23:                             ;   in Loop: Header=BB256_7 Depth=1
	v_writelane_b32 v99, s54, 28
	s_nop 1
	v_writelane_b32 v99, s55, 29
	v_writelane_b32 v99, s36, 30
	s_nop 1
	v_writelane_b32 v99, s37, 31
	v_writelane_b32 v99, s53, 32
	;; [unrolled: 1-line block ×4, first 2 shown]
	s_or_b64 exec, exec, s[0:1]
	v_cmp_le_i32_e32 vcc, s90, v64
	v_cmp_eq_u32_e64 s[86:87], 1, v67
	v_cmp_eq_u32_e64 s[50:51], 2, v67
	s_waitcnt vmcnt(0)
	v_cndmask_b32_e32 v54, 0, v89, vcc
	v_pk_mul_f32 v[16:17], v[54:55], v[16:17] op_sel_hi:[0,1]
	v_pk_mul_f32 v[30:31], v[54:55], v[30:31] op_sel_hi:[0,1]
	;; [unrolled: 1-line block ×8, first 2 shown]
	v_cndmask_b32_e64 v54, v16, v17, s[86:87]
	v_cndmask_b32_e64 v54, v54, v18, s[50:51]
	v_cmp_eq_u32_e64 s[54:55], 3, v67
	v_cmp_eq_u32_e64 s[56:57], 4, v67
	v_cmp_eq_u32_e64 s[60:61], 5, v67
	v_cndmask_b32_e64 v54, v54, v19, s[54:55]
	v_cndmask_b32_e64 v54, v54, v20, s[56:57]
	v_cndmask_b32_e64 v54, v54, v21, s[60:61]
	v_cmp_eq_u32_e64 s[64:65], 6, v67
	v_cmp_eq_u32_e64 s[68:69], 7, v67
	v_cmp_eq_u32_e64 s[72:73], 8, v67
	v_cndmask_b32_e64 v54, v54, v22, s[64:65]
	;; [unrolled: 6-line block ×5, first 2 shown]
	ds_bpermute_b32 v54, v87, v54
	v_cmp_eq_u32_e64 s[26:27], 2, v68
	v_cmp_eq_u32_e64 s[28:29], 3, v68
	v_cmp_eq_u32_e64 s[30:31], 4, v68
	v_cmp_eq_u32_e64 s[34:35], 5, v68
	s_waitcnt lgkmcnt(0)
	v_cndmask_b32_e64 v17, v17, v54, s[86:87]
	v_cndmask_b32_e64 v16, v16, v54, s[70:71]
	;; [unrolled: 1-line block ×12, first 2 shown]
	v_cmp_eq_u32_e64 s[36:37], 6, v68
	v_cndmask_b32_e64 v57, v23, v54, s[68:69]
	v_cmp_eq_u32_e64 s[38:39], 7, v68
	v_cndmask_b32_e64 v19, v19, v58, s[36:37]
	v_cndmask_b32_e64 v55, v24, v54, s[72:73]
	v_cndmask_b32_e64 v19, v19, v57, s[38:39]
	v_cmp_eq_u32_e64 s[42:43], 8, v68
	v_cndmask_b32_e64 v25, v25, v54, s[76:77]
	v_cmp_eq_u32_e64 s[44:45], 9, v68
	v_cndmask_b32_e64 v19, v19, v55, s[42:43]
	v_cndmask_b32_e64 v26, v26, v54, s[78:79]
	v_cndmask_b32_e64 v19, v19, v25, s[44:45]
	;; [unrolled: 6-line block ×4, first 2 shown]
	v_cmp_eq_u32_e64 s[62:63], 14, v68
	v_cndmask_b32_e64 v31, v31, v54, s[88:89]
	v_cmp_eq_u32_e64 s[66:67], 15, v68
	v_cndmask_b32_e64 v19, v19, v30, s[62:63]
	v_cmp_le_i32_e64 s[90:91], s90, v75
	v_cndmask_b32_e64 v19, v19, v31, s[66:67]
	ds_bpermute_b32 v54, v87, v19
	v_cmp_eq_u32_e64 s[40:41], 0, v68
	v_cmp_eq_u32_e64 s[2:3], 1, v69
	;; [unrolled: 1-line block ×4, first 2 shown]
	s_waitcnt lgkmcnt(0)
	v_cndmask_b32_e64 v22, v28, v54, s[52:53]
	v_cndmask_b32_e64 v28, v58, v54, s[36:37]
	;; [unrolled: 1-line block ×3, first 2 shown]
	v_pk_mul_f32 v[0:1], v[58:59], v[0:1] op_sel_hi:[0,1]
	v_cndmask_b32_e64 v24, v26, v54, s[46:47]
	v_cndmask_b32_e64 v26, v55, v54, s[42:43]
	v_pk_mul_f32 v[2:3], v[58:59], v[2:3] op_sel_hi:[0,1]
	v_cndmask_b32_e64 v55, v0, v1, s[86:87]
	v_cndmask_b32_e64 v55, v55, v2, s[50:51]
	;; [unrolled: 3-line block ×6, first 2 shown]
	v_cndmask_b32_e64 v17, v17, v54, s[24:25]
	v_cndmask_b32_e64 v16, v16, v54, s[40:41]
	v_pk_mul_f32 v[12:13], v[58:59], v[12:13] op_sel_hi:[0,1]
	v_cndmask_b32_e64 v55, v55, v11, s[74:75]
	v_cndmask_b32_e64 v19, v31, v54, s[66:67]
	;; [unrolled: 1-line block ×14, first 2 shown]
	v_pk_mul_f32 v[14:15], v[58:59], v[14:15] op_sel_hi:[0,1]
	v_cndmask_b32_e64 v55, v55, v13, s[82:83]
	v_cndmask_b32_e64 v54, v54, v31, s[98:99]
	v_cmp_eq_u32_e64 s[10:11], 4, v69
	v_cndmask_b32_e64 v55, v55, v14, s[84:85]
	v_cmp_eq_u32_e64 s[12:13], 5, v69
	v_cndmask_b32_e64 v54, v54, v30, s[10:11]
	v_cndmask_b32_e64 v55, v55, v15, s[88:89]
	;; [unrolled: 1-line block ×3, first 2 shown]
	v_cmp_eq_u32_e64 s[14:15], 6, v69
	ds_bpermute_b32 v55, v87, v55
	v_cmp_eq_u32_e64 s[8:9], 7, v69
	v_cndmask_b32_e64 v54, v54, v28, s[14:15]
	v_cmp_eq_u32_e64 s[6:7], 8, v69
	v_cndmask_b32_e64 v54, v54, v27, s[8:9]
	;; [unrolled: 2-line block ×3, first 2 shown]
	v_cmp_eq_u32_e32 vcc, 10, v69
	v_cndmask_b32_e64 v54, v54, v25, s[4:5]
	v_cmp_eq_u32_e64 s[86:87], 11, v69
	v_cndmask_b32_e32 v54, v54, v24, vcc
	s_waitcnt lgkmcnt(0)
	v_cndmask_b32_e64 v2, v2, v55, s[50:51]
	v_cmp_ne_u32_e64 s[50:51], 0, v67
	v_cndmask_b32_e64 v54, v54, v23, s[86:87]
	v_cmp_eq_u32_e64 s[90:91], 12, v69
	v_cndmask_b32_e64 v1, v1, v55, s[50:51]
	v_cndmask_b32_e64 v0, v0, v55, s[70:71]
	;; [unrolled: 1-line block ×4, first 2 shown]
	v_cmp_eq_u32_e64 s[88:89], 13, v69
	v_cndmask_b32_e64 v14, v14, v55, s[84:85]
	v_cndmask_b32_e64 v13, v13, v55, s[82:83]
	;; [unrolled: 1-line block ×14, first 2 shown]
	v_cmp_eq_u32_e64 s[84:85], 14, v69
	v_cndmask_b32_e64 v55, v55, v2, s[26:27]
	v_cmp_eq_u32_e64 s[82:83], 15, v69
	v_cndmask_b32_e64 v54, v54, v20, s[84:85]
	v_cndmask_b32_e64 v55, v55, v3, s[28:29]
	;; [unrolled: 1-line block ×4, first 2 shown]
	ds_bpermute_b32 v54, v87, v54
	v_cndmask_b32_e64 v55, v55, v5, s[34:35]
	v_cndmask_b32_e64 v55, v55, v6, s[36:37]
	;; [unrolled: 1-line block ×4, first 2 shown]
	v_cmp_eq_u32_e64 s[80:81], 0, v69
	v_cndmask_b32_e64 v55, v55, v9, s[44:45]
	s_waitcnt lgkmcnt(0)
	v_cndmask_b32_e64 v17, v17, v54, s[2:3]
	v_cndmask_b32_e64 v16, v16, v54, s[80:81]
	v_cmp_eq_u32_e64 s[74:75], 1, v70
	v_cndmask_b32_e64 v55, v55, v10, s[46:47]
	v_cndmask_b32_e64 v19, v19, v54, s[82:83]
	;; [unrolled: 1-line block ×6, first 2 shown]
	v_cndmask_b32_e32 v24, v24, v54, vcc
	v_cndmask_b32_e64 v25, v25, v54, s[4:5]
	v_cndmask_b32_e64 v26, v26, v54, s[6:7]
	;; [unrolled: 1-line block ×9, first 2 shown]
	v_cmp_eq_u32_e64 s[78:79], 2, v70
	v_cndmask_b32_e64 v55, v55, v11, s[48:49]
	v_cmp_eq_u32_e64 s[76:77], 3, v70
	v_cndmask_b32_e64 v54, v54, v18, s[78:79]
	v_cndmask_b32_e64 v55, v55, v12, s[52:53]
	;; [unrolled: 1-line block ×3, first 2 shown]
	v_cmp_eq_u32_e64 s[72:73], 4, v70
	v_cndmask_b32_e64 v55, v55, v13, s[58:59]
	v_cmp_eq_u32_e64 s[68:69], 5, v70
	v_cndmask_b32_e64 v54, v54, v30, s[72:73]
	v_cndmask_b32_e64 v55, v55, v14, s[62:63]
	;; [unrolled: 1-line block ×3, first 2 shown]
	v_cmp_eq_u32_e64 s[64:65], 6, v70
	v_cndmask_b32_e64 v55, v55, v15, s[66:67]
	v_cmp_eq_u32_e64 s[60:61], 7, v70
	v_cndmask_b32_e64 v54, v54, v28, s[64:65]
	ds_bpermute_b32 v55, v87, v55
	v_cndmask_b32_e64 v54, v54, v27, s[60:61]
	v_cmp_eq_u32_e64 s[56:57], 8, v70
	v_cmp_eq_u32_e64 s[54:55], 9, v70
	v_cmp_eq_u32_e64 s[50:51], 10, v70
	v_cndmask_b32_e64 v54, v54, v26, s[56:57]
	v_cndmask_b32_e64 v54, v54, v25, s[54:55]
	;; [unrolled: 1-line block ×3, first 2 shown]
	v_cmp_eq_u32_e64 s[70:71], 11, v70
	s_waitcnt lgkmcnt(0)
	v_cndmask_b32_e64 v15, v15, v55, s[66:67]
	v_cmp_eq_u32_e64 s[66:67], 12, v70
	v_cndmask_b32_e64 v54, v54, v23, s[70:71]
	v_cndmask_b32_e64 v14, v14, v55, s[62:63]
	v_cndmask_b32_e64 v54, v54, v22, s[66:67]
	v_cmp_eq_u32_e64 s[62:63], 13, v70
	v_cndmask_b32_e64 v1, v1, v55, s[24:25]
	v_cndmask_b32_e64 v0, v0, v55, s[40:41]
	v_cndmask_b32_e64 v54, v54, v21, s[62:63]
	v_cndmask_b32_e64 v13, v13, v55, s[58:59]
	v_cmp_eq_u32_e64 s[92:93], 14, v70
	v_cndmask_b32_e64 v12, v12, v55, s[52:53]
	v_cndmask_b32_e64 v11, v11, v55, s[48:49]
	;; [unrolled: 1-line block ×13, first 2 shown]
	v_cmp_eq_u32_e64 s[94:95], 15, v70
	v_cndmask_b32_e64 v55, v55, v2, s[0:1]
	v_cndmask_b32_e64 v55, v55, v3, s[98:99]
	;; [unrolled: 1-line block ×3, first 2 shown]
	ds_bpermute_b32 v54, v87, v54
	v_cndmask_b32_e64 v55, v55, v4, s[10:11]
	v_cndmask_b32_e64 v55, v55, v5, s[12:13]
	;; [unrolled: 1-line block ×3, first 2 shown]
	v_cmp_eq_u32_e64 s[48:49], 0, v70
	v_cndmask_b32_e64 v55, v55, v7, s[8:9]
	v_cndmask_b32_e64 v55, v55, v8, s[6:7]
	v_writelane_b32 v99, s48, 35
	s_waitcnt lgkmcnt(0)
	v_cndmask_b32_e64 v17, v17, v54, s[74:75]
	v_cndmask_b32_e64 v55, v55, v9, s[4:5]
	v_writelane_b32 v99, s49, 36
	v_cndmask_b32_e64 v16, v16, v54, s[48:49]
	v_cmp_eq_u32_e64 s[48:49], 1, v71
	v_cndmask_b32_e64 v19, v19, v54, s[94:95]
	v_cndmask_b32_e64 v20, v20, v54, s[92:93]
	v_cndmask_b32_e64 v21, v21, v54, s[62:63]
	v_cndmask_b32_e64 v22, v22, v54, s[66:67]
	v_cndmask_b32_e64 v23, v23, v54, s[70:71]
	v_cndmask_b32_e64 v24, v24, v54, s[50:51]
	v_cndmask_b32_e64 v25, v25, v54, s[54:55]
	v_cndmask_b32_e64 v26, v26, v54, s[56:57]
	v_cndmask_b32_e64 v27, v27, v54, s[60:61]
	v_cndmask_b32_e64 v28, v28, v54, s[64:65]
	v_cndmask_b32_e64 v29, v29, v54, s[68:69]
	v_cndmask_b32_e64 v30, v30, v54, s[72:73]
	v_cndmask_b32_e64 v31, v31, v54, s[76:77]
	v_cndmask_b32_e64 v18, v18, v54, s[78:79]
	v_cndmask_b32_e64 v54, v16, v17, s[48:49]
	v_cmp_eq_u32_e64 s[44:45], 2, v71
	v_cndmask_b32_e32 v55, v55, v10, vcc
	v_cmp_eq_u32_e64 s[46:47], 3, v71
	v_cndmask_b32_e64 v54, v54, v18, s[44:45]
	v_cndmask_b32_e64 v55, v55, v11, s[86:87]
	s_mov_b64 s[52:53], s[44:45]
	v_cndmask_b32_e64 v54, v54, v31, s[46:47]
	v_cmp_eq_u32_e64 s[44:45], 4, v71
	v_cndmask_b32_e64 v55, v55, v12, s[90:91]
	v_cmp_eq_u32_e64 s[42:43], 5, v71
	v_cndmask_b32_e64 v54, v54, v30, s[44:45]
	v_cndmask_b32_e64 v55, v55, v13, s[88:89]
	v_cndmask_b32_e64 v54, v54, v29, s[42:43]
	v_cmp_eq_u32_e64 s[38:39], 6, v71
	v_cndmask_b32_e64 v55, v55, v14, s[84:85]
	v_cmp_eq_u32_e64 s[36:37], 7, v71
	v_cndmask_b32_e64 v54, v54, v28, s[38:39]
	v_cndmask_b32_e64 v55, v55, v15, s[82:83]
	;; [unrolled: 1-line block ×3, first 2 shown]
	v_cmp_eq_u32_e64 s[34:35], 8, v71
	ds_bpermute_b32 v55, v87, v55
	v_cmp_eq_u32_e64 s[30:31], 9, v71
	v_cndmask_b32_e64 v54, v54, v26, s[34:35]
	v_cmp_eq_u32_e64 s[26:27], 10, v71
	v_cndmask_b32_e64 v54, v54, v25, s[30:31]
	v_cmp_eq_u32_e64 s[40:41], 11, v71
	v_cndmask_b32_e64 v54, v54, v24, s[26:27]
	v_cmp_eq_u32_e64 s[58:59], 12, v71
	v_cndmask_b32_e64 v54, v54, v23, s[40:41]
	s_waitcnt lgkmcnt(0)
	v_cndmask_b32_e64 v15, v15, v55, s[82:83]
	v_cndmask_b32_e64 v54, v54, v22, s[58:59]
	v_cmp_eq_u32_e64 s[82:83], 13, v71
	v_cndmask_b32_e64 v14, v14, v55, s[84:85]
	v_cmp_eq_u32_e64 s[84:85], 14, v71
	v_cndmask_b32_e64 v54, v54, v21, s[82:83]
	v_cndmask_b32_e64 v12, v12, v55, s[90:91]
	;; [unrolled: 1-line block ×3, first 2 shown]
	v_cmp_eq_u32_e64 s[90:91], 15, v71
	v_cndmask_b32_e64 v1, v1, v55, s[2:3]
	v_cndmask_b32_e64 v0, v0, v55, s[80:81]
	;; [unrolled: 1-line block ×5, first 2 shown]
	v_cndmask_b32_e32 v10, v10, v55, vcc
	v_cndmask_b32_e64 v9, v9, v55, s[4:5]
	v_cndmask_b32_e64 v8, v8, v55, s[6:7]
	;; [unrolled: 1-line block ×9, first 2 shown]
	ds_bpermute_b32 v54, v87, v54
	v_cndmask_b32_e64 v55, v55, v2, s[78:79]
	v_cndmask_b32_e64 v55, v55, v3, s[76:77]
	;; [unrolled: 1-line block ×4, first 2 shown]
	v_writelane_b32 v99, s52, 37
	v_cndmask_b32_e64 v55, v55, v6, s[64:65]
	v_cndmask_b32_e64 v55, v55, v7, s[60:61]
	v_writelane_b32 v99, s53, 38
	s_waitcnt lgkmcnt(0)
	v_cndmask_b32_e64 v18, v18, v54, s[52:53]
	v_cmp_eq_u32_e64 s[52:53], 0, v71
	v_cndmask_b32_e64 v17, v17, v54, s[48:49]
	v_cmp_eq_u32_e64 s[28:29], 1, v72
	v_writelane_b32 v99, s52, 39
	v_cndmask_b32_e64 v55, v55, v8, s[56:57]
	v_cndmask_b32_e64 v19, v19, v54, s[90:91]
	;; [unrolled: 1-line block ×16, first 2 shown]
	v_cmp_eq_u32_e64 s[24:25], 2, v72
	v_cndmask_b32_e64 v55, v55, v9, s[54:55]
	v_writelane_b32 v99, s53, 40
	v_cndmask_b32_e64 v54, v54, v18, s[24:25]
	v_cmp_eq_u32_e64 s[52:53], 3, v72
	v_cndmask_b32_e64 v55, v55, v10, s[50:51]
	v_cmp_eq_u32_e64 s[4:5], 4, v72
	v_cndmask_b32_e64 v54, v54, v31, s[52:53]
	v_cndmask_b32_e64 v55, v55, v11, s[70:71]
	v_cndmask_b32_e64 v54, v54, v30, s[4:5]
	v_cmp_eq_u32_e64 s[14:15], 5, v72
	v_cndmask_b32_e64 v55, v55, v12, s[66:67]
	v_cmp_eq_u32_e64 s[12:13], 6, v72
	v_cndmask_b32_e64 v54, v54, v29, s[14:15]
	v_cndmask_b32_e64 v55, v55, v13, s[62:63]
	;; [unrolled: 6-line block ×3, first 2 shown]
	v_cndmask_b32_e64 v54, v54, v26, s[8:9]
	v_cmp_eq_u32_e64 s[6:7], 9, v72
	ds_bpermute_b32 v55, v87, v55
	v_cmp_eq_u32_e32 vcc, 10, v72
	v_cndmask_b32_e64 v54, v54, v25, s[6:7]
	v_cmp_eq_u32_e64 s[80:81], 11, v72
	v_cndmask_b32_e32 v54, v54, v24, vcc
	v_cmp_eq_u32_e64 s[86:87], 12, v72
	v_cndmask_b32_e64 v54, v54, v23, s[80:81]
	v_cmp_eq_u32_e64 s[88:89], 13, v72
	v_cndmask_b32_e64 v54, v54, v22, s[86:87]
	s_waitcnt lgkmcnt(0)
	v_cndmask_b32_e64 v13, v13, v55, s[62:63]
	v_cndmask_b32_e64 v54, v54, v21, s[88:89]
	v_cmp_eq_u32_e64 s[62:63], 14, v72
	v_cndmask_b32_e64 v12, v12, v55, s[66:67]
	v_cmp_eq_u32_e64 s[66:67], 15, v72
	v_cndmask_b32_e64 v54, v54, v20, s[62:63]
	v_readlane_b32 s0, v99, 35
	v_cndmask_b32_e64 v54, v54, v19, s[66:67]
	ds_bpermute_b32 v54, v87, v54
	v_cndmask_b32_e64 v14, v14, v55, s[92:93]
	s_mov_b64 s[92:93], s[24:25]
	s_mov_b64 s[2:3], s[28:29]
	v_cndmask_b32_e64 v57, v11, v55, s[70:71]
	v_cmp_eq_u32_e64 s[70:71], 0, v72
	v_readlane_b32 s1, v99, 36
	v_cndmask_b32_e64 v15, v15, v55, s[94:95]
	s_waitcnt lgkmcnt(0)
	v_cndmask_b32_e64 v19, v19, v54, s[66:67]
	v_cndmask_b32_e64 v20, v20, v54, s[62:63]
	;; [unrolled: 1-line block ×5, first 2 shown]
	v_cndmask_b32_e32 v24, v24, v54, vcc
	v_cndmask_b32_e64 v25, v25, v54, s[6:7]
	v_cndmask_b32_e64 v26, v26, v54, s[8:9]
	v_cndmask_b32_e64 v27, v27, v54, s[10:11]
	v_cndmask_b32_e64 v28, v28, v54, s[12:13]
	v_cndmask_b32_e64 v29, v29, v54, s[14:15]
	v_cndmask_b32_e64 v30, v30, v54, s[4:5]
	v_cndmask_b32_e64 v31, v31, v54, s[52:53]
	v_cndmask_b32_e64 v18, v18, v54, s[92:93]
	v_cndmask_b32_e64 v17, v17, v54, s[2:3]
	v_cndmask_b32_e64 v16, v16, v54, s[70:71]
	v_cndmask_b32_e64 v54, v10, v55, s[50:51]
	v_cndmask_b32_e64 v58, v9, v55, s[54:55]
	v_cndmask_b32_e64 v59, v8, v55, s[56:57]
	v_cndmask_b32_e64 v60, v7, v55, s[60:61]
	v_cndmask_b32_e64 v61, v6, v55, s[64:65]
	v_cndmask_b32_e64 v89, v5, v55, s[68:69]
	v_cndmask_b32_e64 v90, v4, v55, s[72:73]
	v_cndmask_b32_e64 v91, v3, v55, s[76:77]
	v_cndmask_b32_e64 v92, v2, v55, s[78:79]
	v_cndmask_b32_e64 v93, v1, v55, s[74:75]
	v_cndmask_b32_e64 v55, v0, v55, s[0:1]
	s_mov_b64 s[0:1], s[48:49]
	v_readlane_b32 s94, v99, 37
	v_cndmask_b32_e64 v0, v55, v93, s[0:1]
	v_readlane_b32 s95, v99, 38
	v_cmp_eq_u32_e64 s[50:51], 1, v73
	v_cmp_eq_u32_e64 s[54:55], 2, v73
	v_cndmask_b32_e64 v0, v0, v92, s[94:95]
	v_cndmask_b32_e64 v0, v0, v91, s[46:47]
	;; [unrolled: 1-line block ×12, first 2 shown]
	v_cmp_eq_u32_e64 s[56:57], 3, v73
	v_cndmask_b32_e64 v0, v0, v12, s[58:59]
	v_cmp_eq_u32_e64 s[60:61], 4, v73
	v_cndmask_b32_e64 v8, v9, v31, s[56:57]
	v_cndmask_b32_e64 v0, v0, v13, s[82:83]
	;; [unrolled: 1-line block ×3, first 2 shown]
	v_cmp_eq_u32_e64 s[64:65], 5, v73
	v_cndmask_b32_e64 v0, v0, v14, s[84:85]
	v_cmp_eq_u32_e64 s[68:69], 6, v73
	v_cndmask_b32_e64 v6, v7, v29, s[64:65]
	v_cndmask_b32_e64 v0, v0, v15, s[90:91]
	;; [unrolled: 1-line block ×3, first 2 shown]
	v_cmp_eq_u32_e64 s[72:73], 7, v73
	ds_bpermute_b32 v94, v87, v0
	v_cmp_eq_u32_e64 s[76:77], 8, v73
	v_cndmask_b32_e64 v4, v5, v27, s[72:73]
	v_cmp_eq_u32_e64 s[78:79], 9, v73
	v_cndmask_b32_e64 v3, v4, v26, s[76:77]
	;; [unrolled: 2-line block ×4, first 2 shown]
	s_waitcnt lgkmcnt(0)
	v_cndmask_b32_e64 v95, v15, v94, s[90:91]
	v_cndmask_b32_e64 v0, v0, v23, s[74:75]
	v_cmp_eq_u32_e64 s[90:91], 12, v73
	v_cndmask_b32_e64 v96, v14, v94, s[84:85]
	v_cmp_eq_u32_e64 s[84:85], 13, v73
	v_cndmask_b32_e64 v0, v0, v22, s[90:91]
	v_cndmask_b32_e64 v97, v13, v94, s[82:83]
	;; [unrolled: 1-line block ×3, first 2 shown]
	v_cmp_eq_u32_e64 s[82:83], 14, v73
	v_cndmask_b32_e64 v98, v12, v94, s[58:59]
	v_cmp_eq_u32_e64 s[58:59], 15, v73
	v_cndmask_b32_e64 v0, v0, v20, s[82:83]
	v_cmp_eq_u32_e64 s[24:25], 1, v74
	v_cndmask_b32_e64 v0, v0, v19, s[58:59]
	ds_bpermute_b32 v1, v87, v0
	v_cmp_eq_u32_e64 s[28:29], 3, v74
	s_waitcnt lgkmcnt(0)
	v_cndmask_b32_e64 v10, v27, v1, s[72:73]
	v_cndmask_b32_e64 v27, v93, v94, s[0:1]
	v_readlane_b32 s0, v99, 39
	v_readlane_b32 s1, v99, 40
	v_cndmask_b32_e64 v11, v28, v1, s[68:69]
	v_cndmask_b32_e64 v9, v26, v1, s[76:77]
	v_cndmask_b32_e64 v28, v55, v94, s[0:1]
	s_mov_b64 s[0:1], s[2:3]
	v_cndmask_b32_e64 v12, v29, v1, s[64:65]
	v_cndmask_b32_e64 v26, v92, v94, s[94:95]
	v_cndmask_b32_e64 v29, v28, v27, s[0:1]
	s_mov_b64 s[2:3], s[92:93]
	;; [unrolled: 4-line block ×3, first 2 shown]
	v_cndmask_b32_e64 v7, v24, v1, s[48:49]
	v_cndmask_b32_e64 v24, v90, v94, s[44:45]
	;; [unrolled: 1-line block ×18, first 2 shown]
	v_cmp_eq_u32_e64 s[40:41], 0, v73
	v_cndmask_b32_e64 v19, v58, v94, s[30:31]
	v_cndmask_b32_e64 v29, v29, v20, s[8:9]
	;; [unrolled: 1-line block ×8, first 2 shown]
	v_cndmask_b32_e32 v29, v29, v16, vcc
	v_cndmask_b32_e64 v29, v29, v17, s[80:81]
	v_cndmask_b32_e64 v29, v29, v98, s[86:87]
	;; [unrolled: 1-line block ×5, first 2 shown]
	ds_bpermute_b32 v29, v87, v29
	v_cndmask_b32_e64 v18, v1, v0, s[24:25]
	v_cmp_eq_u32_e64 s[26:27], 2, v74
	v_cmp_eq_u32_e64 s[30:31], 4, v74
	;; [unrolled: 1-line block ×3, first 2 shown]
	s_waitcnt lgkmcnt(0)
	v_cndmask_b32_e64 v92, v27, v29, s[0:1]
	v_cndmask_b32_e64 v93, v28, v29, s[70:71]
	;; [unrolled: 1-line block ×18, first 2 shown]
	v_cndmask_b32_e32 v16, v16, v29, vcc
	v_cndmask_b32_e64 v19, v19, v57, s[78:79]
	v_cndmask_b32_e64 v17, v17, v29, s[80:81]
	;; [unrolled: 1-line block ×12, first 2 shown]
	ds_bpermute_b32 v94, v87, v19
	v_cndmask_b32_e64 v18, v18, v15, s[26:27]
	v_cndmask_b32_e64 v18, v18, v14, s[28:29]
	;; [unrolled: 1-line block ×4, first 2 shown]
	s_waitcnt lgkmcnt(0)
	v_cndmask_b32_e64 v23, v17, v94, s[74:75]
	v_cndmask_b32_e64 v24, v16, v94, s[48:49]
	;; [unrolled: 1-line block ×16, first 2 shown]
	v_cmp_eq_u32_e64 s[36:37], 6, v74
	v_cndmask_b32_e64 v28, v60, v94, s[68:69]
	v_cndmask_b32_e64 v55, v55, v29, s[34:35]
	v_cndmask_b32_e64 v18, v18, v11, s[36:37]
	v_cmp_eq_u32_e64 s[38:39], 7, v74
	v_cndmask_b32_e64 v27, v59, v94, s[72:73]
	v_cndmask_b32_e64 v55, v55, v28, s[36:37]
	v_cndmask_b32_e64 v18, v18, v10, s[38:39]
	;; [unrolled: 4-line block ×4, first 2 shown]
	v_cmp_eq_u32_e64 s[46:47], 10, v74
	v_cndmask_b32_e64 v55, v55, v25, s[44:45]
	v_cmp_eq_u32_e64 s[52:53], 11, v74
	v_cndmask_b32_e64 v18, v18, v7, s[46:47]
	v_cndmask_b32_e64 v55, v55, v24, s[46:47]
	v_cndmask_b32_e64 v18, v18, v6, s[52:53]
	v_cmp_eq_u32_e64 s[66:67], 12, v74
	v_cndmask_b32_e64 v55, v55, v23, s[52:53]
	v_cmp_eq_u32_e64 s[62:63], 13, v74
	v_cndmask_b32_e64 v18, v18, v5, s[66:67]
	v_cndmask_b32_e64 v55, v55, v22, s[66:67]
	;; [unrolled: 1-line block ×3, first 2 shown]
	v_cmp_eq_u32_e32 vcc, 14, v74
	v_cndmask_b32_e64 v55, v55, v21, s[62:63]
	v_cmp_eq_u32_e64 s[6:7], 15, v74
	v_cndmask_b32_e32 v18, v18, v3, vcc
	v_cndmask_b32_e32 v55, v55, v20, vcc
	v_cndmask_b32_e64 v18, v18, v2, s[6:7]
	v_cndmask_b32_e64 v55, v55, v19, s[6:7]
	ds_bpermute_b32 v18, v87, v18
	ds_bpermute_b32 v58, v87, v55
	v_readlane_b32 s53, v99, 32
	s_nop 1
	v_cmp_lt_i32_e32 vcc, s53, v76
	s_and_saveexec_b64 s[40:41], vcc
	v_readlane_b32 s44, v99, 1
	v_readlane_b32 s45, v99, 2
	;; [unrolled: 1-line block ×11, first 2 shown]
	s_cbranch_execz .LBB256_32
; %bb.24:                               ;   in Loop: Header=BB256_7 Depth=1
	s_mul_i32 s0, s52, s17
	s_ashr_i32 s1, s0, 31
	s_lshl_b64 s[0:1], s[0:1], 1
	s_add_u32 s2, s48, s0
	v_cmp_eq_u32_e64 s[34:35], 1, v74
	v_cmp_eq_u32_e64 s[36:37], 0, v74
	s_addc_u32 s3, s49, s1
	s_ashr_i32 s55, s54, 31
	s_waitcnt lgkmcnt(1)
	v_cndmask_b32_e64 v55, v0, v18, s[34:35]
	v_cndmask_b32_e64 v57, v1, v18, s[36:37]
	s_lshl_b64 s[0:1], s[54:55], 1
	s_waitcnt lgkmcnt(0)
	v_cndmask_b32_e64 v59, v16, v58, s[34:35]
	v_cndmask_b32_e64 v60, v17, v58, s[36:37]
	v_cvt_f16_f32_e32 v57, v57
	v_cvt_f16_f32_sdwa v55, v55 dst_sel:WORD_1 dst_unused:UNUSED_PAD src0_sel:DWORD
	s_add_u32 s42, s2, s0
	v_cvt_f16_f32_e32 v60, v60
	v_cvt_f16_f32_sdwa v59, v59 dst_sel:WORD_1 dst_unused:UNUSED_PAD src0_sel:DWORD
	s_addc_u32 s43, s3, s1
	v_lshl_add_u64 v[0:1], s[42:43], 0, v[32:33]
	v_cmp_eq_u32_e32 vcc, 15, v74
	v_cmp_eq_u32_e64 s[6:7], 14, v74
	v_cmp_eq_u32_e64 s[8:9], 13, v74
	;; [unrolled: 1-line block ×13, first 2 shown]
	v_lshl_add_u64 v[16:17], v[34:35], 1, v[0:1]
	v_or_b32_e32 v55, v55, v57
	v_cmp_lt_i32_e64 s[34:35], s53, v77
	;;#ASMSTART
	global_atomic_pk_add_f16 v[16:17], v55, off
	
	;;#ASMEND
	v_lshl_add_u64 v[16:17], v[16:17], 0, 64
	v_or_b32_e32 v55, v59, v60
	;;#ASMSTART
	global_atomic_pk_add_f16 v[16:17], v55, off
	
	;;#ASMEND
	s_and_b64 exec, exec, s[34:35]
	s_cbranch_execz .LBB256_32
; %bb.25:                               ;   in Loop: Header=BB256_7 Depth=1
	v_cndmask_b32_e32 v2, v2, v18, vcc
	v_cndmask_b32_e64 v3, v3, v18, s[6:7]
	v_cndmask_b32_e64 v16, v4, v18, s[8:9]
	;; [unrolled: 1-line block ×19, first 2 shown]
	v_cvt_f16_f32_e32 v22, v18
	v_cvt_f16_f32_sdwa v23, v92 dst_sel:WORD_1 dst_unused:UNUSED_PAD src0_sel:DWORD
	v_cvt_f16_f32_e32 v21, v21
	v_cvt_f16_f32_sdwa v20, v20 dst_sel:WORD_1 dst_unused:UNUSED_PAD src0_sel:DWORD
	v_cndmask_b32_e32 v4, v19, v58, vcc
	v_cndmask_b32_e64 v9, v24, v58, s[14:15]
	v_cndmask_b32_e64 v10, v25, v58, s[0:1]
	;; [unrolled: 1-line block ×7, first 2 shown]
	v_lshl_add_u64 v[18:19], v[36:37], 1, v[0:1]
	v_cmp_lt_i32_e32 vcc, s53, v78
	v_or_b32_e32 v22, v23, v22
	;;#ASMSTART
	global_atomic_pk_add_f16 v[18:19], v22, off
	
	;;#ASMEND
	v_lshl_add_u64 v[18:19], v[18:19], 0, 64
	v_or_b32_e32 v20, v20, v21
	;;#ASMSTART
	global_atomic_pk_add_f16 v[18:19], v20, off
	
	;;#ASMEND
	s_and_b64 exec, exec, vcc
	s_cbranch_execz .LBB256_32
; %bb.26:                               ;   in Loop: Header=BB256_7 Depth=1
	v_cvt_f16_f32_e32 v20, v91
	v_cvt_f16_f32_sdwa v21, v90 dst_sel:WORD_1 dst_unused:UNUSED_PAD src0_sel:DWORD
	v_cvt_f16_f32_e32 v22, v15
	v_cvt_f16_f32_sdwa v23, v14 dst_sel:WORD_1 dst_unused:UNUSED_PAD src0_sel:DWORD
	v_lshl_add_u64 v[18:19], v[38:39], 1, v[0:1]
	v_or_b32_e32 v14, v21, v20
	v_cmp_lt_i32_e32 vcc, s53, v79
	;;#ASMSTART
	global_atomic_pk_add_f16 v[18:19], v14, off
	
	;;#ASMEND
	v_lshl_add_u64 v[14:15], v[18:19], 0, 64
	v_or_b32_e32 v18, v23, v22
	;;#ASMSTART
	global_atomic_pk_add_f16 v[14:15], v18, off
	
	;;#ASMEND
	s_and_b64 exec, exec, vcc
	s_cbranch_execz .LBB256_32
; %bb.27:                               ;   in Loop: Header=BB256_7 Depth=1
	v_cvt_f16_f32_e32 v18, v89
	v_cvt_f16_f32_sdwa v19, v61 dst_sel:WORD_1 dst_unused:UNUSED_PAD src0_sel:DWORD
	v_cvt_f16_f32_e32 v20, v13
	v_cvt_f16_f32_sdwa v21, v12 dst_sel:WORD_1 dst_unused:UNUSED_PAD src0_sel:DWORD
	v_lshl_add_u64 v[14:15], v[40:41], 1, v[0:1]
	v_or_b32_e32 v12, v19, v18
	v_cmp_lt_i32_e32 vcc, s53, v80
	;; [unrolled: 20-line block ×5, first 2 shown]
	;;#ASMSTART
	global_atomic_pk_add_f16 v[8:9], v6, off
	
	;;#ASMEND
	v_lshl_add_u64 v[6:7], v[8:9], 0, 64
	v_or_b32_e32 v8, v13, v12
	;;#ASMSTART
	global_atomic_pk_add_f16 v[6:7], v8, off
	
	;;#ASMEND
	s_and_b64 exec, exec, vcc
	s_cbranch_execz .LBB256_32
; %bb.31:                               ;   in Loop: Header=BB256_7 Depth=1
	v_cvt_f16_f32_e32 v3, v3
	v_cvt_f16_f32_sdwa v2, v2 dst_sel:WORD_1 dst_unused:UNUSED_PAD src0_sel:DWORD
	v_cvt_f16_f32_e32 v5, v5
	v_cvt_f16_f32_sdwa v4, v4 dst_sel:WORD_1 dst_unused:UNUSED_PAD src0_sel:DWORD
	v_lshl_add_u64 v[0:1], v[48:49], 1, v[0:1]
	v_or_b32_e32 v2, v2, v3
	;;#ASMSTART
	global_atomic_pk_add_f16 v[0:1], v2, off
	
	;;#ASMEND
	v_lshl_add_u64 v[0:1], v[0:1], 0, 64
	v_or_b32_e32 v2, v4, v5
	;;#ASMSTART
	global_atomic_pk_add_f16 v[0:1], v2, off
	
	;;#ASMEND
.LBB256_32:                             ;   in Loop: Header=BB256_7 Depth=1
	s_or_b64 exec, exec, s[40:41]
	v_readlane_b32 s12, v99, 9
	v_readlane_b32 s14, v99, 11
	;; [unrolled: 1-line block ×6, first 2 shown]
	v_subrev_u32_e32 v88, s96, v88
	v_readlane_b32 s11, v99, 0
	v_readlane_b32 s13, v99, 10
	;; [unrolled: 1-line block ×17, first 2 shown]
.LBB256_33:                             ;   in Loop: Header=BB256_7 Depth=1
	s_or_b64 exec, exec, s[2:3]
.LBB256_34:                             ;   in Loop: Header=BB256_7 Depth=1
	s_andn2_saveexec_b64 s[0:1], s[4:5]
	s_cbranch_execz .LBB256_43
; %bb.35:                               ;   in Loop: Header=BB256_7 Depth=1
	s_lshl_b32 s10, s96, 1
	v_cmp_gt_i32_e32 vcc, s10, v88
	s_and_saveexec_b64 s[2:3], vcc
	s_cbranch_execz .LBB256_42
; %bb.36:                               ;   in Loop: Header=BB256_7 Depth=1
	s_mul_i32 s4, s54, s19
	s_ashr_i32 s5, s4, 31
	s_add_u32 s4, s46, s4
	s_addc_u32 s5, s47, s5
	s_ashr_i32 s6, s35, 31
	s_add_u32 s4, s4, s35
	s_addc_u32 s5, s5, s6
	v_lshl_add_u64 v[0:1], s[4:5], 0, v[52:53]
	v_lshl_add_u64 v[8:9], v[0:1], 0, v[50:51]
	s_mov_b64 s[4:5], 0
	s_branch .LBB256_38
.LBB256_37:                             ;   in Loop: Header=BB256_38 Depth=2
	s_or_b64 exec, exec, s[6:7]
	v_lshl_add_u32 v12, v10, 11, v84
	;;#ASMSTART
	s_waitcnt vmcnt(1)
	;;#ASMEND
	ds_write2_b32 v12, v4, v5 offset1:32
	ds_write2_b32 v12, v6, v7 offset0:64 offset1:96
	v_add_u32_e32 v4, 0x400, v12
	v_add_u32_e32 v88, s22, v88
	;;#ASMSTART
	s_waitcnt vmcnt(0)
	;;#ASMEND
	ds_write2_b32 v4, v0, v1 offset1:32
	ds_write2_b32 v4, v2, v3 offset0:64 offset1:96
	v_add_u32_e32 v0, 1, v63
	v_add_u32_e32 v56, s22, v10
	v_cmp_le_i32_e32 vcc, s10, v88
	ds_write_b32 v11, v0 offset:12
	v_add_u32_e32 v0, 2, v63
	s_or_b64 s[4:5], vcc, s[4:5]
	v_cmp_lt_i32_e32 vcc, 1, v56
	s_nop 1
	v_cndmask_b32_e32 v63, v63, v0, vcc
	s_andn2_b64 exec, exec, s[4:5]
	s_cbranch_execz .LBB256_41
.LBB256_38:                             ;   Parent Loop BB256_7 Depth=1
                                        ; =>  This Loop Header: Depth=2
                                        ;       Child Loop BB256_40 Depth 3
	v_cmp_gt_i32_e32 vcc, 2, v56
	s_nop 1
	v_cndmask_b32_e64 v0, -2, 0, vcc
	v_add_u32_e32 v10, v0, v56
	v_lshrrev_b32_e32 v0, 31, v88
	v_add_u32_e32 v0, v88, v0
	v_and_b32_e32 v1, -2, v0
	v_lshlrev_b32_e32 v0, 5, v0
	v_sub_u32_e32 v2, v88, v1
	v_and_b32_e32 v0, 0xffffffc0, v0
	v_ashrrev_i32_e32 v1, 31, v0
	v_mul_lo_u32 v2, s97, v2
	v_lshl_add_u64 v[0:1], v[8:9], 0, v[0:1]
	v_ashrrev_i32_e32 v3, 31, v2
	v_lshl_add_u64 v[0:1], v[0:1], 0, v[2:3]
	v_lshlrev_b32_e32 v11, 2, v10
	;;#ASMSTART
	global_load_dwordx4 v[4:7], v[0:1], off offset:0   sc0 sc1 nt  
	global_load_dwordx4 v[0:3], v[0:1], off offset:32  sc0 sc1 nt  
	
	;;#ASMEND
	ds_read_b32 v12, v11 offset:10252
	v_add_u32_e32 v11, 0x2800, v11
	s_waitcnt lgkmcnt(0)
	v_cmp_ne_u32_e32 vcc, v12, v63
	s_and_saveexec_b64 s[6:7], vcc
	s_cbranch_execz .LBB256_37
; %bb.39:                               ;   in Loop: Header=BB256_38 Depth=2
	s_mov_b64 s[8:9], 0
.LBB256_40:                             ;   Parent Loop BB256_7 Depth=1
                                        ;     Parent Loop BB256_38 Depth=2
                                        ; =>    This Inner Loop Header: Depth=3
	;;#ASMSTART
	s_sleep 0
	;;#ASMEND
	ds_read_b32 v12, v11 offset:12
	s_waitcnt lgkmcnt(0)
	v_cmp_eq_u32_e32 vcc, v12, v63
	s_or_b64 s[8:9], vcc, s[8:9]
	s_andn2_b64 exec, exec, s[8:9]
	s_cbranch_execnz .LBB256_40
	s_branch .LBB256_37
.LBB256_41:                             ;   in Loop: Header=BB256_7 Depth=1
	s_or_b64 exec, exec, s[4:5]
.LBB256_42:                             ;   in Loop: Header=BB256_7 Depth=1
	s_or_b64 exec, exec, s[2:3]
	v_subrev_u32_e32 v88, s10, v88
.LBB256_43:                             ;   in Loop: Header=BB256_7 Depth=1
	s_or_b64 exec, exec, s[0:1]
.LBB256_44:                             ;   in Loop: Header=BB256_7 Depth=1
	s_andn2_saveexec_b64 s[0:1], s[36:37]
	s_cbranch_execz .LBB256_6
; %bb.45:                               ;   in Loop: Header=BB256_7 Depth=1
	s_mul_i32 s96, s96, 3
	v_cmp_gt_i32_e32 vcc, s96, v88
	s_and_saveexec_b64 s[2:3], vcc
	s_cbranch_execz .LBB256_5
; %bb.46:                               ;   in Loop: Header=BB256_7 Depth=1
	s_mul_i32 s4, s52, s18
	s_max_i32 s6, s53, 0
	s_ashr_i32 s5, s4, 31
	s_add_u32 s4, s44, s4
	v_add_u32_e32 v2, s6, v64
	s_movk_i32 s6, 0x60
	s_addc_u32 s5, s45, s5
	s_ashr_i32 s7, s35, 31
	v_cmp_gt_u32_e32 vcc, s6, v2
	s_add_u32 s4, s4, s35
	s_addc_u32 s5, s5, s7
	v_cndmask_b32_e32 v0, 0, v85, vcc
	v_ashrrev_i32_e32 v1, 31, v0
	v_lshl_add_u64 v[0:1], s[4:5], 0, v[0:1]
	v_lshl_add_u64 v[8:9], v[0:1], 0, v[50:51]
	v_sub_u32_e32 v10, 0x5f, v2
	s_mov_b64 s[4:5], 0
	s_branch .LBB256_48
.LBB256_47:                             ;   in Loop: Header=BB256_48 Depth=2
	s_or_b64 exec, exec, s[6:7]
	v_lshl_or_b32 v13, v11, 11, v86
	;;#ASMSTART
	s_waitcnt vmcnt(1)
	;;#ASMEND
	ds_write2_b32 v13, v4, v5 offset1:32
	ds_write2_b32 v13, v6, v7 offset0:64 offset1:96
	v_add_u32_e32 v4, 0x400, v13
	v_add_u32_e32 v88, s21, v88
	;;#ASMSTART
	s_waitcnt vmcnt(0)
	;;#ASMEND
	ds_write2_b32 v4, v0, v1 offset1:32
	ds_write2_b32 v4, v2, v3 offset0:64 offset1:96
	v_add_u32_e32 v0, 1, v63
	v_add_u32_e32 v56, s21, v11
	v_cmp_le_i32_e32 vcc, s96, v88
	ds_write_b32 v12, v0
	v_add_u32_e32 v0, 2, v63
	s_or_b64 s[4:5], vcc, s[4:5]
	v_cmp_lt_i32_e32 vcc, 2, v56
	s_nop 1
	v_cndmask_b32_e32 v63, v63, v0, vcc
	s_andn2_b64 exec, exec, s[4:5]
	s_cbranch_execz .LBB256_4
.LBB256_48:                             ;   Parent Loop BB256_7 Depth=1
                                        ; =>  This Loop Header: Depth=2
                                        ;       Child Loop BB256_50 Depth 3
	v_cmp_gt_i32_e32 vcc, 3, v56
	s_mov_b32 s6, 0x55555556
	s_nop 0
	v_cndmask_b32_e64 v0, -3, 0, vcc
	v_add_u32_e32 v11, v0, v56
	v_mul_hi_i32 v0, v88, s6
	v_lshrrev_b32_e32 v1, 31, v0
	v_add_u32_e32 v0, v0, v1
	v_lshl_add_u32 v1, v0, 1, v0
	v_sub_u32_e32 v1, v88, v1
	v_lshlrev_b32_e32 v1, 5, v1
	v_cmp_le_i32_e32 vcc, v1, v10
	v_lshlrev_b32_e32 v0, 6, v0
	v_lshlrev_b32_e32 v12, 2, v11
	v_cndmask_b32_e32 v2, 0, v1, vcc
	v_ashrrev_i32_e32 v1, 31, v0
	v_mul_lo_u32 v2, v2, s18
	v_lshl_add_u64 v[0:1], v[8:9], 0, v[0:1]
	v_ashrrev_i32_e32 v3, 31, v2
	v_lshl_add_u64 v[0:1], v[0:1], 0, v[2:3]
	;;#ASMSTART
	global_load_dwordx4 v[4:7], v[0:1], off offset:0   
	global_load_dwordx4 v[0:3], v[0:1], off offset:32  
	
	;;#ASMEND
	ds_read_b32 v13, v12 offset:10240
	v_add_u32_e32 v12, 0x2800, v12
	s_waitcnt lgkmcnt(0)
	v_cmp_ne_u32_e32 vcc, v13, v63
	s_and_saveexec_b64 s[6:7], vcc
	s_cbranch_execz .LBB256_47
; %bb.49:                               ;   in Loop: Header=BB256_48 Depth=2
	s_mov_b64 s[8:9], 0
.LBB256_50:                             ;   Parent Loop BB256_7 Depth=1
                                        ;     Parent Loop BB256_48 Depth=2
                                        ; =>    This Inner Loop Header: Depth=3
	;;#ASMSTART
	s_sleep 0
	;;#ASMEND
	ds_read_b32 v13, v12
	s_waitcnt lgkmcnt(0)
	v_cmp_eq_u32_e32 vcc, v13, v63
	s_or_b64 s[8:9], vcc, s[8:9]
	s_andn2_b64 exec, exec, s[8:9]
	s_cbranch_execnz .LBB256_50
	s_branch .LBB256_47
.LBB256_51:
	s_endpgm
	.section	.rodata,"a",@progbits
	.p2align	6, 0x0
	.amdhsa_kernel _Z19_skinny_gemm_kernelILi3ELi2ELi1ELi32ELi4EEvPKhS1_P6__halfPKfiiiiiiii
		.amdhsa_group_segment_fixed_size 10260
		.amdhsa_private_segment_fixed_size 0
		.amdhsa_kernarg_size 64
		.amdhsa_user_sgpr_count 2
		.amdhsa_user_sgpr_dispatch_ptr 0
		.amdhsa_user_sgpr_queue_ptr 0
		.amdhsa_user_sgpr_kernarg_segment_ptr 1
		.amdhsa_user_sgpr_dispatch_id 0
		.amdhsa_user_sgpr_kernarg_preload_length 0
		.amdhsa_user_sgpr_kernarg_preload_offset 0
		.amdhsa_user_sgpr_private_segment_size 0
		.amdhsa_uses_dynamic_stack 0
		.amdhsa_enable_private_segment 0
		.amdhsa_system_sgpr_workgroup_id_x 1
		.amdhsa_system_sgpr_workgroup_id_y 0
		.amdhsa_system_sgpr_workgroup_id_z 0
		.amdhsa_system_sgpr_workgroup_info 0
		.amdhsa_system_vgpr_workitem_id 0
		.amdhsa_next_free_vgpr 100
		.amdhsa_next_free_sgpr 100
		.amdhsa_accum_offset 100
		.amdhsa_reserve_vcc 1
		.amdhsa_float_round_mode_32 0
		.amdhsa_float_round_mode_16_64 0
		.amdhsa_float_denorm_mode_32 3
		.amdhsa_float_denorm_mode_16_64 3
		.amdhsa_dx10_clamp 1
		.amdhsa_ieee_mode 1
		.amdhsa_fp16_overflow 0
		.amdhsa_tg_split 0
		.amdhsa_exception_fp_ieee_invalid_op 0
		.amdhsa_exception_fp_denorm_src 0
		.amdhsa_exception_fp_ieee_div_zero 0
		.amdhsa_exception_fp_ieee_overflow 0
		.amdhsa_exception_fp_ieee_underflow 0
		.amdhsa_exception_fp_ieee_inexact 0
		.amdhsa_exception_int_div_zero 0
	.end_amdhsa_kernel
	.section	.text._Z19_skinny_gemm_kernelILi3ELi2ELi1ELi32ELi4EEvPKhS1_P6__halfPKfiiiiiiii,"axG",@progbits,_Z19_skinny_gemm_kernelILi3ELi2ELi1ELi32ELi4EEvPKhS1_P6__halfPKfiiiiiiii,comdat
.Lfunc_end256:
	.size	_Z19_skinny_gemm_kernelILi3ELi2ELi1ELi32ELi4EEvPKhS1_P6__halfPKfiiiiiiii, .Lfunc_end256-_Z19_skinny_gemm_kernelILi3ELi2ELi1ELi32ELi4EEvPKhS1_P6__halfPKfiiiiiiii
                                        ; -- End function
	.set _Z19_skinny_gemm_kernelILi3ELi2ELi1ELi32ELi4EEvPKhS1_P6__halfPKfiiiiiiii.num_vgpr, 100
	.set _Z19_skinny_gemm_kernelILi3ELi2ELi1ELi32ELi4EEvPKhS1_P6__halfPKfiiiiiiii.num_agpr, 0
	.set _Z19_skinny_gemm_kernelILi3ELi2ELi1ELi32ELi4EEvPKhS1_P6__halfPKfiiiiiiii.numbered_sgpr, 100
	.set _Z19_skinny_gemm_kernelILi3ELi2ELi1ELi32ELi4EEvPKhS1_P6__halfPKfiiiiiiii.num_named_barrier, 0
	.set _Z19_skinny_gemm_kernelILi3ELi2ELi1ELi32ELi4EEvPKhS1_P6__halfPKfiiiiiiii.private_seg_size, 0
	.set _Z19_skinny_gemm_kernelILi3ELi2ELi1ELi32ELi4EEvPKhS1_P6__halfPKfiiiiiiii.uses_vcc, 1
	.set _Z19_skinny_gemm_kernelILi3ELi2ELi1ELi32ELi4EEvPKhS1_P6__halfPKfiiiiiiii.uses_flat_scratch, 0
	.set _Z19_skinny_gemm_kernelILi3ELi2ELi1ELi32ELi4EEvPKhS1_P6__halfPKfiiiiiiii.has_dyn_sized_stack, 0
	.set _Z19_skinny_gemm_kernelILi3ELi2ELi1ELi32ELi4EEvPKhS1_P6__halfPKfiiiiiiii.has_recursion, 0
	.set _Z19_skinny_gemm_kernelILi3ELi2ELi1ELi32ELi4EEvPKhS1_P6__halfPKfiiiiiiii.has_indirect_call, 0
	.section	.AMDGPU.csdata,"",@progbits
; Kernel info:
; codeLenInByte = 9760
; TotalNumSgprs: 106
; NumVgprs: 100
; NumAgprs: 0
; TotalNumVgprs: 100
; ScratchSize: 0
; MemoryBound: 0
; FloatMode: 240
; IeeeMode: 1
; LDSByteSize: 10260 bytes/workgroup (compile time only)
; SGPRBlocks: 13
; VGPRBlocks: 12
; NumSGPRsForWavesPerEU: 106
; NumVGPRsForWavesPerEU: 100
; AccumOffset: 100
; Occupancy: 4
; WaveLimiterHint : 0
; COMPUTE_PGM_RSRC2:SCRATCH_EN: 0
; COMPUTE_PGM_RSRC2:USER_SGPR: 2
; COMPUTE_PGM_RSRC2:TRAP_HANDLER: 0
; COMPUTE_PGM_RSRC2:TGID_X_EN: 1
; COMPUTE_PGM_RSRC2:TGID_Y_EN: 0
; COMPUTE_PGM_RSRC2:TGID_Z_EN: 0
; COMPUTE_PGM_RSRC2:TIDIG_COMP_CNT: 0
; COMPUTE_PGM_RSRC3_GFX90A:ACCUM_OFFSET: 24
; COMPUTE_PGM_RSRC3_GFX90A:TG_SPLIT: 0
	.section	.text._Z19_skinny_gemm_kernelILi3ELi2ELi1ELi32ELi8EEvPKhS1_P6__halfPKfiiiiiiii,"axG",@progbits,_Z19_skinny_gemm_kernelILi3ELi2ELi1ELi32ELi8EEvPKhS1_P6__halfPKfiiiiiiii,comdat
	.protected	_Z19_skinny_gemm_kernelILi3ELi2ELi1ELi32ELi8EEvPKhS1_P6__halfPKfiiiiiiii ; -- Begin function _Z19_skinny_gemm_kernelILi3ELi2ELi1ELi32ELi8EEvPKhS1_P6__halfPKfiiiiiiii
	.globl	_Z19_skinny_gemm_kernelILi3ELi2ELi1ELi32ELi8EEvPKhS1_P6__halfPKfiiiiiiii
	.p2align	8
	.type	_Z19_skinny_gemm_kernelILi3ELi2ELi1ELi32ELi8EEvPKhS1_P6__halfPKfiiiiiiii,@function
_Z19_skinny_gemm_kernelILi3ELi2ELi1ELi32ELi8EEvPKhS1_P6__halfPKfiiiiiiii: ; @_Z19_skinny_gemm_kernelILi3ELi2ELi1ELi32ELi8EEvPKhS1_P6__halfPKfiiiiiiii
; %bb.0:
	v_cmp_gt_u32_e32 vcc, 5, v0
	s_and_saveexec_b64 s[4:5], vcc
; %bb.1:
	v_lshlrev_b32_e32 v1, 2, v0
	v_mov_b32_e32 v2, 0
	ds_write_b32 v1, v2 offset:20480
; %bb.2:
	s_or_b64 exec, exec, s[4:5]
	s_load_dwordx8 s[16:23], s[0:1], 0x20
	s_waitcnt lgkmcnt(0)
	s_barrier
	s_add_i32 s3, s16, 0x5f
	s_mul_hi_i32 s3, s3, 0x2aaaaaab
	s_add_i32 s4, s17, 63
	s_lshr_b32 s5, s3, 31
	s_ashr_i32 s3, s3, 4
	s_add_i32 s11, s3, s5
	s_ashr_i32 s3, s4, 31
	s_lshr_b32 s3, s3, 26
	s_add_i32 s4, s4, s3
	s_ashr_i32 s12, s4, 6
	s_mul_i32 s3, s12, s11
	s_mul_i32 s3, s3, s20
	s_add_i32 s4, s3, 0x12f
	s_mul_hi_i32 s4, s4, 0x6bca1af3
	s_lshr_b32 s5, s4, 31
	s_ashr_i32 s4, s4, 7
	s_add_i32 s4, s4, s5
	s_add_i32 s5, s2, 1
	s_mul_i32 s5, s4, s5
	v_cvt_f64_i32_e32 v[2:3], s3
	v_cvt_f64_u32_e32 v[4:5], s5
	v_min_f64 v[2:3], v[2:3], v[4:5]
	v_cvt_i32_f64_e32 v70, v[2:3]
	s_mul_i32 s33, s4, s2
	v_cmp_ge_i32_e32 vcc, s33, v70
	s_cbranch_vccnz .LBB257_51
; %bb.3:
	s_load_dwordx8 s[44:51], s[0:1], 0x0
	v_lshrrev_b32_e32 v1, 6, v0
	s_add_i32 s0, s22, s21
	v_cmp_le_i32_e64 s[14:15], s0, v1
	v_mov_b32_e32 v2, s21
	v_cmp_le_i32_e64 s[24:25], s21, v1
	v_mov_b32_e32 v3, s22
	v_cndmask_b32_e64 v3, 0, v3, s[14:15]
	v_cndmask_b32_e64 v2, 0, v2, s[24:25]
	s_abs_i32 s1, s20
	v_add_u32_e32 v2, v2, v3
	v_cvt_f32_u32_e32 v3, s1
	v_sub_u32_e32 v56, v1, v2
	s_ashr_i32 s2, s18, 31
	s_lshr_b32 s2, s2, 25
	v_rcp_iflag_f32_e32 v2, v3
	s_sub_i32 s5, 0, s1
	s_add_i32 s2, s18, s2
	s_ashr_i32 s2, s2, 7
	v_mul_f32_e32 v2, 0x4f7ffffe, v2
	v_cvt_u32_f32_e32 v2, v2
	s_abs_i32 s4, s2
	s_xor_b32 s3, s2, s20
	s_ashr_i32 s3, s3, 31
	v_readfirstlane_b32 s6, v2
	s_mul_i32 s5, s5, s6
	s_mul_hi_u32 s5, s6, s5
	s_add_i32 s6, s6, s5
	s_mul_hi_u32 s5, s4, s6
	s_mul_i32 s6, s5, s1
	s_sub_i32 s4, s4, s6
	s_add_i32 s6, s5, 1
	s_sub_i32 s7, s4, s1
	s_cmp_ge_u32 s4, s1
	s_cselect_b32 s5, s6, s5
	s_cselect_b32 s4, s7, s4
	s_add_i32 s6, s5, 1
	s_cmp_ge_u32 s4, s1
	s_cselect_b32 s1, s6, s5
	s_add_i32 s0, s0, s23
	v_and_b32_e32 v72, 31, v0
	v_lshrrev_b32_e32 v2, 3, v0
	v_cmp_gt_i32_e64 s[28:29], s0, v1
	v_lshlrev_b32_e32 v1, 2, v72
	v_and_b32_e32 v3, 4, v2
	v_and_b32_e32 v5, 1, v0
	v_lshlrev_b32_e32 v2, 6, v3
	v_or_b32_e32 v4, 0x3000, v1
	v_or_b32_e32 v3, v3, v5
	;; [unrolled: 1-line block ×4, first 2 shown]
	v_lshlrev_b32_e32 v2, 1, v5
	v_or_b32_e32 v5, 2, v3
	v_sub_u32_e32 v85, 32, v5
	v_or_b32_e32 v5, 8, v3
	v_sub_u32_e32 v86, 32, v5
	;; [unrolled: 2-line block ×3, first 2 shown]
	v_or_b32_e32 v5, 16, v3
                                        ; implicit-def: $vgpr105 : SGPR spill to VGPR lane
	v_sub_u32_e32 v88, 32, v5
	v_or_b32_e32 v5, 18, v3
	v_writelane_b32 v105, s11, 0
	v_sub_u32_e32 v84, 32, v3
	v_mul_lo_u32 v34, s17, v3
	v_sub_u32_e32 v89, 32, v5
	v_or_b32_e32 v5, 24, v3
	v_or_b32_e32 v3, 26, v3
	v_writelane_b32 v105, s12, 1
	v_sub_u32_e32 v91, 32, v3
	v_lshrrev_b32_e32 v3, 1, v0
	s_abs_i32 s30, s11
	s_waitcnt lgkmcnt(0)
	v_writelane_b32 v105, s44, 2
	v_and_b32_e32 v50, 16, v3
	v_cvt_f32_u32_e32 v3, s30
	v_writelane_b32 v105, s45, 3
	v_sub_u32_e32 v2, v0, v2
	v_writelane_b32 v105, s46, 4
	v_add_u32_e32 v2, 1, v2
	v_writelane_b32 v105, s47, 5
	v_and_b32_e32 v6, 63, v2
	v_bitop3_b32 v75, v0, 1, v0 bitop3:0xc
	v_bitop3_b32 v76, v0, 3, 1 bitop3:0x6c
	;; [unrolled: 1-line block ×8, first 2 shown]
	v_and_b32_e32 v2, 30, v0
	v_lshlrev_b32_e32 v0, 4, v0
	v_writelane_b32 v105, s48, 6
	v_and_b32_e32 v0, 0x200, v0
	v_rcp_iflag_f32_e32 v3, v3
	s_abs_i32 s34, s12
	v_writelane_b32 v105, s49, 7
	s_xor_b32 s1, s1, s3
	v_or_b32_e32 v94, v1, v0
	v_cvt_f32_u32_e32 v1, s34
	v_writelane_b32 v105, s50, 8
	s_sub_i32 s13, s1, s3
	s_add_i32 s26, s20, -1
	v_writelane_b32 v105, s51, 9
	v_cndmask_b32_e64 v71, 0, 1, s[14:15]
	s_mul_i32 s1, s13, s26
	s_lshl_b32 s0, s17, 1
	v_writelane_b32 v105, s14, 10
	s_sub_i32 s27, s2, s1
	v_add_u32_e32 v36, s0, v34
	s_mul_i32 s1, s17, 6
	v_or_b32_e32 v92, v4, v0
	v_mul_f32_e32 v0, 0x4f7ffffe, v3
	v_writelane_b32 v105, s15, 11
	v_add_u32_e32 v38, s1, v36
	v_cvt_u32_f32_e32 v0, v0
	v_rcp_iflag_f32_e32 v1, v1
	v_writelane_b32 v105, s24, 12
	v_add_u32_e32 v40, s0, v38
	v_add_u32_e32 v42, s1, v40
	v_writelane_b32 v105, s25, 13
	v_writelane_b32 v105, s13, 14
	v_add_u32_e32 v44, s0, v42
	v_writelane_b32 v105, s26, 15
	v_add_u32_e32 v46, s1, v44
	v_readfirstlane_b32 s1, v0
	v_mul_f32_e32 v0, 0x4f7ffffe, v1
	v_writelane_b32 v105, s27, 16
	v_cvt_u32_f32_e32 v0, v0
	v_writelane_b32 v105, s28, 17
	v_add_u32_e32 v48, s0, v46
	s_sub_i32 s0, 0, s30
	v_writelane_b32 v105, s29, 18
	s_lshl_b32 s31, s19, 5
	s_mul_i32 s0, s0, s1
	v_writelane_b32 v105, s30, 19
	s_mul_hi_u32 s0, s1, s0
	v_writelane_b32 v105, s31, 20
	s_ashr_i32 s35, s11, 31
	s_add_i32 s36, s1, s0
	s_sub_i32 s0, 0, s34
	v_readfirstlane_b32 s1, v0
	v_mbcnt_lo_u32_b32 v0, -1, 0
	v_writelane_b32 v105, s34, 21
	s_mul_i32 s0, s0, s1
	v_mbcnt_hi_u32_b32 v0, -1, v0
	v_writelane_b32 v105, s35, 22
	v_mov_b32_e32 v33, 0
	v_mul_lo_u32 v52, s19, v72
	s_ashr_i32 s37, s12, 31
	s_mul_hi_u32 s0, s1, s0
	v_and_or_b32 v0, v0, 64, v6
	v_writelane_b32 v105, s36, 23
	v_or_b32_e32 v83, 32, v72
	v_ashrrev_i32_e32 v35, 31, v34
	v_ashrrev_i32_e32 v37, 31, v36
	;; [unrolled: 1-line block ×6, first 2 shown]
	v_sub_u32_e32 v90, 32, v5
	v_ashrrev_i32_e32 v47, 31, v46
	v_ashrrev_i32_e32 v49, 31, v48
	;; [unrolled: 1-line block ×3, first 2 shown]
	v_mov_b32_e32 v51, v33
	v_mul_lo_u32 v93, s18, v72
	s_add_i32 s38, s1, s0
	v_lshlrev_b32_e32 v32, 1, v2
	v_lshlrev_b32_e32 v95, 2, v0
	v_mov_b32_e32 v96, v56
	v_writelane_b32 v105, s37, 24
	v_writelane_b32 v105, s38, 25
	s_branch .LBB257_7
.LBB257_4:                              ;   in Loop: Header=BB257_7 Depth=1
	s_or_b64 exec, exec, s[4:5]
.LBB257_5:                              ;   in Loop: Header=BB257_7 Depth=1
	s_or_b64 exec, exec, s[2:3]
	v_subrev_u32_e32 v96, s20, v96
.LBB257_6:                              ;   in Loop: Header=BB257_7 Depth=1
	s_or_b64 exec, exec, s[0:1]
	s_add_i32 s33, s33, 1
	v_cmp_ge_i32_e32 vcc, s33, v70
	s_cbranch_vccnz .LBB257_51
.LBB257_7:                              ; =>This Loop Header: Depth=1
                                        ;     Child Loop BB257_13 Depth 2
                                        ;       Child Loop BB257_15 Depth 3
                                        ;       Child Loop BB257_18 Depth 3
	;; [unrolled: 1-line block ×3, first 2 shown]
                                        ;     Child Loop BB257_38 Depth 2
                                        ;       Child Loop BB257_40 Depth 3
                                        ;     Child Loop BB257_48 Depth 2
                                        ;       Child Loop BB257_50 Depth 3
	s_abs_i32 s1, s33
	s_mul_hi_u32 s2, s1, s36
	s_mul_i32 s3, s2, s30
	s_ashr_i32 s0, s33, 31
	s_sub_i32 s1, s1, s3
	s_xor_b32 s0, s0, s35
	s_add_i32 s3, s2, 1
	s_sub_i32 s4, s1, s30
	s_cmp_ge_u32 s1, s30
	s_cselect_b32 s2, s3, s2
	s_cselect_b32 s1, s4, s1
	s_add_i32 s3, s2, 1
	s_cmp_ge_u32 s1, s30
	s_cselect_b32 s1, s3, s2
	s_xor_b32 s1, s1, s0
	s_sub_i32 s0, s1, s0
	s_abs_i32 s2, s0
	s_mul_i32 s1, s0, s11
	s_mul_hi_u32 s3, s2, s38
	s_sub_i32 s1, s33, s1
	s_mul_i32 s4, s3, s34
	s_mul_i32 s52, s1, 0x60
	s_ashr_i32 s1, s0, 31
	s_sub_i32 s2, s2, s4
	s_xor_b32 s1, s1, s37
	s_add_i32 s4, s3, 1
	s_sub_i32 s5, s2, s34
	s_cmp_ge_u32 s2, s34
	s_cselect_b32 s3, s4, s3
	s_cselect_b32 s2, s5, s2
	s_add_i32 s4, s3, 1
	s_cmp_ge_u32 s2, s34
	s_cselect_b32 s2, s4, s3
	s_xor_b32 s2, s2, s1
	s_sub_i32 s1, s2, s1
	s_mul_i32 s2, s1, s13
	s_lshl_b32 s39, s2, 7
	s_cmp_eq_u32 s1, s26
	s_cselect_b32 s20, s27, s13
	s_sub_i32 s2, s52, s16
	s_add_i32 s53, s2, 0x60
	s_and_saveexec_b64 s[2:3], s[24:25]
	s_xor_b64 s[40:41], exec, s[2:3]
	s_cbranch_execz .LBB257_44
; %bb.8:                                ;   in Loop: Header=BB257_7 Depth=1
	s_mul_i32 s1, s1, s12
	s_sub_i32 s0, s0, s1
	s_lshl_b32 s0, s0, 6
	s_sub_i32 s90, s0, s17
	s_add_i32 s90, s90, 64
	s_max_i32 s1, s90, 0
	s_sub_i32 s54, s0, s1
	s_and_saveexec_b64 s[0:1], s[14:15]
	s_xor_b64 s[4:5], exec, s[0:1]
	s_cbranch_execz .LBB257_34
; %bb.9:                                ;   in Loop: Header=BB257_7 Depth=1
	s_and_saveexec_b64 s[2:3], s[28:29]
	s_cbranch_execz .LBB257_33
; %bb.10:                               ;   in Loop: Header=BB257_7 Depth=1
	global_load_dword v97, v33, s[50:51]
	v_writelane_b32 v105, s2, 26
	v_mov_b32_e32 v31, 0
	v_cmp_gt_i32_e32 vcc, s20, v96
	v_writelane_b32 v105, s3, 27
	v_writelane_b32 v105, s4, 28
	v_mov_b32_e32 v30, v31
	v_mov_b32_e32 v29, v31
	;; [unrolled: 1-line block ×12, first 2 shown]
	s_waitcnt lgkmcnt(1)
	v_mov_b32_e32 v18, v31
	v_mov_b32_e32 v17, v31
	;; [unrolled: 1-line block ×19, first 2 shown]
	v_writelane_b32 v105, s5, 29
	s_and_saveexec_b64 s[0:1], vcc
	s_cbranch_execz .LBB257_23
; %bb.11:                               ;   in Loop: Header=BB257_7 Depth=1
	v_mov_b32_e32 v0, 0
	s_mov_b64 s[2:3], 0
	v_mov_b32_e32 v1, v0
	v_mov_b32_e32 v2, v0
	;; [unrolled: 1-line block ×31, first 2 shown]
	s_branch .LBB257_13
.LBB257_12:                             ;   in Loop: Header=BB257_13 Depth=2
	s_or_b64 exec, exec, s[4:5]
	v_add_u32_e32 v104, 0x1000, v101
	ds_read2_b32 v[102:103], v104 offset1:32
	v_add_u32_e32 v96, s23, v96
	s_waitcnt lgkmcnt(0)
	v_mfma_f32_32x32x16_fp8_fp8 v[0:15], v[68:69], v[102:103], v[0:15]
	ds_read2_b32 v[68:69], v104 offset0:128 offset1:160
	s_waitcnt lgkmcnt(0)
	v_mfma_f32_32x32x16_fp8_fp8 v[0:15], v[66:67], v[68:69], v[0:15]
	v_add_u32_e32 v68, 0x1400, v101
	ds_read2_b32 v[66:67], v68 offset1:32
	s_waitcnt lgkmcnt(0)
	v_mfma_f32_32x32x16_fp8_fp8 v[0:15], v[64:65], v[66:67], v[0:15]
	ds_read2_b32 v[64:65], v68 offset0:128 offset1:160
	s_waitcnt lgkmcnt(0)
	v_mfma_f32_32x32x16_fp8_fp8 v[0:15], v[62:63], v[64:65], v[0:15]
	v_add_u32_e32 v64, 0x1800, v101
	ds_read2_b32 v[62:63], v64 offset1:32
	s_waitcnt lgkmcnt(0)
	v_mfma_f32_32x32x16_fp8_fp8 v[0:15], v[60:61], v[62:63], v[0:15]
	ds_read2_b32 v[60:61], v64 offset0:128 offset1:160
	s_waitcnt lgkmcnt(0)
	v_mfma_f32_32x32x16_fp8_fp8 v[0:15], v[58:59], v[60:61], v[0:15]
	v_add_u32_e32 v60, 0x1c00, v101
	ds_read2_b32 v[58:59], v60 offset1:32
	ds_read2_b32 v[60:61], v60 offset0:128 offset1:160
	ds_write_b32 v99, v100 offset:20492
	s_waitcnt lgkmcnt(2)
	v_mfma_f32_32x32x16_fp8_fp8 v[0:15], v[56:57], v[58:59], v[0:15]
	v_add_u32_e32 v56, s23, v98
	v_add_u32_e32 v57, 2, v71
	v_cmp_lt_i32_e32 vcc, 0, v56
	s_nop 1
	v_cndmask_b32_e32 v71, v71, v57, vcc
	v_cmp_le_i32_e32 vcc, s20, v96
	s_waitcnt lgkmcnt(1)
	v_mfma_f32_32x32x16_fp8_fp8 v[0:15], v[54:55], v[60:61], v[0:15]
	s_or_b64 s[2:3], vcc, s[2:3]
	s_andn2_b64 exec, exec, s[2:3]
	s_cbranch_execz .LBB257_22
.LBB257_13:                             ;   Parent Loop BB257_7 Depth=1
                                        ; =>  This Loop Header: Depth=2
                                        ;       Child Loop BB257_15 Depth 3
                                        ;       Child Loop BB257_18 Depth 3
	;; [unrolled: 1-line block ×3, first 2 shown]
	v_cmp_lt_i32_e32 vcc, 0, v56
	s_nop 1
	v_subbrev_co_u32_e32 v98, vcc, 0, v56, vcc
	v_lshlrev_b32_e32 v99, 4, v98
	ds_read_b32 v54, v99 offset:20480
	s_waitcnt lgkmcnt(0)
	v_cmp_ne_u32_e32 vcc, v54, v71
	s_and_saveexec_b64 s[4:5], vcc
	s_cbranch_execz .LBB257_16
; %bb.14:                               ;   in Loop: Header=BB257_13 Depth=2
	s_mov_b64 s[6:7], 0
.LBB257_15:                             ;   Parent Loop BB257_7 Depth=1
                                        ;     Parent Loop BB257_13 Depth=2
                                        ; =>    This Inner Loop Header: Depth=3
	;;#ASMSTART
	s_sleep 0
	;;#ASMEND
	ds_read_b32 v54, v99 offset:20480
	s_waitcnt lgkmcnt(0)
	v_cmp_eq_u32_e32 vcc, v54, v71
	s_or_b64 s[6:7], vcc, s[6:7]
	s_andn2_b64 exec, exec, s[6:7]
	s_cbranch_execnz .LBB257_15
.LBB257_16:                             ;   in Loop: Header=BB257_13 Depth=2
	s_or_b64 exec, exec, s[4:5]
	v_lshl_or_b32 v54, v98, 12, v73
	v_add_u32_e32 v55, 0x400, v54
	ds_read2_b32 v[68:69], v54 offset1:32
	ds_read2_b32 v[66:67], v54 offset0:128 offset1:160
	ds_read2_b32 v[64:65], v55 offset1:32
	ds_read2_b32 v[62:63], v55 offset0:128 offset1:160
	v_add_u32_e32 v55, 0x800, v54
	v_add_u32_e32 v54, 0xc00, v54
	ds_read2_b32 v[60:61], v55 offset1:32
	ds_read2_b32 v[58:59], v55 offset0:128 offset1:160
	ds_read2_b32 v[56:57], v54 offset1:32
	ds_read_b32 v101, v99 offset:20484
	ds_read2_b32 v[54:55], v54 offset0:128 offset1:160
	v_add_u32_e32 v100, 1, v71
	ds_write_b32 v99, v100 offset:20480
	s_waitcnt lgkmcnt(2)
	v_cmp_ne_u32_e32 vcc, v101, v71
	s_and_saveexec_b64 s[4:5], vcc
	s_cbranch_execz .LBB257_19
; %bb.17:                               ;   in Loop: Header=BB257_13 Depth=2
	s_mov_b64 s[6:7], 0
.LBB257_18:                             ;   Parent Loop BB257_7 Depth=1
                                        ;     Parent Loop BB257_13 Depth=2
                                        ; =>    This Inner Loop Header: Depth=3
	;;#ASMSTART
	s_sleep 0
	;;#ASMEND
	ds_read_b32 v101, v99 offset:20484
	s_waitcnt lgkmcnt(0)
	v_cmp_eq_u32_e32 vcc, v101, v71
	s_or_b64 s[6:7], vcc, s[6:7]
	s_andn2_b64 exec, exec, s[6:7]
	s_cbranch_execnz .LBB257_18
.LBB257_19:                             ;   in Loop: Header=BB257_13 Depth=2
	s_or_b64 exec, exec, s[4:5]
	v_lshlrev_b32_e32 v101, 13, v98
	v_add_u32_e32 v101, v74, v101
	ds_read2_b32 v[102:103], v101 offset1:32
	v_add_u32_e32 v104, 0x400, v101
	ds_write_b32 v99, v100 offset:20484
	s_waitcnt lgkmcnt(1)
	v_mfma_f32_32x32x16_fp8_fp8 v[16:31], v[68:69], v[102:103], v[16:31]
	ds_read2_b32 v[102:103], v101 offset0:128 offset1:160
	s_waitcnt lgkmcnt(0)
	v_mfma_f32_32x32x16_fp8_fp8 v[16:31], v[66:67], v[102:103], v[16:31]
	ds_read2_b32 v[102:103], v104 offset1:32
	s_waitcnt lgkmcnt(0)
	v_mfma_f32_32x32x16_fp8_fp8 v[16:31], v[64:65], v[102:103], v[16:31]
	ds_read2_b32 v[102:103], v104 offset0:128 offset1:160
	v_add_u32_e32 v104, 0x800, v101
	s_waitcnt lgkmcnt(0)
	v_mfma_f32_32x32x16_fp8_fp8 v[16:31], v[62:63], v[102:103], v[16:31]
	ds_read2_b32 v[102:103], v104 offset1:32
	s_waitcnt lgkmcnt(0)
	v_mfma_f32_32x32x16_fp8_fp8 v[16:31], v[60:61], v[102:103], v[16:31]
	ds_read2_b32 v[102:103], v104 offset0:128 offset1:160
	v_add_u32_e32 v104, 0xc00, v101
	s_waitcnt lgkmcnt(0)
	v_mfma_f32_32x32x16_fp8_fp8 v[16:31], v[58:59], v[102:103], v[16:31]
	ds_read2_b32 v[102:103], v104 offset1:32
	s_waitcnt lgkmcnt(0)
	v_mfma_f32_32x32x16_fp8_fp8 v[16:31], v[56:57], v[102:103], v[16:31]
	ds_read2_b32 v[102:103], v104 offset0:128 offset1:160
	ds_read_b32 v104, v99 offset:20492
	s_waitcnt lgkmcnt(0)
	v_cmp_ne_u32_e32 vcc, v104, v71
	v_mfma_f32_32x32x16_fp8_fp8 v[16:31], v[54:55], v[102:103], v[16:31]
	s_and_saveexec_b64 s[4:5], vcc
	s_cbranch_execz .LBB257_12
; %bb.20:                               ;   in Loop: Header=BB257_13 Depth=2
	s_mov_b64 s[6:7], 0
.LBB257_21:                             ;   Parent Loop BB257_7 Depth=1
                                        ;     Parent Loop BB257_13 Depth=2
                                        ; =>    This Inner Loop Header: Depth=3
	;;#ASMSTART
	s_sleep 0
	;;#ASMEND
	ds_read_b32 v102, v99 offset:20492
	s_waitcnt lgkmcnt(0)
	v_cmp_eq_u32_e32 vcc, v102, v71
	s_or_b64 s[6:7], vcc, s[6:7]
	s_andn2_b64 exec, exec, s[6:7]
	s_cbranch_execnz .LBB257_21
	s_branch .LBB257_12
.LBB257_22:                             ;   in Loop: Header=BB257_7 Depth=1
	s_or_b64 exec, exec, s[2:3]
.LBB257_23:                             ;   in Loop: Header=BB257_7 Depth=1
	v_writelane_b32 v105, s54, 30
	s_nop 1
	v_writelane_b32 v105, s55, 31
	v_writelane_b32 v105, s40, 32
	s_nop 1
	v_writelane_b32 v105, s41, 33
	v_writelane_b32 v105, s53, 34
	;; [unrolled: 1-line block ×4, first 2 shown]
	s_or_b64 exec, exec, s[0:1]
	v_cmp_le_i32_e32 vcc, s90, v72
	v_cmp_eq_u32_e64 s[86:87], 1, v75
	v_cmp_eq_u32_e64 s[50:51], 2, v75
	s_waitcnt vmcnt(0)
	v_cndmask_b32_e32 v54, 0, v97, vcc
	v_pk_mul_f32 v[16:17], v[54:55], v[16:17] op_sel_hi:[0,1]
	v_pk_mul_f32 v[30:31], v[54:55], v[30:31] op_sel_hi:[0,1]
	;; [unrolled: 1-line block ×8, first 2 shown]
	v_cndmask_b32_e64 v54, v16, v17, s[86:87]
	v_cndmask_b32_e64 v54, v54, v18, s[50:51]
	v_cmp_eq_u32_e64 s[54:55], 3, v75
	v_cmp_eq_u32_e64 s[56:57], 4, v75
	v_cmp_eq_u32_e64 s[60:61], 5, v75
	v_cndmask_b32_e64 v54, v54, v19, s[54:55]
	v_cndmask_b32_e64 v54, v54, v20, s[56:57]
	v_cndmask_b32_e64 v54, v54, v21, s[60:61]
	v_cmp_eq_u32_e64 s[64:65], 6, v75
	v_cmp_eq_u32_e64 s[68:69], 7, v75
	v_cmp_eq_u32_e64 s[72:73], 8, v75
	v_cndmask_b32_e64 v54, v54, v22, s[64:65]
	;; [unrolled: 6-line block ×5, first 2 shown]
	ds_bpermute_b32 v54, v95, v54
	v_cmp_eq_u32_e64 s[26:27], 2, v76
	v_cmp_eq_u32_e64 s[28:29], 3, v76
	;; [unrolled: 1-line block ×4, first 2 shown]
	s_waitcnt lgkmcnt(0)
	v_cndmask_b32_e64 v62, v17, v54, s[86:87]
	v_cndmask_b32_e64 v16, v16, v54, s[70:71]
	;; [unrolled: 1-line block ×12, first 2 shown]
	v_cmp_eq_u32_e64 s[36:37], 6, v76
	v_cndmask_b32_e64 v55, v23, v54, s[68:69]
	v_cmp_eq_u32_e64 s[38:39], 7, v76
	v_cndmask_b32_e64 v17, v17, v57, s[36:37]
	v_cndmask_b32_e64 v24, v24, v54, s[72:73]
	v_cndmask_b32_e64 v17, v17, v55, s[38:39]
	v_cmp_eq_u32_e64 s[42:43], 8, v76
	v_cndmask_b32_e64 v25, v25, v54, s[76:77]
	v_cmp_eq_u32_e64 s[44:45], 9, v76
	v_cndmask_b32_e64 v17, v17, v24, s[42:43]
	v_cndmask_b32_e64 v26, v26, v54, s[78:79]
	v_cndmask_b32_e64 v17, v17, v25, s[44:45]
	;; [unrolled: 6-line block ×4, first 2 shown]
	v_cmp_eq_u32_e64 s[62:63], 14, v76
	v_cndmask_b32_e64 v31, v31, v54, s[88:89]
	v_cmp_eq_u32_e64 s[66:67], 15, v76
	v_cndmask_b32_e64 v17, v17, v30, s[62:63]
	v_cmp_le_i32_e64 s[90:91], s90, v83
	v_cndmask_b32_e64 v17, v17, v31, s[66:67]
	ds_bpermute_b32 v54, v95, v17
	v_cmp_eq_u32_e64 s[40:41], 0, v76
	v_cmp_eq_u32_e64 s[4:5], 1, v77
	;; [unrolled: 1-line block ×4, first 2 shown]
	s_waitcnt lgkmcnt(0)
	v_cndmask_b32_e64 v21, v27, v54, s[48:49]
	v_cndmask_b32_e64 v27, v58, v54, s[34:35]
	;; [unrolled: 1-line block ×3, first 2 shown]
	v_pk_mul_f32 v[0:1], v[58:59], v[0:1] op_sel_hi:[0,1]
	v_cndmask_b32_e64 v23, v25, v54, s[44:45]
	v_cndmask_b32_e64 v25, v55, v54, s[38:39]
	v_pk_mul_f32 v[2:3], v[58:59], v[2:3] op_sel_hi:[0,1]
	v_cndmask_b32_e64 v55, v0, v1, s[86:87]
	v_cndmask_b32_e64 v55, v55, v2, s[50:51]
	;; [unrolled: 3-line block ×6, first 2 shown]
	v_cndmask_b32_e64 v17, v31, v54, s[66:67]
	v_cndmask_b32_e64 v31, v62, v54, s[24:25]
	;; [unrolled: 1-line block ×3, first 2 shown]
	v_pk_mul_f32 v[12:13], v[58:59], v[12:13] op_sel_hi:[0,1]
	v_cndmask_b32_e64 v55, v55, v11, s[74:75]
	v_cndmask_b32_e64 v18, v30, v54, s[62:63]
	;; [unrolled: 1-line block ×13, first 2 shown]
	v_pk_mul_f32 v[14:15], v[58:59], v[14:15] op_sel_hi:[0,1]
	v_cndmask_b32_e64 v55, v55, v13, s[82:83]
	v_cndmask_b32_e64 v54, v54, v29, s[8:9]
	v_cmp_eq_u32_e64 s[10:11], 4, v77
	v_cndmask_b32_e64 v55, v55, v14, s[84:85]
	v_cmp_eq_u32_e64 s[12:13], 5, v77
	v_cndmask_b32_e64 v54, v54, v28, s[10:11]
	v_cndmask_b32_e64 v55, v55, v15, s[88:89]
	;; [unrolled: 1-line block ×3, first 2 shown]
	v_cmp_eq_u32_e64 s[14:15], 6, v77
	ds_bpermute_b32 v55, v95, v55
	v_cmp_eq_u32_e64 s[96:97], 7, v77
	v_cndmask_b32_e64 v54, v54, v26, s[14:15]
	v_cmp_eq_u32_e64 s[98:99], 8, v77
	v_cndmask_b32_e64 v54, v54, v25, s[96:97]
	v_cmp_eq_u32_e32 vcc, 9, v77
	v_cndmask_b32_e64 v54, v54, v24, s[98:99]
	v_cmp_eq_u32_e64 s[0:1], 10, v77
	v_cndmask_b32_e32 v54, v54, v23, vcc
	v_cmp_eq_u32_e64 s[86:87], 11, v77
	v_cndmask_b32_e64 v54, v54, v22, s[0:1]
	s_waitcnt lgkmcnt(0)
	v_cndmask_b32_e64 v2, v2, v55, s[50:51]
	v_cmp_ne_u32_e64 s[50:51], 0, v75
	v_cndmask_b32_e64 v54, v54, v21, s[86:87]
	v_cmp_eq_u32_e64 s[90:91], 12, v77
	v_cndmask_b32_e64 v1, v1, v55, s[50:51]
	v_cndmask_b32_e64 v0, v0, v55, s[70:71]
	;; [unrolled: 1-line block ×4, first 2 shown]
	v_cmp_eq_u32_e64 s[88:89], 13, v77
	v_cndmask_b32_e64 v14, v14, v55, s[84:85]
	v_cndmask_b32_e64 v13, v13, v55, s[82:83]
	;; [unrolled: 1-line block ×14, first 2 shown]
	v_cmp_eq_u32_e64 s[84:85], 14, v77
	v_cndmask_b32_e64 v55, v55, v2, s[26:27]
	v_cmp_eq_u32_e64 s[82:83], 15, v77
	v_cndmask_b32_e64 v54, v54, v18, s[84:85]
	v_cndmask_b32_e64 v55, v55, v3, s[28:29]
	;; [unrolled: 1-line block ×4, first 2 shown]
	ds_bpermute_b32 v54, v95, v54
	v_cndmask_b32_e64 v55, v55, v5, s[34:35]
	v_cndmask_b32_e64 v55, v55, v6, s[36:37]
	;; [unrolled: 1-line block ×4, first 2 shown]
	v_cmp_eq_u32_e64 s[80:81], 0, v77
	v_cndmask_b32_e64 v55, v55, v9, s[44:45]
	s_waitcnt lgkmcnt(0)
	v_cndmask_b32_e64 v31, v31, v54, s[4:5]
	v_cndmask_b32_e64 v16, v16, v54, s[80:81]
	v_cmp_eq_u32_e64 s[74:75], 1, v78
	v_cndmask_b32_e64 v55, v55, v10, s[46:47]
	v_cndmask_b32_e64 v17, v17, v54, s[82:83]
	;; [unrolled: 1-line block ×7, first 2 shown]
	v_cndmask_b32_e32 v23, v23, v54, vcc
	v_cndmask_b32_e64 v24, v24, v54, s[98:99]
	v_cndmask_b32_e64 v25, v25, v54, s[96:97]
	;; [unrolled: 1-line block ×8, first 2 shown]
	v_cmp_eq_u32_e64 s[78:79], 2, v78
	v_cndmask_b32_e64 v55, v55, v11, s[48:49]
	v_cmp_eq_u32_e64 s[76:77], 3, v78
	v_cndmask_b32_e64 v54, v54, v30, s[78:79]
	v_cndmask_b32_e64 v55, v55, v12, s[52:53]
	;; [unrolled: 1-line block ×3, first 2 shown]
	v_cmp_eq_u32_e64 s[72:73], 4, v78
	v_cndmask_b32_e64 v55, v55, v13, s[58:59]
	v_cmp_eq_u32_e64 s[68:69], 5, v78
	v_cndmask_b32_e64 v54, v54, v28, s[72:73]
	v_cndmask_b32_e64 v55, v55, v14, s[62:63]
	;; [unrolled: 1-line block ×3, first 2 shown]
	v_cmp_eq_u32_e64 s[64:65], 6, v78
	v_cndmask_b32_e64 v55, v55, v15, s[66:67]
	v_cmp_eq_u32_e64 s[60:61], 7, v78
	v_cndmask_b32_e64 v54, v54, v26, s[64:65]
	ds_bpermute_b32 v55, v95, v55
	v_cndmask_b32_e64 v54, v54, v25, s[60:61]
	v_cmp_eq_u32_e64 s[56:57], 8, v78
	v_cmp_eq_u32_e64 s[54:55], 9, v78
	;; [unrolled: 1-line block ×3, first 2 shown]
	v_cndmask_b32_e64 v54, v54, v24, s[56:57]
	v_cndmask_b32_e64 v54, v54, v23, s[54:55]
	;; [unrolled: 1-line block ×3, first 2 shown]
	v_cmp_eq_u32_e64 s[70:71], 11, v78
	s_waitcnt lgkmcnt(0)
	v_cndmask_b32_e64 v15, v15, v55, s[66:67]
	v_cmp_eq_u32_e64 s[66:67], 12, v78
	v_cndmask_b32_e64 v54, v54, v21, s[70:71]
	v_cndmask_b32_e64 v14, v14, v55, s[62:63]
	;; [unrolled: 1-line block ×3, first 2 shown]
	v_cmp_eq_u32_e64 s[62:63], 13, v78
	v_cndmask_b32_e64 v1, v1, v55, s[24:25]
	v_cndmask_b32_e64 v0, v0, v55, s[40:41]
	;; [unrolled: 1-line block ×4, first 2 shown]
	v_cmp_eq_u32_e64 s[92:93], 14, v78
	v_cndmask_b32_e64 v12, v12, v55, s[52:53]
	v_cndmask_b32_e64 v11, v11, v55, s[48:49]
	;; [unrolled: 1-line block ×13, first 2 shown]
	v_cmp_eq_u32_e64 s[94:95], 15, v78
	v_cndmask_b32_e64 v55, v55, v2, s[6:7]
	v_cndmask_b32_e64 v55, v55, v3, s[8:9]
	;; [unrolled: 1-line block ×3, first 2 shown]
	ds_bpermute_b32 v54, v95, v54
	v_cndmask_b32_e64 v55, v55, v4, s[10:11]
	v_cndmask_b32_e64 v55, v55, v5, s[12:13]
	v_cndmask_b32_e64 v55, v55, v6, s[14:15]
	v_cndmask_b32_e64 v55, v55, v7, s[96:97]
	v_cmp_eq_u32_e64 s[48:49], 0, v78
	v_cndmask_b32_e64 v55, v55, v8, s[98:99]
	s_waitcnt lgkmcnt(0)
	v_cndmask_b32_e64 v31, v31, v54, s[74:75]
	v_cndmask_b32_e64 v16, v16, v54, s[48:49]
	v_cmp_eq_u32_e64 s[46:47], 1, v79
	v_cndmask_b32_e32 v55, v55, v9, vcc
	v_cndmask_b32_e64 v17, v17, v54, s[94:95]
	v_cndmask_b32_e64 v18, v18, v54, s[92:93]
	v_cndmask_b32_e64 v19, v19, v54, s[62:63]
	v_cndmask_b32_e64 v20, v20, v54, s[66:67]
	v_cndmask_b32_e64 v21, v21, v54, s[70:71]
	v_cndmask_b32_e64 v22, v22, v54, s[50:51]
	v_cndmask_b32_e64 v23, v23, v54, s[54:55]
	v_cndmask_b32_e64 v24, v24, v54, s[56:57]
	v_cndmask_b32_e64 v25, v25, v54, s[60:61]
	v_cndmask_b32_e64 v26, v26, v54, s[64:65]
	v_cndmask_b32_e64 v27, v27, v54, s[68:69]
	v_cndmask_b32_e64 v28, v28, v54, s[72:73]
	v_cndmask_b32_e64 v29, v29, v54, s[76:77]
	v_cndmask_b32_e64 v30, v30, v54, s[78:79]
	v_cndmask_b32_e64 v54, v16, v31, s[46:47]
	v_cmp_eq_u32_e64 s[44:45], 2, v79
	v_cndmask_b32_e64 v55, v55, v10, s[0:1]
	v_cmp_eq_u32_e64 s[42:43], 3, v79
	v_cndmask_b32_e64 v54, v54, v30, s[44:45]
	v_cndmask_b32_e64 v55, v55, v11, s[86:87]
	v_cndmask_b32_e64 v54, v54, v29, s[42:43]
	v_cmp_eq_u32_e64 s[38:39], 4, v79
	v_cndmask_b32_e64 v55, v55, v12, s[90:91]
	v_cmp_eq_u32_e64 s[36:37], 5, v79
	v_cndmask_b32_e64 v54, v54, v28, s[38:39]
	v_cndmask_b32_e64 v55, v55, v13, s[88:89]
	v_cndmask_b32_e64 v54, v54, v27, s[36:37]
	;; [unrolled: 6-line block ×3, first 2 shown]
	v_cmp_eq_u32_e64 s[28:29], 8, v79
	ds_bpermute_b32 v55, v95, v55
	v_cmp_eq_u32_e64 s[26:27], 9, v79
	v_cndmask_b32_e64 v54, v54, v24, s[28:29]
	v_cmp_eq_u32_e64 s[24:25], 10, v79
	v_cndmask_b32_e64 v54, v54, v23, s[26:27]
	;; [unrolled: 2-line block ×4, first 2 shown]
	s_waitcnt lgkmcnt(0)
	v_cndmask_b32_e64 v15, v15, v55, s[82:83]
	v_cndmask_b32_e64 v54, v54, v20, s[58:59]
	v_cmp_eq_u32_e64 s[82:83], 13, v79
	v_cndmask_b32_e64 v14, v14, v55, s[84:85]
	v_cmp_eq_u32_e64 s[84:85], 14, v79
	v_cndmask_b32_e64 v54, v54, v19, s[82:83]
	v_cndmask_b32_e64 v1, v1, v55, s[4:5]
	;; [unrolled: 1-line block ×6, first 2 shown]
	v_cmp_eq_u32_e64 s[90:91], 15, v79
	v_cndmask_b32_e64 v11, v11, v55, s[86:87]
	v_cndmask_b32_e64 v10, v10, v55, s[0:1]
	v_cndmask_b32_e32 v9, v9, v55, vcc
	v_cndmask_b32_e64 v8, v8, v55, s[98:99]
	v_cndmask_b32_e64 v7, v7, v55, s[96:97]
	;; [unrolled: 1-line block ×10, first 2 shown]
	ds_bpermute_b32 v54, v95, v54
	v_cndmask_b32_e64 v55, v55, v3, s[76:77]
	v_cndmask_b32_e64 v55, v55, v4, s[72:73]
	;; [unrolled: 1-line block ×4, first 2 shown]
	v_cmp_eq_u32_e64 s[52:53], 0, v79
	v_cndmask_b32_e64 v55, v55, v7, s[60:61]
	s_waitcnt lgkmcnt(0)
	v_cndmask_b32_e64 v31, v31, v54, s[46:47]
	v_cndmask_b32_e64 v16, v16, v54, s[52:53]
	v_cmp_eq_u32_e64 s[0:1], 1, v80
	v_cndmask_b32_e64 v55, v55, v8, s[56:57]
	v_cndmask_b32_e64 v17, v17, v54, s[90:91]
	v_cndmask_b32_e64 v18, v18, v54, s[84:85]
	v_cndmask_b32_e64 v19, v19, v54, s[82:83]
	v_cndmask_b32_e64 v20, v20, v54, s[58:59]
	v_cndmask_b32_e64 v21, v21, v54, s[40:41]
	v_cndmask_b32_e64 v22, v22, v54, s[24:25]
	v_cndmask_b32_e64 v23, v23, v54, s[26:27]
	v_cndmask_b32_e64 v24, v24, v54, s[28:29]
	v_cndmask_b32_e64 v25, v25, v54, s[30:31]
	v_cndmask_b32_e64 v26, v26, v54, s[34:35]
	v_cndmask_b32_e64 v27, v27, v54, s[36:37]
	v_cndmask_b32_e64 v28, v28, v54, s[38:39]
	v_cndmask_b32_e64 v29, v29, v54, s[42:43]
	v_cndmask_b32_e64 v30, v30, v54, s[44:45]
	v_cndmask_b32_e64 v54, v16, v31, s[0:1]
	v_cmp_eq_u32_e64 s[2:3], 2, v80
	v_cndmask_b32_e64 v55, v55, v9, s[54:55]
	v_cmp_eq_u32_e64 s[98:99], 3, v80
	v_cndmask_b32_e64 v54, v54, v30, s[2:3]
	v_cndmask_b32_e64 v55, v55, v10, s[50:51]
	v_cndmask_b32_e64 v54, v54, v29, s[98:99]
	v_cmp_eq_u32_e64 s[96:97], 4, v80
	v_cndmask_b32_e64 v55, v55, v11, s[70:71]
	v_cmp_eq_u32_e64 s[14:15], 5, v80
	v_cndmask_b32_e64 v54, v54, v28, s[96:97]
	v_cndmask_b32_e64 v55, v55, v12, s[66:67]
	v_cndmask_b32_e64 v54, v54, v27, s[14:15]
	;; [unrolled: 6-line block ×3, first 2 shown]
	v_cmp_eq_u32_e64 s[8:9], 8, v80
	v_cndmask_b32_e64 v55, v55, v15, s[94:95]
	v_cmp_eq_u32_e64 s[6:7], 9, v80
	v_cndmask_b32_e64 v54, v54, v24, s[8:9]
	ds_bpermute_b32 v55, v95, v55
	v_cndmask_b32_e64 v54, v54, v23, s[6:7]
	v_cmp_eq_u32_e32 vcc, 10, v80
	v_cmp_eq_u32_e64 s[80:81], 11, v80
	v_cmp_eq_u32_e64 s[86:87], 12, v80
	v_cndmask_b32_e32 v54, v54, v22, vcc
	v_cndmask_b32_e64 v54, v54, v21, s[80:81]
	v_cndmask_b32_e64 v54, v54, v20, s[86:87]
	v_cmp_eq_u32_e64 s[88:89], 13, v80
	s_waitcnt lgkmcnt(0)
	v_cndmask_b32_e64 v13, v13, v55, s[62:63]
	v_cmp_eq_u32_e64 s[62:63], 14, v80
	v_cndmask_b32_e64 v54, v54, v19, s[88:89]
	v_cndmask_b32_e64 v12, v12, v55, s[66:67]
	;; [unrolled: 1-line block ×3, first 2 shown]
	v_cmp_eq_u32_e64 s[66:67], 15, v80
	v_cndmask_b32_e64 v57, v11, v55, s[70:71]
	v_cmp_eq_u32_e64 s[70:71], 0, v80
	v_cndmask_b32_e64 v54, v54, v17, s[66:67]
	ds_bpermute_b32 v54, v95, v54
	v_cndmask_b32_e64 v15, v15, v55, s[94:95]
	v_cndmask_b32_e64 v14, v14, v55, s[92:93]
	;; [unrolled: 1-line block ×4, first 2 shown]
	s_waitcnt lgkmcnt(0)
	v_cndmask_b32_e64 v17, v17, v54, s[66:67]
	v_cndmask_b32_e64 v18, v18, v54, s[62:63]
	;; [unrolled: 1-line block ×5, first 2 shown]
	v_cndmask_b32_e32 v22, v22, v54, vcc
	v_cndmask_b32_e64 v23, v23, v54, s[6:7]
	v_cndmask_b32_e64 v24, v24, v54, s[8:9]
	;; [unrolled: 1-line block ×28, first 2 shown]
	v_cmp_eq_u32_e64 s[50:51], 1, v81
	v_cndmask_b32_e64 v0, v0, v54, s[24:25]
	v_cmp_eq_u32_e64 s[54:55], 2, v81
	v_cndmask_b32_e64 v10, v16, v31, s[50:51]
	v_cndmask_b32_e64 v0, v0, v57, s[40:41]
	v_cndmask_b32_e64 v9, v10, v30, s[54:55]
	v_cmp_eq_u32_e64 s[56:57], 3, v81
	v_cndmask_b32_e64 v0, v0, v12, s[58:59]
	v_cmp_eq_u32_e64 s[60:61], 4, v81
	v_cndmask_b32_e64 v8, v9, v29, s[56:57]
	v_cndmask_b32_e64 v0, v0, v13, s[82:83]
	v_cndmask_b32_e64 v7, v8, v28, s[60:61]
	;; [unrolled: 6-line block ×3, first 2 shown]
	v_cmp_eq_u32_e64 s[72:73], 7, v81
	ds_bpermute_b32 v67, v95, v0
	v_cmp_eq_u32_e64 s[76:77], 8, v81
	v_cndmask_b32_e64 v4, v5, v25, s[72:73]
	v_cmp_eq_u32_e64 s[78:79], 9, v81
	v_cndmask_b32_e64 v3, v4, v24, s[76:77]
	;; [unrolled: 2-line block ×4, first 2 shown]
	s_waitcnt lgkmcnt(0)
	v_cndmask_b32_e64 v68, v15, v67, s[90:91]
	v_cndmask_b32_e64 v0, v0, v21, s[74:75]
	v_cmp_eq_u32_e64 s[90:91], 12, v81
	v_cndmask_b32_e64 v69, v14, v67, s[84:85]
	v_cmp_eq_u32_e64 s[84:85], 13, v81
	v_cndmask_b32_e64 v0, v0, v20, s[90:91]
	v_cndmask_b32_e64 v97, v13, v67, s[82:83]
	;; [unrolled: 1-line block ×3, first 2 shown]
	v_cmp_eq_u32_e64 s[82:83], 14, v81
	v_cndmask_b32_e64 v98, v12, v67, s[58:59]
	v_cmp_eq_u32_e64 s[58:59], 15, v81
	v_cndmask_b32_e64 v0, v0, v18, s[82:83]
	s_nop 0
	v_cndmask_b32_e64 v0, v0, v17, s[58:59]
	ds_bpermute_b32 v1, v95, v0
	s_waitcnt lgkmcnt(0)
	v_cndmask_b32_e64 v12, v27, v1, s[64:65]
	v_cndmask_b32_e64 v13, v28, v1, s[60:61]
	;; [unrolled: 1-line block ×29, first 2 shown]
	v_cmp_eq_u32_e64 s[40:41], 0, v81
	v_cndmask_b32_e64 v19, v58, v67, s[26:27]
	v_cndmask_b32_e64 v29, v29, v20, s[8:9]
	;; [unrolled: 1-line block ×8, first 2 shown]
	v_cndmask_b32_e32 v29, v29, v16, vcc
	v_cndmask_b32_e64 v29, v29, v17, s[80:81]
	v_cndmask_b32_e64 v29, v29, v98, s[86:87]
	;; [unrolled: 1-line block ×5, first 2 shown]
	ds_bpermute_b32 v29, v95, v29
	v_cmp_eq_u32_e64 s[24:25], 1, v82
	v_cmp_eq_u32_e64 s[26:27], 2, v82
	v_cmp_eq_u32_e64 s[28:29], 3, v82
	v_cndmask_b32_e64 v18, v1, v0, s[24:25]
	s_waitcnt lgkmcnt(0)
	v_cndmask_b32_e64 v65, v27, v29, s[0:1]
	v_cndmask_b32_e64 v66, v28, v29, s[70:71]
	;; [unrolled: 1-line block ×18, first 2 shown]
	v_cndmask_b32_e32 v16, v16, v29, vcc
	v_cndmask_b32_e64 v19, v19, v57, s[78:79]
	v_cndmask_b32_e64 v17, v17, v29, s[80:81]
	;; [unrolled: 1-line block ×12, first 2 shown]
	ds_bpermute_b32 v67, v95, v19
	v_cndmask_b32_e64 v18, v18, v15, s[26:27]
	v_cndmask_b32_e64 v18, v18, v14, s[28:29]
	v_cmp_eq_u32_e64 s[30:31], 4, v82
	v_cmp_eq_u32_e64 s[34:35], 5, v82
	s_waitcnt lgkmcnt(0)
	v_cndmask_b32_e64 v23, v17, v67, s[74:75]
	v_cndmask_b32_e64 v24, v16, v67, s[48:49]
	v_cndmask_b32_e64 v16, v65, v67, s[50:51]
	v_cndmask_b32_e64 v17, v66, v67, s[40:41]
	v_cndmask_b32_e64 v21, v54, v67, s[84:85]
	v_cndmask_b32_e64 v22, v55, v67, s[90:91]
	v_cndmask_b32_e64 v54, v64, v67, s[54:55]
	v_cndmask_b32_e64 v55, v17, v16, s[24:25]
	v_cndmask_b32_e64 v20, v31, v67, s[82:83]
	v_cndmask_b32_e64 v31, v63, v67, s[56:57]
	v_cndmask_b32_e64 v55, v55, v54, s[26:27]
	v_cndmask_b32_e64 v19, v30, v67, s[58:59]
	v_cndmask_b32_e64 v30, v62, v67, s[60:61]
	v_cndmask_b32_e64 v55, v55, v31, s[28:29]
	v_cndmask_b32_e64 v18, v18, v13, s[30:31]
	v_cndmask_b32_e64 v29, v61, v67, s[64:65]
	v_cndmask_b32_e64 v55, v55, v30, s[30:31]
	v_cndmask_b32_e64 v18, v18, v12, s[34:35]
	v_cmp_eq_u32_e64 s[36:37], 6, v82
	v_cndmask_b32_e64 v28, v60, v67, s[68:69]
	v_cndmask_b32_e64 v55, v55, v29, s[34:35]
	v_cndmask_b32_e64 v18, v18, v11, s[36:37]
	v_cmp_eq_u32_e64 s[38:39], 7, v82
	v_cndmask_b32_e64 v27, v59, v67, s[72:73]
	v_cndmask_b32_e64 v55, v55, v28, s[36:37]
	v_cndmask_b32_e64 v18, v18, v10, s[38:39]
	;; [unrolled: 4-line block ×4, first 2 shown]
	v_cmp_eq_u32_e64 s[46:47], 10, v82
	v_cndmask_b32_e64 v55, v55, v25, s[44:45]
	v_cmp_eq_u32_e64 s[52:53], 11, v82
	v_cndmask_b32_e64 v18, v18, v7, s[46:47]
	v_cndmask_b32_e64 v55, v55, v24, s[46:47]
	;; [unrolled: 1-line block ×3, first 2 shown]
	v_cmp_eq_u32_e64 s[66:67], 12, v82
	v_cndmask_b32_e64 v55, v55, v23, s[52:53]
	v_cmp_eq_u32_e64 s[62:63], 13, v82
	v_cndmask_b32_e64 v18, v18, v5, s[66:67]
	v_cndmask_b32_e64 v55, v55, v22, s[66:67]
	;; [unrolled: 1-line block ×3, first 2 shown]
	v_cmp_eq_u32_e32 vcc, 14, v82
	v_cndmask_b32_e64 v55, v55, v21, s[62:63]
	v_cmp_eq_u32_e64 s[6:7], 15, v82
	v_cndmask_b32_e32 v18, v18, v3, vcc
	v_cndmask_b32_e32 v55, v55, v20, vcc
	v_cndmask_b32_e64 v18, v18, v2, s[6:7]
	v_cndmask_b32_e64 v55, v55, v19, s[6:7]
	ds_bpermute_b32 v18, v95, v18
	ds_bpermute_b32 v58, v95, v55
	v_readlane_b32 s53, v105, 34
	s_nop 1
	v_cmp_lt_i32_e32 vcc, s53, v84
	s_and_saveexec_b64 s[40:41], vcc
	v_readlane_b32 s44, v105, 2
	v_readlane_b32 s45, v105, 3
	;; [unrolled: 1-line block ×11, first 2 shown]
	s_cbranch_execz .LBB257_32
; %bb.24:                               ;   in Loop: Header=BB257_7 Depth=1
	s_mul_i32 s0, s52, s17
	s_ashr_i32 s1, s0, 31
	s_lshl_b64 s[0:1], s[0:1], 1
	s_add_u32 s2, s48, s0
	v_cmp_eq_u32_e64 s[34:35], 1, v82
	v_cmp_eq_u32_e64 s[36:37], 0, v82
	s_addc_u32 s3, s49, s1
	s_ashr_i32 s55, s54, 31
	s_waitcnt lgkmcnt(1)
	v_cndmask_b32_e64 v55, v0, v18, s[34:35]
	v_cndmask_b32_e64 v57, v1, v18, s[36:37]
	s_lshl_b64 s[0:1], s[54:55], 1
	s_waitcnt lgkmcnt(0)
	v_cndmask_b32_e64 v59, v16, v58, s[34:35]
	v_cndmask_b32_e64 v60, v17, v58, s[36:37]
	v_cvt_f16_f32_e32 v57, v57
	v_cvt_f16_f32_sdwa v55, v55 dst_sel:WORD_1 dst_unused:UNUSED_PAD src0_sel:DWORD
	s_add_u32 s42, s2, s0
	v_cvt_f16_f32_e32 v60, v60
	v_cvt_f16_f32_sdwa v59, v59 dst_sel:WORD_1 dst_unused:UNUSED_PAD src0_sel:DWORD
	s_addc_u32 s43, s3, s1
	v_lshl_add_u64 v[0:1], s[42:43], 0, v[32:33]
	v_cmp_eq_u32_e32 vcc, 15, v82
	v_cmp_eq_u32_e64 s[6:7], 14, v82
	v_cmp_eq_u32_e64 s[8:9], 13, v82
	;; [unrolled: 1-line block ×13, first 2 shown]
	v_lshl_add_u64 v[16:17], v[34:35], 1, v[0:1]
	v_or_b32_e32 v55, v55, v57
	v_cmp_lt_i32_e64 s[34:35], s53, v85
	;;#ASMSTART
	global_atomic_pk_add_f16 v[16:17], v55, off
	
	;;#ASMEND
	v_lshl_add_u64 v[16:17], v[16:17], 0, 64
	v_or_b32_e32 v55, v59, v60
	;;#ASMSTART
	global_atomic_pk_add_f16 v[16:17], v55, off
	
	;;#ASMEND
	s_and_b64 exec, exec, s[34:35]
	s_cbranch_execz .LBB257_32
; %bb.25:                               ;   in Loop: Header=BB257_7 Depth=1
	v_cndmask_b32_e32 v2, v2, v18, vcc
	v_cndmask_b32_e64 v3, v3, v18, s[6:7]
	v_cndmask_b32_e64 v16, v4, v18, s[8:9]
	;; [unrolled: 1-line block ×19, first 2 shown]
	v_cvt_f16_f32_e32 v22, v18
	v_cvt_f16_f32_sdwa v23, v65 dst_sel:WORD_1 dst_unused:UNUSED_PAD src0_sel:DWORD
	v_cvt_f16_f32_e32 v21, v21
	v_cvt_f16_f32_sdwa v20, v20 dst_sel:WORD_1 dst_unused:UNUSED_PAD src0_sel:DWORD
	v_cndmask_b32_e32 v4, v19, v58, vcc
	v_cndmask_b32_e64 v9, v24, v58, s[14:15]
	v_cndmask_b32_e64 v10, v25, v58, s[0:1]
	;; [unrolled: 1-line block ×7, first 2 shown]
	v_lshl_add_u64 v[18:19], v[36:37], 1, v[0:1]
	v_cmp_lt_i32_e32 vcc, s53, v86
	v_or_b32_e32 v22, v23, v22
	;;#ASMSTART
	global_atomic_pk_add_f16 v[18:19], v22, off
	
	;;#ASMEND
	v_lshl_add_u64 v[18:19], v[18:19], 0, 64
	v_or_b32_e32 v20, v20, v21
	;;#ASMSTART
	global_atomic_pk_add_f16 v[18:19], v20, off
	
	;;#ASMEND
	s_and_b64 exec, exec, vcc
	s_cbranch_execz .LBB257_32
; %bb.26:                               ;   in Loop: Header=BB257_7 Depth=1
	v_cvt_f16_f32_e32 v20, v64
	v_cvt_f16_f32_sdwa v21, v63 dst_sel:WORD_1 dst_unused:UNUSED_PAD src0_sel:DWORD
	v_cvt_f16_f32_e32 v22, v15
	v_cvt_f16_f32_sdwa v23, v14 dst_sel:WORD_1 dst_unused:UNUSED_PAD src0_sel:DWORD
	v_lshl_add_u64 v[18:19], v[38:39], 1, v[0:1]
	v_or_b32_e32 v14, v21, v20
	v_cmp_lt_i32_e32 vcc, s53, v87
	;;#ASMSTART
	global_atomic_pk_add_f16 v[18:19], v14, off
	
	;;#ASMEND
	v_lshl_add_u64 v[14:15], v[18:19], 0, 64
	v_or_b32_e32 v18, v23, v22
	;;#ASMSTART
	global_atomic_pk_add_f16 v[14:15], v18, off
	
	;;#ASMEND
	s_and_b64 exec, exec, vcc
	s_cbranch_execz .LBB257_32
; %bb.27:                               ;   in Loop: Header=BB257_7 Depth=1
	v_cvt_f16_f32_e32 v18, v62
	v_cvt_f16_f32_sdwa v19, v61 dst_sel:WORD_1 dst_unused:UNUSED_PAD src0_sel:DWORD
	v_cvt_f16_f32_e32 v20, v13
	v_cvt_f16_f32_sdwa v21, v12 dst_sel:WORD_1 dst_unused:UNUSED_PAD src0_sel:DWORD
	v_lshl_add_u64 v[14:15], v[40:41], 1, v[0:1]
	v_or_b32_e32 v12, v19, v18
	v_cmp_lt_i32_e32 vcc, s53, v88
	;; [unrolled: 20-line block ×5, first 2 shown]
	;;#ASMSTART
	global_atomic_pk_add_f16 v[8:9], v6, off
	
	;;#ASMEND
	v_lshl_add_u64 v[6:7], v[8:9], 0, 64
	v_or_b32_e32 v8, v13, v12
	;;#ASMSTART
	global_atomic_pk_add_f16 v[6:7], v8, off
	
	;;#ASMEND
	s_and_b64 exec, exec, vcc
	s_cbranch_execz .LBB257_32
; %bb.31:                               ;   in Loop: Header=BB257_7 Depth=1
	v_cvt_f16_f32_e32 v3, v3
	v_cvt_f16_f32_sdwa v2, v2 dst_sel:WORD_1 dst_unused:UNUSED_PAD src0_sel:DWORD
	v_cvt_f16_f32_e32 v5, v5
	v_cvt_f16_f32_sdwa v4, v4 dst_sel:WORD_1 dst_unused:UNUSED_PAD src0_sel:DWORD
	v_lshl_add_u64 v[0:1], v[48:49], 1, v[0:1]
	v_or_b32_e32 v2, v2, v3
	;;#ASMSTART
	global_atomic_pk_add_f16 v[0:1], v2, off
	
	;;#ASMEND
	v_lshl_add_u64 v[0:1], v[0:1], 0, 64
	v_or_b32_e32 v2, v4, v5
	;;#ASMSTART
	global_atomic_pk_add_f16 v[0:1], v2, off
	
	;;#ASMEND
.LBB257_32:                             ;   in Loop: Header=BB257_7 Depth=1
	s_or_b64 exec, exec, s[40:41]
	v_readlane_b32 s14, v105, 10
	v_readlane_b32 s24, v105, 12
	;; [unrolled: 1-line block ×6, first 2 shown]
	v_subrev_u32_e32 v96, s20, v96
	v_readlane_b32 s11, v105, 0
	v_readlane_b32 s12, v105, 1
	;; [unrolled: 1-line block ×19, first 2 shown]
.LBB257_33:                             ;   in Loop: Header=BB257_7 Depth=1
	s_or_b64 exec, exec, s[2:3]
.LBB257_34:                             ;   in Loop: Header=BB257_7 Depth=1
	s_andn2_saveexec_b64 s[0:1], s[4:5]
	s_cbranch_execz .LBB257_43
; %bb.35:                               ;   in Loop: Header=BB257_7 Depth=1
	s_lshl_b32 s10, s20, 1
	v_cmp_gt_i32_e32 vcc, s10, v96
	s_and_saveexec_b64 s[2:3], vcc
	s_cbranch_execz .LBB257_42
; %bb.36:                               ;   in Loop: Header=BB257_7 Depth=1
	s_mul_i32 s4, s54, s19
	s_ashr_i32 s5, s4, 31
	s_add_u32 s4, s46, s4
	s_addc_u32 s5, s47, s5
	s_ashr_i32 s6, s39, 31
	s_add_u32 s4, s4, s39
	s_addc_u32 s5, s5, s6
	v_lshl_add_u64 v[0:1], s[4:5], 0, v[52:53]
	v_lshl_add_u64 v[16:17], v[0:1], 0, v[50:51]
	s_mov_b64 s[4:5], 0
	s_branch .LBB257_38
.LBB257_37:                             ;   in Loop: Header=BB257_38 Depth=2
	s_or_b64 exec, exec, s[6:7]
	v_lshl_add_u32 v20, v18, 12, v92
	;;#ASMSTART
	s_waitcnt vmcnt(3)
	;;#ASMEND
	ds_write2_b32 v20, v12, v13 offset1:32
	ds_write2_b32 v20, v14, v15 offset0:64 offset1:96
	v_add_u32_e32 v12, 0x400, v20
	;;#ASMSTART
	s_waitcnt vmcnt(2)
	;;#ASMEND
	ds_write2_b32 v12, v8, v9 offset1:32
	ds_write2_b32 v12, v10, v11 offset0:64 offset1:96
	v_add_u32_e32 v8, 0x800, v20
	;; [unrolled: 6-line block ×3, first 2 shown]
	v_add_u32_e32 v96, s22, v96
	;;#ASMSTART
	s_waitcnt vmcnt(0)
	;;#ASMEND
	ds_write2_b32 v4, v0, v1 offset1:32
	ds_write2_b32 v4, v2, v3 offset0:64 offset1:96
	v_add_u32_e32 v0, 1, v71
	v_add_u32_e32 v56, s22, v18
	v_cmp_le_i32_e32 vcc, s10, v96
	ds_write_b32 v19, v0 offset:12
	v_add_u32_e32 v0, 2, v71
	s_or_b64 s[4:5], vcc, s[4:5]
	v_cmp_lt_i32_e32 vcc, 1, v56
	s_nop 1
	v_cndmask_b32_e32 v71, v71, v0, vcc
	s_andn2_b64 exec, exec, s[4:5]
	s_cbranch_execz .LBB257_41
.LBB257_38:                             ;   Parent Loop BB257_7 Depth=1
                                        ; =>  This Loop Header: Depth=2
                                        ;       Child Loop BB257_40 Depth 3
	v_cmp_gt_i32_e32 vcc, 2, v56
	s_nop 1
	v_cndmask_b32_e64 v0, -2, 0, vcc
	s_waitcnt lgkmcnt(1)
	v_add_u32_e32 v18, v0, v56
	v_lshrrev_b32_e32 v0, 31, v96
	v_add_u32_e32 v0, v96, v0
	v_and_b32_e32 v1, -2, v0
	v_lshlrev_b32_e32 v0, 6, v0
	v_sub_u32_e32 v2, v96, v1
	v_and_b32_e32 v0, 0xffffff80, v0
	v_ashrrev_i32_e32 v1, 31, v0
	v_mul_lo_u32 v2, s31, v2
	v_lshl_add_u64 v[0:1], v[16:17], 0, v[0:1]
	v_ashrrev_i32_e32 v3, 31, v2
	v_lshl_add_u64 v[0:1], v[0:1], 0, v[2:3]
	v_lshlrev_b32_e32 v19, 2, v18
	;;#ASMSTART
	global_load_dwordx4 v[12:15], v[0:1], off offset:0   sc0 sc1 nt  
	global_load_dwordx4 v[8:11], v[0:1], off offset:32  sc0 sc1 nt  
	global_load_dwordx4 v[4:7], v[0:1], off offset:64  sc0 sc1 nt  
	;; [unrolled: 1-line block ×3, first 2 shown]
	
	;;#ASMEND
	ds_read_b32 v20, v19 offset:20492
	v_add_u32_e32 v19, 0x5000, v19
	s_waitcnt lgkmcnt(0)
	v_cmp_ne_u32_e32 vcc, v20, v71
	s_and_saveexec_b64 s[6:7], vcc
	s_cbranch_execz .LBB257_37
; %bb.39:                               ;   in Loop: Header=BB257_38 Depth=2
	s_mov_b64 s[8:9], 0
.LBB257_40:                             ;   Parent Loop BB257_7 Depth=1
                                        ;     Parent Loop BB257_38 Depth=2
                                        ; =>    This Inner Loop Header: Depth=3
	;;#ASMSTART
	s_sleep 0
	;;#ASMEND
	ds_read_b32 v20, v19 offset:12
	s_waitcnt lgkmcnt(0)
	v_cmp_eq_u32_e32 vcc, v20, v71
	s_or_b64 s[8:9], vcc, s[8:9]
	s_andn2_b64 exec, exec, s[8:9]
	s_cbranch_execnz .LBB257_40
	s_branch .LBB257_37
.LBB257_41:                             ;   in Loop: Header=BB257_7 Depth=1
	s_or_b64 exec, exec, s[4:5]
.LBB257_42:                             ;   in Loop: Header=BB257_7 Depth=1
	s_or_b64 exec, exec, s[2:3]
	v_subrev_u32_e32 v96, s10, v96
.LBB257_43:                             ;   in Loop: Header=BB257_7 Depth=1
	s_or_b64 exec, exec, s[0:1]
.LBB257_44:                             ;   in Loop: Header=BB257_7 Depth=1
	s_andn2_saveexec_b64 s[0:1], s[40:41]
	s_cbranch_execz .LBB257_6
; %bb.45:                               ;   in Loop: Header=BB257_7 Depth=1
	s_mul_i32 s20, s20, 3
	v_cmp_gt_i32_e32 vcc, s20, v96
	s_and_saveexec_b64 s[2:3], vcc
	s_cbranch_execz .LBB257_5
; %bb.46:                               ;   in Loop: Header=BB257_7 Depth=1
	s_mul_i32 s4, s52, s18
	s_max_i32 s6, s53, 0
	s_ashr_i32 s5, s4, 31
	s_add_u32 s4, s44, s4
	v_add_u32_e32 v2, s6, v72
	s_movk_i32 s6, 0x60
	s_addc_u32 s5, s45, s5
	s_ashr_i32 s7, s39, 31
	v_cmp_gt_u32_e32 vcc, s6, v2
	s_add_u32 s4, s4, s39
	s_addc_u32 s5, s5, s7
	v_cndmask_b32_e32 v0, 0, v93, vcc
	v_ashrrev_i32_e32 v1, 31, v0
	v_lshl_add_u64 v[0:1], s[4:5], 0, v[0:1]
	v_lshl_add_u64 v[16:17], v[0:1], 0, v[50:51]
	s_waitcnt lgkmcnt(1)
	v_sub_u32_e32 v18, 0x5f, v2
	s_mov_b64 s[4:5], 0
	s_branch .LBB257_48
.LBB257_47:                             ;   in Loop: Header=BB257_48 Depth=2
	s_or_b64 exec, exec, s[6:7]
	v_lshl_or_b32 v21, v19, 12, v94
	;;#ASMSTART
	s_waitcnt vmcnt(3)
	;;#ASMEND
	ds_write2_b32 v21, v12, v13 offset1:32
	ds_write2_b32 v21, v14, v15 offset0:64 offset1:96
	v_add_u32_e32 v12, 0x400, v21
	;;#ASMSTART
	s_waitcnt vmcnt(2)
	;;#ASMEND
	ds_write2_b32 v12, v8, v9 offset1:32
	ds_write2_b32 v12, v10, v11 offset0:64 offset1:96
	v_add_u32_e32 v8, 0x800, v21
	;; [unrolled: 6-line block ×3, first 2 shown]
	v_add_u32_e32 v96, s21, v96
	;;#ASMSTART
	s_waitcnt vmcnt(0)
	;;#ASMEND
	ds_write2_b32 v4, v0, v1 offset1:32
	ds_write2_b32 v4, v2, v3 offset0:64 offset1:96
	v_add_u32_e32 v0, 1, v71
	v_add_u32_e32 v56, s21, v19
	v_cmp_le_i32_e32 vcc, s20, v96
	ds_write_b32 v20, v0
	v_add_u32_e32 v0, 2, v71
	s_or_b64 s[4:5], vcc, s[4:5]
	v_cmp_lt_i32_e32 vcc, 2, v56
	s_nop 1
	v_cndmask_b32_e32 v71, v71, v0, vcc
	s_andn2_b64 exec, exec, s[4:5]
	s_cbranch_execz .LBB257_4
.LBB257_48:                             ;   Parent Loop BB257_7 Depth=1
                                        ; =>  This Loop Header: Depth=2
                                        ;       Child Loop BB257_50 Depth 3
	v_cmp_gt_i32_e32 vcc, 3, v56
	s_mov_b32 s6, 0x55555556
	s_nop 0
	v_cndmask_b32_e64 v0, -3, 0, vcc
	v_add_u32_e32 v19, v0, v56
	v_mul_hi_i32 v0, v96, s6
	v_lshrrev_b32_e32 v1, 31, v0
	v_add_u32_e32 v0, v0, v1
	v_lshl_add_u32 v1, v0, 1, v0
	v_sub_u32_e32 v1, v96, v1
	v_lshlrev_b32_e32 v1, 5, v1
	v_cmp_le_i32_e32 vcc, v1, v18
	v_lshlrev_b32_e32 v0, 7, v0
	v_lshlrev_b32_e32 v20, 2, v19
	v_cndmask_b32_e32 v2, 0, v1, vcc
	v_ashrrev_i32_e32 v1, 31, v0
	v_mul_lo_u32 v2, v2, s18
	v_lshl_add_u64 v[0:1], v[16:17], 0, v[0:1]
	v_ashrrev_i32_e32 v3, 31, v2
	v_lshl_add_u64 v[0:1], v[0:1], 0, v[2:3]
	;;#ASMSTART
	global_load_dwordx4 v[12:15], v[0:1], off offset:0   
	global_load_dwordx4 v[8:11], v[0:1], off offset:32  
	;; [unrolled: 1-line block ×4, first 2 shown]
	
	;;#ASMEND
	ds_read_b32 v21, v20 offset:20480
	v_add_u32_e32 v20, 0x5000, v20
	s_waitcnt lgkmcnt(0)
	v_cmp_ne_u32_e32 vcc, v21, v71
	s_and_saveexec_b64 s[6:7], vcc
	s_cbranch_execz .LBB257_47
; %bb.49:                               ;   in Loop: Header=BB257_48 Depth=2
	s_mov_b64 s[8:9], 0
.LBB257_50:                             ;   Parent Loop BB257_7 Depth=1
                                        ;     Parent Loop BB257_48 Depth=2
                                        ; =>    This Inner Loop Header: Depth=3
	;;#ASMSTART
	s_sleep 0
	;;#ASMEND
	ds_read_b32 v21, v20
	s_waitcnt lgkmcnt(0)
	v_cmp_eq_u32_e32 vcc, v21, v71
	s_or_b64 s[8:9], vcc, s[8:9]
	s_andn2_b64 exec, exec, s[8:9]
	s_cbranch_execnz .LBB257_50
	s_branch .LBB257_47
.LBB257_51:
	s_endpgm
	.section	.rodata,"a",@progbits
	.p2align	6, 0x0
	.amdhsa_kernel _Z19_skinny_gemm_kernelILi3ELi2ELi1ELi32ELi8EEvPKhS1_P6__halfPKfiiiiiiii
		.amdhsa_group_segment_fixed_size 20500
		.amdhsa_private_segment_fixed_size 0
		.amdhsa_kernarg_size 64
		.amdhsa_user_sgpr_count 2
		.amdhsa_user_sgpr_dispatch_ptr 0
		.amdhsa_user_sgpr_queue_ptr 0
		.amdhsa_user_sgpr_kernarg_segment_ptr 1
		.amdhsa_user_sgpr_dispatch_id 0
		.amdhsa_user_sgpr_kernarg_preload_length 0
		.amdhsa_user_sgpr_kernarg_preload_offset 0
		.amdhsa_user_sgpr_private_segment_size 0
		.amdhsa_uses_dynamic_stack 0
		.amdhsa_enable_private_segment 0
		.amdhsa_system_sgpr_workgroup_id_x 1
		.amdhsa_system_sgpr_workgroup_id_y 0
		.amdhsa_system_sgpr_workgroup_id_z 0
		.amdhsa_system_sgpr_workgroup_info 0
		.amdhsa_system_vgpr_workitem_id 0
		.amdhsa_next_free_vgpr 106
		.amdhsa_next_free_sgpr 100
		.amdhsa_accum_offset 108
		.amdhsa_reserve_vcc 1
		.amdhsa_float_round_mode_32 0
		.amdhsa_float_round_mode_16_64 0
		.amdhsa_float_denorm_mode_32 3
		.amdhsa_float_denorm_mode_16_64 3
		.amdhsa_dx10_clamp 1
		.amdhsa_ieee_mode 1
		.amdhsa_fp16_overflow 0
		.amdhsa_tg_split 0
		.amdhsa_exception_fp_ieee_invalid_op 0
		.amdhsa_exception_fp_denorm_src 0
		.amdhsa_exception_fp_ieee_div_zero 0
		.amdhsa_exception_fp_ieee_overflow 0
		.amdhsa_exception_fp_ieee_underflow 0
		.amdhsa_exception_fp_ieee_inexact 0
		.amdhsa_exception_int_div_zero 0
	.end_amdhsa_kernel
	.section	.text._Z19_skinny_gemm_kernelILi3ELi2ELi1ELi32ELi8EEvPKhS1_P6__halfPKfiiiiiiii,"axG",@progbits,_Z19_skinny_gemm_kernelILi3ELi2ELi1ELi32ELi8EEvPKhS1_P6__halfPKfiiiiiiii,comdat
.Lfunc_end257:
	.size	_Z19_skinny_gemm_kernelILi3ELi2ELi1ELi32ELi8EEvPKhS1_P6__halfPKfiiiiiiii, .Lfunc_end257-_Z19_skinny_gemm_kernelILi3ELi2ELi1ELi32ELi8EEvPKhS1_P6__halfPKfiiiiiiii
                                        ; -- End function
	.set _Z19_skinny_gemm_kernelILi3ELi2ELi1ELi32ELi8EEvPKhS1_P6__halfPKfiiiiiiii.num_vgpr, 106
	.set _Z19_skinny_gemm_kernelILi3ELi2ELi1ELi32ELi8EEvPKhS1_P6__halfPKfiiiiiiii.num_agpr, 0
	.set _Z19_skinny_gemm_kernelILi3ELi2ELi1ELi32ELi8EEvPKhS1_P6__halfPKfiiiiiiii.numbered_sgpr, 100
	.set _Z19_skinny_gemm_kernelILi3ELi2ELi1ELi32ELi8EEvPKhS1_P6__halfPKfiiiiiiii.num_named_barrier, 0
	.set _Z19_skinny_gemm_kernelILi3ELi2ELi1ELi32ELi8EEvPKhS1_P6__halfPKfiiiiiiii.private_seg_size, 0
	.set _Z19_skinny_gemm_kernelILi3ELi2ELi1ELi32ELi8EEvPKhS1_P6__halfPKfiiiiiiii.uses_vcc, 1
	.set _Z19_skinny_gemm_kernelILi3ELi2ELi1ELi32ELi8EEvPKhS1_P6__halfPKfiiiiiiii.uses_flat_scratch, 0
	.set _Z19_skinny_gemm_kernelILi3ELi2ELi1ELi32ELi8EEvPKhS1_P6__halfPKfiiiiiiii.has_dyn_sized_stack, 0
	.set _Z19_skinny_gemm_kernelILi3ELi2ELi1ELi32ELi8EEvPKhS1_P6__halfPKfiiiiiiii.has_recursion, 0
	.set _Z19_skinny_gemm_kernelILi3ELi2ELi1ELi32ELi8EEvPKhS1_P6__halfPKfiiiiiiii.has_indirect_call, 0
	.section	.AMDGPU.csdata,"",@progbits
; Kernel info:
; codeLenInByte = 10144
; TotalNumSgprs: 106
; NumVgprs: 106
; NumAgprs: 0
; TotalNumVgprs: 106
; ScratchSize: 0
; MemoryBound: 0
; FloatMode: 240
; IeeeMode: 1
; LDSByteSize: 20500 bytes/workgroup (compile time only)
; SGPRBlocks: 13
; VGPRBlocks: 13
; NumSGPRsForWavesPerEU: 106
; NumVGPRsForWavesPerEU: 106
; AccumOffset: 108
; Occupancy: 4
; WaveLimiterHint : 0
; COMPUTE_PGM_RSRC2:SCRATCH_EN: 0
; COMPUTE_PGM_RSRC2:USER_SGPR: 2
; COMPUTE_PGM_RSRC2:TRAP_HANDLER: 0
; COMPUTE_PGM_RSRC2:TGID_X_EN: 1
; COMPUTE_PGM_RSRC2:TGID_Y_EN: 0
; COMPUTE_PGM_RSRC2:TGID_Z_EN: 0
; COMPUTE_PGM_RSRC2:TIDIG_COMP_CNT: 0
; COMPUTE_PGM_RSRC3_GFX90A:ACCUM_OFFSET: 26
; COMPUTE_PGM_RSRC3_GFX90A:TG_SPLIT: 0
	.section	.text._Z19_skinny_gemm_kernelILi3ELi2ELi2ELi16ELi4EEvPKhS1_P6__halfPKfiiiiiiii,"axG",@progbits,_Z19_skinny_gemm_kernelILi3ELi2ELi2ELi16ELi4EEvPKhS1_P6__halfPKfiiiiiiii,comdat
	.protected	_Z19_skinny_gemm_kernelILi3ELi2ELi2ELi16ELi4EEvPKhS1_P6__halfPKfiiiiiiii ; -- Begin function _Z19_skinny_gemm_kernelILi3ELi2ELi2ELi16ELi4EEvPKhS1_P6__halfPKfiiiiiiii
	.globl	_Z19_skinny_gemm_kernelILi3ELi2ELi2ELi16ELi4EEvPKhS1_P6__halfPKfiiiiiiii
	.p2align	8
	.type	_Z19_skinny_gemm_kernelILi3ELi2ELi2ELi16ELi4EEvPKhS1_P6__halfPKfiiiiiiii,@function
_Z19_skinny_gemm_kernelILi3ELi2ELi2ELi16ELi4EEvPKhS1_P6__halfPKfiiiiiiii: ; @_Z19_skinny_gemm_kernelILi3ELi2ELi2ELi16ELi4EEvPKhS1_P6__halfPKfiiiiiiii
; %bb.0:
	v_cmp_gt_u32_e32 vcc, 10, v0
	v_lshlrev_b32_e32 v1, 2, v0
	s_and_saveexec_b64 s[4:5], vcc
; %bb.1:
	v_mov_b32_e32 v2, 0
	ds_write_b32 v1, v2 offset:20480
; %bb.2:
	s_or_b64 exec, exec, s[4:5]
	s_load_dwordx8 s[16:23], s[0:1], 0x20
	s_waitcnt lgkmcnt(0)
	s_barrier
	s_add_i32 s3, s16, 47
	s_add_i32 s4, s17, 31
	s_mul_hi_i32 s3, s3, 0x2aaaaaab
	s_lshr_b32 s5, s3, 31
	s_ashr_i32 s33, s3, 3
	s_ashr_i32 s3, s4, 31
	s_lshr_b32 s3, s3, 27
	s_add_i32 s4, s4, s3
	s_add_i32 s33, s33, s5
	s_ashr_i32 s48, s4, 5
	s_mul_i32 s3, s48, s33
	s_mul_i32 s3, s3, s20
	s_add_i32 s4, s3, 0x12f
	s_mul_hi_i32 s4, s4, 0x6bca1af3
	s_lshr_b32 s5, s4, 31
	s_ashr_i32 s4, s4, 7
	s_add_i32 s4, s4, s5
	s_add_i32 s5, s2, 1
	s_mul_i32 s5, s4, s5
	v_cvt_f64_i32_e32 v[2:3], s3
	v_cvt_f64_u32_e32 v[4:5], s5
	v_min_f64 v[2:3], v[2:3], v[4:5]
	v_cvt_i32_f64_e32 v25, v[2:3]
	s_mul_i32 s49, s4, s2
	v_cmp_ge_i32_e32 vcc, s49, v25
	s_cbranch_vccnz .LBB258_55
; %bb.3:
	v_lshrrev_b32_e32 v2, 6, v0
	s_add_i32 s4, s22, s21
	s_load_dwordx8 s[24:31], s[0:1], 0x0
	v_cmp_le_i32_e64 s[0:1], s4, v2
	v_mov_b32_e32 v3, s21
	v_cmp_le_i32_e64 s[2:3], s21, v2
	v_mov_b32_e32 v4, s22
	v_cndmask_b32_e64 v4, 0, v4, s[0:1]
	v_cndmask_b32_e64 v3, 0, v3, s[2:3]
	s_abs_i32 s5, s20
	v_add_u32_e32 v3, v3, v4
	v_cvt_f32_u32_e32 v4, s5
	v_sub_u32_e32 v40, v2, v3
	s_ashr_i32 s6, s18, 31
	s_lshr_b32 s6, s6, 25
	v_rcp_iflag_f32_e32 v3, v4
	s_sub_i32 s9, 0, s5
	s_add_i32 s6, s18, s6
	s_ashr_i32 s6, s6, 7
	v_mul_f32_e32 v3, 0x4f7ffffe, v3
	v_cvt_u32_f32_e32 v3, v3
	s_abs_i32 s8, s6
	s_xor_b32 s7, s6, s20
	s_ashr_i32 s7, s7, 31
	v_readfirstlane_b32 s10, v3
	s_mul_i32 s9, s9, s10
	s_mul_hi_u32 s9, s10, s9
	s_add_i32 s10, s10, s9
	s_mul_hi_u32 s9, s8, s10
	s_mul_i32 s10, s9, s5
	s_sub_i32 s8, s8, s10
	s_add_i32 s10, s9, 1
	s_sub_i32 s11, s8, s5
	s_cmp_ge_u32 s8, s5
	s_cselect_b32 s9, s10, s9
	s_cselect_b32 s8, s11, s8
	s_add_i32 s10, s9, 1
	s_cmp_ge_u32 s8, s5
	s_cselect_b32 s5, s10, s9
	s_xor_b32 s5, s5, s7
	s_sub_i32 s50, s5, s7
	s_add_i32 s20, s20, -1
	s_mul_i32 s5, s50, s20
	s_add_i32 s4, s4, s23
	s_sub_i32 s51, s6, s5
	v_cmp_gt_i32_e64 s[4:5], s4, v2
	v_lshlrev_b32_e32 v2, 1, v0
	v_lshlrev_b32_e32 v3, 4, v0
	v_and_b32_e32 v1, 60, v1
	v_and_b32_e32 v2, 64, v2
	;; [unrolled: 1-line block ×3, first 2 shown]
	v_or3_b32 v67, v1, v2, v4
	v_and_b32_e32 v1, 1, v0
	v_lshrrev_b32_e32 v4, 2, v0
	s_abs_i32 s52, s33
	v_and_or_b32 v72, v4, 12, v1
	v_cvt_f32_u32_e32 v4, s52
	v_lshlrev_b32_e32 v2, 1, v1
	v_and_b32_e32 v24, 14, v0
	v_sub_u32_e32 v2, v0, v2
	v_bitop3_b32 v69, v0, 1, v0 bitop3:0xc
	v_bitop3_b32 v70, v0, 3, 1 bitop3:0x6c
	v_and_b32_e32 v32, 48, v3
	v_bfe_u32 v75, v0, 2, 4
	v_and_b32_e32 v1, 60, v0
	v_lshlrev_b32_e32 v3, 8, v0
	v_lshlrev_b32_e32 v0, 6, v0
	v_and_b32_e32 v3, 0x200, v3
	v_and_b32_e32 v0, 64, v0
	v_or3_b32 v76, v1, v3, v0
	v_rcp_iflag_f32_e32 v0, v4
	s_abs_i32 s54, s48
	v_cvt_f32_u32_e32 v1, s54
	v_mad_u64_u32 v[26:27], s[6:7], s17, v72, v[24:25]
	v_mul_f32_e32 v0, 0x4f7ffffe, v0
	v_cvt_u32_f32_e32 v0, v0
	v_rcp_iflag_f32_e32 v1, v1
	s_lshl_b32 s6, s17, 4
	v_add_u32_e32 v28, s6, v26
	v_readfirstlane_b32 s7, v0
	v_mul_f32_e32 v0, 0x4f7ffffe, v1
	v_cvt_u32_f32_e32 v0, v0
	v_add_u32_e32 v30, s6, v28
	s_sub_i32 s6, 0, s52
	s_mul_i32 s6, s6, s7
	s_mul_hi_u32 s6, s7, s6
	v_add_u32_e32 v2, 1, v2
	s_add_i32 s56, s7, s6
	s_sub_i32 s6, 0, s54
	v_readfirstlane_b32 s7, v0
	v_mbcnt_lo_u32_b32 v0, -1, 0
	v_and_b32_e32 v2, 63, v2
	s_mul_i32 s6, s6, s7
	v_mbcnt_hi_u32_b32 v0, -1, v0
	v_mul_lo_u32 v34, s19, v75
	s_mul_hi_u32 s6, s7, s6
	v_and_or_b32 v0, v0, 64, v2
	v_cndmask_b32_e64 v66, 0, 1, s[0:1]
	v_or_b32_e32 v68, 0x3000, v67
	s_ashr_i32 s35, s17, 31
	s_mov_b32 s34, s17
	v_or_b32_e32 v71, 16, v24
	v_ashrrev_i32_e32 v27, 31, v26
	v_or_b32_e32 v73, 16, v72
	v_ashrrev_i32_e32 v29, 31, v28
	;; [unrolled: 2-line block ×3, first 2 shown]
	v_ashrrev_i32_e32 v35, 31, v34
	v_mov_b32_e32 v33, 0
	v_or_b32_e32 v77, 0x3000, v76
	s_lshl_b32 s53, s19, 4
	v_mul_lo_u32 v78, s18, v75
	s_ashr_i32 s55, s33, 31
	s_ashr_i32 s57, s48, 31
	s_add_i32 s58, s7, s6
	s_movk_i32 s59, 0x1800
	s_mov_b32 s60, 0x55555556
	v_lshlrev_b32_e32 v79, 2, v0
	v_mov_b32_e32 v80, v40
	s_branch .LBB258_7
.LBB258_4:                              ;   in Loop: Header=BB258_7 Depth=1
	s_or_b64 exec, exec, s[10:11]
.LBB258_5:                              ;   in Loop: Header=BB258_7 Depth=1
	s_or_b64 exec, exec, s[8:9]
	v_subrev_u32_e32 v80, s64, v80
.LBB258_6:                              ;   in Loop: Header=BB258_7 Depth=1
	s_or_b64 exec, exec, s[6:7]
	s_add_i32 s49, s49, 1
	v_cmp_ge_i32_e32 vcc, s49, v25
	s_cbranch_vccnz .LBB258_55
.LBB258_7:                              ; =>This Loop Header: Depth=1
                                        ;     Child Loop BB258_13 Depth 2
                                        ;       Child Loop BB258_15 Depth 3
                                        ;       Child Loop BB258_18 Depth 3
	;; [unrolled: 1-line block ×5, first 2 shown]
                                        ;     Child Loop BB258_42 Depth 2
                                        ;       Child Loop BB258_44 Depth 3
                                        ;     Child Loop BB258_52 Depth 2
                                        ;       Child Loop BB258_54 Depth 3
	s_abs_i32 s7, s49
	s_mul_hi_u32 s8, s7, s56
	s_mul_i32 s9, s8, s52
	s_ashr_i32 s6, s49, 31
	s_sub_i32 s7, s7, s9
	s_xor_b32 s6, s6, s55
	s_add_i32 s9, s8, 1
	s_sub_i32 s10, s7, s52
	s_cmp_ge_u32 s7, s52
	s_cselect_b32 s8, s9, s8
	s_cselect_b32 s7, s10, s7
	s_add_i32 s9, s8, 1
	s_cmp_ge_u32 s7, s52
	s_cselect_b32 s7, s9, s8
	s_xor_b32 s7, s7, s6
	s_sub_i32 s6, s7, s6
	s_abs_i32 s8, s6
	s_mul_hi_u32 s9, s8, s58
	s_mul_i32 s7, s6, s33
	s_mul_i32 s10, s9, s54
	s_sub_i32 s61, s49, s7
	s_ashr_i32 s7, s6, 31
	s_sub_i32 s8, s8, s10
	s_xor_b32 s7, s7, s57
	s_add_i32 s10, s9, 1
	s_sub_i32 s11, s8, s54
	s_cmp_ge_u32 s8, s54
	s_cselect_b32 s9, s10, s9
	s_cselect_b32 s8, s11, s8
	s_add_i32 s10, s9, 1
	s_cmp_ge_u32 s8, s54
	s_cselect_b32 s8, s10, s9
	s_xor_b32 s8, s8, s7
	s_sub_i32 s7, s8, s7
	s_mul_i32 s8, s7, s50
	s_lshl_b32 s62, s8, 7
	s_mul_i32 s61, s61, 48
	s_cmp_eq_u32 s7, s20
	s_cselect_b32 s64, s51, s50
	s_sub_i32 s8, s61, s16
	s_add_i32 s8, s8, 48
	s_max_i32 s63, s8, 0
	s_and_saveexec_b64 s[8:9], s[2:3]
	s_xor_b64 s[36:37], exec, s[8:9]
	s_cbranch_execz .LBB258_48
; %bb.8:                                ;   in Loop: Header=BB258_7 Depth=1
	s_mul_i32 s7, s7, s48
	s_sub_i32 s6, s6, s7
	s_lshl_b32 s6, s6, 5
	s_sub_i32 s14, s6, s17
	s_add_i32 s14, s14, 32
	s_max_i32 s7, s14, 0
	s_sub_i32 s38, s6, s7
	s_and_saveexec_b64 s[6:7], s[0:1]
	s_xor_b64 s[40:41], exec, s[6:7]
	s_cbranch_execz .LBB258_38
; %bb.9:                                ;   in Loop: Header=BB258_7 Depth=1
	s_and_saveexec_b64 s[42:43], s[4:5]
	s_cbranch_execz .LBB258_37
; %bb.10:                               ;   in Loop: Header=BB258_7 Depth=1
	s_waitcnt lgkmcnt(0)
	global_load_dword v81, v33, s[30:31]
	v_mov_b32_e32 v23, 0
	v_cmp_gt_i32_e32 vcc, s64, v80
	v_mov_b32_e32 v22, v23
	v_mov_b32_e32 v21, v23
	;; [unrolled: 1-line block ×23, first 2 shown]
	s_and_saveexec_b64 s[6:7], vcc
	s_cbranch_execz .LBB258_29
; %bb.11:                               ;   in Loop: Header=BB258_7 Depth=1
	v_mov_b32_e32 v0, 0
	s_mov_b64 s[8:9], 0
	v_mov_b32_e32 v1, v0
	v_mov_b32_e32 v2, v0
	;; [unrolled: 1-line block ×23, first 2 shown]
	s_branch .LBB258_13
.LBB258_12:                             ;   in Loop: Header=BB258_13 Depth=2
	s_or_b64 exec, exec, s[10:11]
	v_add_u32_e32 v42, 0x800, v84
	ds_read2_b32 v[40:41], v42 offset1:32
	v_add_u32_e32 v44, 0xc00, v84
	v_add_u32_e32 v80, s23, v80
	s_waitcnt lgkmcnt(0)
	v_mfma_f32_16x16x32_fp8_fp8 v[16:19], v[36:37], v[40:41], v[16:19]
	ds_read2_b32 v[36:37], v42 offset0:128 offset1:160
	ds_read2_b32 v[42:43], v44 offset1:32
	ds_read2_b32 v[44:45], v44 offset0:128 offset1:160
	v_mfma_f32_16x16x32_fp8_fp8 v[8:11], v[52:53], v[40:41], v[8:11]
	;;#ASMSTART
	s_waitcnt lgkmcnt(0)
	;;#ASMEND
	ds_write_b32 v83, v85 offset:20508
	v_mfma_f32_16x16x32_fp8_fp8 v[0:3], v[60:61], v[40:41], v[0:3]
	v_add_u32_e32 v40, s23, v82
	v_cmp_lt_i32_e32 vcc, 1, v40
	s_waitcnt lgkmcnt(3)
	v_mfma_f32_16x16x32_fp8_fp8 v[16:19], v[46:47], v[36:37], v[16:19]
	v_mfma_f32_16x16x32_fp8_fp8 v[8:11], v[54:55], v[36:37], v[8:11]
	;; [unrolled: 1-line block ×3, first 2 shown]
	v_add_u32_e32 v36, 2, v66
	v_cndmask_b32_e32 v66, v66, v36, vcc
	v_cmp_le_i32_e32 vcc, s64, v80
	s_waitcnt lgkmcnt(2)
	v_mfma_f32_16x16x32_fp8_fp8 v[16:19], v[48:49], v[42:43], v[16:19]
	s_or_b64 s[8:9], vcc, s[8:9]
	v_mfma_f32_16x16x32_fp8_fp8 v[8:11], v[56:57], v[42:43], v[8:11]
	v_mfma_f32_16x16x32_fp8_fp8 v[0:3], v[64:65], v[42:43], v[0:3]
	s_waitcnt lgkmcnt(1)
	v_mfma_f32_16x16x32_fp8_fp8 v[16:19], v[50:51], v[44:45], v[16:19]
	v_mfma_f32_16x16x32_fp8_fp8 v[8:11], v[58:59], v[44:45], v[8:11]
	;; [unrolled: 1-line block ×3, first 2 shown]
	s_andn2_b64 exec, exec, s[8:9]
	s_cbranch_execz .LBB258_28
.LBB258_13:                             ;   Parent Loop BB258_7 Depth=1
                                        ; =>  This Loop Header: Depth=2
                                        ;       Child Loop BB258_15 Depth 3
                                        ;       Child Loop BB258_18 Depth 3
	;; [unrolled: 1-line block ×5, first 2 shown]
	v_cmp_gt_i32_e32 vcc, 2, v40
	s_nop 1
	v_cndmask_b32_e64 v36, -2, 0, vcc
	v_add_u32_e32 v82, v36, v40
	v_lshlrev_b32_e32 v83, 3, v82
	ds_read_b32 v36, v83 offset:20504
	s_waitcnt lgkmcnt(0)
	v_cmp_ne_u32_e32 vcc, v36, v66
	s_and_saveexec_b64 s[10:11], vcc
	s_cbranch_execz .LBB258_16
; %bb.14:                               ;   in Loop: Header=BB258_13 Depth=2
	s_mov_b64 s[12:13], 0
.LBB258_15:                             ;   Parent Loop BB258_7 Depth=1
                                        ;     Parent Loop BB258_13 Depth=2
                                        ; =>    This Inner Loop Header: Depth=3
	;;#ASMSTART
	s_sleep 0
	;;#ASMEND
	ds_read_b32 v36, v83 offset:20504
	s_waitcnt lgkmcnt(0)
	v_cmp_eq_u32_e32 vcc, v36, v66
	s_or_b64 s[12:13], vcc, s[12:13]
	s_andn2_b64 exec, exec, s[12:13]
	s_cbranch_execnz .LBB258_15
.LBB258_16:                             ;   in Loop: Header=BB258_13 Depth=2
	s_or_b64 exec, exec, s[10:11]
	v_lshlrev_b32_e32 v36, 12, v82
	v_add_u32_e32 v84, v68, v36
	v_add_u32_e32 v36, 0x400, v84
	;; [unrolled: 1-line block ×3, first 2 shown]
	ds_read2_b32 v[38:39], v84 offset1:32
	ds_read2_b32 v[40:41], v84 offset0:128 offset1:160
	ds_read2_b32 v[44:45], v36 offset1:32
	ds_read2_b32 v[42:43], v36 offset0:128 offset1:160
	;;#ASMSTART
	s_waitcnt lgkmcnt(0)
	;;#ASMEND
	ds_write_b32 v83, v85 offset:20504
	v_mul_lo_u32 v86, v82, 12
	ds_read_b32 v36, v86 offset:20480
	s_waitcnt lgkmcnt(0)
	v_cmp_ne_u32_e32 vcc, v36, v66
	s_and_saveexec_b64 s[10:11], vcc
	s_cbranch_execz .LBB258_19
; %bb.17:                               ;   in Loop: Header=BB258_13 Depth=2
	s_mov_b64 s[12:13], 0
.LBB258_18:                             ;   Parent Loop BB258_7 Depth=1
                                        ;     Parent Loop BB258_13 Depth=2
                                        ; =>    This Inner Loop Header: Depth=3
	;;#ASMSTART
	s_sleep 0
	;;#ASMEND
	ds_read_b32 v36, v86 offset:20480
	s_waitcnt lgkmcnt(0)
	v_cmp_eq_u32_e32 vcc, v36, v66
	s_or_b64 s[12:13], vcc, s[12:13]
	s_andn2_b64 exec, exec, s[12:13]
	s_cbranch_execnz .LBB258_18
.LBB258_19:                             ;   in Loop: Header=BB258_13 Depth=2
	s_or_b64 exec, exec, s[10:11]
	v_mul_lo_u32 v52, v82, s59
	v_or_b32_e32 v48, v67, v52
	ds_read2_b32 v[36:37], v48 offset1:32
	ds_read2_b32 v[46:47], v48 offset0:128 offset1:160
	v_add_u32_e32 v50, 0x400, v48
	ds_read2_b32 v[48:49], v50 offset1:32
	ds_read2_b32 v[50:51], v50 offset0:128 offset1:160
	ds_read_b32 v53, v86 offset:20484
	ds_write_b32 v86, v85 offset:20480
	s_waitcnt lgkmcnt(5)
	v_mfma_f32_16x16x32_fp8_fp8 v[20:23], v[36:37], v[38:39], v[20:23]
	s_waitcnt lgkmcnt(1)
	v_cmp_ne_u32_e32 vcc, v53, v66
	v_mfma_f32_16x16x32_fp8_fp8 v[20:23], v[46:47], v[40:41], v[20:23]
	v_mfma_f32_16x16x32_fp8_fp8 v[20:23], v[48:49], v[44:45], v[20:23]
	;; [unrolled: 1-line block ×3, first 2 shown]
	s_and_saveexec_b64 s[10:11], vcc
	s_cbranch_execz .LBB258_22
; %bb.20:                               ;   in Loop: Header=BB258_13 Depth=2
	s_mov_b64 s[12:13], 0
.LBB258_21:                             ;   Parent Loop BB258_7 Depth=1
                                        ;     Parent Loop BB258_13 Depth=2
                                        ; =>    This Inner Loop Header: Depth=3
	;;#ASMSTART
	s_sleep 0
	;;#ASMEND
	ds_read_b32 v53, v86 offset:20484
	s_waitcnt lgkmcnt(0)
	v_cmp_eq_u32_e32 vcc, v53, v66
	s_or_b64 s[12:13], vcc, s[12:13]
	s_andn2_b64 exec, exec, s[12:13]
	s_cbranch_execnz .LBB258_21
.LBB258_22:                             ;   in Loop: Header=BB258_13 Depth=2
	s_or_b64 exec, exec, s[10:11]
	v_add_u32_e32 v64, v67, v52
	v_add_u32_e32 v54, 0x800, v64
	ds_read2_b32 v[52:53], v54 offset1:32
	ds_read2_b32 v[54:55], v54 offset0:128 offset1:160
	v_add_u32_e32 v58, 0xc00, v64
	ds_read2_b32 v[56:57], v58 offset1:32
	ds_read2_b32 v[58:59], v58 offset0:128 offset1:160
	ds_read_b32 v60, v86 offset:20488
	ds_write_b32 v86, v85 offset:20484
	s_waitcnt lgkmcnt(5)
	v_mfma_f32_16x16x32_fp8_fp8 v[12:15], v[52:53], v[38:39], v[12:15]
	s_waitcnt lgkmcnt(1)
	v_cmp_ne_u32_e32 vcc, v60, v66
	v_mfma_f32_16x16x32_fp8_fp8 v[12:15], v[54:55], v[40:41], v[12:15]
	v_mfma_f32_16x16x32_fp8_fp8 v[12:15], v[56:57], v[44:45], v[12:15]
	;; [unrolled: 1-line block ×3, first 2 shown]
	s_and_saveexec_b64 s[10:11], vcc
	s_cbranch_execz .LBB258_25
; %bb.23:                               ;   in Loop: Header=BB258_13 Depth=2
	s_mov_b64 s[12:13], 0
.LBB258_24:                             ;   Parent Loop BB258_7 Depth=1
                                        ;     Parent Loop BB258_13 Depth=2
                                        ; =>    This Inner Loop Header: Depth=3
	;;#ASMSTART
	s_sleep 0
	;;#ASMEND
	ds_read_b32 v60, v86 offset:20488
	s_waitcnt lgkmcnt(0)
	v_cmp_eq_u32_e32 vcc, v60, v66
	s_or_b64 s[12:13], vcc, s[12:13]
	s_andn2_b64 exec, exec, s[12:13]
	s_cbranch_execnz .LBB258_24
.LBB258_25:                             ;   in Loop: Header=BB258_13 Depth=2
	s_or_b64 exec, exec, s[10:11]
	v_add_u32_e32 v62, 0x1000, v64
	ds_read2_b32 v[60:61], v62 offset1:32
	ds_read2_b32 v[62:63], v62 offset0:128 offset1:160
	v_add_u32_e32 v87, 0x1400, v64
	ds_read2_b32 v[64:65], v87 offset1:32
	ds_write_b32 v86, v85 offset:20488
	s_waitcnt lgkmcnt(3)
	v_mfma_f32_16x16x32_fp8_fp8 v[4:7], v[60:61], v[38:39], v[4:7]
	ds_read2_b32 v[38:39], v87 offset0:128 offset1:160
	s_waitcnt lgkmcnt(3)
	v_mfma_f32_16x16x32_fp8_fp8 v[4:7], v[62:63], v[40:41], v[4:7]
	ds_read_b32 v40, v83 offset:20508
	s_waitcnt lgkmcnt(0)
	v_cmp_ne_u32_e32 vcc, v40, v66
	v_mfma_f32_16x16x32_fp8_fp8 v[4:7], v[64:65], v[44:45], v[4:7]
	v_mfma_f32_16x16x32_fp8_fp8 v[4:7], v[38:39], v[42:43], v[4:7]
	s_and_saveexec_b64 s[10:11], vcc
	s_cbranch_execz .LBB258_12
; %bb.26:                               ;   in Loop: Header=BB258_13 Depth=2
	s_mov_b64 s[12:13], 0
.LBB258_27:                             ;   Parent Loop BB258_7 Depth=1
                                        ;     Parent Loop BB258_13 Depth=2
                                        ; =>    This Inner Loop Header: Depth=3
	;;#ASMSTART
	s_sleep 0
	;;#ASMEND
	ds_read_b32 v40, v83 offset:20508
	s_waitcnt lgkmcnt(0)
	v_cmp_eq_u32_e32 vcc, v40, v66
	s_or_b64 s[12:13], vcc, s[12:13]
	s_andn2_b64 exec, exec, s[12:13]
	s_cbranch_execnz .LBB258_27
	s_branch .LBB258_12
.LBB258_28:                             ;   in Loop: Header=BB258_7 Depth=1
	s_or_b64 exec, exec, s[8:9]
.LBB258_29:                             ;   in Loop: Header=BB258_7 Depth=1
	s_or_b64 exec, exec, s[6:7]
	v_cmp_le_i32_e32 vcc, s14, v24
	v_cmp_eq_u32_e64 s[6:7], 2, v69
	v_cmp_eq_u32_e64 s[8:9], 3, v69
	s_waitcnt vmcnt(0)
	v_cndmask_b32_e32 v36, 0, v81, vcc
	v_pk_mul_f32 v[20:21], v[36:37], v[20:21] op_sel_hi:[0,1]
	v_cmp_eq_u32_e32 vcc, 1, v69
	v_pk_mul_f32 v[38:39], v[36:37], v[22:23] op_sel_hi:[0,1]
	v_cmp_eq_u32_e64 s[10:11], 0, v69
	v_cndmask_b32_e32 v22, v20, v21, vcc
	v_cndmask_b32_e64 v22, v22, v38, s[6:7]
	v_cndmask_b32_e64 v22, v22, v39, s[8:9]
	ds_bpermute_b32 v37, v79, v22
	v_cmp_le_i32_e64 s[14:15], s14, v71
	v_cmp_eq_u32_e64 s[12:13], 1, v70
	v_add_u32_e32 v41, s63, v72
	s_waitcnt lgkmcnt(0)
	v_cndmask_b32_e64 v22, v39, v37, s[8:9]
	v_cndmask_b32_e64 v23, v38, v37, s[6:7]
	v_cndmask_b32_e32 v21, v21, v37, vcc
	v_cndmask_b32_e64 v37, v20, v37, s[10:11]
	v_cndmask_b32_e64 v20, 0, v81, s[14:15]
	v_pk_mul_f32 v[44:45], v[20:21], v[16:17] op_sel_hi:[0,1]
	v_pk_mul_f32 v[42:43], v[20:21], v[18:19] op_sel_hi:[0,1]
	v_cndmask_b32_e32 v16, v44, v45, vcc
	v_cndmask_b32_e64 v16, v16, v42, s[6:7]
	v_cndmask_b32_e64 v16, v16, v43, s[8:9]
	ds_bpermute_b32 v17, v79, v16
	v_cndmask_b32_e64 v38, v37, v21, s[12:13]
	v_cmp_eq_u32_e32 vcc, 2, v70
	v_cmp_eq_u32_e64 s[14:15], 3, v70
	s_waitcnt lgkmcnt(0)
	v_cndmask_b32_e64 v19, v42, v17, s[6:7]
	v_cndmask_b32_e32 v16, v38, v23, vcc
	v_cndmask_b32_e64 v16, v16, v22, s[14:15]
	v_cmp_ne_u32_e64 s[6:7], 0, v69
	ds_bpermute_b32 v38, v79, v16
	v_cndmask_b32_e64 v18, v43, v17, s[8:9]
	v_cndmask_b32_e64 v16, v45, v17, s[6:7]
	;; [unrolled: 1-line block ×4, first 2 shown]
	v_cndmask_b32_e32 v39, v39, v19, vcc
	v_cndmask_b32_e64 v39, v39, v18, s[14:15]
	ds_bpermute_b32 v39, v79, v39
	v_cmp_gt_u32_e32 vcc, 48, v41
	s_and_saveexec_b64 s[44:45], vcc
	s_cbranch_execz .LBB258_36
; %bb.30:                               ;   in Loop: Header=BB258_7 Depth=1
	v_cmp_eq_u32_e64 s[8:9], 1, v70
	v_cmp_eq_u32_e64 s[10:11], 0, v70
	v_cmp_eq_u32_e32 vcc, 3, v70
	s_waitcnt lgkmcnt(1)
	v_cndmask_b32_e64 v21, v21, v38, s[8:9]
	s_waitcnt lgkmcnt(0)
	v_cndmask_b32_e64 v42, v16, v39, s[8:9]
	s_mul_i32 s8, s61, s17
	s_ashr_i32 s9, s8, 31
	s_lshl_b64 s[8:9], s[8:9], 1
	v_cndmask_b32_e64 v37, v37, v38, s[10:11]
	v_cndmask_b32_e64 v43, v17, v39, s[10:11]
	s_add_u32 s10, s28, s8
	s_addc_u32 s11, s29, s9
	s_ashr_i32 s39, s38, 31
	v_cvt_f16_f32_e32 v37, v37
	v_cvt_f16_f32_sdwa v21, v21 dst_sel:WORD_1 dst_unused:UNUSED_PAD src0_sel:DWORD
	s_lshl_b64 s[8:9], s[38:39], 1
	v_cvt_f16_f32_e32 v44, v43
	v_cvt_f16_f32_sdwa v45, v42 dst_sel:WORD_1 dst_unused:UNUSED_PAD src0_sel:DWORD
	s_add_u32 s46, s10, s8
	s_addc_u32 s47, s11, s9
	v_cmp_eq_u32_e64 s[6:7], 2, v70
	v_lshl_add_u64 v[16:17], v[26:27], 1, s[46:47]
	v_or_b32_e32 v21, v21, v37
	v_cmp_gt_u32_e64 s[8:9], 46, v41
	;;#ASMSTART
	global_atomic_pk_add_f16 v[16:17], v21, off
	
	;;#ASMEND
	v_lshl_add_u64 v[42:43], v[16:17], 0, 32
	v_or_b32_e32 v21, v45, v44
	;;#ASMSTART
	global_atomic_pk_add_f16 v[42:43], v21, off
	
	;;#ASMEND
	s_and_b64 exec, exec, s[8:9]
	s_cbranch_execz .LBB258_36
; %bb.31:                               ;   in Loop: Header=BB258_7 Depth=1
	v_mov_b32_e32 v37, v36
	v_cndmask_b32_e32 v22, v22, v38, vcc
	v_cndmask_b32_e64 v23, v23, v38, s[6:7]
	v_cndmask_b32_e32 v38, v18, v39, vcc
	v_cndmask_b32_e64 v39, v19, v39, s[6:7]
	v_mov_b32_e32 v18, v36
	v_mov_b32_e32 v19, v36
	v_pk_mul_f32 v[14:15], v[18:19], v[14:15]
	v_pk_mul_f32 v[18:19], v[36:37], v[12:13]
	v_cmp_eq_u32_e32 vcc, 1, v69
	v_cmp_eq_u32_e64 s[6:7], 2, v69
	v_cmp_eq_u32_e64 s[8:9], 3, v69
	v_cndmask_b32_e32 v12, v18, v19, vcc
	v_cndmask_b32_e64 v12, v12, v14, s[6:7]
	v_cndmask_b32_e64 v12, v12, v15, s[8:9]
	v_cvt_f16_f32_e32 v23, v23
	v_cvt_f16_f32_sdwa v22, v22 dst_sel:WORD_1 dst_unused:UNUSED_PAD src0_sel:DWORD
	ds_bpermute_b32 v41, v79, v12
	v_mov_b32_e32 v21, v20
	v_lshl_add_u64 v[16:17], s[34:35], 2, v[16:17]
	v_or_b32_e32 v22, v22, v23
	v_cmp_eq_u32_e64 s[10:11], 0, v69
	;;#ASMSTART
	global_atomic_pk_add_f16 v[16:17], v22, off
	
	;;#ASMEND
	v_cvt_f16_f32_e32 v42, v39
	v_cvt_f16_f32_sdwa v43, v38 dst_sel:WORD_1 dst_unused:UNUSED_PAD src0_sel:DWORD
	v_lshl_add_u64 v[22:23], v[16:17], 0, 32
	s_waitcnt lgkmcnt(0)
	v_cndmask_b32_e64 v12, v15, v41, s[8:9]
	v_cndmask_b32_e32 v15, v19, v41, vcc
	v_cndmask_b32_e64 v16, v18, v41, s[10:11]
	v_mov_b32_e32 v18, v20
	v_mov_b32_e32 v19, v20
	v_pk_mul_f32 v[38:39], v[20:21], v[8:9]
	v_pk_mul_f32 v[18:19], v[18:19], v[10:11]
	v_cndmask_b32_e32 v8, v38, v39, vcc
	v_cndmask_b32_e64 v8, v8, v18, s[6:7]
	v_cndmask_b32_e64 v8, v8, v19, s[8:9]
	ds_bpermute_b32 v9, v79, v8
	v_cmp_eq_u32_e64 s[12:13], 1, v70
	v_cndmask_b32_e64 v13, v14, v41, s[6:7]
	v_cmp_eq_u32_e32 vcc, 2, v70
	v_cndmask_b32_e64 v14, v16, v15, s[12:13]
	v_cmp_eq_u32_e64 s[14:15], 3, v70
	v_cndmask_b32_e32 v8, v14, v13, vcc
	s_waitcnt lgkmcnt(0)
	v_cndmask_b32_e64 v11, v18, v9, s[6:7]
	v_cndmask_b32_e64 v8, v8, v12, s[14:15]
	v_cmp_ne_u32_e64 s[6:7], 0, v69
	ds_bpermute_b32 v14, v79, v8
	v_cndmask_b32_e64 v10, v19, v9, s[8:9]
	v_cndmask_b32_e64 v8, v39, v9, s[6:7]
	;; [unrolled: 1-line block ×4, first 2 shown]
	v_cndmask_b32_e32 v17, v17, v11, vcc
	v_cndmask_b32_e64 v17, v17, v10, s[14:15]
	ds_bpermute_b32 v17, v79, v17
	v_or_b32_e32 v18, v43, v42
	;;#ASMSTART
	global_atomic_pk_add_f16 v[22:23], v18, off
	
	;;#ASMEND
	v_add_u32_e32 v18, s63, v73
	v_cmp_gt_u32_e32 vcc, 48, v18
	s_and_b64 exec, exec, vcc
	s_cbranch_execz .LBB258_36
; %bb.32:                               ;   in Loop: Header=BB258_7 Depth=1
	v_cmp_eq_u32_e64 s[8:9], 1, v70
	v_cmp_eq_u32_e64 s[10:11], 0, v70
	v_cmp_eq_u32_e32 vcc, 3, v70
	s_waitcnt lgkmcnt(1)
	v_cndmask_b32_e64 v15, v15, v14, s[8:9]
	v_cndmask_b32_e64 v16, v16, v14, s[10:11]
	s_waitcnt lgkmcnt(0)
	v_cndmask_b32_e64 v19, v8, v17, s[8:9]
	v_cndmask_b32_e64 v22, v9, v17, s[10:11]
	v_cvt_f16_f32_e32 v16, v16
	v_cvt_f16_f32_sdwa v15, v15 dst_sel:WORD_1 dst_unused:UNUSED_PAD src0_sel:DWORD
	v_cvt_f16_f32_e32 v38, v22
	v_cvt_f16_f32_sdwa v19, v19 dst_sel:WORD_1 dst_unused:UNUSED_PAD src0_sel:DWORD
	v_cmp_eq_u32_e64 s[6:7], 2, v70
	v_lshl_add_u64 v[8:9], v[28:29], 1, s[46:47]
	v_or_b32_e32 v15, v15, v16
	v_cmp_gt_u32_e64 s[8:9], 46, v18
	;;#ASMSTART
	global_atomic_pk_add_f16 v[8:9], v15, off
	
	;;#ASMEND
	v_lshl_add_u64 v[22:23], v[8:9], 0, 32
	v_or_b32_e32 v15, v19, v38
	;;#ASMSTART
	global_atomic_pk_add_f16 v[22:23], v15, off
	
	;;#ASMEND
	s_and_b64 exec, exec, s[8:9]
	s_cbranch_execz .LBB258_36
; %bb.33:                               ;   in Loop: Header=BB258_7 Depth=1
	v_cndmask_b32_e32 v12, v12, v14, vcc
	v_cndmask_b32_e64 v13, v13, v14, s[6:7]
	v_cndmask_b32_e32 v14, v10, v17, vcc
	v_cndmask_b32_e64 v15, v11, v17, s[6:7]
	v_mov_b32_e32 v10, v36
	v_mov_b32_e32 v11, v36
	v_pk_mul_f32 v[6:7], v[10:11], v[6:7]
	v_pk_mul_f32 v[10:11], v[36:37], v[4:5]
	v_cmp_eq_u32_e32 vcc, 1, v69
	v_cmp_eq_u32_e64 s[6:7], 2, v69
	v_cmp_eq_u32_e64 s[8:9], 3, v69
	v_cndmask_b32_e32 v4, v10, v11, vcc
	v_cndmask_b32_e64 v4, v4, v6, s[6:7]
	v_cndmask_b32_e64 v4, v4, v7, s[8:9]
	v_cvt_f16_f32_e32 v13, v13
	v_cvt_f16_f32_sdwa v12, v12 dst_sel:WORD_1 dst_unused:UNUSED_PAD src0_sel:DWORD
	ds_bpermute_b32 v16, v79, v4
	v_lshl_add_u64 v[8:9], s[34:35], 2, v[8:9]
	v_cmp_eq_u32_e64 s[10:11], 0, v69
	v_or_b32_e32 v12, v12, v13
	;;#ASMSTART
	global_atomic_pk_add_f16 v[8:9], v12, off
	
	;;#ASMEND
	v_lshl_add_u64 v[12:13], v[8:9], 0, 32
	s_waitcnt lgkmcnt(0)
	v_cndmask_b32_e64 v4, v7, v16, s[8:9]
	v_cndmask_b32_e64 v5, v6, v16, s[6:7]
	v_cndmask_b32_e32 v6, v11, v16, vcc
	v_cndmask_b32_e64 v7, v10, v16, s[10:11]
	v_mov_b32_e32 v8, v20
	v_mov_b32_e32 v9, v20
	v_pk_mul_f32 v[10:11], v[20:21], v[0:1]
	v_pk_mul_f32 v[8:9], v[8:9], v[2:3]
	v_cndmask_b32_e32 v0, v10, v11, vcc
	v_cndmask_b32_e64 v0, v0, v8, s[6:7]
	v_cndmask_b32_e64 v0, v0, v9, s[8:9]
	ds_bpermute_b32 v1, v79, v0
	v_cmp_eq_u32_e64 s[12:13], 1, v70
	v_cmp_eq_u32_e32 vcc, 2, v70
	v_cmp_eq_u32_e64 s[14:15], 3, v70
	v_cndmask_b32_e64 v16, v7, v6, s[12:13]
	v_cndmask_b32_e32 v0, v16, v5, vcc
	v_cndmask_b32_e64 v0, v0, v4, s[14:15]
	s_waitcnt lgkmcnt(0)
	v_cndmask_b32_e64 v8, v8, v1, s[6:7]
	v_cmp_ne_u32_e64 s[6:7], 0, v69
	ds_bpermute_b32 v2, v79, v0
	v_cndmask_b32_e64 v3, v9, v1, s[8:9]
	v_cndmask_b32_e64 v0, v11, v1, s[6:7]
	;; [unrolled: 1-line block ×4, first 2 shown]
	v_cvt_f16_f32_e32 v15, v15
	v_cvt_f16_f32_sdwa v14, v14 dst_sel:WORD_1 dst_unused:UNUSED_PAD src0_sel:DWORD
	v_cndmask_b32_e32 v9, v9, v8, vcc
	v_cndmask_b32_e64 v9, v9, v3, s[14:15]
	ds_bpermute_b32 v9, v79, v9
	v_or_b32_e32 v10, v14, v15
	;;#ASMSTART
	global_atomic_pk_add_f16 v[12:13], v10, off
	
	;;#ASMEND
	v_add_u32_e32 v10, s63, v74
	v_cmp_gt_u32_e32 vcc, 48, v10
	s_and_b64 exec, exec, vcc
	s_cbranch_execz .LBB258_36
; %bb.34:                               ;   in Loop: Header=BB258_7 Depth=1
	v_cmp_eq_u32_e64 s[8:9], 1, v70
	v_cmp_eq_u32_e64 s[10:11], 0, v70
	v_cmp_eq_u32_e32 vcc, 3, v70
	s_waitcnt lgkmcnt(1)
	v_cndmask_b32_e64 v6, v6, v2, s[8:9]
	v_cndmask_b32_e64 v7, v7, v2, s[10:11]
	s_waitcnt lgkmcnt(0)
	v_cndmask_b32_e64 v11, v0, v9, s[8:9]
	v_cndmask_b32_e64 v12, v1, v9, s[10:11]
	v_cvt_f16_f32_e32 v7, v7
	v_cvt_f16_f32_sdwa v6, v6 dst_sel:WORD_1 dst_unused:UNUSED_PAD src0_sel:DWORD
	v_cvt_f16_f32_e32 v12, v12
	v_cvt_f16_f32_sdwa v11, v11 dst_sel:WORD_1 dst_unused:UNUSED_PAD src0_sel:DWORD
	v_cmp_eq_u32_e64 s[6:7], 2, v70
	v_lshl_add_u64 v[0:1], v[30:31], 1, s[46:47]
	v_or_b32_e32 v6, v6, v7
	v_cmp_gt_u32_e64 s[8:9], 46, v10
	;;#ASMSTART
	global_atomic_pk_add_f16 v[0:1], v6, off
	
	;;#ASMEND
	v_lshl_add_u64 v[6:7], v[0:1], 0, 32
	v_or_b32_e32 v11, v11, v12
	;;#ASMSTART
	global_atomic_pk_add_f16 v[6:7], v11, off
	
	;;#ASMEND
	s_and_b64 exec, exec, s[8:9]
	s_cbranch_execz .LBB258_36
; %bb.35:                               ;   in Loop: Header=BB258_7 Depth=1
	v_cndmask_b32_e32 v4, v4, v2, vcc
	v_cndmask_b32_e64 v2, v5, v2, s[6:7]
	v_cndmask_b32_e32 v3, v3, v9, vcc
	v_cndmask_b32_e64 v5, v8, v9, s[6:7]
	v_cvt_f16_f32_e32 v2, v2
	v_cvt_f16_f32_sdwa v4, v4 dst_sel:WORD_1 dst_unused:UNUSED_PAD src0_sel:DWORD
	v_cvt_f16_f32_e32 v5, v5
	v_cvt_f16_f32_sdwa v3, v3 dst_sel:WORD_1 dst_unused:UNUSED_PAD src0_sel:DWORD
	v_lshl_add_u64 v[0:1], s[34:35], 2, v[0:1]
	v_or_b32_e32 v2, v4, v2
	;;#ASMSTART
	global_atomic_pk_add_f16 v[0:1], v2, off
	
	;;#ASMEND
	v_lshl_add_u64 v[0:1], v[0:1], 0, 32
	v_or_b32_e32 v2, v3, v5
	;;#ASMSTART
	global_atomic_pk_add_f16 v[0:1], v2, off
	
	;;#ASMEND
.LBB258_36:                             ;   in Loop: Header=BB258_7 Depth=1
	s_or_b64 exec, exec, s[44:45]
	v_subrev_u32_e32 v80, s64, v80
.LBB258_37:                             ;   in Loop: Header=BB258_7 Depth=1
	s_or_b64 exec, exec, s[42:43]
.LBB258_38:                             ;   in Loop: Header=BB258_7 Depth=1
	s_andn2_saveexec_b64 s[6:7], s[40:41]
	s_cbranch_execz .LBB258_47
; %bb.39:                               ;   in Loop: Header=BB258_7 Depth=1
	s_lshl_b32 s39, s64, 1
	v_cmp_gt_i32_e32 vcc, s39, v80
	s_and_saveexec_b64 s[8:9], vcc
	s_cbranch_execz .LBB258_46
; %bb.40:                               ;   in Loop: Header=BB258_7 Depth=1
	s_mul_i32 s10, s38, s19
	s_ashr_i32 s11, s10, 31
	s_waitcnt lgkmcnt(0)
	s_add_u32 s10, s26, s10
	s_addc_u32 s11, s27, s11
	s_ashr_i32 s12, s62, 31
	s_add_u32 s10, s10, s62
	s_addc_u32 s11, s11, s12
	v_lshl_add_u64 v[0:1], s[10:11], 0, v[34:35]
	v_lshl_add_u64 v[8:9], v[0:1], 0, v[32:33]
	s_mov_b64 s[10:11], 0
	s_branch .LBB258_42
.LBB258_41:                             ;   in Loop: Header=BB258_42 Depth=2
	s_or_b64 exec, exec, s[12:13]
	v_lshl_add_u32 v12, v10, 11, v77
	;;#ASMSTART
	s_waitcnt vmcnt(1)
	;;#ASMEND
	ds_write2_b32 v12, v4, v5 offset1:32
	ds_write2_b32 v12, v6, v7 offset0:64 offset1:96
	v_add_u32_e32 v4, 0x400, v12
	v_add_u32_e32 v80, s22, v80
	;;#ASMSTART
	s_waitcnt vmcnt(0)
	;;#ASMEND
	ds_write2_b32 v4, v0, v1 offset1:32
	ds_write2_b32 v4, v2, v3 offset0:64 offset1:96
	v_add_u32_e32 v0, 1, v66
	v_add_u32_e32 v40, s22, v10
	v_cmp_le_i32_e32 vcc, s39, v80
	ds_write_b32 v11, v0 offset:24
	v_add_u32_e32 v0, 2, v66
	s_or_b64 s[10:11], vcc, s[10:11]
	v_cmp_lt_i32_e32 vcc, 3, v40
	s_nop 1
	v_cndmask_b32_e32 v66, v66, v0, vcc
	s_andn2_b64 exec, exec, s[10:11]
	s_cbranch_execz .LBB258_45
.LBB258_42:                             ;   Parent Loop BB258_7 Depth=1
                                        ; =>  This Loop Header: Depth=2
                                        ;       Child Loop BB258_44 Depth 3
	v_cmp_gt_i32_e32 vcc, 4, v40
	s_nop 1
	v_cndmask_b32_e64 v0, -4, 0, vcc
	v_add_u32_e32 v10, v0, v40
	v_lshrrev_b32_e32 v0, 31, v80
	v_add_u32_e32 v0, v80, v0
	v_and_b32_e32 v1, -2, v0
	v_lshlrev_b32_e32 v0, 6, v0
	v_sub_u32_e32 v2, v80, v1
	v_and_b32_e32 v0, 0xffffff80, v0
	v_ashrrev_i32_e32 v1, 31, v0
	v_mul_lo_u32 v2, s53, v2
	v_lshl_add_u64 v[0:1], v[8:9], 0, v[0:1]
	v_ashrrev_i32_e32 v3, 31, v2
	v_lshl_add_u64 v[0:1], v[0:1], 0, v[2:3]
	v_lshlrev_b32_e32 v11, 2, v10
	;;#ASMSTART
	global_load_dwordx4 v[4:7], v[0:1], off offset:0   sc0 sc1 nt  
	global_load_dwordx4 v[0:3], v[0:1], off offset:64  sc0 sc1 nt  
	
	;;#ASMEND
	ds_read_b32 v12, v11 offset:20504
	v_add_u32_e32 v11, 0x5000, v11
	s_waitcnt lgkmcnt(0)
	v_cmp_ne_u32_e32 vcc, v12, v66
	s_and_saveexec_b64 s[12:13], vcc
	s_cbranch_execz .LBB258_41
; %bb.43:                               ;   in Loop: Header=BB258_42 Depth=2
	s_mov_b64 s[14:15], 0
.LBB258_44:                             ;   Parent Loop BB258_7 Depth=1
                                        ;     Parent Loop BB258_42 Depth=2
                                        ; =>    This Inner Loop Header: Depth=3
	;;#ASMSTART
	s_sleep 0
	;;#ASMEND
	ds_read_b32 v12, v11 offset:24
	s_waitcnt lgkmcnt(0)
	v_cmp_eq_u32_e32 vcc, v12, v66
	s_or_b64 s[14:15], vcc, s[14:15]
	s_andn2_b64 exec, exec, s[14:15]
	s_cbranch_execnz .LBB258_44
	s_branch .LBB258_41
.LBB258_45:                             ;   in Loop: Header=BB258_7 Depth=1
	s_or_b64 exec, exec, s[10:11]
.LBB258_46:                             ;   in Loop: Header=BB258_7 Depth=1
	s_or_b64 exec, exec, s[8:9]
	v_subrev_u32_e32 v80, s39, v80
.LBB258_47:                             ;   in Loop: Header=BB258_7 Depth=1
	s_or_b64 exec, exec, s[6:7]
.LBB258_48:                             ;   in Loop: Header=BB258_7 Depth=1
	s_andn2_saveexec_b64 s[6:7], s[36:37]
	s_cbranch_execz .LBB258_6
; %bb.49:                               ;   in Loop: Header=BB258_7 Depth=1
	s_mul_i32 s64, s64, 3
	v_cmp_gt_i32_e32 vcc, s64, v80
	s_and_saveexec_b64 s[8:9], vcc
	s_cbranch_execz .LBB258_5
; %bb.50:                               ;   in Loop: Header=BB258_7 Depth=1
	s_mul_i32 s61, s61, s18
	s_ashr_i32 s10, s61, 31
	s_waitcnt lgkmcnt(0)
	s_add_u32 s11, s24, s61
	v_add_u32_e32 v2, s63, v75
	s_addc_u32 s12, s25, s10
	s_ashr_i32 s13, s62, 31
	v_cmp_gt_u32_e32 vcc, 48, v2
	s_add_u32 s10, s11, s62
	s_addc_u32 s11, s12, s13
	v_cndmask_b32_e32 v0, 0, v78, vcc
	v_ashrrev_i32_e32 v1, 31, v0
	v_lshl_add_u64 v[0:1], s[10:11], 0, v[0:1]
	v_lshl_add_u64 v[8:9], v[0:1], 0, v[32:33]
	v_sub_u32_e32 v10, 47, v2
	s_mov_b64 s[10:11], 0
	s_branch .LBB258_52
.LBB258_51:                             ;   in Loop: Header=BB258_52 Depth=2
	s_or_b64 exec, exec, s[12:13]
	v_lshl_or_b32 v13, v11, 11, v76
	;;#ASMSTART
	s_waitcnt vmcnt(1)
	;;#ASMEND
	ds_write2_b32 v13, v4, v5 offset1:32
	ds_write2_b32 v13, v6, v7 offset0:64 offset1:96
	v_add_u32_e32 v4, 0x400, v13
	v_add_u32_e32 v80, s21, v80
	;;#ASMSTART
	s_waitcnt vmcnt(0)
	;;#ASMEND
	ds_write2_b32 v4, v0, v1 offset1:32
	ds_write2_b32 v4, v2, v3 offset0:64 offset1:96
	v_add_u32_e32 v0, 1, v66
	v_add_u32_e32 v40, s21, v11
	v_cmp_le_i32_e32 vcc, s64, v80
	ds_write_b32 v12, v0
	v_add_u32_e32 v0, 2, v66
	s_or_b64 s[10:11], vcc, s[10:11]
	v_cmp_lt_i32_e32 vcc, 5, v40
	s_nop 1
	v_cndmask_b32_e32 v66, v66, v0, vcc
	s_andn2_b64 exec, exec, s[10:11]
	s_cbranch_execz .LBB258_4
.LBB258_52:                             ;   Parent Loop BB258_7 Depth=1
                                        ; =>  This Loop Header: Depth=2
                                        ;       Child Loop BB258_54 Depth 3
	v_cmp_gt_i32_e32 vcc, 6, v40
	s_nop 1
	v_cndmask_b32_e64 v0, -6, 0, vcc
	v_add_u32_e32 v11, v0, v40
	v_mul_hi_i32 v0, v80, s60
	v_lshrrev_b32_e32 v1, 31, v0
	v_add_u32_e32 v0, v0, v1
	v_lshl_add_u32 v1, v0, 1, v0
	v_sub_u32_e32 v1, v80, v1
	v_lshlrev_b32_e32 v1, 4, v1
	v_cmp_le_i32_e32 vcc, v1, v10
	v_lshlrev_b32_e32 v0, 7, v0
	v_lshlrev_b32_e32 v12, 2, v11
	v_cndmask_b32_e32 v2, 0, v1, vcc
	v_ashrrev_i32_e32 v1, 31, v0
	v_mul_lo_u32 v2, v2, s18
	v_lshl_add_u64 v[0:1], v[8:9], 0, v[0:1]
	v_ashrrev_i32_e32 v3, 31, v2
	v_lshl_add_u64 v[0:1], v[0:1], 0, v[2:3]
	;;#ASMSTART
	global_load_dwordx4 v[4:7], v[0:1], off offset:0   
	global_load_dwordx4 v[0:3], v[0:1], off offset:64  
	
	;;#ASMEND
	ds_read_b32 v13, v12 offset:20480
	v_add_u32_e32 v12, 0x5000, v12
	s_waitcnt lgkmcnt(0)
	v_cmp_ne_u32_e32 vcc, v13, v66
	s_and_saveexec_b64 s[12:13], vcc
	s_cbranch_execz .LBB258_51
; %bb.53:                               ;   in Loop: Header=BB258_52 Depth=2
	s_mov_b64 s[14:15], 0
.LBB258_54:                             ;   Parent Loop BB258_7 Depth=1
                                        ;     Parent Loop BB258_52 Depth=2
                                        ; =>    This Inner Loop Header: Depth=3
	;;#ASMSTART
	s_sleep 0
	;;#ASMEND
	ds_read_b32 v13, v12
	s_waitcnt lgkmcnt(0)
	v_cmp_eq_u32_e32 vcc, v13, v66
	s_or_b64 s[14:15], vcc, s[14:15]
	s_andn2_b64 exec, exec, s[14:15]
	s_cbranch_execnz .LBB258_54
	s_branch .LBB258_51
.LBB258_55:
	s_endpgm
	.section	.rodata,"a",@progbits
	.p2align	6, 0x0
	.amdhsa_kernel _Z19_skinny_gemm_kernelILi3ELi2ELi2ELi16ELi4EEvPKhS1_P6__halfPKfiiiiiiii
		.amdhsa_group_segment_fixed_size 20520
		.amdhsa_private_segment_fixed_size 0
		.amdhsa_kernarg_size 64
		.amdhsa_user_sgpr_count 2
		.amdhsa_user_sgpr_dispatch_ptr 0
		.amdhsa_user_sgpr_queue_ptr 0
		.amdhsa_user_sgpr_kernarg_segment_ptr 1
		.amdhsa_user_sgpr_dispatch_id 0
		.amdhsa_user_sgpr_kernarg_preload_length 0
		.amdhsa_user_sgpr_kernarg_preload_offset 0
		.amdhsa_user_sgpr_private_segment_size 0
		.amdhsa_uses_dynamic_stack 0
		.amdhsa_enable_private_segment 0
		.amdhsa_system_sgpr_workgroup_id_x 1
		.amdhsa_system_sgpr_workgroup_id_y 0
		.amdhsa_system_sgpr_workgroup_id_z 0
		.amdhsa_system_sgpr_workgroup_info 0
		.amdhsa_system_vgpr_workitem_id 0
		.amdhsa_next_free_vgpr 88
		.amdhsa_next_free_sgpr 65
		.amdhsa_accum_offset 88
		.amdhsa_reserve_vcc 1
		.amdhsa_float_round_mode_32 0
		.amdhsa_float_round_mode_16_64 0
		.amdhsa_float_denorm_mode_32 3
		.amdhsa_float_denorm_mode_16_64 3
		.amdhsa_dx10_clamp 1
		.amdhsa_ieee_mode 1
		.amdhsa_fp16_overflow 0
		.amdhsa_tg_split 0
		.amdhsa_exception_fp_ieee_invalid_op 0
		.amdhsa_exception_fp_denorm_src 0
		.amdhsa_exception_fp_ieee_div_zero 0
		.amdhsa_exception_fp_ieee_overflow 0
		.amdhsa_exception_fp_ieee_underflow 0
		.amdhsa_exception_fp_ieee_inexact 0
		.amdhsa_exception_int_div_zero 0
	.end_amdhsa_kernel
	.section	.text._Z19_skinny_gemm_kernelILi3ELi2ELi2ELi16ELi4EEvPKhS1_P6__halfPKfiiiiiiii,"axG",@progbits,_Z19_skinny_gemm_kernelILi3ELi2ELi2ELi16ELi4EEvPKhS1_P6__halfPKfiiiiiiii,comdat
.Lfunc_end258:
	.size	_Z19_skinny_gemm_kernelILi3ELi2ELi2ELi16ELi4EEvPKhS1_P6__halfPKfiiiiiiii, .Lfunc_end258-_Z19_skinny_gemm_kernelILi3ELi2ELi2ELi16ELi4EEvPKhS1_P6__halfPKfiiiiiiii
                                        ; -- End function
	.set _Z19_skinny_gemm_kernelILi3ELi2ELi2ELi16ELi4EEvPKhS1_P6__halfPKfiiiiiiii.num_vgpr, 88
	.set _Z19_skinny_gemm_kernelILi3ELi2ELi2ELi16ELi4EEvPKhS1_P6__halfPKfiiiiiiii.num_agpr, 0
	.set _Z19_skinny_gemm_kernelILi3ELi2ELi2ELi16ELi4EEvPKhS1_P6__halfPKfiiiiiiii.numbered_sgpr, 65
	.set _Z19_skinny_gemm_kernelILi3ELi2ELi2ELi16ELi4EEvPKhS1_P6__halfPKfiiiiiiii.num_named_barrier, 0
	.set _Z19_skinny_gemm_kernelILi3ELi2ELi2ELi16ELi4EEvPKhS1_P6__halfPKfiiiiiiii.private_seg_size, 0
	.set _Z19_skinny_gemm_kernelILi3ELi2ELi2ELi16ELi4EEvPKhS1_P6__halfPKfiiiiiiii.uses_vcc, 1
	.set _Z19_skinny_gemm_kernelILi3ELi2ELi2ELi16ELi4EEvPKhS1_P6__halfPKfiiiiiiii.uses_flat_scratch, 0
	.set _Z19_skinny_gemm_kernelILi3ELi2ELi2ELi16ELi4EEvPKhS1_P6__halfPKfiiiiiiii.has_dyn_sized_stack, 0
	.set _Z19_skinny_gemm_kernelILi3ELi2ELi2ELi16ELi4EEvPKhS1_P6__halfPKfiiiiiiii.has_recursion, 0
	.set _Z19_skinny_gemm_kernelILi3ELi2ELi2ELi16ELi4EEvPKhS1_P6__halfPKfiiiiiiii.has_indirect_call, 0
	.section	.AMDGPU.csdata,"",@progbits
; Kernel info:
; codeLenInByte = 4900
; TotalNumSgprs: 71
; NumVgprs: 88
; NumAgprs: 0
; TotalNumVgprs: 88
; ScratchSize: 0
; MemoryBound: 0
; FloatMode: 240
; IeeeMode: 1
; LDSByteSize: 20520 bytes/workgroup (compile time only)
; SGPRBlocks: 8
; VGPRBlocks: 10
; NumSGPRsForWavesPerEU: 71
; NumVGPRsForWavesPerEU: 88
; AccumOffset: 88
; Occupancy: 5
; WaveLimiterHint : 0
; COMPUTE_PGM_RSRC2:SCRATCH_EN: 0
; COMPUTE_PGM_RSRC2:USER_SGPR: 2
; COMPUTE_PGM_RSRC2:TRAP_HANDLER: 0
; COMPUTE_PGM_RSRC2:TGID_X_EN: 1
; COMPUTE_PGM_RSRC2:TGID_Y_EN: 0
; COMPUTE_PGM_RSRC2:TGID_Z_EN: 0
; COMPUTE_PGM_RSRC2:TIDIG_COMP_CNT: 0
; COMPUTE_PGM_RSRC3_GFX90A:ACCUM_OFFSET: 21
; COMPUTE_PGM_RSRC3_GFX90A:TG_SPLIT: 0
	.section	.text._Z19_skinny_gemm_kernelILi3ELi2ELi2ELi16ELi8EEvPKhS1_P6__halfPKfiiiiiiii,"axG",@progbits,_Z19_skinny_gemm_kernelILi3ELi2ELi2ELi16ELi8EEvPKhS1_P6__halfPKfiiiiiiii,comdat
	.protected	_Z19_skinny_gemm_kernelILi3ELi2ELi2ELi16ELi8EEvPKhS1_P6__halfPKfiiiiiiii ; -- Begin function _Z19_skinny_gemm_kernelILi3ELi2ELi2ELi16ELi8EEvPKhS1_P6__halfPKfiiiiiiii
	.globl	_Z19_skinny_gemm_kernelILi3ELi2ELi2ELi16ELi8EEvPKhS1_P6__halfPKfiiiiiiii
	.p2align	8
	.type	_Z19_skinny_gemm_kernelILi3ELi2ELi2ELi16ELi8EEvPKhS1_P6__halfPKfiiiiiiii,@function
_Z19_skinny_gemm_kernelILi3ELi2ELi2ELi16ELi8EEvPKhS1_P6__halfPKfiiiiiiii: ; @_Z19_skinny_gemm_kernelILi3ELi2ELi2ELi16ELi8EEvPKhS1_P6__halfPKfiiiiiiii
; %bb.0:
	v_cmp_gt_u32_e32 vcc, 10, v0
	v_lshlrev_b32_e32 v1, 2, v0
	s_and_saveexec_b64 s[4:5], vcc
; %bb.1:
	v_mov_b32_e32 v2, 0
	ds_write_b32 v1, v2 offset:40960
; %bb.2:
	s_or_b64 exec, exec, s[4:5]
	s_load_dwordx8 s[16:23], s[0:1], 0x20
	s_waitcnt lgkmcnt(0)
	s_barrier
	s_add_i32 s3, s16, 47
	s_add_i32 s4, s17, 31
	s_mul_hi_i32 s3, s3, 0x2aaaaaab
	s_lshr_b32 s5, s3, 31
	s_ashr_i32 s33, s3, 3
	s_ashr_i32 s3, s4, 31
	s_lshr_b32 s3, s3, 27
	s_add_i32 s4, s4, s3
	s_add_i32 s33, s33, s5
	s_ashr_i32 s48, s4, 5
	s_mul_i32 s3, s48, s33
	s_mul_i32 s3, s3, s20
	s_add_i32 s4, s3, 0x12f
	s_mul_hi_i32 s4, s4, 0x6bca1af3
	s_lshr_b32 s5, s4, 31
	s_ashr_i32 s4, s4, 7
	s_add_i32 s4, s4, s5
	s_add_i32 s5, s2, 1
	s_mul_i32 s5, s4, s5
	v_cvt_f64_i32_e32 v[2:3], s3
	v_cvt_f64_u32_e32 v[4:5], s5
	v_min_f64 v[2:3], v[2:3], v[4:5]
	v_cvt_i32_f64_e32 v25, v[2:3]
	s_mul_i32 s49, s4, s2
	v_cmp_ge_i32_e32 vcc, s49, v25
	s_cbranch_vccnz .LBB259_55
; %bb.3:
	v_lshrrev_b32_e32 v2, 6, v0
	s_add_i32 s4, s22, s21
	s_load_dwordx8 s[24:31], s[0:1], 0x0
	v_cmp_le_i32_e64 s[0:1], s4, v2
	v_mov_b32_e32 v3, s21
	v_cmp_le_i32_e64 s[2:3], s21, v2
	v_mov_b32_e32 v4, s22
	v_cndmask_b32_e64 v4, 0, v4, s[0:1]
	v_cndmask_b32_e64 v3, 0, v3, s[2:3]
	s_abs_i32 s5, s20
	v_add_u32_e32 v3, v3, v4
	v_cvt_f32_u32_e32 v4, s5
	v_sub_u32_e32 v42, v2, v3
	s_ashr_i32 s6, s18, 31
	s_lshr_b32 s6, s6, 24
	v_rcp_iflag_f32_e32 v3, v4
	s_sub_i32 s9, 0, s5
	s_add_i32 s6, s18, s6
	s_ashr_i32 s6, s6, 8
	v_mul_f32_e32 v3, 0x4f7ffffe, v3
	v_cvt_u32_f32_e32 v3, v3
	s_abs_i32 s8, s6
	s_xor_b32 s7, s6, s20
	s_ashr_i32 s7, s7, 31
	v_readfirstlane_b32 s10, v3
	s_mul_i32 s9, s9, s10
	s_mul_hi_u32 s9, s10, s9
	s_add_i32 s10, s10, s9
	s_mul_hi_u32 s9, s8, s10
	s_mul_i32 s10, s9, s5
	s_sub_i32 s8, s8, s10
	s_add_i32 s10, s9, 1
	s_sub_i32 s11, s8, s5
	s_cmp_ge_u32 s8, s5
	s_cselect_b32 s9, s10, s9
	s_cselect_b32 s8, s11, s8
	s_add_i32 s10, s9, 1
	s_cmp_ge_u32 s8, s5
	s_cselect_b32 s5, s10, s9
	s_xor_b32 s5, s5, s7
	s_sub_i32 s50, s5, s7
	s_add_i32 s20, s20, -1
	s_mul_i32 s5, s50, s20
	s_add_i32 s4, s4, s23
	s_sub_i32 s51, s6, s5
	v_cmp_gt_i32_e64 s[4:5], s4, v2
	v_lshlrev_b32_e32 v2, 1, v0
	v_lshlrev_b32_e32 v3, 4, v0
	v_and_b32_e32 v1, 60, v1
	v_and_b32_e32 v2, 64, v2
	;; [unrolled: 1-line block ×3, first 2 shown]
	v_or3_b32 v93, v1, v2, v4
	v_and_b32_e32 v1, 1, v0
	v_lshrrev_b32_e32 v4, 2, v0
	s_abs_i32 s52, s33
	v_and_or_b32 v98, v4, 12, v1
	v_cvt_f32_u32_e32 v4, s52
	v_lshlrev_b32_e32 v2, 1, v1
	v_and_b32_e32 v24, 14, v0
	v_sub_u32_e32 v2, v0, v2
	v_bitop3_b32 v95, v0, 1, v0 bitop3:0xc
	v_bitop3_b32 v96, v0, 3, 1 bitop3:0x6c
	v_and_b32_e32 v32, 48, v3
	v_bfe_u32 v101, v0, 2, 4
	v_and_b32_e32 v1, 60, v0
	v_lshlrev_b32_e32 v3, 8, v0
	v_lshlrev_b32_e32 v0, 6, v0
	v_and_b32_e32 v3, 0x200, v3
	v_and_b32_e32 v0, 64, v0
	v_or3_b32 v102, v1, v3, v0
	v_rcp_iflag_f32_e32 v0, v4
	s_abs_i32 s54, s48
	v_cvt_f32_u32_e32 v1, s54
	v_mad_u64_u32 v[26:27], s[6:7], s17, v98, v[24:25]
	v_mul_f32_e32 v0, 0x4f7ffffe, v0
	v_cvt_u32_f32_e32 v0, v0
	v_rcp_iflag_f32_e32 v1, v1
	s_lshl_b32 s6, s17, 4
	v_add_u32_e32 v28, s6, v26
	v_readfirstlane_b32 s7, v0
	v_mul_f32_e32 v0, 0x4f7ffffe, v1
	v_cvt_u32_f32_e32 v0, v0
	v_add_u32_e32 v30, s6, v28
	s_sub_i32 s6, 0, s52
	s_mul_i32 s6, s6, s7
	s_mul_hi_u32 s6, s7, s6
	v_add_u32_e32 v2, 1, v2
	s_add_i32 s56, s7, s6
	s_sub_i32 s6, 0, s54
	v_readfirstlane_b32 s7, v0
	v_mbcnt_lo_u32_b32 v0, -1, 0
	v_and_b32_e32 v2, 63, v2
	s_mul_i32 s6, s6, s7
	v_mbcnt_hi_u32_b32 v0, -1, v0
	v_mul_lo_u32 v34, s19, v101
	s_mul_hi_u32 s6, s7, s6
	v_and_or_b32 v0, v0, 64, v2
	v_cndmask_b32_e64 v92, 0, 1, s[0:1]
	v_or_b32_e32 v94, 0x6000, v93
	s_ashr_i32 s35, s17, 31
	s_mov_b32 s34, s17
	v_or_b32_e32 v97, 16, v24
	v_ashrrev_i32_e32 v27, 31, v26
	v_or_b32_e32 v99, 16, v98
	v_ashrrev_i32_e32 v29, 31, v28
	v_or_b32_e32 v100, 32, v98
	v_ashrrev_i32_e32 v31, 31, v30
	v_ashrrev_i32_e32 v35, 31, v34
	v_mov_b32_e32 v33, 0
	v_or_b32_e32 v103, 0x6000, v102
	s_lshl_b32 s53, s19, 4
	v_mul_lo_u32 v104, s18, v101
	s_ashr_i32 s55, s33, 31
	s_ashr_i32 s57, s48, 31
	s_add_i32 s58, s7, s6
	s_movk_i32 s59, 0x3000
	s_mov_b32 s60, 0x55555556
	v_lshlrev_b32_e32 v105, 2, v0
	v_mov_b32_e32 v106, v42
	s_branch .LBB259_7
.LBB259_4:                              ;   in Loop: Header=BB259_7 Depth=1
	s_or_b64 exec, exec, s[10:11]
.LBB259_5:                              ;   in Loop: Header=BB259_7 Depth=1
	s_or_b64 exec, exec, s[8:9]
	v_subrev_u32_e32 v106, s64, v106
.LBB259_6:                              ;   in Loop: Header=BB259_7 Depth=1
	s_or_b64 exec, exec, s[6:7]
	s_add_i32 s49, s49, 1
	v_cmp_ge_i32_e32 vcc, s49, v25
	s_cbranch_vccnz .LBB259_55
.LBB259_7:                              ; =>This Loop Header: Depth=1
                                        ;     Child Loop BB259_13 Depth 2
                                        ;       Child Loop BB259_15 Depth 3
                                        ;       Child Loop BB259_18 Depth 3
	;; [unrolled: 1-line block ×5, first 2 shown]
                                        ;     Child Loop BB259_42 Depth 2
                                        ;       Child Loop BB259_44 Depth 3
                                        ;     Child Loop BB259_52 Depth 2
                                        ;       Child Loop BB259_54 Depth 3
	s_abs_i32 s7, s49
	s_mul_hi_u32 s8, s7, s56
	s_mul_i32 s9, s8, s52
	s_ashr_i32 s6, s49, 31
	s_sub_i32 s7, s7, s9
	s_xor_b32 s6, s6, s55
	s_add_i32 s9, s8, 1
	s_sub_i32 s10, s7, s52
	s_cmp_ge_u32 s7, s52
	s_cselect_b32 s8, s9, s8
	s_cselect_b32 s7, s10, s7
	s_add_i32 s9, s8, 1
	s_cmp_ge_u32 s7, s52
	s_cselect_b32 s7, s9, s8
	s_xor_b32 s7, s7, s6
	s_sub_i32 s6, s7, s6
	s_abs_i32 s8, s6
	s_mul_hi_u32 s9, s8, s58
	s_mul_i32 s7, s6, s33
	s_mul_i32 s10, s9, s54
	s_sub_i32 s61, s49, s7
	s_ashr_i32 s7, s6, 31
	s_sub_i32 s8, s8, s10
	s_xor_b32 s7, s7, s57
	s_add_i32 s10, s9, 1
	s_sub_i32 s11, s8, s54
	s_cmp_ge_u32 s8, s54
	s_cselect_b32 s9, s10, s9
	s_cselect_b32 s8, s11, s8
	s_add_i32 s10, s9, 1
	s_cmp_ge_u32 s8, s54
	s_cselect_b32 s8, s10, s9
	s_xor_b32 s8, s8, s7
	s_sub_i32 s7, s8, s7
	s_mul_i32 s8, s7, s50
	s_lshl_b32 s62, s8, 8
	s_mul_i32 s61, s61, 48
	s_cmp_eq_u32 s7, s20
	s_cselect_b32 s64, s51, s50
	s_sub_i32 s8, s61, s16
	s_add_i32 s8, s8, 48
	s_max_i32 s63, s8, 0
	s_and_saveexec_b64 s[8:9], s[2:3]
	s_xor_b64 s[36:37], exec, s[8:9]
	s_cbranch_execz .LBB259_48
; %bb.8:                                ;   in Loop: Header=BB259_7 Depth=1
	s_mul_i32 s7, s7, s48
	s_sub_i32 s6, s6, s7
	s_lshl_b32 s6, s6, 5
	s_sub_i32 s14, s6, s17
	s_add_i32 s14, s14, 32
	s_max_i32 s7, s14, 0
	s_sub_i32 s38, s6, s7
	s_and_saveexec_b64 s[6:7], s[0:1]
	s_xor_b64 s[40:41], exec, s[6:7]
	s_cbranch_execz .LBB259_38
; %bb.9:                                ;   in Loop: Header=BB259_7 Depth=1
	s_and_saveexec_b64 s[42:43], s[4:5]
	s_cbranch_execz .LBB259_37
; %bb.10:                               ;   in Loop: Header=BB259_7 Depth=1
	s_waitcnt lgkmcnt(0)
	global_load_dword v107, v33, s[30:31]
	v_mov_b32_e32 v23, 0
	v_cmp_gt_i32_e32 vcc, s64, v106
	v_mov_b32_e32 v22, v23
	v_mov_b32_e32 v21, v23
	;; [unrolled: 1-line block ×23, first 2 shown]
	s_and_saveexec_b64 s[6:7], vcc
	s_cbranch_execz .LBB259_29
; %bb.11:                               ;   in Loop: Header=BB259_7 Depth=1
	v_mov_b32_e32 v0, 0
	s_mov_b64 s[8:9], 0
	v_mov_b32_e32 v1, v0
	v_mov_b32_e32 v2, v0
	v_mov_b32_e32 v3, v0
	v_mov_b32_e32 v4, v0
	v_mov_b32_e32 v5, v0
	v_mov_b32_e32 v6, v0
	v_mov_b32_e32 v7, v0
	v_mov_b32_e32 v8, v0
	v_mov_b32_e32 v9, v0
	v_mov_b32_e32 v10, v0
	v_mov_b32_e32 v11, v0
	v_mov_b32_e32 v12, v0
	v_mov_b32_e32 v13, v0
	v_mov_b32_e32 v14, v0
	v_mov_b32_e32 v15, v0
	v_mov_b32_e32 v16, v0
	v_mov_b32_e32 v17, v0
	v_mov_b32_e32 v18, v0
	v_mov_b32_e32 v19, v0
	v_mov_b32_e32 v20, v0
	v_mov_b32_e32 v21, v0
	v_mov_b32_e32 v22, v0
	v_mov_b32_e32 v23, v0
	s_branch .LBB259_13
.LBB259_12:                             ;   in Loop: Header=BB259_13 Depth=2
	s_or_b64 exec, exec, s[10:11]
	v_add_u32_e32 v48, 0x1000, v110
	ds_read2_b32 v[46:47], v48 offset1:32
	v_add_u32_e32 v50, 0x1400, v110
	v_add_u32_e32 v106, s23, v106
	s_waitcnt lgkmcnt(0)
	v_mfma_f32_16x16x32_fp8_fp8 v[16:19], v[36:37], v[46:47], v[16:19]
	ds_read2_b32 v[36:37], v48 offset0:128 offset1:160
	ds_read2_b32 v[48:49], v50 offset1:32
	ds_read2_b32 v[50:51], v50 offset0:128 offset1:160
	v_mfma_f32_16x16x32_fp8_fp8 v[8:11], v[68:69], v[46:47], v[8:11]
	v_mfma_f32_16x16x32_fp8_fp8 v[0:3], v[84:85], v[46:47], v[0:3]
	s_waitcnt lgkmcnt(2)
	v_mfma_f32_16x16x32_fp8_fp8 v[16:19], v[54:55], v[36:37], v[16:19]
	v_add_u32_e32 v54, 0x1800, v110
	ds_read2_b32 v[52:53], v54 offset1:32
	ds_read2_b32 v[54:55], v54 offset0:128 offset1:160
	v_mfma_f32_16x16x32_fp8_fp8 v[8:11], v[70:71], v[36:37], v[8:11]
	v_mfma_f32_16x16x32_fp8_fp8 v[0:3], v[86:87], v[36:37], v[0:3]
	v_add_u32_e32 v36, 2, v92
	s_waitcnt lgkmcnt(3)
	v_mfma_f32_16x16x32_fp8_fp8 v[16:19], v[60:61], v[48:49], v[16:19]
	v_add_u32_e32 v60, 0x1c00, v110
	v_mfma_f32_16x16x32_fp8_fp8 v[8:11], v[72:73], v[48:49], v[8:11]
	v_mfma_f32_16x16x32_fp8_fp8 v[0:3], v[88:89], v[48:49], v[0:3]
	s_waitcnt lgkmcnt(2)
	v_mfma_f32_16x16x32_fp8_fp8 v[16:19], v[56:57], v[50:51], v[16:19]
	ds_read2_b32 v[56:57], v60 offset1:32
	v_mfma_f32_16x16x32_fp8_fp8 v[8:11], v[74:75], v[50:51], v[8:11]
	v_mfma_f32_16x16x32_fp8_fp8 v[0:3], v[90:91], v[50:51], v[0:3]
	s_waitcnt lgkmcnt(2)
	v_mfma_f32_16x16x32_fp8_fp8 v[16:19], v[62:63], v[52:53], v[16:19]
	v_mfma_f32_16x16x32_fp8_fp8 v[8:11], v[76:77], v[52:53], v[8:11]
	;; [unrolled: 1-line block ×3, first 2 shown]
	v_add_u32_e32 v42, s23, v108
	v_cmp_lt_i32_e32 vcc, 1, v42
	s_waitcnt lgkmcnt(1)
	v_mfma_f32_16x16x32_fp8_fp8 v[16:19], v[58:59], v[54:55], v[16:19]
	ds_read2_b32 v[58:59], v60 offset0:128 offset1:160
	v_cndmask_b32_e32 v92, v92, v36, vcc
	v_cmp_le_i32_e32 vcc, s64, v106
	v_mfma_f32_16x16x32_fp8_fp8 v[8:11], v[78:79], v[54:55], v[8:11]
	s_or_b64 s[8:9], vcc, s[8:9]
	;;#ASMSTART
	s_waitcnt lgkmcnt(0)
	;;#ASMEND
	ds_write_b32 v109, v111 offset:40988
	v_mfma_f32_16x16x32_fp8_fp8 v[0:3], v[44:45], v[54:55], v[0:3]
	s_waitcnt lgkmcnt(2)
	v_mfma_f32_16x16x32_fp8_fp8 v[16:19], v[64:65], v[56:57], v[16:19]
	v_mfma_f32_16x16x32_fp8_fp8 v[8:11], v[80:81], v[56:57], v[8:11]
	;; [unrolled: 1-line block ×3, first 2 shown]
	s_waitcnt lgkmcnt(1)
	v_mfma_f32_16x16x32_fp8_fp8 v[16:19], v[66:67], v[58:59], v[16:19]
	v_mfma_f32_16x16x32_fp8_fp8 v[8:11], v[82:83], v[58:59], v[8:11]
	;; [unrolled: 1-line block ×3, first 2 shown]
	s_andn2_b64 exec, exec, s[8:9]
	s_cbranch_execz .LBB259_28
.LBB259_13:                             ;   Parent Loop BB259_7 Depth=1
                                        ; =>  This Loop Header: Depth=2
                                        ;       Child Loop BB259_15 Depth 3
                                        ;       Child Loop BB259_18 Depth 3
	;; [unrolled: 1-line block ×5, first 2 shown]
	v_cmp_gt_i32_e32 vcc, 2, v42
	s_nop 1
	v_cndmask_b32_e64 v36, -2, 0, vcc
	v_add_u32_e32 v108, v36, v42
	v_lshlrev_b32_e32 v109, 3, v108
	ds_read_b32 v36, v109 offset:40984
	s_waitcnt lgkmcnt(0)
	v_cmp_ne_u32_e32 vcc, v36, v92
	s_and_saveexec_b64 s[10:11], vcc
	s_cbranch_execz .LBB259_16
; %bb.14:                               ;   in Loop: Header=BB259_13 Depth=2
	s_mov_b64 s[12:13], 0
.LBB259_15:                             ;   Parent Loop BB259_7 Depth=1
                                        ;     Parent Loop BB259_13 Depth=2
                                        ; =>    This Inner Loop Header: Depth=3
	;;#ASMSTART
	s_sleep 0
	;;#ASMEND
	ds_read_b32 v36, v109 offset:40984
	s_waitcnt lgkmcnt(0)
	v_cmp_eq_u32_e32 vcc, v36, v92
	s_or_b64 s[12:13], vcc, s[12:13]
	s_andn2_b64 exec, exec, s[12:13]
	s_cbranch_execnz .LBB259_15
.LBB259_16:                             ;   in Loop: Header=BB259_13 Depth=2
	s_or_b64 exec, exec, s[10:11]
	v_lshlrev_b32_e32 v36, 13, v108
	v_add_u32_e32 v110, v94, v36
	v_add_u32_e32 v36, 0x400, v110
	ds_read2_b32 v[38:39], v110 offset1:32
	ds_read2_b32 v[40:41], v110 offset0:128 offset1:160
	ds_read2_b32 v[42:43], v36 offset1:32
	ds_read2_b32 v[44:45], v36 offset0:128 offset1:160
	v_add_u32_e32 v36, 0x800, v110
	ds_read2_b32 v[46:47], v36 offset1:32
	ds_read2_b32 v[48:49], v36 offset0:128 offset1:160
	v_add_u32_e32 v36, 0xc00, v110
	v_add_u32_e32 v111, 1, v92
	ds_read2_b32 v[52:53], v36 offset1:32
	ds_read2_b32 v[50:51], v36 offset0:128 offset1:160
	;;#ASMSTART
	s_waitcnt lgkmcnt(0)
	;;#ASMEND
	ds_write_b32 v109, v111 offset:40984
	v_mul_lo_u32 v112, v108, 12
	ds_read_b32 v36, v112 offset:40960
	s_waitcnt lgkmcnt(0)
	v_cmp_ne_u32_e32 vcc, v36, v92
	s_and_saveexec_b64 s[10:11], vcc
	s_cbranch_execz .LBB259_19
; %bb.17:                               ;   in Loop: Header=BB259_13 Depth=2
	s_mov_b64 s[12:13], 0
.LBB259_18:                             ;   Parent Loop BB259_7 Depth=1
                                        ;     Parent Loop BB259_13 Depth=2
                                        ; =>    This Inner Loop Header: Depth=3
	;;#ASMSTART
	s_sleep 0
	;;#ASMEND
	ds_read_b32 v36, v112 offset:40960
	s_waitcnt lgkmcnt(0)
	v_cmp_eq_u32_e32 vcc, v36, v92
	s_or_b64 s[12:13], vcc, s[12:13]
	s_andn2_b64 exec, exec, s[12:13]
	s_cbranch_execnz .LBB259_18
.LBB259_19:                             ;   in Loop: Header=BB259_13 Depth=2
	s_or_b64 exec, exec, s[10:11]
	v_mul_lo_u32 v68, v108, s59
	v_or_b32_e32 v64, v93, v68
	ds_read2_b32 v[36:37], v64 offset1:32
	ds_read2_b32 v[54:55], v64 offset0:128 offset1:160
	v_add_u32_e32 v56, 0x400, v64
	ds_read2_b32 v[60:61], v56 offset1:32
	ds_read2_b32 v[56:57], v56 offset0:128 offset1:160
	v_add_u32_e32 v58, 0x800, v64
	;; [unrolled: 3-line block ×3, first 2 shown]
	s_waitcnt lgkmcnt(5)
	v_mfma_f32_16x16x32_fp8_fp8 v[20:23], v[36:37], v[38:39], v[20:23]
	ds_read2_b32 v[64:65], v66 offset1:32
	ds_read2_b32 v[66:67], v66 offset0:128 offset1:160
	ds_read_b32 v69, v112 offset:40964
	ds_write_b32 v112, v111 offset:40960
	s_waitcnt lgkmcnt(8)
	v_mfma_f32_16x16x32_fp8_fp8 v[20:23], v[54:55], v[40:41], v[20:23]
	s_waitcnt lgkmcnt(1)
	v_cmp_ne_u32_e32 vcc, v69, v92
	v_mfma_f32_16x16x32_fp8_fp8 v[20:23], v[60:61], v[42:43], v[20:23]
	v_mfma_f32_16x16x32_fp8_fp8 v[20:23], v[56:57], v[44:45], v[20:23]
	;; [unrolled: 1-line block ×6, first 2 shown]
	s_and_saveexec_b64 s[10:11], vcc
	s_cbranch_execz .LBB259_22
; %bb.20:                               ;   in Loop: Header=BB259_13 Depth=2
	s_mov_b64 s[12:13], 0
.LBB259_21:                             ;   Parent Loop BB259_7 Depth=1
                                        ;     Parent Loop BB259_13 Depth=2
                                        ; =>    This Inner Loop Header: Depth=3
	;;#ASMSTART
	s_sleep 0
	;;#ASMEND
	ds_read_b32 v69, v112 offset:40964
	s_waitcnt lgkmcnt(0)
	v_cmp_eq_u32_e32 vcc, v69, v92
	s_or_b64 s[12:13], vcc, s[12:13]
	s_andn2_b64 exec, exec, s[12:13]
	s_cbranch_execnz .LBB259_21
.LBB259_22:                             ;   in Loop: Header=BB259_13 Depth=2
	s_or_b64 exec, exec, s[10:11]
	v_add_u32_e32 v113, v93, v68
	v_add_u32_e32 v70, 0x1000, v113
	ds_read2_b32 v[68:69], v70 offset1:32
	ds_read2_b32 v[70:71], v70 offset0:128 offset1:160
	v_add_u32_e32 v74, 0x1400, v113
	ds_read2_b32 v[72:73], v74 offset1:32
	ds_read2_b32 v[74:75], v74 offset0:128 offset1:160
	v_add_u32_e32 v78, 0x1800, v113
	ds_read2_b32 v[76:77], v78 offset1:32
	ds_read2_b32 v[78:79], v78 offset0:128 offset1:160
	v_add_u32_e32 v82, 0x1c00, v113
	s_waitcnt lgkmcnt(5)
	v_mfma_f32_16x16x32_fp8_fp8 v[12:15], v[68:69], v[38:39], v[12:15]
	ds_read2_b32 v[80:81], v82 offset1:32
	ds_read2_b32 v[82:83], v82 offset0:128 offset1:160
	ds_read_b32 v84, v112 offset:40968
	ds_write_b32 v112, v111 offset:40964
	s_waitcnt lgkmcnt(8)
	v_mfma_f32_16x16x32_fp8_fp8 v[12:15], v[70:71], v[40:41], v[12:15]
	s_waitcnt lgkmcnt(1)
	v_cmp_ne_u32_e32 vcc, v84, v92
	v_mfma_f32_16x16x32_fp8_fp8 v[12:15], v[72:73], v[42:43], v[12:15]
	v_mfma_f32_16x16x32_fp8_fp8 v[12:15], v[74:75], v[44:45], v[12:15]
	;; [unrolled: 1-line block ×6, first 2 shown]
	s_and_saveexec_b64 s[10:11], vcc
	s_cbranch_execz .LBB259_25
; %bb.23:                               ;   in Loop: Header=BB259_13 Depth=2
	s_mov_b64 s[12:13], 0
.LBB259_24:                             ;   Parent Loop BB259_7 Depth=1
                                        ;     Parent Loop BB259_13 Depth=2
                                        ; =>    This Inner Loop Header: Depth=3
	;;#ASMSTART
	s_sleep 0
	;;#ASMEND
	ds_read_b32 v84, v112 offset:40968
	s_waitcnt lgkmcnt(0)
	v_cmp_eq_u32_e32 vcc, v84, v92
	s_or_b64 s[12:13], vcc, s[12:13]
	s_andn2_b64 exec, exec, s[12:13]
	s_cbranch_execnz .LBB259_24
.LBB259_25:                             ;   in Loop: Header=BB259_13 Depth=2
	s_or_b64 exec, exec, s[10:11]
	v_add_u32_e32 v86, 0x2000, v113
	ds_read2_b32 v[84:85], v86 offset1:32
	ds_read2_b32 v[86:87], v86 offset0:128 offset1:160
	v_add_u32_e32 v90, 0x2400, v113
	ds_read2_b32 v[88:89], v90 offset1:32
	ds_read2_b32 v[90:91], v90 offset0:128 offset1:160
	s_waitcnt lgkmcnt(3)
	v_mfma_f32_16x16x32_fp8_fp8 v[4:7], v[84:85], v[38:39], v[4:7]
	v_add_u32_e32 v38, 0x2800, v113
	ds_write_b32 v112, v111 offset:40968
	s_waitcnt lgkmcnt(3)
	v_mfma_f32_16x16x32_fp8_fp8 v[4:7], v[86:87], v[40:41], v[4:7]
	s_waitcnt lgkmcnt(2)
	v_mfma_f32_16x16x32_fp8_fp8 v[4:7], v[88:89], v[42:43], v[4:7]
	ds_read2_b32 v[42:43], v38 offset1:32
	s_waitcnt lgkmcnt(2)
	v_mfma_f32_16x16x32_fp8_fp8 v[4:7], v[90:91], v[44:45], v[4:7]
	ds_read2_b32 v[44:45], v38 offset0:128 offset1:160
	v_add_u32_e32 v38, 0x2c00, v113
	ds_read2_b32 v[40:41], v38 offset1:32
	ds_read2_b32 v[38:39], v38 offset0:128 offset1:160
	s_waitcnt lgkmcnt(3)
	v_mfma_f32_16x16x32_fp8_fp8 v[4:7], v[42:43], v[46:47], v[4:7]
	ds_read_b32 v46, v109 offset:40988
	s_waitcnt lgkmcnt(0)
	v_cmp_ne_u32_e32 vcc, v46, v92
	v_mfma_f32_16x16x32_fp8_fp8 v[4:7], v[44:45], v[48:49], v[4:7]
	v_mfma_f32_16x16x32_fp8_fp8 v[4:7], v[40:41], v[52:53], v[4:7]
	;; [unrolled: 1-line block ×3, first 2 shown]
	s_and_saveexec_b64 s[10:11], vcc
	s_cbranch_execz .LBB259_12
; %bb.26:                               ;   in Loop: Header=BB259_13 Depth=2
	s_mov_b64 s[12:13], 0
.LBB259_27:                             ;   Parent Loop BB259_7 Depth=1
                                        ;     Parent Loop BB259_13 Depth=2
                                        ; =>    This Inner Loop Header: Depth=3
	;;#ASMSTART
	s_sleep 0
	;;#ASMEND
	ds_read_b32 v46, v109 offset:40988
	s_waitcnt lgkmcnt(0)
	v_cmp_eq_u32_e32 vcc, v46, v92
	s_or_b64 s[12:13], vcc, s[12:13]
	s_andn2_b64 exec, exec, s[12:13]
	s_cbranch_execnz .LBB259_27
	s_branch .LBB259_12
.LBB259_28:                             ;   in Loop: Header=BB259_7 Depth=1
	s_or_b64 exec, exec, s[8:9]
.LBB259_29:                             ;   in Loop: Header=BB259_7 Depth=1
	s_or_b64 exec, exec, s[6:7]
	v_cmp_le_i32_e32 vcc, s14, v24
	v_cmp_eq_u32_e64 s[6:7], 2, v95
	v_cmp_eq_u32_e64 s[8:9], 3, v95
	s_waitcnt vmcnt(0)
	v_cndmask_b32_e32 v36, 0, v107, vcc
	v_pk_mul_f32 v[20:21], v[36:37], v[20:21] op_sel_hi:[0,1]
	v_cmp_eq_u32_e32 vcc, 1, v95
	v_pk_mul_f32 v[38:39], v[36:37], v[22:23] op_sel_hi:[0,1]
	v_cmp_eq_u32_e64 s[10:11], 0, v95
	v_cndmask_b32_e32 v22, v20, v21, vcc
	v_cndmask_b32_e64 v22, v22, v38, s[6:7]
	v_cndmask_b32_e64 v22, v22, v39, s[8:9]
	ds_bpermute_b32 v37, v105, v22
	v_cmp_le_i32_e64 s[14:15], s14, v97
	v_cmp_eq_u32_e64 s[12:13], 1, v96
	s_waitcnt lgkmcnt(0)
	v_cndmask_b32_e64 v22, v39, v37, s[8:9]
	v_cndmask_b32_e64 v23, v38, v37, s[6:7]
	v_cndmask_b32_e32 v21, v21, v37, vcc
	v_cndmask_b32_e64 v37, v20, v37, s[10:11]
	v_cndmask_b32_e64 v20, 0, v107, s[14:15]
	v_pk_mul_f32 v[44:45], v[20:21], v[16:17] op_sel_hi:[0,1]
	v_pk_mul_f32 v[40:41], v[20:21], v[18:19] op_sel_hi:[0,1]
	v_cndmask_b32_e32 v16, v44, v45, vcc
	v_cndmask_b32_e64 v16, v16, v40, s[6:7]
	v_cndmask_b32_e64 v16, v16, v41, s[8:9]
	ds_bpermute_b32 v17, v105, v16
	v_cndmask_b32_e64 v38, v37, v21, s[12:13]
	v_cmp_eq_u32_e32 vcc, 2, v96
	v_cmp_eq_u32_e64 s[14:15], 3, v96
	s_waitcnt lgkmcnt(0)
	v_cndmask_b32_e64 v19, v40, v17, s[6:7]
	v_cndmask_b32_e32 v16, v38, v23, vcc
	v_cndmask_b32_e64 v16, v16, v22, s[14:15]
	v_cmp_ne_u32_e64 s[6:7], 0, v95
	ds_bpermute_b32 v38, v105, v16
	v_cndmask_b32_e64 v18, v41, v17, s[8:9]
	v_cndmask_b32_e64 v16, v45, v17, s[6:7]
	;; [unrolled: 1-line block ×4, first 2 shown]
	v_cndmask_b32_e32 v39, v39, v19, vcc
	v_cndmask_b32_e64 v39, v39, v18, s[14:15]
	ds_bpermute_b32 v39, v105, v39
	v_add_u32_e32 v40, s63, v98
	v_cmp_gt_u32_e32 vcc, 48, v40
	s_and_saveexec_b64 s[44:45], vcc
	s_cbranch_execz .LBB259_36
; %bb.30:                               ;   in Loop: Header=BB259_7 Depth=1
	v_cmp_eq_u32_e64 s[8:9], 1, v96
	v_cmp_eq_u32_e64 s[10:11], 0, v96
	v_cmp_eq_u32_e32 vcc, 3, v96
	s_waitcnt lgkmcnt(1)
	v_cndmask_b32_e64 v21, v21, v38, s[8:9]
	s_waitcnt lgkmcnt(0)
	v_cndmask_b32_e64 v41, v16, v39, s[8:9]
	s_mul_i32 s8, s61, s17
	s_ashr_i32 s9, s8, 31
	s_lshl_b64 s[8:9], s[8:9], 1
	v_cndmask_b32_e64 v37, v37, v38, s[10:11]
	v_cndmask_b32_e64 v43, v17, v39, s[10:11]
	s_add_u32 s10, s28, s8
	s_addc_u32 s11, s29, s9
	s_ashr_i32 s39, s38, 31
	v_cvt_f16_f32_e32 v37, v37
	v_cvt_f16_f32_sdwa v21, v21 dst_sel:WORD_1 dst_unused:UNUSED_PAD src0_sel:DWORD
	s_lshl_b64 s[8:9], s[38:39], 1
	v_cvt_f16_f32_e32 v43, v43
	v_cvt_f16_f32_sdwa v41, v41 dst_sel:WORD_1 dst_unused:UNUSED_PAD src0_sel:DWORD
	s_add_u32 s46, s10, s8
	s_addc_u32 s47, s11, s9
	v_cmp_eq_u32_e64 s[6:7], 2, v96
	v_lshl_add_u64 v[16:17], v[26:27], 1, s[46:47]
	v_or_b32_e32 v21, v21, v37
	v_cmp_gt_u32_e64 s[8:9], 46, v40
	;;#ASMSTART
	global_atomic_pk_add_f16 v[16:17], v21, off
	
	;;#ASMEND
	v_lshl_add_u64 v[44:45], v[16:17], 0, 32
	v_or_b32_e32 v21, v41, v43
	;;#ASMSTART
	global_atomic_pk_add_f16 v[44:45], v21, off
	
	;;#ASMEND
	s_and_b64 exec, exec, s[8:9]
	s_cbranch_execz .LBB259_36
; %bb.31:                               ;   in Loop: Header=BB259_7 Depth=1
	v_mov_b32_e32 v37, v36
	v_cndmask_b32_e32 v22, v22, v38, vcc
	v_cndmask_b32_e64 v23, v23, v38, s[6:7]
	v_cndmask_b32_e32 v38, v18, v39, vcc
	v_cndmask_b32_e64 v39, v19, v39, s[6:7]
	v_mov_b32_e32 v18, v36
	v_mov_b32_e32 v19, v36
	v_pk_mul_f32 v[14:15], v[18:19], v[14:15]
	v_pk_mul_f32 v[18:19], v[36:37], v[12:13]
	v_cmp_eq_u32_e32 vcc, 1, v95
	v_cmp_eq_u32_e64 s[6:7], 2, v95
	v_cmp_eq_u32_e64 s[8:9], 3, v95
	v_cndmask_b32_e32 v12, v18, v19, vcc
	v_cndmask_b32_e64 v12, v12, v14, s[6:7]
	v_cndmask_b32_e64 v12, v12, v15, s[8:9]
	v_cvt_f16_f32_e32 v23, v23
	v_cvt_f16_f32_sdwa v22, v22 dst_sel:WORD_1 dst_unused:UNUSED_PAD src0_sel:DWORD
	ds_bpermute_b32 v40, v105, v12
	v_mov_b32_e32 v21, v20
	v_lshl_add_u64 v[16:17], s[34:35], 2, v[16:17]
	v_or_b32_e32 v22, v22, v23
	v_cmp_eq_u32_e64 s[10:11], 0, v95
	;;#ASMSTART
	global_atomic_pk_add_f16 v[16:17], v22, off
	
	;;#ASMEND
	v_cvt_f16_f32_e32 v41, v39
	v_cvt_f16_f32_sdwa v43, v38 dst_sel:WORD_1 dst_unused:UNUSED_PAD src0_sel:DWORD
	v_lshl_add_u64 v[22:23], v[16:17], 0, 32
	s_waitcnt lgkmcnt(0)
	v_cndmask_b32_e64 v12, v15, v40, s[8:9]
	v_cndmask_b32_e32 v15, v19, v40, vcc
	v_cndmask_b32_e64 v16, v18, v40, s[10:11]
	v_mov_b32_e32 v18, v20
	v_mov_b32_e32 v19, v20
	v_pk_mul_f32 v[38:39], v[20:21], v[8:9]
	v_pk_mul_f32 v[18:19], v[18:19], v[10:11]
	v_cndmask_b32_e32 v8, v38, v39, vcc
	v_cndmask_b32_e64 v8, v8, v18, s[6:7]
	v_cndmask_b32_e64 v8, v8, v19, s[8:9]
	ds_bpermute_b32 v9, v105, v8
	v_cmp_eq_u32_e64 s[12:13], 1, v96
	v_cndmask_b32_e64 v13, v14, v40, s[6:7]
	v_cmp_eq_u32_e32 vcc, 2, v96
	v_cndmask_b32_e64 v14, v16, v15, s[12:13]
	v_cmp_eq_u32_e64 s[14:15], 3, v96
	v_cndmask_b32_e32 v8, v14, v13, vcc
	s_waitcnt lgkmcnt(0)
	v_cndmask_b32_e64 v11, v18, v9, s[6:7]
	v_cndmask_b32_e64 v8, v8, v12, s[14:15]
	v_cmp_ne_u32_e64 s[6:7], 0, v95
	ds_bpermute_b32 v14, v105, v8
	v_cndmask_b32_e64 v10, v19, v9, s[8:9]
	v_cndmask_b32_e64 v8, v39, v9, s[6:7]
	;; [unrolled: 1-line block ×4, first 2 shown]
	v_cndmask_b32_e32 v17, v17, v11, vcc
	v_cndmask_b32_e64 v17, v17, v10, s[14:15]
	ds_bpermute_b32 v17, v105, v17
	v_or_b32_e32 v18, v43, v41
	;;#ASMSTART
	global_atomic_pk_add_f16 v[22:23], v18, off
	
	;;#ASMEND
	v_add_u32_e32 v18, s63, v99
	v_cmp_gt_u32_e32 vcc, 48, v18
	s_and_b64 exec, exec, vcc
	s_cbranch_execz .LBB259_36
; %bb.32:                               ;   in Loop: Header=BB259_7 Depth=1
	v_cmp_eq_u32_e64 s[8:9], 1, v96
	v_cmp_eq_u32_e64 s[10:11], 0, v96
	v_cmp_eq_u32_e32 vcc, 3, v96
	s_waitcnt lgkmcnt(1)
	v_cndmask_b32_e64 v15, v15, v14, s[8:9]
	v_cndmask_b32_e64 v16, v16, v14, s[10:11]
	s_waitcnt lgkmcnt(0)
	v_cndmask_b32_e64 v19, v8, v17, s[8:9]
	v_cndmask_b32_e64 v22, v9, v17, s[10:11]
	v_cvt_f16_f32_e32 v16, v16
	v_cvt_f16_f32_sdwa v15, v15 dst_sel:WORD_1 dst_unused:UNUSED_PAD src0_sel:DWORD
	v_cvt_f16_f32_e32 v38, v22
	v_cvt_f16_f32_sdwa v19, v19 dst_sel:WORD_1 dst_unused:UNUSED_PAD src0_sel:DWORD
	v_cmp_eq_u32_e64 s[6:7], 2, v96
	v_lshl_add_u64 v[8:9], v[28:29], 1, s[46:47]
	v_or_b32_e32 v15, v15, v16
	v_cmp_gt_u32_e64 s[8:9], 46, v18
	;;#ASMSTART
	global_atomic_pk_add_f16 v[8:9], v15, off
	
	;;#ASMEND
	v_lshl_add_u64 v[22:23], v[8:9], 0, 32
	v_or_b32_e32 v15, v19, v38
	;;#ASMSTART
	global_atomic_pk_add_f16 v[22:23], v15, off
	
	;;#ASMEND
	s_and_b64 exec, exec, s[8:9]
	s_cbranch_execz .LBB259_36
; %bb.33:                               ;   in Loop: Header=BB259_7 Depth=1
	v_cndmask_b32_e32 v12, v12, v14, vcc
	v_cndmask_b32_e64 v13, v13, v14, s[6:7]
	v_cndmask_b32_e32 v14, v10, v17, vcc
	v_cndmask_b32_e64 v15, v11, v17, s[6:7]
	v_mov_b32_e32 v10, v36
	v_mov_b32_e32 v11, v36
	v_pk_mul_f32 v[6:7], v[10:11], v[6:7]
	v_pk_mul_f32 v[10:11], v[36:37], v[4:5]
	v_cmp_eq_u32_e32 vcc, 1, v95
	v_cmp_eq_u32_e64 s[6:7], 2, v95
	v_cmp_eq_u32_e64 s[8:9], 3, v95
	v_cndmask_b32_e32 v4, v10, v11, vcc
	v_cndmask_b32_e64 v4, v4, v6, s[6:7]
	v_cndmask_b32_e64 v4, v4, v7, s[8:9]
	v_cvt_f16_f32_e32 v13, v13
	v_cvt_f16_f32_sdwa v12, v12 dst_sel:WORD_1 dst_unused:UNUSED_PAD src0_sel:DWORD
	ds_bpermute_b32 v16, v105, v4
	v_lshl_add_u64 v[8:9], s[34:35], 2, v[8:9]
	v_cmp_eq_u32_e64 s[10:11], 0, v95
	v_or_b32_e32 v12, v12, v13
	;;#ASMSTART
	global_atomic_pk_add_f16 v[8:9], v12, off
	
	;;#ASMEND
	v_lshl_add_u64 v[12:13], v[8:9], 0, 32
	s_waitcnt lgkmcnt(0)
	v_cndmask_b32_e64 v4, v7, v16, s[8:9]
	v_cndmask_b32_e64 v5, v6, v16, s[6:7]
	v_cndmask_b32_e32 v6, v11, v16, vcc
	v_cndmask_b32_e64 v7, v10, v16, s[10:11]
	v_mov_b32_e32 v8, v20
	v_mov_b32_e32 v9, v20
	v_pk_mul_f32 v[10:11], v[20:21], v[0:1]
	v_pk_mul_f32 v[8:9], v[8:9], v[2:3]
	v_cndmask_b32_e32 v0, v10, v11, vcc
	v_cndmask_b32_e64 v0, v0, v8, s[6:7]
	v_cndmask_b32_e64 v0, v0, v9, s[8:9]
	ds_bpermute_b32 v1, v105, v0
	v_cmp_eq_u32_e64 s[12:13], 1, v96
	v_cmp_eq_u32_e32 vcc, 2, v96
	v_cmp_eq_u32_e64 s[14:15], 3, v96
	v_cndmask_b32_e64 v16, v7, v6, s[12:13]
	v_cndmask_b32_e32 v0, v16, v5, vcc
	v_cndmask_b32_e64 v0, v0, v4, s[14:15]
	s_waitcnt lgkmcnt(0)
	v_cndmask_b32_e64 v8, v8, v1, s[6:7]
	v_cmp_ne_u32_e64 s[6:7], 0, v95
	ds_bpermute_b32 v2, v105, v0
	v_cndmask_b32_e64 v3, v9, v1, s[8:9]
	v_cndmask_b32_e64 v0, v11, v1, s[6:7]
	;; [unrolled: 1-line block ×4, first 2 shown]
	v_cvt_f16_f32_e32 v15, v15
	v_cvt_f16_f32_sdwa v14, v14 dst_sel:WORD_1 dst_unused:UNUSED_PAD src0_sel:DWORD
	v_cndmask_b32_e32 v9, v9, v8, vcc
	v_cndmask_b32_e64 v9, v9, v3, s[14:15]
	ds_bpermute_b32 v9, v105, v9
	v_or_b32_e32 v10, v14, v15
	;;#ASMSTART
	global_atomic_pk_add_f16 v[12:13], v10, off
	
	;;#ASMEND
	v_add_u32_e32 v10, s63, v100
	v_cmp_gt_u32_e32 vcc, 48, v10
	s_and_b64 exec, exec, vcc
	s_cbranch_execz .LBB259_36
; %bb.34:                               ;   in Loop: Header=BB259_7 Depth=1
	v_cmp_eq_u32_e64 s[8:9], 1, v96
	v_cmp_eq_u32_e64 s[10:11], 0, v96
	v_cmp_eq_u32_e32 vcc, 3, v96
	s_waitcnt lgkmcnt(1)
	v_cndmask_b32_e64 v6, v6, v2, s[8:9]
	v_cndmask_b32_e64 v7, v7, v2, s[10:11]
	s_waitcnt lgkmcnt(0)
	v_cndmask_b32_e64 v11, v0, v9, s[8:9]
	v_cndmask_b32_e64 v12, v1, v9, s[10:11]
	v_cvt_f16_f32_e32 v7, v7
	v_cvt_f16_f32_sdwa v6, v6 dst_sel:WORD_1 dst_unused:UNUSED_PAD src0_sel:DWORD
	v_cvt_f16_f32_e32 v12, v12
	v_cvt_f16_f32_sdwa v11, v11 dst_sel:WORD_1 dst_unused:UNUSED_PAD src0_sel:DWORD
	v_cmp_eq_u32_e64 s[6:7], 2, v96
	v_lshl_add_u64 v[0:1], v[30:31], 1, s[46:47]
	v_or_b32_e32 v6, v6, v7
	v_cmp_gt_u32_e64 s[8:9], 46, v10
	;;#ASMSTART
	global_atomic_pk_add_f16 v[0:1], v6, off
	
	;;#ASMEND
	v_lshl_add_u64 v[6:7], v[0:1], 0, 32
	v_or_b32_e32 v11, v11, v12
	;;#ASMSTART
	global_atomic_pk_add_f16 v[6:7], v11, off
	
	;;#ASMEND
	s_and_b64 exec, exec, s[8:9]
	s_cbranch_execz .LBB259_36
; %bb.35:                               ;   in Loop: Header=BB259_7 Depth=1
	v_cndmask_b32_e32 v4, v4, v2, vcc
	v_cndmask_b32_e64 v2, v5, v2, s[6:7]
	v_cndmask_b32_e32 v3, v3, v9, vcc
	v_cndmask_b32_e64 v5, v8, v9, s[6:7]
	v_cvt_f16_f32_e32 v2, v2
	v_cvt_f16_f32_sdwa v4, v4 dst_sel:WORD_1 dst_unused:UNUSED_PAD src0_sel:DWORD
	v_cvt_f16_f32_e32 v5, v5
	v_cvt_f16_f32_sdwa v3, v3 dst_sel:WORD_1 dst_unused:UNUSED_PAD src0_sel:DWORD
	v_lshl_add_u64 v[0:1], s[34:35], 2, v[0:1]
	v_or_b32_e32 v2, v4, v2
	;;#ASMSTART
	global_atomic_pk_add_f16 v[0:1], v2, off
	
	;;#ASMEND
	v_lshl_add_u64 v[0:1], v[0:1], 0, 32
	v_or_b32_e32 v2, v3, v5
	;;#ASMSTART
	global_atomic_pk_add_f16 v[0:1], v2, off
	
	;;#ASMEND
.LBB259_36:                             ;   in Loop: Header=BB259_7 Depth=1
	s_or_b64 exec, exec, s[44:45]
	v_subrev_u32_e32 v106, s64, v106
.LBB259_37:                             ;   in Loop: Header=BB259_7 Depth=1
	s_or_b64 exec, exec, s[42:43]
.LBB259_38:                             ;   in Loop: Header=BB259_7 Depth=1
	s_andn2_saveexec_b64 s[6:7], s[40:41]
	s_cbranch_execz .LBB259_47
; %bb.39:                               ;   in Loop: Header=BB259_7 Depth=1
	s_lshl_b32 s39, s64, 1
	v_cmp_gt_i32_e32 vcc, s39, v106
	s_and_saveexec_b64 s[8:9], vcc
	s_cbranch_execz .LBB259_46
; %bb.40:                               ;   in Loop: Header=BB259_7 Depth=1
	s_mul_i32 s10, s38, s19
	s_ashr_i32 s11, s10, 31
	s_waitcnt lgkmcnt(0)
	s_add_u32 s10, s26, s10
	s_addc_u32 s11, s27, s11
	s_ashr_i32 s12, s62, 31
	s_add_u32 s10, s10, s62
	s_addc_u32 s11, s11, s12
	v_lshl_add_u64 v[0:1], s[10:11], 0, v[34:35]
	v_lshl_add_u64 v[16:17], v[0:1], 0, v[32:33]
	s_mov_b64 s[10:11], 0
	s_branch .LBB259_42
.LBB259_41:                             ;   in Loop: Header=BB259_42 Depth=2
	s_or_b64 exec, exec, s[12:13]
	v_lshl_add_u32 v20, v18, 12, v103
	;;#ASMSTART
	s_waitcnt vmcnt(3)
	;;#ASMEND
	ds_write2_b32 v20, v12, v13 offset1:32
	ds_write2_b32 v20, v14, v15 offset0:64 offset1:96
	v_add_u32_e32 v12, 0x400, v20
	;;#ASMSTART
	s_waitcnt vmcnt(2)
	;;#ASMEND
	ds_write2_b32 v12, v8, v9 offset1:32
	ds_write2_b32 v12, v10, v11 offset0:64 offset1:96
	v_add_u32_e32 v8, 0x800, v20
	;; [unrolled: 6-line block ×3, first 2 shown]
	v_add_u32_e32 v106, s22, v106
	;;#ASMSTART
	s_waitcnt vmcnt(0)
	;;#ASMEND
	ds_write2_b32 v4, v0, v1 offset1:32
	ds_write2_b32 v4, v2, v3 offset0:64 offset1:96
	v_add_u32_e32 v0, 1, v92
	v_add_u32_e32 v42, s22, v18
	v_cmp_le_i32_e32 vcc, s39, v106
	ds_write_b32 v19, v0 offset:24
	v_add_u32_e32 v0, 2, v92
	s_or_b64 s[10:11], vcc, s[10:11]
	v_cmp_lt_i32_e32 vcc, 3, v42
	s_nop 1
	v_cndmask_b32_e32 v92, v92, v0, vcc
	s_andn2_b64 exec, exec, s[10:11]
	s_cbranch_execz .LBB259_45
.LBB259_42:                             ;   Parent Loop BB259_7 Depth=1
                                        ; =>  This Loop Header: Depth=2
                                        ;       Child Loop BB259_44 Depth 3
	v_cmp_gt_i32_e32 vcc, 4, v42
	s_nop 1
	v_cndmask_b32_e64 v0, -4, 0, vcc
	v_add_u32_e32 v18, v0, v42
	v_lshrrev_b32_e32 v0, 31, v106
	v_add_u32_e32 v0, v106, v0
	v_and_b32_e32 v1, -2, v0
	v_lshlrev_b32_e32 v0, 7, v0
	v_sub_u32_e32 v2, v106, v1
	v_and_b32_e32 v0, 0xffffff00, v0
	v_ashrrev_i32_e32 v1, 31, v0
	v_mul_lo_u32 v2, s53, v2
	v_lshl_add_u64 v[0:1], v[16:17], 0, v[0:1]
	v_ashrrev_i32_e32 v3, 31, v2
	v_lshl_add_u64 v[0:1], v[0:1], 0, v[2:3]
	v_lshlrev_b32_e32 v19, 2, v18
	;;#ASMSTART
	global_load_dwordx4 v[12:15], v[0:1], off offset:0    sc0 sc1 nt  
	global_load_dwordx4 v[8:11], v[0:1], off offset:64   sc0 sc1 nt  
	global_load_dwordx4 v[4:7], v[0:1], off offset:128  sc0 sc1 nt  
	global_load_dwordx4 v[0:3], v[0:1], off offset:192  sc0 sc1 nt  
	
	;;#ASMEND
	ds_read_b32 v20, v19 offset:40984
	v_add_u32_e32 v19, 0xa000, v19
	s_waitcnt lgkmcnt(0)
	v_cmp_ne_u32_e32 vcc, v20, v92
	s_and_saveexec_b64 s[12:13], vcc
	s_cbranch_execz .LBB259_41
; %bb.43:                               ;   in Loop: Header=BB259_42 Depth=2
	s_mov_b64 s[14:15], 0
.LBB259_44:                             ;   Parent Loop BB259_7 Depth=1
                                        ;     Parent Loop BB259_42 Depth=2
                                        ; =>    This Inner Loop Header: Depth=3
	;;#ASMSTART
	s_sleep 0
	;;#ASMEND
	ds_read_b32 v20, v19 offset:24
	s_waitcnt lgkmcnt(0)
	v_cmp_eq_u32_e32 vcc, v20, v92
	s_or_b64 s[14:15], vcc, s[14:15]
	s_andn2_b64 exec, exec, s[14:15]
	s_cbranch_execnz .LBB259_44
	s_branch .LBB259_41
.LBB259_45:                             ;   in Loop: Header=BB259_7 Depth=1
	s_or_b64 exec, exec, s[10:11]
.LBB259_46:                             ;   in Loop: Header=BB259_7 Depth=1
	s_or_b64 exec, exec, s[8:9]
	v_subrev_u32_e32 v106, s39, v106
.LBB259_47:                             ;   in Loop: Header=BB259_7 Depth=1
	s_or_b64 exec, exec, s[6:7]
.LBB259_48:                             ;   in Loop: Header=BB259_7 Depth=1
	s_andn2_saveexec_b64 s[6:7], s[36:37]
	s_cbranch_execz .LBB259_6
; %bb.49:                               ;   in Loop: Header=BB259_7 Depth=1
	s_mul_i32 s64, s64, 3
	v_cmp_gt_i32_e32 vcc, s64, v106
	s_and_saveexec_b64 s[8:9], vcc
	s_cbranch_execz .LBB259_5
; %bb.50:                               ;   in Loop: Header=BB259_7 Depth=1
	s_mul_i32 s61, s61, s18
	s_ashr_i32 s10, s61, 31
	s_waitcnt lgkmcnt(0)
	s_add_u32 s11, s24, s61
	v_add_u32_e32 v2, s63, v101
	s_addc_u32 s12, s25, s10
	s_ashr_i32 s13, s62, 31
	v_cmp_gt_u32_e32 vcc, 48, v2
	s_add_u32 s10, s11, s62
	s_addc_u32 s11, s12, s13
	v_cndmask_b32_e32 v0, 0, v104, vcc
	v_ashrrev_i32_e32 v1, 31, v0
	v_lshl_add_u64 v[0:1], s[10:11], 0, v[0:1]
	v_lshl_add_u64 v[16:17], v[0:1], 0, v[32:33]
	v_sub_u32_e32 v18, 47, v2
	s_mov_b64 s[10:11], 0
	s_branch .LBB259_52
.LBB259_51:                             ;   in Loop: Header=BB259_52 Depth=2
	s_or_b64 exec, exec, s[12:13]
	v_lshl_or_b32 v21, v19, 12, v102
	;;#ASMSTART
	s_waitcnt vmcnt(3)
	;;#ASMEND
	ds_write2_b32 v21, v12, v13 offset1:32
	ds_write2_b32 v21, v14, v15 offset0:64 offset1:96
	v_add_u32_e32 v12, 0x400, v21
	;;#ASMSTART
	s_waitcnt vmcnt(2)
	;;#ASMEND
	ds_write2_b32 v12, v8, v9 offset1:32
	ds_write2_b32 v12, v10, v11 offset0:64 offset1:96
	v_add_u32_e32 v8, 0x800, v21
	;; [unrolled: 6-line block ×3, first 2 shown]
	v_add_u32_e32 v106, s21, v106
	;;#ASMSTART
	s_waitcnt vmcnt(0)
	;;#ASMEND
	ds_write2_b32 v4, v0, v1 offset1:32
	ds_write2_b32 v4, v2, v3 offset0:64 offset1:96
	v_add_u32_e32 v0, 1, v92
	v_add_u32_e32 v42, s21, v19
	v_cmp_le_i32_e32 vcc, s64, v106
	ds_write_b32 v20, v0
	v_add_u32_e32 v0, 2, v92
	s_or_b64 s[10:11], vcc, s[10:11]
	v_cmp_lt_i32_e32 vcc, 5, v42
	s_nop 1
	v_cndmask_b32_e32 v92, v92, v0, vcc
	s_andn2_b64 exec, exec, s[10:11]
	s_cbranch_execz .LBB259_4
.LBB259_52:                             ;   Parent Loop BB259_7 Depth=1
                                        ; =>  This Loop Header: Depth=2
                                        ;       Child Loop BB259_54 Depth 3
	v_cmp_gt_i32_e32 vcc, 6, v42
	s_nop 1
	v_cndmask_b32_e64 v0, -6, 0, vcc
	v_add_u32_e32 v19, v0, v42
	v_mul_hi_i32 v0, v106, s60
	v_lshrrev_b32_e32 v1, 31, v0
	v_add_u32_e32 v0, v0, v1
	v_lshl_add_u32 v1, v0, 1, v0
	v_sub_u32_e32 v1, v106, v1
	v_lshlrev_b32_e32 v1, 4, v1
	v_cmp_le_i32_e32 vcc, v1, v18
	v_lshlrev_b32_e32 v0, 8, v0
	v_lshlrev_b32_e32 v20, 2, v19
	v_cndmask_b32_e32 v2, 0, v1, vcc
	v_ashrrev_i32_e32 v1, 31, v0
	v_mul_lo_u32 v2, v2, s18
	v_lshl_add_u64 v[0:1], v[16:17], 0, v[0:1]
	v_ashrrev_i32_e32 v3, 31, v2
	v_lshl_add_u64 v[0:1], v[0:1], 0, v[2:3]
	;;#ASMSTART
	global_load_dwordx4 v[12:15], v[0:1], off offset:0    
	global_load_dwordx4 v[8:11], v[0:1], off offset:64   
	;; [unrolled: 1-line block ×4, first 2 shown]
	
	;;#ASMEND
	ds_read_b32 v21, v20 offset:40960
	v_add_u32_e32 v20, 0xa000, v20
	s_waitcnt lgkmcnt(0)
	v_cmp_ne_u32_e32 vcc, v21, v92
	s_and_saveexec_b64 s[12:13], vcc
	s_cbranch_execz .LBB259_51
; %bb.53:                               ;   in Loop: Header=BB259_52 Depth=2
	s_mov_b64 s[14:15], 0
.LBB259_54:                             ;   Parent Loop BB259_7 Depth=1
                                        ;     Parent Loop BB259_52 Depth=2
                                        ; =>    This Inner Loop Header: Depth=3
	;;#ASMSTART
	s_sleep 0
	;;#ASMEND
	ds_read_b32 v21, v20
	s_waitcnt lgkmcnt(0)
	v_cmp_eq_u32_e32 vcc, v21, v92
	s_or_b64 s[14:15], vcc, s[14:15]
	s_andn2_b64 exec, exec, s[14:15]
	s_cbranch_execnz .LBB259_54
	s_branch .LBB259_51
.LBB259_55:
	s_endpgm
	.section	.rodata,"a",@progbits
	.p2align	6, 0x0
	.amdhsa_kernel _Z19_skinny_gemm_kernelILi3ELi2ELi2ELi16ELi8EEvPKhS1_P6__halfPKfiiiiiiii
		.amdhsa_group_segment_fixed_size 41000
		.amdhsa_private_segment_fixed_size 0
		.amdhsa_kernarg_size 64
		.amdhsa_user_sgpr_count 2
		.amdhsa_user_sgpr_dispatch_ptr 0
		.amdhsa_user_sgpr_queue_ptr 0
		.amdhsa_user_sgpr_kernarg_segment_ptr 1
		.amdhsa_user_sgpr_dispatch_id 0
		.amdhsa_user_sgpr_kernarg_preload_length 0
		.amdhsa_user_sgpr_kernarg_preload_offset 0
		.amdhsa_user_sgpr_private_segment_size 0
		.amdhsa_uses_dynamic_stack 0
		.amdhsa_enable_private_segment 0
		.amdhsa_system_sgpr_workgroup_id_x 1
		.amdhsa_system_sgpr_workgroup_id_y 0
		.amdhsa_system_sgpr_workgroup_id_z 0
		.amdhsa_system_sgpr_workgroup_info 0
		.amdhsa_system_vgpr_workitem_id 0
		.amdhsa_next_free_vgpr 114
		.amdhsa_next_free_sgpr 65
		.amdhsa_accum_offset 116
		.amdhsa_reserve_vcc 1
		.amdhsa_float_round_mode_32 0
		.amdhsa_float_round_mode_16_64 0
		.amdhsa_float_denorm_mode_32 3
		.amdhsa_float_denorm_mode_16_64 3
		.amdhsa_dx10_clamp 1
		.amdhsa_ieee_mode 1
		.amdhsa_fp16_overflow 0
		.amdhsa_tg_split 0
		.amdhsa_exception_fp_ieee_invalid_op 0
		.amdhsa_exception_fp_denorm_src 0
		.amdhsa_exception_fp_ieee_div_zero 0
		.amdhsa_exception_fp_ieee_overflow 0
		.amdhsa_exception_fp_ieee_underflow 0
		.amdhsa_exception_fp_ieee_inexact 0
		.amdhsa_exception_int_div_zero 0
	.end_amdhsa_kernel
	.section	.text._Z19_skinny_gemm_kernelILi3ELi2ELi2ELi16ELi8EEvPKhS1_P6__halfPKfiiiiiiii,"axG",@progbits,_Z19_skinny_gemm_kernelILi3ELi2ELi2ELi16ELi8EEvPKhS1_P6__halfPKfiiiiiiii,comdat
.Lfunc_end259:
	.size	_Z19_skinny_gemm_kernelILi3ELi2ELi2ELi16ELi8EEvPKhS1_P6__halfPKfiiiiiiii, .Lfunc_end259-_Z19_skinny_gemm_kernelILi3ELi2ELi2ELi16ELi8EEvPKhS1_P6__halfPKfiiiiiiii
                                        ; -- End function
	.set _Z19_skinny_gemm_kernelILi3ELi2ELi2ELi16ELi8EEvPKhS1_P6__halfPKfiiiiiiii.num_vgpr, 114
	.set _Z19_skinny_gemm_kernelILi3ELi2ELi2ELi16ELi8EEvPKhS1_P6__halfPKfiiiiiiii.num_agpr, 0
	.set _Z19_skinny_gemm_kernelILi3ELi2ELi2ELi16ELi8EEvPKhS1_P6__halfPKfiiiiiiii.numbered_sgpr, 65
	.set _Z19_skinny_gemm_kernelILi3ELi2ELi2ELi16ELi8EEvPKhS1_P6__halfPKfiiiiiiii.num_named_barrier, 0
	.set _Z19_skinny_gemm_kernelILi3ELi2ELi2ELi16ELi8EEvPKhS1_P6__halfPKfiiiiiiii.private_seg_size, 0
	.set _Z19_skinny_gemm_kernelILi3ELi2ELi2ELi16ELi8EEvPKhS1_P6__halfPKfiiiiiiii.uses_vcc, 1
	.set _Z19_skinny_gemm_kernelILi3ELi2ELi2ELi16ELi8EEvPKhS1_P6__halfPKfiiiiiiii.uses_flat_scratch, 0
	.set _Z19_skinny_gemm_kernelILi3ELi2ELi2ELi16ELi8EEvPKhS1_P6__halfPKfiiiiiiii.has_dyn_sized_stack, 0
	.set _Z19_skinny_gemm_kernelILi3ELi2ELi2ELi16ELi8EEvPKhS1_P6__halfPKfiiiiiiii.has_recursion, 0
	.set _Z19_skinny_gemm_kernelILi3ELi2ELi2ELi16ELi8EEvPKhS1_P6__halfPKfiiiiiiii.has_indirect_call, 0
	.section	.AMDGPU.csdata,"",@progbits
; Kernel info:
; codeLenInByte = 5592
; TotalNumSgprs: 71
; NumVgprs: 114
; NumAgprs: 0
; TotalNumVgprs: 114
; ScratchSize: 0
; MemoryBound: 0
; FloatMode: 240
; IeeeMode: 1
; LDSByteSize: 41000 bytes/workgroup (compile time only)
; SGPRBlocks: 8
; VGPRBlocks: 14
; NumSGPRsForWavesPerEU: 71
; NumVGPRsForWavesPerEU: 114
; AccumOffset: 116
; Occupancy: 4
; WaveLimiterHint : 0
; COMPUTE_PGM_RSRC2:SCRATCH_EN: 0
; COMPUTE_PGM_RSRC2:USER_SGPR: 2
; COMPUTE_PGM_RSRC2:TRAP_HANDLER: 0
; COMPUTE_PGM_RSRC2:TGID_X_EN: 1
; COMPUTE_PGM_RSRC2:TGID_Y_EN: 0
; COMPUTE_PGM_RSRC2:TGID_Z_EN: 0
; COMPUTE_PGM_RSRC2:TIDIG_COMP_CNT: 0
; COMPUTE_PGM_RSRC3_GFX90A:ACCUM_OFFSET: 28
; COMPUTE_PGM_RSRC3_GFX90A:TG_SPLIT: 0
	.section	.text._Z19_skinny_gemm_kernelILi3ELi2ELi2ELi32ELi4EEvPKhS1_P6__halfPKfiiiiiiii,"axG",@progbits,_Z19_skinny_gemm_kernelILi3ELi2ELi2ELi32ELi4EEvPKhS1_P6__halfPKfiiiiiiii,comdat
	.protected	_Z19_skinny_gemm_kernelILi3ELi2ELi2ELi32ELi4EEvPKhS1_P6__halfPKfiiiiiiii ; -- Begin function _Z19_skinny_gemm_kernelILi3ELi2ELi2ELi32ELi4EEvPKhS1_P6__halfPKfiiiiiiii
	.globl	_Z19_skinny_gemm_kernelILi3ELi2ELi2ELi32ELi4EEvPKhS1_P6__halfPKfiiiiiiii
	.p2align	8
	.type	_Z19_skinny_gemm_kernelILi3ELi2ELi2ELi32ELi4EEvPKhS1_P6__halfPKfiiiiiiii,@function
_Z19_skinny_gemm_kernelILi3ELi2ELi2ELi32ELi4EEvPKhS1_P6__halfPKfiiiiiiii: ; @_Z19_skinny_gemm_kernelILi3ELi2ELi2ELi32ELi4EEvPKhS1_P6__halfPKfiiiiiiii
; %bb.0:
	v_cmp_gt_u32_e32 vcc, 10, v0
	s_and_saveexec_b64 s[4:5], vcc
; %bb.1:
	v_lshlrev_b32_e32 v1, 2, v0
	v_mov_b32_e32 v2, 0
	ds_write_b32 v1, v2 offset:20480
; %bb.2:
	s_or_b64 exec, exec, s[4:5]
	s_load_dwordx8 s[16:23], s[0:1], 0x20
	s_waitcnt lgkmcnt(0)
	s_barrier
	s_add_i32 s3, s16, 0x5f
	s_mul_hi_i32 s3, s3, 0x2aaaaaab
	s_add_i32 s4, s17, 63
	s_lshr_b32 s5, s3, 31
	s_ashr_i32 s3, s3, 4
	s_add_i32 s11, s3, s5
	s_ashr_i32 s3, s4, 31
	s_lshr_b32 s3, s3, 26
	s_add_i32 s4, s4, s3
	s_ashr_i32 s12, s4, 6
	s_mul_i32 s3, s12, s11
	s_mul_i32 s3, s3, s20
	s_add_i32 s4, s3, 0x12f
	s_mul_hi_i32 s4, s4, 0x6bca1af3
	s_lshr_b32 s5, s4, 31
	s_ashr_i32 s4, s4, 7
	s_add_i32 s4, s4, s5
	s_add_i32 s5, s2, 1
	s_mul_i32 s5, s4, s5
	v_cvt_f64_i32_e32 v[2:3], s3
	v_cvt_f64_u32_e32 v[4:5], s5
	v_min_f64 v[2:3], v[2:3], v[4:5]
	v_cvt_i32_f64_e32 v62, v[2:3]
	s_mul_i32 s33, s4, s2
	v_cmp_ge_i32_e32 vcc, s33, v62
	s_cbranch_vccnz .LBB260_51
; %bb.3:
	s_load_dwordx8 s[44:51], s[0:1], 0x0
	v_lshrrev_b32_e32 v1, 6, v0
	s_add_i32 s0, s22, s21
	v_cmp_le_i32_e64 s[14:15], s0, v1
	v_mov_b32_e32 v2, s21
	v_cmp_le_i32_e64 s[24:25], s21, v1
	v_mov_b32_e32 v3, s22
	v_cndmask_b32_e64 v3, 0, v3, s[14:15]
	v_cndmask_b32_e64 v2, 0, v2, s[24:25]
	s_abs_i32 s1, s20
	v_add_u32_e32 v2, v2, v3
	v_cvt_f32_u32_e32 v3, s1
	v_sub_u32_e32 v56, v1, v2
	s_ashr_i32 s2, s18, 31
	s_lshr_b32 s2, s2, 26
	v_rcp_iflag_f32_e32 v2, v3
	s_sub_i32 s5, 0, s1
	s_add_i32 s2, s18, s2
	s_ashr_i32 s2, s2, 6
	v_mul_f32_e32 v2, 0x4f7ffffe, v2
	v_cvt_u32_f32_e32 v2, v2
	s_abs_i32 s4, s2
	s_xor_b32 s3, s2, s20
	s_ashr_i32 s3, s3, 31
	v_readfirstlane_b32 s6, v2
	s_mul_i32 s5, s5, s6
	s_mul_hi_u32 s5, s6, s5
	s_add_i32 s6, s6, s5
	s_mul_hi_u32 s5, s4, s6
	s_mul_i32 s6, s5, s1
	s_sub_i32 s4, s4, s6
	s_add_i32 s6, s5, 1
	s_sub_i32 s7, s4, s1
	s_cmp_ge_u32 s4, s1
	s_cselect_b32 s5, s6, s5
	s_cselect_b32 s4, s7, s4
	s_add_i32 s6, s5, 1
	s_cmp_ge_u32 s4, s1
	s_cselect_b32 s1, s6, s5
	s_add_i32 s0, s0, s23
	v_and_b32_e32 v64, 31, v0
	v_lshrrev_b32_e32 v2, 3, v0
	v_cmp_gt_i32_e64 s[28:29], s0, v1
	v_lshlrev_b32_e32 v1, 2, v64
	v_and_b32_e32 v3, 4, v2
	v_and_b32_e32 v5, 1, v0
	v_lshlrev_b32_e32 v2, 6, v3
	v_or_b32_e32 v4, 0x3000, v1
	v_or_b32_e32 v3, v3, v5
	;; [unrolled: 1-line block ×4, first 2 shown]
	v_lshlrev_b32_e32 v2, 1, v5
	v_or_b32_e32 v5, 2, v3
	v_sub_u32_e32 v77, 32, v5
	v_or_b32_e32 v5, 8, v3
	v_sub_u32_e32 v78, 32, v5
	;; [unrolled: 2-line block ×5, first 2 shown]
	v_mul_lo_u32 v34, s17, v3
	v_sub_u32_e32 v81, 32, v5
	v_or_b32_e32 v5, 24, v3
	v_or_b32_e32 v3, 26, v3
                                        ; implicit-def: $vgpr99 : SGPR spill to VGPR lane
	s_add_i32 s26, s20, -1
	v_sub_u32_e32 v83, 32, v3
	v_lshrrev_b32_e32 v3, 1, v0
	s_abs_i32 s20, s11
	v_writelane_b32 v99, s11, 0
	v_and_b32_e32 v50, 16, v3
	v_cvt_f32_u32_e32 v3, s20
	v_writelane_b32 v99, s12, 1
	v_sub_u32_e32 v2, v0, v2
	s_waitcnt lgkmcnt(0)
	v_writelane_b32 v99, s44, 2
	v_add_u32_e32 v2, 1, v2
	v_and_b32_e32 v6, 63, v2
	v_writelane_b32 v99, s45, 3
	v_bitop3_b32 v67, v0, 1, v0 bitop3:0xc
	v_bitop3_b32 v68, v0, 3, 1 bitop3:0x6c
	;; [unrolled: 1-line block ×8, first 2 shown]
	v_and_b32_e32 v2, 30, v0
	v_lshlrev_b32_e32 v0, 4, v0
	v_writelane_b32 v99, s46, 4
	v_and_b32_e32 v0, 0x200, v0
	v_rcp_iflag_f32_e32 v3, v3
	s_abs_i32 s99, s12
	v_writelane_b32 v99, s47, 5
	s_xor_b32 s1, s1, s3
	v_or_b32_e32 v86, v1, v0
	v_cvt_f32_u32_e32 v1, s99
	v_writelane_b32 v99, s48, 6
	s_sub_i32 s13, s1, s3
	v_writelane_b32 v99, s49, 7
	s_mul_i32 s1, s13, s26
	s_lshl_b32 s0, s17, 1
	v_writelane_b32 v99, s50, 8
	s_sub_i32 s27, s2, s1
	v_add_u32_e32 v36, s0, v34
	s_mul_i32 s1, s17, 6
	v_or_b32_e32 v84, v4, v0
	v_mul_f32_e32 v0, 0x4f7ffffe, v3
	v_writelane_b32 v99, s51, 9
	v_cndmask_b32_e64 v63, 0, 1, s[14:15]
	v_add_u32_e32 v38, s1, v36
	v_cvt_u32_f32_e32 v0, v0
	v_rcp_iflag_f32_e32 v1, v1
	v_writelane_b32 v99, s14, 10
	v_add_u32_e32 v40, s0, v38
	v_add_u32_e32 v42, s1, v40
	v_writelane_b32 v99, s15, 11
	v_writelane_b32 v99, s24, 12
	v_add_u32_e32 v44, s0, v42
	v_add_u32_e32 v46, s1, v44
	v_writelane_b32 v99, s25, 13
	v_readfirstlane_b32 s1, v0
	v_mul_f32_e32 v0, 0x4f7ffffe, v1
	v_writelane_b32 v99, s13, 14
	v_cvt_u32_f32_e32 v0, v0
	v_writelane_b32 v99, s26, 15
	v_add_u32_e32 v48, s0, v46
	s_sub_i32 s0, 0, s20
	v_writelane_b32 v99, s27, 16
	s_mul_i32 s0, s0, s1
	v_writelane_b32 v99, s28, 17
	s_lshl_b32 s30, s19, 5
	s_mul_hi_u32 s0, s1, s0
	v_writelane_b32 v99, s29, 18
	s_ashr_i32 s31, s11, 31
	s_add_i32 s34, s1, s0
	s_sub_i32 s0, 0, s99
	v_readfirstlane_b32 s1, v0
	v_mbcnt_lo_u32_b32 v0, -1, 0
	v_writelane_b32 v99, s30, 19
	s_mul_i32 s0, s0, s1
	v_mbcnt_hi_u32_b32 v0, -1, v0
	v_writelane_b32 v99, s31, 20
	v_mov_b32_e32 v33, 0
	v_mul_lo_u32 v52, s19, v64
	s_ashr_i32 s35, s12, 31
	s_mul_hi_u32 s0, s1, s0
	v_and_or_b32 v0, v0, 64, v6
	v_writelane_b32 v99, s34, 21
	v_or_b32_e32 v75, 32, v64
	v_ashrrev_i32_e32 v35, 31, v34
	v_ashrrev_i32_e32 v37, 31, v36
	;; [unrolled: 1-line block ×6, first 2 shown]
	v_sub_u32_e32 v82, 32, v5
	v_ashrrev_i32_e32 v47, 31, v46
	v_ashrrev_i32_e32 v49, 31, v48
	v_ashrrev_i32_e32 v53, 31, v52
	v_mov_b32_e32 v51, v33
	v_mul_lo_u32 v85, s18, v64
	s_add_i32 s36, s1, s0
	v_lshlrev_b32_e32 v32, 1, v2
	v_lshlrev_b32_e32 v87, 2, v0
	v_mov_b32_e32 v88, v56
	v_writelane_b32 v99, s35, 22
	v_writelane_b32 v99, s36, 23
	s_branch .LBB260_7
.LBB260_4:                              ;   in Loop: Header=BB260_7 Depth=1
	s_or_b64 exec, exec, s[4:5]
.LBB260_5:                              ;   in Loop: Header=BB260_7 Depth=1
	s_or_b64 exec, exec, s[2:3]
	v_subrev_u32_e32 v88, s98, v88
.LBB260_6:                              ;   in Loop: Header=BB260_7 Depth=1
	s_or_b64 exec, exec, s[0:1]
	s_add_i32 s33, s33, 1
	v_cmp_ge_i32_e32 vcc, s33, v62
	s_cbranch_vccnz .LBB260_51
.LBB260_7:                              ; =>This Loop Header: Depth=1
                                        ;     Child Loop BB260_13 Depth 2
                                        ;       Child Loop BB260_15 Depth 3
                                        ;       Child Loop BB260_18 Depth 3
	;; [unrolled: 1-line block ×3, first 2 shown]
                                        ;     Child Loop BB260_38 Depth 2
                                        ;       Child Loop BB260_40 Depth 3
                                        ;     Child Loop BB260_48 Depth 2
                                        ;       Child Loop BB260_50 Depth 3
	s_abs_i32 s1, s33
	s_mul_hi_u32 s2, s1, s34
	s_mul_i32 s3, s2, s20
	s_ashr_i32 s0, s33, 31
	s_sub_i32 s1, s1, s3
	s_xor_b32 s0, s0, s31
	s_add_i32 s3, s2, 1
	s_sub_i32 s4, s1, s20
	s_cmp_ge_u32 s1, s20
	s_cselect_b32 s2, s3, s2
	s_cselect_b32 s1, s4, s1
	s_add_i32 s3, s2, 1
	s_cmp_ge_u32 s1, s20
	s_cselect_b32 s1, s3, s2
	s_xor_b32 s1, s1, s0
	s_sub_i32 s0, s1, s0
	s_abs_i32 s2, s0
	s_mul_i32 s1, s0, s11
	s_mul_hi_u32 s3, s2, s36
	s_sub_i32 s1, s33, s1
	s_mul_i32 s4, s3, s99
	s_mul_i32 s52, s1, 0x60
	s_ashr_i32 s1, s0, 31
	s_sub_i32 s2, s2, s4
	s_xor_b32 s1, s1, s35
	s_add_i32 s4, s3, 1
	s_sub_i32 s5, s2, s99
	s_cmp_ge_u32 s2, s99
	s_cselect_b32 s3, s4, s3
	s_cselect_b32 s2, s5, s2
	s_add_i32 s4, s3, 1
	s_cmp_ge_u32 s2, s99
	s_cselect_b32 s2, s4, s3
	s_xor_b32 s2, s2, s1
	s_sub_i32 s1, s2, s1
	s_mul_i32 s2, s1, s13
	s_lshl_b32 s37, s2, 6
	s_cmp_eq_u32 s1, s26
	s_cselect_b32 s98, s27, s13
	s_sub_i32 s2, s52, s16
	s_add_i32 s53, s2, 0x60
	s_and_saveexec_b64 s[2:3], s[24:25]
	s_xor_b64 s[38:39], exec, s[2:3]
	s_cbranch_execz .LBB260_44
; %bb.8:                                ;   in Loop: Header=BB260_7 Depth=1
	s_mul_i32 s1, s1, s12
	s_sub_i32 s0, s0, s1
	s_lshl_b32 s0, s0, 6
	s_sub_i32 s90, s0, s17
	s_add_i32 s90, s90, 64
	s_max_i32 s1, s90, 0
	s_sub_i32 s54, s0, s1
	s_and_saveexec_b64 s[0:1], s[14:15]
	s_xor_b64 s[4:5], exec, s[0:1]
	s_cbranch_execz .LBB260_34
; %bb.9:                                ;   in Loop: Header=BB260_7 Depth=1
	s_and_saveexec_b64 s[2:3], s[28:29]
	s_cbranch_execz .LBB260_33
; %bb.10:                               ;   in Loop: Header=BB260_7 Depth=1
	global_load_dword v89, v33, s[50:51]
	v_writelane_b32 v99, s2, 24
	v_mov_b32_e32 v31, 0
	v_cmp_gt_i32_e32 vcc, s98, v88
	v_writelane_b32 v99, s3, 25
	v_writelane_b32 v99, s4, 26
	v_mov_b32_e32 v30, v31
	v_mov_b32_e32 v29, v31
	;; [unrolled: 1-line block ×12, first 2 shown]
	s_waitcnt lgkmcnt(1)
	v_mov_b32_e32 v18, v31
	v_mov_b32_e32 v17, v31
	;; [unrolled: 1-line block ×19, first 2 shown]
	v_writelane_b32 v99, s5, 27
	s_and_saveexec_b64 s[0:1], vcc
	s_cbranch_execz .LBB260_23
; %bb.11:                               ;   in Loop: Header=BB260_7 Depth=1
	v_mov_b32_e32 v0, 0
	s_mov_b64 s[2:3], 0
	v_mov_b32_e32 v1, v0
	v_mov_b32_e32 v2, v0
	;; [unrolled: 1-line block ×31, first 2 shown]
	s_branch .LBB260_13
.LBB260_12:                             ;   in Loop: Header=BB260_13 Depth=2
	s_or_b64 exec, exec, s[4:5]
	v_add_u32_e32 v96, 0x800, v93
	ds_read2_b32 v[94:95], v96 offset1:32
	v_add_u32_e32 v88, s23, v88
	s_waitcnt lgkmcnt(0)
	v_mfma_f32_32x32x16_fp8_fp8 v[0:15], v[60:61], v[94:95], v[0:15]
	ds_read2_b32 v[60:61], v96 offset0:128 offset1:160
	s_waitcnt lgkmcnt(0)
	v_mfma_f32_32x32x16_fp8_fp8 v[0:15], v[58:59], v[60:61], v[0:15]
	v_add_u32_e32 v60, 0xc00, v93
	ds_read2_b32 v[58:59], v60 offset1:32
	ds_read2_b32 v[60:61], v60 offset0:128 offset1:160
	ds_write_b32 v91, v92 offset:20492
	s_waitcnt lgkmcnt(2)
	v_mfma_f32_32x32x16_fp8_fp8 v[0:15], v[56:57], v[58:59], v[0:15]
	v_add_u32_e32 v56, s23, v90
	v_add_u32_e32 v57, 2, v63
	v_cmp_lt_i32_e32 vcc, 1, v56
	s_nop 1
	v_cndmask_b32_e32 v63, v63, v57, vcc
	v_cmp_le_i32_e32 vcc, s98, v88
	s_waitcnt lgkmcnt(1)
	v_mfma_f32_32x32x16_fp8_fp8 v[0:15], v[54:55], v[60:61], v[0:15]
	s_or_b64 s[2:3], vcc, s[2:3]
	s_andn2_b64 exec, exec, s[2:3]
	s_cbranch_execz .LBB260_22
.LBB260_13:                             ;   Parent Loop BB260_7 Depth=1
                                        ; =>  This Loop Header: Depth=2
                                        ;       Child Loop BB260_15 Depth 3
                                        ;       Child Loop BB260_18 Depth 3
	;; [unrolled: 1-line block ×3, first 2 shown]
	v_cmp_gt_i32_e32 vcc, 2, v56
	s_nop 1
	v_cndmask_b32_e64 v54, -2, 0, vcc
	v_add_u32_e32 v90, v54, v56
	v_lshlrev_b32_e32 v91, 4, v90
	ds_read_b32 v54, v91 offset:20480
	s_waitcnt lgkmcnt(0)
	v_cmp_ne_u32_e32 vcc, v54, v63
	s_and_saveexec_b64 s[4:5], vcc
	s_cbranch_execz .LBB260_16
; %bb.14:                               ;   in Loop: Header=BB260_13 Depth=2
	s_mov_b64 s[6:7], 0
.LBB260_15:                             ;   Parent Loop BB260_7 Depth=1
                                        ;     Parent Loop BB260_13 Depth=2
                                        ; =>    This Inner Loop Header: Depth=3
	;;#ASMSTART
	s_sleep 0
	;;#ASMEND
	ds_read_b32 v54, v91 offset:20480
	s_waitcnt lgkmcnt(0)
	v_cmp_eq_u32_e32 vcc, v54, v63
	s_or_b64 s[6:7], vcc, s[6:7]
	s_andn2_b64 exec, exec, s[6:7]
	s_cbranch_execnz .LBB260_15
.LBB260_16:                             ;   in Loop: Header=BB260_13 Depth=2
	s_or_b64 exec, exec, s[4:5]
	v_lshl_or_b32 v54, v90, 11, v65
	ds_read2_b32 v[60:61], v54 offset1:32
	ds_read2_b32 v[58:59], v54 offset0:128 offset1:160
	v_add_u32_e32 v54, 0x400, v54
	ds_read2_b32 v[56:57], v54 offset1:32
	ds_read_b32 v93, v91 offset:20484
	ds_read2_b32 v[54:55], v54 offset0:128 offset1:160
	v_add_u32_e32 v92, 1, v63
	ds_write_b32 v91, v92 offset:20480
	s_waitcnt lgkmcnt(2)
	v_cmp_ne_u32_e32 vcc, v93, v63
	s_and_saveexec_b64 s[4:5], vcc
	s_cbranch_execz .LBB260_19
; %bb.17:                               ;   in Loop: Header=BB260_13 Depth=2
	s_mov_b64 s[6:7], 0
.LBB260_18:                             ;   Parent Loop BB260_7 Depth=1
                                        ;     Parent Loop BB260_13 Depth=2
                                        ; =>    This Inner Loop Header: Depth=3
	;;#ASMSTART
	s_sleep 0
	;;#ASMEND
	ds_read_b32 v93, v91 offset:20484
	s_waitcnt lgkmcnt(0)
	v_cmp_eq_u32_e32 vcc, v93, v63
	s_or_b64 s[6:7], vcc, s[6:7]
	s_andn2_b64 exec, exec, s[6:7]
	s_cbranch_execnz .LBB260_18
.LBB260_19:                             ;   in Loop: Header=BB260_13 Depth=2
	s_or_b64 exec, exec, s[4:5]
	v_lshlrev_b32_e32 v93, 12, v90
	v_add_u32_e32 v93, v66, v93
	ds_read2_b32 v[94:95], v93 offset1:32
	v_add_u32_e32 v96, 0x400, v93
	ds_write_b32 v91, v92 offset:20484
	s_waitcnt lgkmcnt(1)
	v_mfma_f32_32x32x16_fp8_fp8 v[16:31], v[60:61], v[94:95], v[16:31]
	ds_read2_b32 v[94:95], v93 offset0:128 offset1:160
	s_waitcnt lgkmcnt(0)
	v_mfma_f32_32x32x16_fp8_fp8 v[16:31], v[58:59], v[94:95], v[16:31]
	ds_read2_b32 v[94:95], v96 offset1:32
	s_waitcnt lgkmcnt(0)
	v_mfma_f32_32x32x16_fp8_fp8 v[16:31], v[56:57], v[94:95], v[16:31]
	ds_read2_b32 v[94:95], v96 offset0:128 offset1:160
	ds_read_b32 v96, v91 offset:20492
	s_waitcnt lgkmcnt(0)
	v_cmp_ne_u32_e32 vcc, v96, v63
	v_mfma_f32_32x32x16_fp8_fp8 v[16:31], v[54:55], v[94:95], v[16:31]
	s_and_saveexec_b64 s[4:5], vcc
	s_cbranch_execz .LBB260_12
; %bb.20:                               ;   in Loop: Header=BB260_13 Depth=2
	s_mov_b64 s[6:7], 0
.LBB260_21:                             ;   Parent Loop BB260_7 Depth=1
                                        ;     Parent Loop BB260_13 Depth=2
                                        ; =>    This Inner Loop Header: Depth=3
	;;#ASMSTART
	s_sleep 0
	;;#ASMEND
	ds_read_b32 v94, v91 offset:20492
	s_waitcnt lgkmcnt(0)
	v_cmp_eq_u32_e32 vcc, v94, v63
	s_or_b64 s[6:7], vcc, s[6:7]
	s_andn2_b64 exec, exec, s[6:7]
	s_cbranch_execnz .LBB260_21
	s_branch .LBB260_12
.LBB260_22:                             ;   in Loop: Header=BB260_7 Depth=1
	s_or_b64 exec, exec, s[2:3]
.LBB260_23:                             ;   in Loop: Header=BB260_7 Depth=1
	v_writelane_b32 v99, s54, 28
	s_nop 1
	v_writelane_b32 v99, s55, 29
	v_writelane_b32 v99, s38, 30
	s_nop 1
	v_writelane_b32 v99, s39, 31
	v_writelane_b32 v99, s53, 32
	;; [unrolled: 1-line block ×4, first 2 shown]
	s_or_b64 exec, exec, s[0:1]
	v_cmp_le_i32_e32 vcc, s90, v64
	v_cmp_eq_u32_e64 s[86:87], 1, v67
	v_cmp_eq_u32_e64 s[50:51], 2, v67
	s_waitcnt vmcnt(0)
	v_cndmask_b32_e32 v54, 0, v89, vcc
	v_pk_mul_f32 v[16:17], v[54:55], v[16:17] op_sel_hi:[0,1]
	v_pk_mul_f32 v[30:31], v[54:55], v[30:31] op_sel_hi:[0,1]
	;; [unrolled: 1-line block ×8, first 2 shown]
	v_cndmask_b32_e64 v54, v16, v17, s[86:87]
	v_cndmask_b32_e64 v54, v54, v18, s[50:51]
	v_cmp_eq_u32_e64 s[54:55], 3, v67
	v_cmp_eq_u32_e64 s[56:57], 4, v67
	v_cmp_eq_u32_e64 s[60:61], 5, v67
	v_cndmask_b32_e64 v54, v54, v19, s[54:55]
	v_cndmask_b32_e64 v54, v54, v20, s[56:57]
	v_cndmask_b32_e64 v54, v54, v21, s[60:61]
	v_cmp_eq_u32_e64 s[64:65], 6, v67
	v_cmp_eq_u32_e64 s[68:69], 7, v67
	v_cmp_eq_u32_e64 s[72:73], 8, v67
	v_cndmask_b32_e64 v54, v54, v22, s[64:65]
	;; [unrolled: 6-line block ×5, first 2 shown]
	ds_bpermute_b32 v54, v87, v54
	v_cmp_eq_u32_e64 s[26:27], 2, v68
	v_cmp_eq_u32_e64 s[28:29], 3, v68
	;; [unrolled: 1-line block ×4, first 2 shown]
	s_waitcnt lgkmcnt(0)
	v_cndmask_b32_e64 v17, v17, v54, s[86:87]
	v_cndmask_b32_e64 v16, v16, v54, s[70:71]
	;; [unrolled: 1-line block ×12, first 2 shown]
	v_cmp_eq_u32_e64 s[36:37], 6, v68
	v_cndmask_b32_e64 v57, v23, v54, s[68:69]
	v_cmp_eq_u32_e64 s[38:39], 7, v68
	v_cndmask_b32_e64 v18, v18, v58, s[36:37]
	v_cndmask_b32_e64 v55, v24, v54, s[72:73]
	v_cndmask_b32_e64 v18, v18, v57, s[38:39]
	v_cmp_eq_u32_e64 s[42:43], 8, v68
	v_cndmask_b32_e64 v25, v25, v54, s[76:77]
	v_cmp_eq_u32_e64 s[44:45], 9, v68
	v_cndmask_b32_e64 v18, v18, v55, s[42:43]
	v_cndmask_b32_e64 v26, v26, v54, s[78:79]
	v_cndmask_b32_e64 v18, v18, v25, s[44:45]
	;; [unrolled: 6-line block ×4, first 2 shown]
	v_cmp_eq_u32_e64 s[62:63], 14, v68
	v_cndmask_b32_e64 v31, v31, v54, s[88:89]
	v_cmp_eq_u32_e64 s[66:67], 15, v68
	v_cndmask_b32_e64 v18, v18, v30, s[62:63]
	v_cmp_le_i32_e64 s[90:91], s90, v75
	v_cndmask_b32_e64 v18, v18, v31, s[66:67]
	ds_bpermute_b32 v54, v87, v18
	v_cmp_eq_u32_e64 s[40:41], 0, v68
	v_cmp_eq_u32_e64 s[2:3], 1, v69
	;; [unrolled: 1-line block ×4, first 2 shown]
	s_waitcnt lgkmcnt(0)
	v_cndmask_b32_e64 v22, v27, v54, s[48:49]
	v_cndmask_b32_e64 v27, v58, v54, s[36:37]
	;; [unrolled: 1-line block ×3, first 2 shown]
	v_pk_mul_f32 v[0:1], v[58:59], v[0:1] op_sel_hi:[0,1]
	v_cndmask_b32_e64 v24, v25, v54, s[44:45]
	v_cndmask_b32_e64 v25, v55, v54, s[42:43]
	v_pk_mul_f32 v[2:3], v[58:59], v[2:3] op_sel_hi:[0,1]
	v_cndmask_b32_e64 v55, v0, v1, s[86:87]
	v_cndmask_b32_e64 v55, v55, v2, s[50:51]
	;; [unrolled: 3-line block ×6, first 2 shown]
	v_cndmask_b32_e64 v17, v17, v54, s[24:25]
	v_cndmask_b32_e64 v16, v16, v54, s[40:41]
	v_pk_mul_f32 v[12:13], v[58:59], v[12:13] op_sel_hi:[0,1]
	v_cndmask_b32_e64 v55, v55, v11, s[74:75]
	v_cndmask_b32_e64 v18, v31, v54, s[66:67]
	;; [unrolled: 1-line block ×14, first 2 shown]
	v_pk_mul_f32 v[14:15], v[58:59], v[14:15] op_sel_hi:[0,1]
	v_cndmask_b32_e64 v55, v55, v13, s[82:83]
	v_cndmask_b32_e64 v54, v54, v30, s[8:9]
	v_cmp_eq_u32_e64 s[10:11], 4, v69
	v_cndmask_b32_e64 v55, v55, v14, s[84:85]
	v_cmp_eq_u32_e64 s[12:13], 5, v69
	v_cndmask_b32_e64 v54, v54, v29, s[10:11]
	v_cndmask_b32_e64 v55, v55, v15, s[88:89]
	;; [unrolled: 1-line block ×3, first 2 shown]
	v_cmp_eq_u32_e64 s[14:15], 6, v69
	ds_bpermute_b32 v55, v87, v55
	v_cmp_eq_u32_e64 s[96:97], 7, v69
	v_cndmask_b32_e64 v54, v54, v27, s[14:15]
	v_cmp_eq_u32_e64 s[4:5], 8, v69
	v_cndmask_b32_e64 v54, v54, v26, s[96:97]
	v_cmp_eq_u32_e32 vcc, 9, v69
	v_cndmask_b32_e64 v54, v54, v25, s[4:5]
	v_cmp_eq_u32_e64 s[0:1], 10, v69
	v_cndmask_b32_e32 v54, v54, v24, vcc
	v_cmp_eq_u32_e64 s[86:87], 11, v69
	v_cndmask_b32_e64 v54, v54, v23, s[0:1]
	s_waitcnt lgkmcnt(0)
	v_cndmask_b32_e64 v2, v2, v55, s[50:51]
	v_cmp_ne_u32_e64 s[50:51], 0, v67
	v_cndmask_b32_e64 v54, v54, v22, s[86:87]
	v_cmp_eq_u32_e64 s[90:91], 12, v69
	v_cndmask_b32_e64 v1, v1, v55, s[50:51]
	v_cndmask_b32_e64 v0, v0, v55, s[70:71]
	;; [unrolled: 1-line block ×4, first 2 shown]
	v_cmp_eq_u32_e64 s[88:89], 13, v69
	v_cndmask_b32_e64 v14, v14, v55, s[84:85]
	v_cndmask_b32_e64 v13, v13, v55, s[82:83]
	;; [unrolled: 1-line block ×14, first 2 shown]
	v_cmp_eq_u32_e64 s[84:85], 14, v69
	v_cndmask_b32_e64 v55, v55, v2, s[26:27]
	v_cmp_eq_u32_e64 s[82:83], 15, v69
	v_cndmask_b32_e64 v54, v54, v19, s[84:85]
	v_cndmask_b32_e64 v55, v55, v3, s[28:29]
	v_cndmask_b32_e64 v54, v54, v18, s[82:83]
	v_cndmask_b32_e64 v55, v55, v4, s[30:31]
	ds_bpermute_b32 v54, v87, v54
	v_cndmask_b32_e64 v55, v55, v5, s[34:35]
	v_cndmask_b32_e64 v55, v55, v6, s[36:37]
	;; [unrolled: 1-line block ×4, first 2 shown]
	v_cmp_eq_u32_e64 s[80:81], 0, v69
	v_cndmask_b32_e64 v55, v55, v9, s[44:45]
	s_waitcnt lgkmcnt(0)
	v_cndmask_b32_e64 v17, v17, v54, s[2:3]
	v_cndmask_b32_e64 v16, v16, v54, s[80:81]
	v_cmp_eq_u32_e64 s[74:75], 1, v70
	v_cndmask_b32_e64 v55, v55, v10, s[46:47]
	v_cndmask_b32_e64 v18, v18, v54, s[82:83]
	;; [unrolled: 1-line block ×7, first 2 shown]
	v_cndmask_b32_e32 v24, v24, v54, vcc
	v_cndmask_b32_e64 v25, v25, v54, s[4:5]
	v_cndmask_b32_e64 v26, v26, v54, s[96:97]
	;; [unrolled: 1-line block ×8, first 2 shown]
	v_cmp_eq_u32_e64 s[78:79], 2, v70
	v_cndmask_b32_e64 v55, v55, v11, s[48:49]
	v_cmp_eq_u32_e64 s[76:77], 3, v70
	v_cndmask_b32_e64 v54, v54, v31, s[78:79]
	v_cndmask_b32_e64 v55, v55, v12, s[52:53]
	;; [unrolled: 1-line block ×3, first 2 shown]
	v_cmp_eq_u32_e64 s[72:73], 4, v70
	v_cndmask_b32_e64 v55, v55, v13, s[58:59]
	v_cmp_eq_u32_e64 s[68:69], 5, v70
	v_cndmask_b32_e64 v54, v54, v29, s[72:73]
	v_cndmask_b32_e64 v55, v55, v14, s[62:63]
	;; [unrolled: 1-line block ×3, first 2 shown]
	v_cmp_eq_u32_e64 s[64:65], 6, v70
	v_cndmask_b32_e64 v55, v55, v15, s[66:67]
	v_cmp_eq_u32_e64 s[60:61], 7, v70
	v_cndmask_b32_e64 v54, v54, v27, s[64:65]
	ds_bpermute_b32 v55, v87, v55
	v_cndmask_b32_e64 v54, v54, v26, s[60:61]
	v_cmp_eq_u32_e64 s[56:57], 8, v70
	v_cmp_eq_u32_e64 s[54:55], 9, v70
	;; [unrolled: 1-line block ×3, first 2 shown]
	v_cndmask_b32_e64 v54, v54, v25, s[56:57]
	v_cndmask_b32_e64 v54, v54, v24, s[54:55]
	v_cndmask_b32_e64 v54, v54, v23, s[50:51]
	v_cmp_eq_u32_e64 s[70:71], 11, v70
	s_waitcnt lgkmcnt(0)
	v_cndmask_b32_e64 v15, v15, v55, s[66:67]
	v_cmp_eq_u32_e64 s[66:67], 12, v70
	v_cndmask_b32_e64 v54, v54, v22, s[70:71]
	v_cndmask_b32_e64 v14, v14, v55, s[62:63]
	;; [unrolled: 1-line block ×3, first 2 shown]
	v_cmp_eq_u32_e64 s[62:63], 13, v70
	v_cndmask_b32_e64 v1, v1, v55, s[24:25]
	v_cndmask_b32_e64 v0, v0, v55, s[40:41]
	;; [unrolled: 1-line block ×4, first 2 shown]
	v_cmp_eq_u32_e64 s[92:93], 14, v70
	v_cndmask_b32_e64 v12, v12, v55, s[52:53]
	v_cndmask_b32_e64 v11, v11, v55, s[48:49]
	;; [unrolled: 1-line block ×13, first 2 shown]
	v_cmp_eq_u32_e64 s[94:95], 15, v70
	v_cndmask_b32_e64 v55, v55, v2, s[6:7]
	v_cndmask_b32_e64 v55, v55, v3, s[8:9]
	;; [unrolled: 1-line block ×3, first 2 shown]
	ds_bpermute_b32 v54, v87, v54
	v_cndmask_b32_e64 v55, v55, v4, s[10:11]
	v_cndmask_b32_e64 v55, v55, v5, s[12:13]
	;; [unrolled: 1-line block ×4, first 2 shown]
	v_cmp_eq_u32_e64 s[48:49], 0, v70
	v_cndmask_b32_e64 v55, v55, v8, s[4:5]
	s_waitcnt lgkmcnt(0)
	v_cndmask_b32_e64 v17, v17, v54, s[74:75]
	v_cndmask_b32_e64 v16, v16, v54, s[48:49]
	v_cmp_eq_u32_e64 s[46:47], 1, v71
	v_cndmask_b32_e32 v55, v55, v9, vcc
	v_cndmask_b32_e64 v18, v18, v54, s[94:95]
	v_cndmask_b32_e64 v19, v19, v54, s[92:93]
	;; [unrolled: 1-line block ×15, first 2 shown]
	v_cmp_eq_u32_e64 s[44:45], 2, v71
	v_cndmask_b32_e64 v55, v55, v10, s[0:1]
	v_cmp_eq_u32_e64 s[42:43], 3, v71
	v_cndmask_b32_e64 v54, v54, v31, s[44:45]
	v_cndmask_b32_e64 v55, v55, v11, s[86:87]
	v_cndmask_b32_e64 v54, v54, v30, s[42:43]
	v_cmp_eq_u32_e64 s[38:39], 4, v71
	v_cndmask_b32_e64 v55, v55, v12, s[90:91]
	v_cmp_eq_u32_e64 s[36:37], 5, v71
	v_cndmask_b32_e64 v54, v54, v29, s[38:39]
	v_cndmask_b32_e64 v55, v55, v13, s[88:89]
	v_cndmask_b32_e64 v54, v54, v28, s[36:37]
	;; [unrolled: 6-line block ×3, first 2 shown]
	v_cmp_eq_u32_e64 s[28:29], 8, v71
	ds_bpermute_b32 v55, v87, v55
	v_cmp_eq_u32_e64 s[26:27], 9, v71
	v_cndmask_b32_e64 v54, v54, v25, s[28:29]
	v_cmp_eq_u32_e64 s[24:25], 10, v71
	v_cndmask_b32_e64 v54, v54, v24, s[26:27]
	;; [unrolled: 2-line block ×4, first 2 shown]
	s_waitcnt lgkmcnt(0)
	v_cndmask_b32_e64 v15, v15, v55, s[82:83]
	v_cndmask_b32_e64 v54, v54, v21, s[58:59]
	v_cmp_eq_u32_e64 s[82:83], 13, v71
	v_cndmask_b32_e64 v14, v14, v55, s[84:85]
	v_cmp_eq_u32_e64 s[84:85], 14, v71
	v_cndmask_b32_e64 v54, v54, v20, s[82:83]
	v_cndmask_b32_e64 v1, v1, v55, s[2:3]
	;; [unrolled: 1-line block ×6, first 2 shown]
	v_cmp_eq_u32_e64 s[90:91], 15, v71
	v_cndmask_b32_e64 v11, v11, v55, s[86:87]
	v_cndmask_b32_e64 v10, v10, v55, s[0:1]
	v_cndmask_b32_e32 v9, v9, v55, vcc
	v_cndmask_b32_e64 v8, v8, v55, s[4:5]
	v_cndmask_b32_e64 v7, v7, v55, s[96:97]
	;; [unrolled: 1-line block ×10, first 2 shown]
	ds_bpermute_b32 v54, v87, v54
	v_cndmask_b32_e64 v55, v55, v3, s[76:77]
	v_cndmask_b32_e64 v55, v55, v4, s[72:73]
	;; [unrolled: 1-line block ×3, first 2 shown]
	v_cmp_eq_u32_e64 s[52:53], 0, v71
	v_cndmask_b32_e64 v55, v55, v6, s[64:65]
	v_cndmask_b32_e64 v55, v55, v7, s[60:61]
	v_writelane_b32 v99, s52, 35
	s_waitcnt lgkmcnt(0)
	v_cndmask_b32_e64 v17, v17, v54, s[46:47]
	v_cndmask_b32_e64 v55, v55, v8, s[56:57]
	v_writelane_b32 v99, s53, 36
	v_cndmask_b32_e64 v16, v16, v54, s[52:53]
	v_cmp_eq_u32_e64 s[52:53], 1, v72
	v_cndmask_b32_e64 v18, v18, v54, s[90:91]
	v_cndmask_b32_e64 v19, v19, v54, s[84:85]
	;; [unrolled: 1-line block ×15, first 2 shown]
	v_cmp_eq_u32_e64 s[0:1], 2, v72
	v_cndmask_b32_e64 v55, v55, v9, s[54:55]
	v_cmp_eq_u32_e64 s[4:5], 3, v72
	v_cndmask_b32_e64 v54, v54, v31, s[0:1]
	v_cndmask_b32_e64 v55, v55, v10, s[50:51]
	v_cndmask_b32_e64 v54, v54, v30, s[4:5]
	v_cmp_eq_u32_e64 s[96:97], 4, v72
	v_cndmask_b32_e64 v55, v55, v11, s[70:71]
	v_cmp_eq_u32_e64 s[14:15], 5, v72
	v_cndmask_b32_e64 v54, v54, v29, s[96:97]
	v_cndmask_b32_e64 v55, v55, v12, s[66:67]
	v_cndmask_b32_e64 v54, v54, v28, s[14:15]
	;; [unrolled: 6-line block ×3, first 2 shown]
	v_cmp_eq_u32_e64 s[8:9], 8, v72
	v_cndmask_b32_e64 v55, v55, v15, s[94:95]
	v_cmp_eq_u32_e64 s[6:7], 9, v72
	v_cndmask_b32_e64 v54, v54, v25, s[8:9]
	ds_bpermute_b32 v55, v87, v55
	v_cndmask_b32_e64 v54, v54, v24, s[6:7]
	v_cmp_eq_u32_e32 vcc, 10, v72
	v_cmp_eq_u32_e64 s[80:81], 11, v72
	v_cmp_eq_u32_e64 s[86:87], 12, v72
	v_cndmask_b32_e32 v54, v54, v23, vcc
	v_cndmask_b32_e64 v54, v54, v22, s[80:81]
	v_cndmask_b32_e64 v54, v54, v21, s[86:87]
	v_cmp_eq_u32_e64 s[88:89], 13, v72
	s_waitcnt lgkmcnt(0)
	v_cndmask_b32_e64 v13, v13, v55, s[62:63]
	v_cmp_eq_u32_e64 s[62:63], 14, v72
	v_cndmask_b32_e64 v54, v54, v20, s[88:89]
	v_cndmask_b32_e64 v12, v12, v55, s[66:67]
	;; [unrolled: 1-line block ×3, first 2 shown]
	v_cmp_eq_u32_e64 s[66:67], 15, v72
	v_cndmask_b32_e64 v57, v11, v55, s[70:71]
	v_cmp_eq_u32_e64 s[70:71], 0, v72
	v_cndmask_b32_e64 v54, v54, v18, s[66:67]
	ds_bpermute_b32 v54, v87, v54
	v_cndmask_b32_e64 v15, v15, v55, s[94:95]
	v_cndmask_b32_e64 v14, v14, v55, s[92:93]
	;; [unrolled: 1-line block ×4, first 2 shown]
	s_waitcnt lgkmcnt(0)
	v_cndmask_b32_e64 v18, v18, v54, s[66:67]
	v_cndmask_b32_e64 v19, v19, v54, s[62:63]
	;; [unrolled: 1-line block ×5, first 2 shown]
	v_cndmask_b32_e32 v23, v23, v54, vcc
	v_cndmask_b32_e64 v24, v24, v54, s[6:7]
	v_cndmask_b32_e64 v25, v25, v54, s[8:9]
	;; [unrolled: 1-line block ×28, first 2 shown]
	v_cmp_eq_u32_e64 s[50:51], 1, v73
	v_cndmask_b32_e64 v0, v0, v54, s[24:25]
	v_cmp_eq_u32_e64 s[54:55], 2, v73
	v_cndmask_b32_e64 v10, v16, v17, s[50:51]
	v_cndmask_b32_e64 v0, v0, v57, s[40:41]
	v_cndmask_b32_e64 v9, v10, v31, s[54:55]
	v_cmp_eq_u32_e64 s[56:57], 3, v73
	v_cndmask_b32_e64 v0, v0, v12, s[58:59]
	v_cmp_eq_u32_e64 s[60:61], 4, v73
	v_cndmask_b32_e64 v8, v9, v30, s[56:57]
	v_cndmask_b32_e64 v0, v0, v13, s[82:83]
	v_cndmask_b32_e64 v7, v8, v29, s[60:61]
	;; [unrolled: 6-line block ×3, first 2 shown]
	v_cmp_eq_u32_e64 s[72:73], 7, v73
	ds_bpermute_b32 v94, v87, v0
	v_cmp_eq_u32_e64 s[76:77], 8, v73
	v_cndmask_b32_e64 v4, v5, v26, s[72:73]
	v_cmp_eq_u32_e64 s[78:79], 9, v73
	v_cndmask_b32_e64 v3, v4, v25, s[76:77]
	;; [unrolled: 2-line block ×4, first 2 shown]
	s_waitcnt lgkmcnt(0)
	v_cndmask_b32_e64 v95, v15, v94, s[90:91]
	v_cndmask_b32_e64 v0, v0, v22, s[74:75]
	v_cmp_eq_u32_e64 s[90:91], 12, v73
	v_cndmask_b32_e64 v96, v14, v94, s[84:85]
	v_cmp_eq_u32_e64 s[84:85], 13, v73
	v_cndmask_b32_e64 v0, v0, v21, s[90:91]
	v_cndmask_b32_e64 v97, v13, v94, s[82:83]
	;; [unrolled: 1-line block ×3, first 2 shown]
	v_cmp_eq_u32_e64 s[82:83], 14, v73
	v_cndmask_b32_e64 v98, v12, v94, s[58:59]
	v_cmp_eq_u32_e64 s[58:59], 15, v73
	v_cndmask_b32_e64 v0, v0, v19, s[82:83]
	v_readlane_b32 s2, v99, 35
	v_cndmask_b32_e64 v0, v0, v18, s[58:59]
	ds_bpermute_b32 v1, v87, v0
	v_readlane_b32 s3, v99, 36
	s_waitcnt lgkmcnt(0)
	v_cndmask_b32_e64 v11, v27, v1, s[68:69]
	v_cndmask_b32_e64 v12, v28, v1, s[64:65]
	;; [unrolled: 1-line block ×4, first 2 shown]
	s_mov_b64 s[2:3], s[52:53]
	v_cndmask_b32_e64 v10, v26, v1, s[72:73]
	v_cndmask_b32_e64 v13, v29, v1, s[60:61]
	;; [unrolled: 1-line block ×25, first 2 shown]
	v_cmp_eq_u32_e64 s[40:41], 0, v73
	v_cndmask_b32_e64 v19, v58, v94, s[26:27]
	v_cndmask_b32_e64 v29, v29, v20, s[8:9]
	;; [unrolled: 1-line block ×8, first 2 shown]
	v_cndmask_b32_e32 v29, v29, v16, vcc
	v_cndmask_b32_e64 v29, v29, v17, s[80:81]
	v_cndmask_b32_e64 v29, v29, v98, s[86:87]
	;; [unrolled: 1-line block ×5, first 2 shown]
	ds_bpermute_b32 v29, v87, v29
	v_cmp_eq_u32_e64 s[24:25], 1, v74
	v_cmp_eq_u32_e64 s[26:27], 2, v74
	;; [unrolled: 1-line block ×3, first 2 shown]
	v_cndmask_b32_e64 v18, v1, v0, s[24:25]
	s_waitcnt lgkmcnt(0)
	v_cndmask_b32_e64 v92, v27, v29, s[2:3]
	v_cndmask_b32_e64 v93, v28, v29, s[70:71]
	;; [unrolled: 1-line block ×18, first 2 shown]
	v_cndmask_b32_e32 v16, v16, v29, vcc
	v_cndmask_b32_e64 v19, v19, v57, s[78:79]
	v_cndmask_b32_e64 v17, v17, v29, s[80:81]
	;; [unrolled: 1-line block ×12, first 2 shown]
	ds_bpermute_b32 v94, v87, v19
	v_cndmask_b32_e64 v18, v18, v15, s[26:27]
	v_cndmask_b32_e64 v18, v18, v14, s[28:29]
	v_cmp_eq_u32_e64 s[30:31], 4, v74
	v_cmp_eq_u32_e64 s[34:35], 5, v74
	s_waitcnt lgkmcnt(0)
	v_cndmask_b32_e64 v23, v17, v94, s[74:75]
	v_cndmask_b32_e64 v24, v16, v94, s[48:49]
	;; [unrolled: 1-line block ×18, first 2 shown]
	v_cmp_eq_u32_e64 s[36:37], 6, v74
	v_cndmask_b32_e64 v28, v60, v94, s[68:69]
	v_cndmask_b32_e64 v55, v55, v29, s[34:35]
	v_cndmask_b32_e64 v18, v18, v11, s[36:37]
	v_cmp_eq_u32_e64 s[38:39], 7, v74
	v_cndmask_b32_e64 v27, v59, v94, s[72:73]
	v_cndmask_b32_e64 v55, v55, v28, s[36:37]
	v_cndmask_b32_e64 v18, v18, v10, s[38:39]
	;; [unrolled: 4-line block ×4, first 2 shown]
	v_cmp_eq_u32_e64 s[46:47], 10, v74
	v_cndmask_b32_e64 v55, v55, v25, s[44:45]
	v_cmp_eq_u32_e64 s[52:53], 11, v74
	v_cndmask_b32_e64 v18, v18, v7, s[46:47]
	v_cndmask_b32_e64 v55, v55, v24, s[46:47]
	;; [unrolled: 1-line block ×3, first 2 shown]
	v_cmp_eq_u32_e64 s[66:67], 12, v74
	v_cndmask_b32_e64 v55, v55, v23, s[52:53]
	v_cmp_eq_u32_e64 s[62:63], 13, v74
	v_cndmask_b32_e64 v18, v18, v5, s[66:67]
	v_cndmask_b32_e64 v55, v55, v22, s[66:67]
	;; [unrolled: 1-line block ×3, first 2 shown]
	v_cmp_eq_u32_e32 vcc, 14, v74
	v_cndmask_b32_e64 v55, v55, v21, s[62:63]
	v_cmp_eq_u32_e64 s[6:7], 15, v74
	v_cndmask_b32_e32 v18, v18, v3, vcc
	v_cndmask_b32_e32 v55, v55, v20, vcc
	v_cndmask_b32_e64 v18, v18, v2, s[6:7]
	v_cndmask_b32_e64 v55, v55, v19, s[6:7]
	ds_bpermute_b32 v18, v87, v18
	ds_bpermute_b32 v58, v87, v55
	v_readlane_b32 s53, v99, 32
	s_nop 1
	v_cmp_lt_i32_e32 vcc, s53, v76
	s_and_saveexec_b64 s[40:41], vcc
	v_readlane_b32 s44, v99, 2
	v_readlane_b32 s45, v99, 3
	v_readlane_b32 s46, v99, 4
	v_readlane_b32 s47, v99, 5
	v_readlane_b32 s48, v99, 6
	v_readlane_b32 s49, v99, 7
	v_readlane_b32 s50, v99, 8
	v_readlane_b32 s51, v99, 9
	v_readlane_b32 s52, v99, 34
	v_readlane_b32 s54, v99, 28
	v_readlane_b32 s55, v99, 29
	s_cbranch_execz .LBB260_32
; %bb.24:                               ;   in Loop: Header=BB260_7 Depth=1
	s_mul_i32 s0, s52, s17
	s_ashr_i32 s1, s0, 31
	s_lshl_b64 s[0:1], s[0:1], 1
	s_add_u32 s2, s48, s0
	v_cmp_eq_u32_e64 s[34:35], 1, v74
	v_cmp_eq_u32_e64 s[36:37], 0, v74
	s_addc_u32 s3, s49, s1
	s_ashr_i32 s55, s54, 31
	s_waitcnt lgkmcnt(1)
	v_cndmask_b32_e64 v55, v0, v18, s[34:35]
	v_cndmask_b32_e64 v57, v1, v18, s[36:37]
	s_lshl_b64 s[0:1], s[54:55], 1
	s_waitcnt lgkmcnt(0)
	v_cndmask_b32_e64 v59, v16, v58, s[34:35]
	v_cndmask_b32_e64 v60, v17, v58, s[36:37]
	v_cvt_f16_f32_e32 v57, v57
	v_cvt_f16_f32_sdwa v55, v55 dst_sel:WORD_1 dst_unused:UNUSED_PAD src0_sel:DWORD
	s_add_u32 s42, s2, s0
	v_cvt_f16_f32_e32 v60, v60
	v_cvt_f16_f32_sdwa v59, v59 dst_sel:WORD_1 dst_unused:UNUSED_PAD src0_sel:DWORD
	s_addc_u32 s43, s3, s1
	v_lshl_add_u64 v[0:1], s[42:43], 0, v[32:33]
	v_cmp_eq_u32_e32 vcc, 15, v74
	v_cmp_eq_u32_e64 s[6:7], 14, v74
	v_cmp_eq_u32_e64 s[8:9], 13, v74
	;; [unrolled: 1-line block ×13, first 2 shown]
	v_lshl_add_u64 v[16:17], v[34:35], 1, v[0:1]
	v_or_b32_e32 v55, v55, v57
	v_cmp_lt_i32_e64 s[34:35], s53, v77
	;;#ASMSTART
	global_atomic_pk_add_f16 v[16:17], v55, off
	
	;;#ASMEND
	v_lshl_add_u64 v[16:17], v[16:17], 0, 64
	v_or_b32_e32 v55, v59, v60
	;;#ASMSTART
	global_atomic_pk_add_f16 v[16:17], v55, off
	
	;;#ASMEND
	s_and_b64 exec, exec, s[34:35]
	s_cbranch_execz .LBB260_32
; %bb.25:                               ;   in Loop: Header=BB260_7 Depth=1
	v_cndmask_b32_e32 v2, v2, v18, vcc
	v_cndmask_b32_e64 v3, v3, v18, s[6:7]
	v_cndmask_b32_e64 v16, v4, v18, s[8:9]
	;; [unrolled: 1-line block ×19, first 2 shown]
	v_cvt_f16_f32_e32 v22, v18
	v_cvt_f16_f32_sdwa v23, v92 dst_sel:WORD_1 dst_unused:UNUSED_PAD src0_sel:DWORD
	v_cvt_f16_f32_e32 v21, v21
	v_cvt_f16_f32_sdwa v20, v20 dst_sel:WORD_1 dst_unused:UNUSED_PAD src0_sel:DWORD
	v_cndmask_b32_e32 v4, v19, v58, vcc
	v_cndmask_b32_e64 v9, v24, v58, s[14:15]
	v_cndmask_b32_e64 v10, v25, v58, s[0:1]
	;; [unrolled: 1-line block ×7, first 2 shown]
	v_lshl_add_u64 v[18:19], v[36:37], 1, v[0:1]
	v_cmp_lt_i32_e32 vcc, s53, v78
	v_or_b32_e32 v22, v23, v22
	;;#ASMSTART
	global_atomic_pk_add_f16 v[18:19], v22, off
	
	;;#ASMEND
	v_lshl_add_u64 v[18:19], v[18:19], 0, 64
	v_or_b32_e32 v20, v20, v21
	;;#ASMSTART
	global_atomic_pk_add_f16 v[18:19], v20, off
	
	;;#ASMEND
	s_and_b64 exec, exec, vcc
	s_cbranch_execz .LBB260_32
; %bb.26:                               ;   in Loop: Header=BB260_7 Depth=1
	v_cvt_f16_f32_e32 v20, v91
	v_cvt_f16_f32_sdwa v21, v90 dst_sel:WORD_1 dst_unused:UNUSED_PAD src0_sel:DWORD
	v_cvt_f16_f32_e32 v22, v15
	v_cvt_f16_f32_sdwa v23, v14 dst_sel:WORD_1 dst_unused:UNUSED_PAD src0_sel:DWORD
	v_lshl_add_u64 v[18:19], v[38:39], 1, v[0:1]
	v_or_b32_e32 v14, v21, v20
	v_cmp_lt_i32_e32 vcc, s53, v79
	;;#ASMSTART
	global_atomic_pk_add_f16 v[18:19], v14, off
	
	;;#ASMEND
	v_lshl_add_u64 v[14:15], v[18:19], 0, 64
	v_or_b32_e32 v18, v23, v22
	;;#ASMSTART
	global_atomic_pk_add_f16 v[14:15], v18, off
	
	;;#ASMEND
	s_and_b64 exec, exec, vcc
	s_cbranch_execz .LBB260_32
; %bb.27:                               ;   in Loop: Header=BB260_7 Depth=1
	v_cvt_f16_f32_e32 v18, v89
	v_cvt_f16_f32_sdwa v19, v61 dst_sel:WORD_1 dst_unused:UNUSED_PAD src0_sel:DWORD
	v_cvt_f16_f32_e32 v20, v13
	v_cvt_f16_f32_sdwa v21, v12 dst_sel:WORD_1 dst_unused:UNUSED_PAD src0_sel:DWORD
	v_lshl_add_u64 v[14:15], v[40:41], 1, v[0:1]
	v_or_b32_e32 v12, v19, v18
	v_cmp_lt_i32_e32 vcc, s53, v80
	;; [unrolled: 20-line block ×5, first 2 shown]
	;;#ASMSTART
	global_atomic_pk_add_f16 v[8:9], v6, off
	
	;;#ASMEND
	v_lshl_add_u64 v[6:7], v[8:9], 0, 64
	v_or_b32_e32 v8, v13, v12
	;;#ASMSTART
	global_atomic_pk_add_f16 v[6:7], v8, off
	
	;;#ASMEND
	s_and_b64 exec, exec, vcc
	s_cbranch_execz .LBB260_32
; %bb.31:                               ;   in Loop: Header=BB260_7 Depth=1
	v_cvt_f16_f32_e32 v3, v3
	v_cvt_f16_f32_sdwa v2, v2 dst_sel:WORD_1 dst_unused:UNUSED_PAD src0_sel:DWORD
	v_cvt_f16_f32_e32 v5, v5
	v_cvt_f16_f32_sdwa v4, v4 dst_sel:WORD_1 dst_unused:UNUSED_PAD src0_sel:DWORD
	v_lshl_add_u64 v[0:1], v[48:49], 1, v[0:1]
	v_or_b32_e32 v2, v2, v3
	;;#ASMSTART
	global_atomic_pk_add_f16 v[0:1], v2, off
	
	;;#ASMEND
	v_lshl_add_u64 v[0:1], v[0:1], 0, 64
	v_or_b32_e32 v2, v4, v5
	;;#ASMSTART
	global_atomic_pk_add_f16 v[0:1], v2, off
	
	;;#ASMEND
.LBB260_32:                             ;   in Loop: Header=BB260_7 Depth=1
	s_or_b64 exec, exec, s[40:41]
	v_readlane_b32 s14, v99, 10
	v_readlane_b32 s24, v99, 12
	;; [unrolled: 1-line block ×6, first 2 shown]
	v_subrev_u32_e32 v88, s98, v88
	v_readlane_b32 s11, v99, 0
	v_readlane_b32 s12, v99, 1
	;; [unrolled: 1-line block ×17, first 2 shown]
.LBB260_33:                             ;   in Loop: Header=BB260_7 Depth=1
	s_or_b64 exec, exec, s[2:3]
.LBB260_34:                             ;   in Loop: Header=BB260_7 Depth=1
	s_andn2_saveexec_b64 s[0:1], s[4:5]
	s_cbranch_execz .LBB260_43
; %bb.35:                               ;   in Loop: Header=BB260_7 Depth=1
	s_lshl_b32 s10, s98, 1
	v_cmp_gt_i32_e32 vcc, s10, v88
	s_and_saveexec_b64 s[2:3], vcc
	s_cbranch_execz .LBB260_42
; %bb.36:                               ;   in Loop: Header=BB260_7 Depth=1
	s_mul_i32 s4, s54, s19
	s_ashr_i32 s5, s4, 31
	s_add_u32 s4, s46, s4
	s_addc_u32 s5, s47, s5
	s_ashr_i32 s6, s37, 31
	s_add_u32 s4, s4, s37
	s_addc_u32 s5, s5, s6
	v_lshl_add_u64 v[0:1], s[4:5], 0, v[52:53]
	v_lshl_add_u64 v[8:9], v[0:1], 0, v[50:51]
	s_mov_b64 s[4:5], 0
	s_branch .LBB260_38
.LBB260_37:                             ;   in Loop: Header=BB260_38 Depth=2
	s_or_b64 exec, exec, s[6:7]
	v_lshl_add_u32 v12, v10, 11, v84
	;;#ASMSTART
	s_waitcnt vmcnt(1)
	;;#ASMEND
	ds_write2_b32 v12, v4, v5 offset1:32
	ds_write2_b32 v12, v6, v7 offset0:64 offset1:96
	v_add_u32_e32 v4, 0x400, v12
	v_add_u32_e32 v88, s22, v88
	;;#ASMSTART
	s_waitcnt vmcnt(0)
	;;#ASMEND
	ds_write2_b32 v4, v0, v1 offset1:32
	ds_write2_b32 v4, v2, v3 offset0:64 offset1:96
	v_add_u32_e32 v0, 1, v63
	v_add_u32_e32 v56, s22, v10
	v_cmp_le_i32_e32 vcc, s10, v88
	ds_write_b32 v11, v0 offset:24
	v_add_u32_e32 v0, 2, v63
	s_or_b64 s[4:5], vcc, s[4:5]
	v_cmp_lt_i32_e32 vcc, 3, v56
	s_nop 1
	v_cndmask_b32_e32 v63, v63, v0, vcc
	s_andn2_b64 exec, exec, s[4:5]
	s_cbranch_execz .LBB260_41
.LBB260_38:                             ;   Parent Loop BB260_7 Depth=1
                                        ; =>  This Loop Header: Depth=2
                                        ;       Child Loop BB260_40 Depth 3
	v_cmp_gt_i32_e32 vcc, 4, v56
	s_nop 1
	v_cndmask_b32_e64 v0, -4, 0, vcc
	v_add_u32_e32 v10, v0, v56
	v_lshrrev_b32_e32 v0, 31, v88
	v_add_u32_e32 v0, v88, v0
	v_and_b32_e32 v1, -2, v0
	v_lshlrev_b32_e32 v0, 5, v0
	v_sub_u32_e32 v2, v88, v1
	v_and_b32_e32 v0, 0xffffffc0, v0
	v_ashrrev_i32_e32 v1, 31, v0
	v_mul_lo_u32 v2, s30, v2
	v_lshl_add_u64 v[0:1], v[8:9], 0, v[0:1]
	v_ashrrev_i32_e32 v3, 31, v2
	v_lshl_add_u64 v[0:1], v[0:1], 0, v[2:3]
	v_lshlrev_b32_e32 v11, 2, v10
	;;#ASMSTART
	global_load_dwordx4 v[4:7], v[0:1], off offset:0   sc0 sc1 nt  
	global_load_dwordx4 v[0:3], v[0:1], off offset:32  sc0 sc1 nt  
	
	;;#ASMEND
	ds_read_b32 v12, v11 offset:20504
	v_add_u32_e32 v11, 0x5000, v11
	s_waitcnt lgkmcnt(0)
	v_cmp_ne_u32_e32 vcc, v12, v63
	s_and_saveexec_b64 s[6:7], vcc
	s_cbranch_execz .LBB260_37
; %bb.39:                               ;   in Loop: Header=BB260_38 Depth=2
	s_mov_b64 s[8:9], 0
.LBB260_40:                             ;   Parent Loop BB260_7 Depth=1
                                        ;     Parent Loop BB260_38 Depth=2
                                        ; =>    This Inner Loop Header: Depth=3
	;;#ASMSTART
	s_sleep 0
	;;#ASMEND
	ds_read_b32 v12, v11 offset:24
	s_waitcnt lgkmcnt(0)
	v_cmp_eq_u32_e32 vcc, v12, v63
	s_or_b64 s[8:9], vcc, s[8:9]
	s_andn2_b64 exec, exec, s[8:9]
	s_cbranch_execnz .LBB260_40
	s_branch .LBB260_37
.LBB260_41:                             ;   in Loop: Header=BB260_7 Depth=1
	s_or_b64 exec, exec, s[4:5]
.LBB260_42:                             ;   in Loop: Header=BB260_7 Depth=1
	s_or_b64 exec, exec, s[2:3]
	v_subrev_u32_e32 v88, s10, v88
.LBB260_43:                             ;   in Loop: Header=BB260_7 Depth=1
	s_or_b64 exec, exec, s[0:1]
.LBB260_44:                             ;   in Loop: Header=BB260_7 Depth=1
	s_andn2_saveexec_b64 s[0:1], s[38:39]
	s_cbranch_execz .LBB260_6
; %bb.45:                               ;   in Loop: Header=BB260_7 Depth=1
	s_mul_i32 s98, s98, 3
	v_cmp_gt_i32_e32 vcc, s98, v88
	s_and_saveexec_b64 s[2:3], vcc
	s_cbranch_execz .LBB260_5
; %bb.46:                               ;   in Loop: Header=BB260_7 Depth=1
	s_mul_i32 s4, s52, s18
	s_max_i32 s6, s53, 0
	s_ashr_i32 s5, s4, 31
	s_add_u32 s4, s44, s4
	v_add_u32_e32 v2, s6, v64
	s_movk_i32 s6, 0x60
	s_addc_u32 s5, s45, s5
	s_ashr_i32 s7, s37, 31
	v_cmp_gt_u32_e32 vcc, s6, v2
	s_add_u32 s4, s4, s37
	s_addc_u32 s5, s5, s7
	v_cndmask_b32_e32 v0, 0, v85, vcc
	v_ashrrev_i32_e32 v1, 31, v0
	v_lshl_add_u64 v[0:1], s[4:5], 0, v[0:1]
	v_lshl_add_u64 v[8:9], v[0:1], 0, v[50:51]
	v_sub_u32_e32 v10, 0x5f, v2
	s_mov_b64 s[4:5], 0
	s_branch .LBB260_48
.LBB260_47:                             ;   in Loop: Header=BB260_48 Depth=2
	s_or_b64 exec, exec, s[6:7]
	v_lshl_or_b32 v13, v11, 11, v86
	;;#ASMSTART
	s_waitcnt vmcnt(1)
	;;#ASMEND
	ds_write2_b32 v13, v4, v5 offset1:32
	ds_write2_b32 v13, v6, v7 offset0:64 offset1:96
	v_add_u32_e32 v4, 0x400, v13
	v_add_u32_e32 v88, s21, v88
	;;#ASMSTART
	s_waitcnt vmcnt(0)
	;;#ASMEND
	ds_write2_b32 v4, v0, v1 offset1:32
	ds_write2_b32 v4, v2, v3 offset0:64 offset1:96
	v_add_u32_e32 v0, 1, v63
	v_add_u32_e32 v56, s21, v11
	v_cmp_le_i32_e32 vcc, s98, v88
	ds_write_b32 v12, v0
	v_add_u32_e32 v0, 2, v63
	s_or_b64 s[4:5], vcc, s[4:5]
	v_cmp_lt_i32_e32 vcc, 5, v56
	s_nop 1
	v_cndmask_b32_e32 v63, v63, v0, vcc
	s_andn2_b64 exec, exec, s[4:5]
	s_cbranch_execz .LBB260_4
.LBB260_48:                             ;   Parent Loop BB260_7 Depth=1
                                        ; =>  This Loop Header: Depth=2
                                        ;       Child Loop BB260_50 Depth 3
	v_cmp_gt_i32_e32 vcc, 6, v56
	s_mov_b32 s6, 0x55555556
	s_nop 0
	v_cndmask_b32_e64 v0, -6, 0, vcc
	v_add_u32_e32 v11, v0, v56
	v_mul_hi_i32 v0, v88, s6
	v_lshrrev_b32_e32 v1, 31, v0
	v_add_u32_e32 v0, v0, v1
	v_lshl_add_u32 v1, v0, 1, v0
	v_sub_u32_e32 v1, v88, v1
	v_lshlrev_b32_e32 v1, 5, v1
	v_cmp_le_i32_e32 vcc, v1, v10
	v_lshlrev_b32_e32 v0, 6, v0
	v_lshlrev_b32_e32 v12, 2, v11
	v_cndmask_b32_e32 v2, 0, v1, vcc
	v_ashrrev_i32_e32 v1, 31, v0
	v_mul_lo_u32 v2, v2, s18
	v_lshl_add_u64 v[0:1], v[8:9], 0, v[0:1]
	v_ashrrev_i32_e32 v3, 31, v2
	v_lshl_add_u64 v[0:1], v[0:1], 0, v[2:3]
	;;#ASMSTART
	global_load_dwordx4 v[4:7], v[0:1], off offset:0   
	global_load_dwordx4 v[0:3], v[0:1], off offset:32  
	
	;;#ASMEND
	ds_read_b32 v13, v12 offset:20480
	v_add_u32_e32 v12, 0x5000, v12
	s_waitcnt lgkmcnt(0)
	v_cmp_ne_u32_e32 vcc, v13, v63
	s_and_saveexec_b64 s[6:7], vcc
	s_cbranch_execz .LBB260_47
; %bb.49:                               ;   in Loop: Header=BB260_48 Depth=2
	s_mov_b64 s[8:9], 0
.LBB260_50:                             ;   Parent Loop BB260_7 Depth=1
                                        ;     Parent Loop BB260_48 Depth=2
                                        ; =>    This Inner Loop Header: Depth=3
	;;#ASMSTART
	s_sleep 0
	;;#ASMEND
	ds_read_b32 v13, v12
	s_waitcnt lgkmcnt(0)
	v_cmp_eq_u32_e32 vcc, v13, v63
	s_or_b64 s[8:9], vcc, s[8:9]
	s_andn2_b64 exec, exec, s[8:9]
	s_cbranch_execnz .LBB260_50
	s_branch .LBB260_47
.LBB260_51:
	s_endpgm
	.section	.rodata,"a",@progbits
	.p2align	6, 0x0
	.amdhsa_kernel _Z19_skinny_gemm_kernelILi3ELi2ELi2ELi32ELi4EEvPKhS1_P6__halfPKfiiiiiiii
		.amdhsa_group_segment_fixed_size 20520
		.amdhsa_private_segment_fixed_size 0
		.amdhsa_kernarg_size 64
		.amdhsa_user_sgpr_count 2
		.amdhsa_user_sgpr_dispatch_ptr 0
		.amdhsa_user_sgpr_queue_ptr 0
		.amdhsa_user_sgpr_kernarg_segment_ptr 1
		.amdhsa_user_sgpr_dispatch_id 0
		.amdhsa_user_sgpr_kernarg_preload_length 0
		.amdhsa_user_sgpr_kernarg_preload_offset 0
		.amdhsa_user_sgpr_private_segment_size 0
		.amdhsa_uses_dynamic_stack 0
		.amdhsa_enable_private_segment 0
		.amdhsa_system_sgpr_workgroup_id_x 1
		.amdhsa_system_sgpr_workgroup_id_y 0
		.amdhsa_system_sgpr_workgroup_id_z 0
		.amdhsa_system_sgpr_workgroup_info 0
		.amdhsa_system_vgpr_workitem_id 0
		.amdhsa_next_free_vgpr 100
		.amdhsa_next_free_sgpr 100
		.amdhsa_accum_offset 100
		.amdhsa_reserve_vcc 1
		.amdhsa_float_round_mode_32 0
		.amdhsa_float_round_mode_16_64 0
		.amdhsa_float_denorm_mode_32 3
		.amdhsa_float_denorm_mode_16_64 3
		.amdhsa_dx10_clamp 1
		.amdhsa_ieee_mode 1
		.amdhsa_fp16_overflow 0
		.amdhsa_tg_split 0
		.amdhsa_exception_fp_ieee_invalid_op 0
		.amdhsa_exception_fp_denorm_src 0
		.amdhsa_exception_fp_ieee_div_zero 0
		.amdhsa_exception_fp_ieee_overflow 0
		.amdhsa_exception_fp_ieee_underflow 0
		.amdhsa_exception_fp_ieee_inexact 0
		.amdhsa_exception_int_div_zero 0
	.end_amdhsa_kernel
	.section	.text._Z19_skinny_gemm_kernelILi3ELi2ELi2ELi32ELi4EEvPKhS1_P6__halfPKfiiiiiiii,"axG",@progbits,_Z19_skinny_gemm_kernelILi3ELi2ELi2ELi32ELi4EEvPKhS1_P6__halfPKfiiiiiiii,comdat
.Lfunc_end260:
	.size	_Z19_skinny_gemm_kernelILi3ELi2ELi2ELi32ELi4EEvPKhS1_P6__halfPKfiiiiiiii, .Lfunc_end260-_Z19_skinny_gemm_kernelILi3ELi2ELi2ELi32ELi4EEvPKhS1_P6__halfPKfiiiiiiii
                                        ; -- End function
	.set _Z19_skinny_gemm_kernelILi3ELi2ELi2ELi32ELi4EEvPKhS1_P6__halfPKfiiiiiiii.num_vgpr, 100
	.set _Z19_skinny_gemm_kernelILi3ELi2ELi2ELi32ELi4EEvPKhS1_P6__halfPKfiiiiiiii.num_agpr, 0
	.set _Z19_skinny_gemm_kernelILi3ELi2ELi2ELi32ELi4EEvPKhS1_P6__halfPKfiiiiiiii.numbered_sgpr, 100
	.set _Z19_skinny_gemm_kernelILi3ELi2ELi2ELi32ELi4EEvPKhS1_P6__halfPKfiiiiiiii.num_named_barrier, 0
	.set _Z19_skinny_gemm_kernelILi3ELi2ELi2ELi32ELi4EEvPKhS1_P6__halfPKfiiiiiiii.private_seg_size, 0
	.set _Z19_skinny_gemm_kernelILi3ELi2ELi2ELi32ELi4EEvPKhS1_P6__halfPKfiiiiiiii.uses_vcc, 1
	.set _Z19_skinny_gemm_kernelILi3ELi2ELi2ELi32ELi4EEvPKhS1_P6__halfPKfiiiiiiii.uses_flat_scratch, 0
	.set _Z19_skinny_gemm_kernelILi3ELi2ELi2ELi32ELi4EEvPKhS1_P6__halfPKfiiiiiiii.has_dyn_sized_stack, 0
	.set _Z19_skinny_gemm_kernelILi3ELi2ELi2ELi32ELi4EEvPKhS1_P6__halfPKfiiiiiiii.has_recursion, 0
	.set _Z19_skinny_gemm_kernelILi3ELi2ELi2ELi32ELi4EEvPKhS1_P6__halfPKfiiiiiiii.has_indirect_call, 0
	.section	.AMDGPU.csdata,"",@progbits
; Kernel info:
; codeLenInByte = 9680
; TotalNumSgprs: 106
; NumVgprs: 100
; NumAgprs: 0
; TotalNumVgprs: 100
; ScratchSize: 0
; MemoryBound: 0
; FloatMode: 240
; IeeeMode: 1
; LDSByteSize: 20520 bytes/workgroup (compile time only)
; SGPRBlocks: 13
; VGPRBlocks: 12
; NumSGPRsForWavesPerEU: 106
; NumVGPRsForWavesPerEU: 100
; AccumOffset: 100
; Occupancy: 4
; WaveLimiterHint : 0
; COMPUTE_PGM_RSRC2:SCRATCH_EN: 0
; COMPUTE_PGM_RSRC2:USER_SGPR: 2
; COMPUTE_PGM_RSRC2:TRAP_HANDLER: 0
; COMPUTE_PGM_RSRC2:TGID_X_EN: 1
; COMPUTE_PGM_RSRC2:TGID_Y_EN: 0
; COMPUTE_PGM_RSRC2:TGID_Z_EN: 0
; COMPUTE_PGM_RSRC2:TIDIG_COMP_CNT: 0
; COMPUTE_PGM_RSRC3_GFX90A:ACCUM_OFFSET: 24
; COMPUTE_PGM_RSRC3_GFX90A:TG_SPLIT: 0
	.section	.text._Z19_skinny_gemm_kernelILi3ELi2ELi2ELi32ELi8EEvPKhS1_P6__halfPKfiiiiiiii,"axG",@progbits,_Z19_skinny_gemm_kernelILi3ELi2ELi2ELi32ELi8EEvPKhS1_P6__halfPKfiiiiiiii,comdat
	.protected	_Z19_skinny_gemm_kernelILi3ELi2ELi2ELi32ELi8EEvPKhS1_P6__halfPKfiiiiiiii ; -- Begin function _Z19_skinny_gemm_kernelILi3ELi2ELi2ELi32ELi8EEvPKhS1_P6__halfPKfiiiiiiii
	.globl	_Z19_skinny_gemm_kernelILi3ELi2ELi2ELi32ELi8EEvPKhS1_P6__halfPKfiiiiiiii
	.p2align	8
	.type	_Z19_skinny_gemm_kernelILi3ELi2ELi2ELi32ELi8EEvPKhS1_P6__halfPKfiiiiiiii,@function
_Z19_skinny_gemm_kernelILi3ELi2ELi2ELi32ELi8EEvPKhS1_P6__halfPKfiiiiiiii: ; @_Z19_skinny_gemm_kernelILi3ELi2ELi2ELi32ELi8EEvPKhS1_P6__halfPKfiiiiiiii
; %bb.0:
	v_cmp_gt_u32_e32 vcc, 10, v0
	s_and_saveexec_b64 s[4:5], vcc
; %bb.1:
	v_lshlrev_b32_e32 v1, 2, v0
	v_mov_b32_e32 v2, 0
	ds_write_b32 v1, v2 offset:40960
; %bb.2:
	s_or_b64 exec, exec, s[4:5]
	s_load_dwordx8 s[16:23], s[0:1], 0x20
	s_waitcnt lgkmcnt(0)
	s_barrier
	s_add_i32 s3, s16, 0x5f
	s_mul_hi_i32 s3, s3, 0x2aaaaaab
	s_add_i32 s4, s17, 63
	s_lshr_b32 s5, s3, 31
	s_ashr_i32 s3, s3, 4
	s_add_i32 s11, s3, s5
	s_ashr_i32 s3, s4, 31
	s_lshr_b32 s3, s3, 26
	s_add_i32 s4, s4, s3
	s_ashr_i32 s12, s4, 6
	s_mul_i32 s3, s12, s11
	s_mul_i32 s3, s3, s20
	s_add_i32 s4, s3, 0x12f
	s_mul_hi_i32 s4, s4, 0x6bca1af3
	s_lshr_b32 s5, s4, 31
	s_ashr_i32 s4, s4, 7
	s_add_i32 s4, s4, s5
	s_add_i32 s5, s2, 1
	s_mul_i32 s5, s4, s5
	v_cvt_f64_i32_e32 v[2:3], s3
	v_cvt_f64_u32_e32 v[4:5], s5
	v_min_f64 v[2:3], v[2:3], v[4:5]
	v_cvt_i32_f64_e32 v70, v[2:3]
	s_mul_i32 s33, s4, s2
	v_cmp_ge_i32_e32 vcc, s33, v70
	s_cbranch_vccnz .LBB261_51
; %bb.3:
	s_load_dwordx8 s[44:51], s[0:1], 0x0
	v_lshrrev_b32_e32 v1, 6, v0
	s_add_i32 s0, s22, s21
	v_cmp_le_i32_e64 s[14:15], s0, v1
	v_mov_b32_e32 v2, s21
	v_cmp_le_i32_e64 s[24:25], s21, v1
	v_mov_b32_e32 v3, s22
	v_cndmask_b32_e64 v3, 0, v3, s[14:15]
	v_cndmask_b32_e64 v2, 0, v2, s[24:25]
	s_abs_i32 s1, s20
	v_add_u32_e32 v2, v2, v3
	v_cvt_f32_u32_e32 v3, s1
	v_sub_u32_e32 v56, v1, v2
	s_ashr_i32 s2, s18, 31
	s_lshr_b32 s2, s2, 25
	v_rcp_iflag_f32_e32 v2, v3
	s_sub_i32 s5, 0, s1
	s_add_i32 s2, s18, s2
	s_ashr_i32 s2, s2, 7
	v_mul_f32_e32 v2, 0x4f7ffffe, v2
	v_cvt_u32_f32_e32 v2, v2
	s_abs_i32 s4, s2
	s_xor_b32 s3, s2, s20
	s_ashr_i32 s3, s3, 31
	v_readfirstlane_b32 s6, v2
	s_mul_i32 s5, s5, s6
	s_mul_hi_u32 s5, s6, s5
	s_add_i32 s6, s6, s5
	s_mul_hi_u32 s5, s4, s6
	s_mul_i32 s6, s5, s1
	s_sub_i32 s4, s4, s6
	s_add_i32 s6, s5, 1
	s_sub_i32 s7, s4, s1
	s_cmp_ge_u32 s4, s1
	s_cselect_b32 s5, s6, s5
	s_cselect_b32 s4, s7, s4
	s_add_i32 s6, s5, 1
	s_cmp_ge_u32 s4, s1
	s_cselect_b32 s1, s6, s5
	s_add_i32 s0, s0, s23
	v_and_b32_e32 v72, 31, v0
	v_lshrrev_b32_e32 v2, 3, v0
	v_cmp_gt_i32_e64 s[28:29], s0, v1
	v_lshlrev_b32_e32 v1, 2, v72
	v_and_b32_e32 v3, 4, v2
	v_and_b32_e32 v5, 1, v0
	v_lshlrev_b32_e32 v2, 6, v3
	v_or_b32_e32 v4, 0x6000, v1
	v_or_b32_e32 v3, v3, v5
	;; [unrolled: 1-line block ×4, first 2 shown]
	v_lshlrev_b32_e32 v2, 1, v5
	v_or_b32_e32 v5, 2, v3
	v_sub_u32_e32 v85, 32, v5
	v_or_b32_e32 v5, 8, v3
	v_sub_u32_e32 v86, 32, v5
	;; [unrolled: 2-line block ×3, first 2 shown]
	v_or_b32_e32 v5, 16, v3
                                        ; implicit-def: $vgpr105 : SGPR spill to VGPR lane
	v_sub_u32_e32 v88, 32, v5
	v_or_b32_e32 v5, 18, v3
	v_writelane_b32 v105, s11, 0
	v_sub_u32_e32 v84, 32, v3
	v_mul_lo_u32 v34, s17, v3
	v_sub_u32_e32 v89, 32, v5
	v_or_b32_e32 v5, 24, v3
	v_or_b32_e32 v3, 26, v3
	v_writelane_b32 v105, s12, 1
	v_sub_u32_e32 v91, 32, v3
	v_lshrrev_b32_e32 v3, 1, v0
	s_abs_i32 s30, s11
	s_waitcnt lgkmcnt(0)
	v_writelane_b32 v105, s44, 2
	v_and_b32_e32 v50, 16, v3
	v_cvt_f32_u32_e32 v3, s30
	v_writelane_b32 v105, s45, 3
	v_sub_u32_e32 v2, v0, v2
	v_writelane_b32 v105, s46, 4
	v_add_u32_e32 v2, 1, v2
	v_writelane_b32 v105, s47, 5
	v_and_b32_e32 v6, 63, v2
	v_bitop3_b32 v75, v0, 1, v0 bitop3:0xc
	v_bitop3_b32 v76, v0, 3, 1 bitop3:0x6c
	v_bitop3_b32 v77, v0, 5, 1 bitop3:0x6c
	v_bitop3_b32 v78, v0, 7, 1 bitop3:0x6c
	v_bitop3_b32 v79, v0, 9, 1 bitop3:0x6c
	v_bitop3_b32 v80, v0, 11, 1 bitop3:0x6c
	v_bitop3_b32 v81, v0, 13, 1 bitop3:0x6c
	v_bitop3_b32 v82, v0, 15, 1 bitop3:0x6c
	v_and_b32_e32 v2, 30, v0
	v_lshlrev_b32_e32 v0, 4, v0
	v_writelane_b32 v105, s48, 6
	v_and_b32_e32 v0, 0x200, v0
	v_rcp_iflag_f32_e32 v3, v3
	s_abs_i32 s34, s12
	v_writelane_b32 v105, s49, 7
	s_xor_b32 s1, s1, s3
	v_or_b32_e32 v94, v1, v0
	v_cvt_f32_u32_e32 v1, s34
	v_writelane_b32 v105, s50, 8
	s_sub_i32 s13, s1, s3
	s_add_i32 s26, s20, -1
	v_writelane_b32 v105, s51, 9
	v_cndmask_b32_e64 v71, 0, 1, s[14:15]
	s_mul_i32 s1, s13, s26
	s_lshl_b32 s0, s17, 1
	v_writelane_b32 v105, s14, 10
	s_sub_i32 s27, s2, s1
	v_add_u32_e32 v36, s0, v34
	s_mul_i32 s1, s17, 6
	v_or_b32_e32 v92, v4, v0
	v_mul_f32_e32 v0, 0x4f7ffffe, v3
	v_writelane_b32 v105, s15, 11
	v_add_u32_e32 v38, s1, v36
	v_cvt_u32_f32_e32 v0, v0
	v_rcp_iflag_f32_e32 v1, v1
	v_writelane_b32 v105, s24, 12
	v_add_u32_e32 v40, s0, v38
	v_add_u32_e32 v42, s1, v40
	v_writelane_b32 v105, s25, 13
	v_writelane_b32 v105, s13, 14
	v_add_u32_e32 v44, s0, v42
	v_writelane_b32 v105, s26, 15
	v_add_u32_e32 v46, s1, v44
	v_readfirstlane_b32 s1, v0
	v_mul_f32_e32 v0, 0x4f7ffffe, v1
	v_writelane_b32 v105, s27, 16
	v_cvt_u32_f32_e32 v0, v0
	v_writelane_b32 v105, s28, 17
	v_add_u32_e32 v48, s0, v46
	s_sub_i32 s0, 0, s30
	v_writelane_b32 v105, s29, 18
	s_lshl_b32 s31, s19, 5
	s_mul_i32 s0, s0, s1
	v_writelane_b32 v105, s30, 19
	s_mul_hi_u32 s0, s1, s0
	v_writelane_b32 v105, s31, 20
	s_ashr_i32 s35, s11, 31
	s_add_i32 s36, s1, s0
	s_sub_i32 s0, 0, s34
	v_readfirstlane_b32 s1, v0
	v_mbcnt_lo_u32_b32 v0, -1, 0
	v_writelane_b32 v105, s34, 21
	s_mul_i32 s0, s0, s1
	v_mbcnt_hi_u32_b32 v0, -1, v0
	v_writelane_b32 v105, s35, 22
	v_mov_b32_e32 v33, 0
	v_mul_lo_u32 v52, s19, v72
	s_ashr_i32 s37, s12, 31
	s_mul_hi_u32 s0, s1, s0
	v_and_or_b32 v0, v0, 64, v6
	v_writelane_b32 v105, s36, 23
	v_or_b32_e32 v83, 32, v72
	v_ashrrev_i32_e32 v35, 31, v34
	v_ashrrev_i32_e32 v37, 31, v36
	;; [unrolled: 1-line block ×6, first 2 shown]
	v_sub_u32_e32 v90, 32, v5
	v_ashrrev_i32_e32 v47, 31, v46
	v_ashrrev_i32_e32 v49, 31, v48
	;; [unrolled: 1-line block ×3, first 2 shown]
	v_mov_b32_e32 v51, v33
	v_mul_lo_u32 v93, s18, v72
	s_add_i32 s38, s1, s0
	v_lshlrev_b32_e32 v32, 1, v2
	v_lshlrev_b32_e32 v95, 2, v0
	v_mov_b32_e32 v96, v56
	v_writelane_b32 v105, s37, 24
	v_writelane_b32 v105, s38, 25
	s_branch .LBB261_7
.LBB261_4:                              ;   in Loop: Header=BB261_7 Depth=1
	s_or_b64 exec, exec, s[4:5]
.LBB261_5:                              ;   in Loop: Header=BB261_7 Depth=1
	s_or_b64 exec, exec, s[2:3]
	v_subrev_u32_e32 v96, s20, v96
.LBB261_6:                              ;   in Loop: Header=BB261_7 Depth=1
	s_or_b64 exec, exec, s[0:1]
	s_add_i32 s33, s33, 1
	v_cmp_ge_i32_e32 vcc, s33, v70
	s_cbranch_vccnz .LBB261_51
.LBB261_7:                              ; =>This Loop Header: Depth=1
                                        ;     Child Loop BB261_13 Depth 2
                                        ;       Child Loop BB261_15 Depth 3
                                        ;       Child Loop BB261_18 Depth 3
	;; [unrolled: 1-line block ×3, first 2 shown]
                                        ;     Child Loop BB261_38 Depth 2
                                        ;       Child Loop BB261_40 Depth 3
                                        ;     Child Loop BB261_48 Depth 2
                                        ;       Child Loop BB261_50 Depth 3
	s_abs_i32 s1, s33
	s_mul_hi_u32 s2, s1, s36
	s_mul_i32 s3, s2, s30
	s_ashr_i32 s0, s33, 31
	s_sub_i32 s1, s1, s3
	s_xor_b32 s0, s0, s35
	s_add_i32 s3, s2, 1
	s_sub_i32 s4, s1, s30
	s_cmp_ge_u32 s1, s30
	s_cselect_b32 s2, s3, s2
	s_cselect_b32 s1, s4, s1
	s_add_i32 s3, s2, 1
	s_cmp_ge_u32 s1, s30
	s_cselect_b32 s1, s3, s2
	s_xor_b32 s1, s1, s0
	s_sub_i32 s0, s1, s0
	s_abs_i32 s2, s0
	s_mul_i32 s1, s0, s11
	s_mul_hi_u32 s3, s2, s38
	s_sub_i32 s1, s33, s1
	s_mul_i32 s4, s3, s34
	s_mul_i32 s52, s1, 0x60
	s_ashr_i32 s1, s0, 31
	s_sub_i32 s2, s2, s4
	s_xor_b32 s1, s1, s37
	s_add_i32 s4, s3, 1
	s_sub_i32 s5, s2, s34
	s_cmp_ge_u32 s2, s34
	s_cselect_b32 s3, s4, s3
	s_cselect_b32 s2, s5, s2
	s_add_i32 s4, s3, 1
	s_cmp_ge_u32 s2, s34
	s_cselect_b32 s2, s4, s3
	s_xor_b32 s2, s2, s1
	s_sub_i32 s1, s2, s1
	s_mul_i32 s2, s1, s13
	s_lshl_b32 s39, s2, 7
	s_cmp_eq_u32 s1, s26
	s_cselect_b32 s20, s27, s13
	s_sub_i32 s2, s52, s16
	s_add_i32 s53, s2, 0x60
	s_and_saveexec_b64 s[2:3], s[24:25]
	s_xor_b64 s[40:41], exec, s[2:3]
	s_cbranch_execz .LBB261_44
; %bb.8:                                ;   in Loop: Header=BB261_7 Depth=1
	s_mul_i32 s1, s1, s12
	s_sub_i32 s0, s0, s1
	s_lshl_b32 s0, s0, 6
	s_sub_i32 s90, s0, s17
	s_add_i32 s90, s90, 64
	s_max_i32 s1, s90, 0
	s_sub_i32 s54, s0, s1
	s_and_saveexec_b64 s[0:1], s[14:15]
	s_xor_b64 s[4:5], exec, s[0:1]
	s_cbranch_execz .LBB261_34
; %bb.9:                                ;   in Loop: Header=BB261_7 Depth=1
	s_and_saveexec_b64 s[2:3], s[28:29]
	s_cbranch_execz .LBB261_33
; %bb.10:                               ;   in Loop: Header=BB261_7 Depth=1
	global_load_dword v97, v33, s[50:51]
	v_writelane_b32 v105, s2, 26
	v_mov_b32_e32 v31, 0
	v_cmp_gt_i32_e32 vcc, s20, v96
	v_writelane_b32 v105, s3, 27
	v_writelane_b32 v105, s4, 28
	v_mov_b32_e32 v30, v31
	v_mov_b32_e32 v29, v31
	;; [unrolled: 1-line block ×12, first 2 shown]
	s_waitcnt lgkmcnt(1)
	v_mov_b32_e32 v18, v31
	v_mov_b32_e32 v17, v31
	;; [unrolled: 1-line block ×19, first 2 shown]
	v_writelane_b32 v105, s5, 29
	s_and_saveexec_b64 s[0:1], vcc
	s_cbranch_execz .LBB261_23
; %bb.11:                               ;   in Loop: Header=BB261_7 Depth=1
	v_mov_b32_e32 v0, 0
	s_mov_b64 s[2:3], 0
	v_mov_b32_e32 v1, v0
	v_mov_b32_e32 v2, v0
	;; [unrolled: 1-line block ×31, first 2 shown]
	s_branch .LBB261_13
.LBB261_12:                             ;   in Loop: Header=BB261_13 Depth=2
	s_or_b64 exec, exec, s[4:5]
	v_add_u32_e32 v104, 0x1000, v101
	ds_read2_b32 v[102:103], v104 offset1:32
	v_add_u32_e32 v96, s23, v96
	s_waitcnt lgkmcnt(0)
	v_mfma_f32_32x32x16_fp8_fp8 v[0:15], v[68:69], v[102:103], v[0:15]
	ds_read2_b32 v[68:69], v104 offset0:128 offset1:160
	s_waitcnt lgkmcnt(0)
	v_mfma_f32_32x32x16_fp8_fp8 v[0:15], v[66:67], v[68:69], v[0:15]
	v_add_u32_e32 v68, 0x1400, v101
	ds_read2_b32 v[66:67], v68 offset1:32
	s_waitcnt lgkmcnt(0)
	v_mfma_f32_32x32x16_fp8_fp8 v[0:15], v[64:65], v[66:67], v[0:15]
	ds_read2_b32 v[64:65], v68 offset0:128 offset1:160
	s_waitcnt lgkmcnt(0)
	v_mfma_f32_32x32x16_fp8_fp8 v[0:15], v[62:63], v[64:65], v[0:15]
	v_add_u32_e32 v64, 0x1800, v101
	ds_read2_b32 v[62:63], v64 offset1:32
	s_waitcnt lgkmcnt(0)
	v_mfma_f32_32x32x16_fp8_fp8 v[0:15], v[60:61], v[62:63], v[0:15]
	ds_read2_b32 v[60:61], v64 offset0:128 offset1:160
	s_waitcnt lgkmcnt(0)
	v_mfma_f32_32x32x16_fp8_fp8 v[0:15], v[58:59], v[60:61], v[0:15]
	v_add_u32_e32 v60, 0x1c00, v101
	ds_read2_b32 v[58:59], v60 offset1:32
	ds_read2_b32 v[60:61], v60 offset0:128 offset1:160
	ds_write_b32 v99, v100 offset:40972
	s_waitcnt lgkmcnt(2)
	v_mfma_f32_32x32x16_fp8_fp8 v[0:15], v[56:57], v[58:59], v[0:15]
	v_add_u32_e32 v56, s23, v98
	v_add_u32_e32 v57, 2, v71
	v_cmp_lt_i32_e32 vcc, 1, v56
	s_nop 1
	v_cndmask_b32_e32 v71, v71, v57, vcc
	v_cmp_le_i32_e32 vcc, s20, v96
	s_waitcnt lgkmcnt(1)
	v_mfma_f32_32x32x16_fp8_fp8 v[0:15], v[54:55], v[60:61], v[0:15]
	s_or_b64 s[2:3], vcc, s[2:3]
	s_andn2_b64 exec, exec, s[2:3]
	s_cbranch_execz .LBB261_22
.LBB261_13:                             ;   Parent Loop BB261_7 Depth=1
                                        ; =>  This Loop Header: Depth=2
                                        ;       Child Loop BB261_15 Depth 3
                                        ;       Child Loop BB261_18 Depth 3
                                        ;       Child Loop BB261_21 Depth 3
	v_cmp_gt_i32_e32 vcc, 2, v56
	s_nop 1
	v_cndmask_b32_e64 v54, -2, 0, vcc
	v_add_u32_e32 v98, v54, v56
	v_lshlrev_b32_e32 v99, 4, v98
	ds_read_b32 v54, v99 offset:40960
	s_waitcnt lgkmcnt(0)
	v_cmp_ne_u32_e32 vcc, v54, v71
	s_and_saveexec_b64 s[4:5], vcc
	s_cbranch_execz .LBB261_16
; %bb.14:                               ;   in Loop: Header=BB261_13 Depth=2
	s_mov_b64 s[6:7], 0
.LBB261_15:                             ;   Parent Loop BB261_7 Depth=1
                                        ;     Parent Loop BB261_13 Depth=2
                                        ; =>    This Inner Loop Header: Depth=3
	;;#ASMSTART
	s_sleep 0
	;;#ASMEND
	ds_read_b32 v54, v99 offset:40960
	s_waitcnt lgkmcnt(0)
	v_cmp_eq_u32_e32 vcc, v54, v71
	s_or_b64 s[6:7], vcc, s[6:7]
	s_andn2_b64 exec, exec, s[6:7]
	s_cbranch_execnz .LBB261_15
.LBB261_16:                             ;   in Loop: Header=BB261_13 Depth=2
	s_or_b64 exec, exec, s[4:5]
	v_lshl_or_b32 v54, v98, 12, v73
	v_add_u32_e32 v55, 0x400, v54
	ds_read2_b32 v[68:69], v54 offset1:32
	ds_read2_b32 v[66:67], v54 offset0:128 offset1:160
	ds_read2_b32 v[64:65], v55 offset1:32
	ds_read2_b32 v[62:63], v55 offset0:128 offset1:160
	v_add_u32_e32 v55, 0x800, v54
	v_add_u32_e32 v54, 0xc00, v54
	ds_read2_b32 v[60:61], v55 offset1:32
	ds_read2_b32 v[58:59], v55 offset0:128 offset1:160
	ds_read2_b32 v[56:57], v54 offset1:32
	ds_read_b32 v101, v99 offset:40964
	ds_read2_b32 v[54:55], v54 offset0:128 offset1:160
	v_add_u32_e32 v100, 1, v71
	ds_write_b32 v99, v100 offset:40960
	s_waitcnt lgkmcnt(2)
	v_cmp_ne_u32_e32 vcc, v101, v71
	s_and_saveexec_b64 s[4:5], vcc
	s_cbranch_execz .LBB261_19
; %bb.17:                               ;   in Loop: Header=BB261_13 Depth=2
	s_mov_b64 s[6:7], 0
.LBB261_18:                             ;   Parent Loop BB261_7 Depth=1
                                        ;     Parent Loop BB261_13 Depth=2
                                        ; =>    This Inner Loop Header: Depth=3
	;;#ASMSTART
	s_sleep 0
	;;#ASMEND
	ds_read_b32 v101, v99 offset:40964
	s_waitcnt lgkmcnt(0)
	v_cmp_eq_u32_e32 vcc, v101, v71
	s_or_b64 s[6:7], vcc, s[6:7]
	s_andn2_b64 exec, exec, s[6:7]
	s_cbranch_execnz .LBB261_18
.LBB261_19:                             ;   in Loop: Header=BB261_13 Depth=2
	s_or_b64 exec, exec, s[4:5]
	v_lshlrev_b32_e32 v101, 13, v98
	v_add_u32_e32 v101, v74, v101
	ds_read2_b32 v[102:103], v101 offset1:32
	v_add_u32_e32 v104, 0x400, v101
	ds_write_b32 v99, v100 offset:40964
	s_waitcnt lgkmcnt(1)
	v_mfma_f32_32x32x16_fp8_fp8 v[16:31], v[68:69], v[102:103], v[16:31]
	ds_read2_b32 v[102:103], v101 offset0:128 offset1:160
	s_waitcnt lgkmcnt(0)
	v_mfma_f32_32x32x16_fp8_fp8 v[16:31], v[66:67], v[102:103], v[16:31]
	ds_read2_b32 v[102:103], v104 offset1:32
	s_waitcnt lgkmcnt(0)
	v_mfma_f32_32x32x16_fp8_fp8 v[16:31], v[64:65], v[102:103], v[16:31]
	ds_read2_b32 v[102:103], v104 offset0:128 offset1:160
	v_add_u32_e32 v104, 0x800, v101
	s_waitcnt lgkmcnt(0)
	v_mfma_f32_32x32x16_fp8_fp8 v[16:31], v[62:63], v[102:103], v[16:31]
	ds_read2_b32 v[102:103], v104 offset1:32
	s_waitcnt lgkmcnt(0)
	v_mfma_f32_32x32x16_fp8_fp8 v[16:31], v[60:61], v[102:103], v[16:31]
	ds_read2_b32 v[102:103], v104 offset0:128 offset1:160
	v_add_u32_e32 v104, 0xc00, v101
	s_waitcnt lgkmcnt(0)
	v_mfma_f32_32x32x16_fp8_fp8 v[16:31], v[58:59], v[102:103], v[16:31]
	ds_read2_b32 v[102:103], v104 offset1:32
	s_waitcnt lgkmcnt(0)
	v_mfma_f32_32x32x16_fp8_fp8 v[16:31], v[56:57], v[102:103], v[16:31]
	ds_read2_b32 v[102:103], v104 offset0:128 offset1:160
	ds_read_b32 v104, v99 offset:40972
	s_waitcnt lgkmcnt(0)
	v_cmp_ne_u32_e32 vcc, v104, v71
	v_mfma_f32_32x32x16_fp8_fp8 v[16:31], v[54:55], v[102:103], v[16:31]
	s_and_saveexec_b64 s[4:5], vcc
	s_cbranch_execz .LBB261_12
; %bb.20:                               ;   in Loop: Header=BB261_13 Depth=2
	s_mov_b64 s[6:7], 0
.LBB261_21:                             ;   Parent Loop BB261_7 Depth=1
                                        ;     Parent Loop BB261_13 Depth=2
                                        ; =>    This Inner Loop Header: Depth=3
	;;#ASMSTART
	s_sleep 0
	;;#ASMEND
	ds_read_b32 v102, v99 offset:40972
	s_waitcnt lgkmcnt(0)
	v_cmp_eq_u32_e32 vcc, v102, v71
	s_or_b64 s[6:7], vcc, s[6:7]
	s_andn2_b64 exec, exec, s[6:7]
	s_cbranch_execnz .LBB261_21
	s_branch .LBB261_12
.LBB261_22:                             ;   in Loop: Header=BB261_7 Depth=1
	s_or_b64 exec, exec, s[2:3]
.LBB261_23:                             ;   in Loop: Header=BB261_7 Depth=1
	v_writelane_b32 v105, s54, 30
	s_nop 1
	v_writelane_b32 v105, s55, 31
	v_writelane_b32 v105, s40, 32
	s_nop 1
	v_writelane_b32 v105, s41, 33
	v_writelane_b32 v105, s53, 34
	;; [unrolled: 1-line block ×4, first 2 shown]
	s_or_b64 exec, exec, s[0:1]
	v_cmp_le_i32_e32 vcc, s90, v72
	v_cmp_eq_u32_e64 s[86:87], 1, v75
	v_cmp_eq_u32_e64 s[50:51], 2, v75
	s_waitcnt vmcnt(0)
	v_cndmask_b32_e32 v54, 0, v97, vcc
	v_pk_mul_f32 v[16:17], v[54:55], v[16:17] op_sel_hi:[0,1]
	v_pk_mul_f32 v[30:31], v[54:55], v[30:31] op_sel_hi:[0,1]
	;; [unrolled: 1-line block ×8, first 2 shown]
	v_cndmask_b32_e64 v54, v16, v17, s[86:87]
	v_cndmask_b32_e64 v54, v54, v18, s[50:51]
	v_cmp_eq_u32_e64 s[54:55], 3, v75
	v_cmp_eq_u32_e64 s[56:57], 4, v75
	v_cmp_eq_u32_e64 s[60:61], 5, v75
	v_cndmask_b32_e64 v54, v54, v19, s[54:55]
	v_cndmask_b32_e64 v54, v54, v20, s[56:57]
	v_cndmask_b32_e64 v54, v54, v21, s[60:61]
	v_cmp_eq_u32_e64 s[64:65], 6, v75
	v_cmp_eq_u32_e64 s[68:69], 7, v75
	v_cmp_eq_u32_e64 s[72:73], 8, v75
	v_cndmask_b32_e64 v54, v54, v22, s[64:65]
	;; [unrolled: 6-line block ×5, first 2 shown]
	ds_bpermute_b32 v54, v95, v54
	v_cmp_eq_u32_e64 s[26:27], 2, v76
	v_cmp_eq_u32_e64 s[28:29], 3, v76
	;; [unrolled: 1-line block ×4, first 2 shown]
	s_waitcnt lgkmcnt(0)
	v_cndmask_b32_e64 v62, v17, v54, s[86:87]
	v_cndmask_b32_e64 v16, v16, v54, s[70:71]
	;; [unrolled: 1-line block ×12, first 2 shown]
	v_cmp_eq_u32_e64 s[36:37], 6, v76
	v_cndmask_b32_e64 v55, v23, v54, s[68:69]
	v_cmp_eq_u32_e64 s[38:39], 7, v76
	v_cndmask_b32_e64 v17, v17, v57, s[36:37]
	v_cndmask_b32_e64 v24, v24, v54, s[72:73]
	v_cndmask_b32_e64 v17, v17, v55, s[38:39]
	v_cmp_eq_u32_e64 s[42:43], 8, v76
	v_cndmask_b32_e64 v25, v25, v54, s[76:77]
	v_cmp_eq_u32_e64 s[44:45], 9, v76
	v_cndmask_b32_e64 v17, v17, v24, s[42:43]
	v_cndmask_b32_e64 v26, v26, v54, s[78:79]
	v_cndmask_b32_e64 v17, v17, v25, s[44:45]
	v_cmp_eq_u32_e64 s[46:47], 10, v76
	v_cndmask_b32_e64 v27, v27, v54, s[74:75]
	v_cmp_eq_u32_e64 s[48:49], 11, v76
	v_cndmask_b32_e64 v17, v17, v26, s[46:47]
	v_cndmask_b32_e64 v28, v28, v54, s[80:81]
	v_cndmask_b32_e64 v17, v17, v27, s[48:49]
	v_cmp_eq_u32_e64 s[52:53], 12, v76
	v_cndmask_b32_e64 v29, v29, v54, s[82:83]
	v_cmp_eq_u32_e64 s[58:59], 13, v76
	v_cndmask_b32_e64 v17, v17, v28, s[52:53]
	v_cndmask_b32_e64 v30, v30, v54, s[84:85]
	v_cndmask_b32_e64 v17, v17, v29, s[58:59]
	v_cmp_eq_u32_e64 s[62:63], 14, v76
	v_cndmask_b32_e64 v31, v31, v54, s[88:89]
	v_cmp_eq_u32_e64 s[66:67], 15, v76
	v_cndmask_b32_e64 v17, v17, v30, s[62:63]
	v_cmp_le_i32_e64 s[90:91], s90, v83
	v_cndmask_b32_e64 v17, v17, v31, s[66:67]
	ds_bpermute_b32 v54, v95, v17
	v_cmp_eq_u32_e64 s[40:41], 0, v76
	v_cmp_eq_u32_e64 s[4:5], 1, v77
	;; [unrolled: 1-line block ×4, first 2 shown]
	s_waitcnt lgkmcnt(0)
	v_cndmask_b32_e64 v21, v27, v54, s[48:49]
	v_cndmask_b32_e64 v27, v58, v54, s[34:35]
	;; [unrolled: 1-line block ×3, first 2 shown]
	v_pk_mul_f32 v[0:1], v[58:59], v[0:1] op_sel_hi:[0,1]
	v_cndmask_b32_e64 v23, v25, v54, s[44:45]
	v_cndmask_b32_e64 v25, v55, v54, s[38:39]
	v_pk_mul_f32 v[2:3], v[58:59], v[2:3] op_sel_hi:[0,1]
	v_cndmask_b32_e64 v55, v0, v1, s[86:87]
	v_cndmask_b32_e64 v55, v55, v2, s[50:51]
	;; [unrolled: 3-line block ×6, first 2 shown]
	v_cndmask_b32_e64 v17, v31, v54, s[66:67]
	v_cndmask_b32_e64 v31, v62, v54, s[24:25]
	;; [unrolled: 1-line block ×3, first 2 shown]
	v_pk_mul_f32 v[12:13], v[58:59], v[12:13] op_sel_hi:[0,1]
	v_cndmask_b32_e64 v55, v55, v11, s[74:75]
	v_cndmask_b32_e64 v18, v30, v54, s[62:63]
	;; [unrolled: 1-line block ×13, first 2 shown]
	v_pk_mul_f32 v[14:15], v[58:59], v[14:15] op_sel_hi:[0,1]
	v_cndmask_b32_e64 v55, v55, v13, s[82:83]
	v_cndmask_b32_e64 v54, v54, v29, s[8:9]
	v_cmp_eq_u32_e64 s[10:11], 4, v77
	v_cndmask_b32_e64 v55, v55, v14, s[84:85]
	v_cmp_eq_u32_e64 s[12:13], 5, v77
	v_cndmask_b32_e64 v54, v54, v28, s[10:11]
	v_cndmask_b32_e64 v55, v55, v15, s[88:89]
	;; [unrolled: 1-line block ×3, first 2 shown]
	v_cmp_eq_u32_e64 s[14:15], 6, v77
	ds_bpermute_b32 v55, v95, v55
	v_cmp_eq_u32_e64 s[96:97], 7, v77
	v_cndmask_b32_e64 v54, v54, v26, s[14:15]
	v_cmp_eq_u32_e64 s[98:99], 8, v77
	v_cndmask_b32_e64 v54, v54, v25, s[96:97]
	v_cmp_eq_u32_e32 vcc, 9, v77
	v_cndmask_b32_e64 v54, v54, v24, s[98:99]
	v_cmp_eq_u32_e64 s[0:1], 10, v77
	v_cndmask_b32_e32 v54, v54, v23, vcc
	v_cmp_eq_u32_e64 s[86:87], 11, v77
	v_cndmask_b32_e64 v54, v54, v22, s[0:1]
	s_waitcnt lgkmcnt(0)
	v_cndmask_b32_e64 v2, v2, v55, s[50:51]
	v_cmp_ne_u32_e64 s[50:51], 0, v75
	v_cndmask_b32_e64 v54, v54, v21, s[86:87]
	v_cmp_eq_u32_e64 s[90:91], 12, v77
	v_cndmask_b32_e64 v1, v1, v55, s[50:51]
	v_cndmask_b32_e64 v0, v0, v55, s[70:71]
	;; [unrolled: 1-line block ×4, first 2 shown]
	v_cmp_eq_u32_e64 s[88:89], 13, v77
	v_cndmask_b32_e64 v14, v14, v55, s[84:85]
	v_cndmask_b32_e64 v13, v13, v55, s[82:83]
	;; [unrolled: 1-line block ×14, first 2 shown]
	v_cmp_eq_u32_e64 s[84:85], 14, v77
	v_cndmask_b32_e64 v55, v55, v2, s[26:27]
	v_cmp_eq_u32_e64 s[82:83], 15, v77
	v_cndmask_b32_e64 v54, v54, v18, s[84:85]
	v_cndmask_b32_e64 v55, v55, v3, s[28:29]
	;; [unrolled: 1-line block ×4, first 2 shown]
	ds_bpermute_b32 v54, v95, v54
	v_cndmask_b32_e64 v55, v55, v5, s[34:35]
	v_cndmask_b32_e64 v55, v55, v6, s[36:37]
	;; [unrolled: 1-line block ×4, first 2 shown]
	v_cmp_eq_u32_e64 s[80:81], 0, v77
	v_cndmask_b32_e64 v55, v55, v9, s[44:45]
	s_waitcnt lgkmcnt(0)
	v_cndmask_b32_e64 v31, v31, v54, s[4:5]
	v_cndmask_b32_e64 v16, v16, v54, s[80:81]
	v_cmp_eq_u32_e64 s[74:75], 1, v78
	v_cndmask_b32_e64 v55, v55, v10, s[46:47]
	v_cndmask_b32_e64 v17, v17, v54, s[82:83]
	;; [unrolled: 1-line block ×7, first 2 shown]
	v_cndmask_b32_e32 v23, v23, v54, vcc
	v_cndmask_b32_e64 v24, v24, v54, s[98:99]
	v_cndmask_b32_e64 v25, v25, v54, s[96:97]
	;; [unrolled: 1-line block ×8, first 2 shown]
	v_cmp_eq_u32_e64 s[78:79], 2, v78
	v_cndmask_b32_e64 v55, v55, v11, s[48:49]
	v_cmp_eq_u32_e64 s[76:77], 3, v78
	v_cndmask_b32_e64 v54, v54, v30, s[78:79]
	v_cndmask_b32_e64 v55, v55, v12, s[52:53]
	;; [unrolled: 1-line block ×3, first 2 shown]
	v_cmp_eq_u32_e64 s[72:73], 4, v78
	v_cndmask_b32_e64 v55, v55, v13, s[58:59]
	v_cmp_eq_u32_e64 s[68:69], 5, v78
	v_cndmask_b32_e64 v54, v54, v28, s[72:73]
	v_cndmask_b32_e64 v55, v55, v14, s[62:63]
	;; [unrolled: 1-line block ×3, first 2 shown]
	v_cmp_eq_u32_e64 s[64:65], 6, v78
	v_cndmask_b32_e64 v55, v55, v15, s[66:67]
	v_cmp_eq_u32_e64 s[60:61], 7, v78
	v_cndmask_b32_e64 v54, v54, v26, s[64:65]
	ds_bpermute_b32 v55, v95, v55
	v_cndmask_b32_e64 v54, v54, v25, s[60:61]
	v_cmp_eq_u32_e64 s[56:57], 8, v78
	v_cmp_eq_u32_e64 s[54:55], 9, v78
	;; [unrolled: 1-line block ×3, first 2 shown]
	v_cndmask_b32_e64 v54, v54, v24, s[56:57]
	v_cndmask_b32_e64 v54, v54, v23, s[54:55]
	;; [unrolled: 1-line block ×3, first 2 shown]
	v_cmp_eq_u32_e64 s[70:71], 11, v78
	s_waitcnt lgkmcnt(0)
	v_cndmask_b32_e64 v15, v15, v55, s[66:67]
	v_cmp_eq_u32_e64 s[66:67], 12, v78
	v_cndmask_b32_e64 v54, v54, v21, s[70:71]
	v_cndmask_b32_e64 v14, v14, v55, s[62:63]
	;; [unrolled: 1-line block ×3, first 2 shown]
	v_cmp_eq_u32_e64 s[62:63], 13, v78
	v_cndmask_b32_e64 v1, v1, v55, s[24:25]
	v_cndmask_b32_e64 v0, v0, v55, s[40:41]
	;; [unrolled: 1-line block ×4, first 2 shown]
	v_cmp_eq_u32_e64 s[92:93], 14, v78
	v_cndmask_b32_e64 v12, v12, v55, s[52:53]
	v_cndmask_b32_e64 v11, v11, v55, s[48:49]
	;; [unrolled: 1-line block ×13, first 2 shown]
	v_cmp_eq_u32_e64 s[94:95], 15, v78
	v_cndmask_b32_e64 v55, v55, v2, s[6:7]
	v_cndmask_b32_e64 v55, v55, v3, s[8:9]
	;; [unrolled: 1-line block ×3, first 2 shown]
	ds_bpermute_b32 v54, v95, v54
	v_cndmask_b32_e64 v55, v55, v4, s[10:11]
	v_cndmask_b32_e64 v55, v55, v5, s[12:13]
	;; [unrolled: 1-line block ×4, first 2 shown]
	v_cmp_eq_u32_e64 s[48:49], 0, v78
	v_cndmask_b32_e64 v55, v55, v8, s[98:99]
	s_waitcnt lgkmcnt(0)
	v_cndmask_b32_e64 v31, v31, v54, s[74:75]
	v_cndmask_b32_e64 v16, v16, v54, s[48:49]
	v_cmp_eq_u32_e64 s[46:47], 1, v79
	v_cndmask_b32_e32 v55, v55, v9, vcc
	v_cndmask_b32_e64 v17, v17, v54, s[94:95]
	v_cndmask_b32_e64 v18, v18, v54, s[92:93]
	;; [unrolled: 1-line block ×15, first 2 shown]
	v_cmp_eq_u32_e64 s[44:45], 2, v79
	v_cndmask_b32_e64 v55, v55, v10, s[0:1]
	v_cmp_eq_u32_e64 s[42:43], 3, v79
	v_cndmask_b32_e64 v54, v54, v30, s[44:45]
	v_cndmask_b32_e64 v55, v55, v11, s[86:87]
	v_cndmask_b32_e64 v54, v54, v29, s[42:43]
	v_cmp_eq_u32_e64 s[38:39], 4, v79
	v_cndmask_b32_e64 v55, v55, v12, s[90:91]
	v_cmp_eq_u32_e64 s[36:37], 5, v79
	v_cndmask_b32_e64 v54, v54, v28, s[38:39]
	v_cndmask_b32_e64 v55, v55, v13, s[88:89]
	v_cndmask_b32_e64 v54, v54, v27, s[36:37]
	;; [unrolled: 6-line block ×3, first 2 shown]
	v_cmp_eq_u32_e64 s[28:29], 8, v79
	ds_bpermute_b32 v55, v95, v55
	v_cmp_eq_u32_e64 s[26:27], 9, v79
	v_cndmask_b32_e64 v54, v54, v24, s[28:29]
	v_cmp_eq_u32_e64 s[24:25], 10, v79
	v_cndmask_b32_e64 v54, v54, v23, s[26:27]
	;; [unrolled: 2-line block ×4, first 2 shown]
	s_waitcnt lgkmcnt(0)
	v_cndmask_b32_e64 v15, v15, v55, s[82:83]
	v_cndmask_b32_e64 v54, v54, v20, s[58:59]
	v_cmp_eq_u32_e64 s[82:83], 13, v79
	v_cndmask_b32_e64 v14, v14, v55, s[84:85]
	v_cmp_eq_u32_e64 s[84:85], 14, v79
	v_cndmask_b32_e64 v54, v54, v19, s[82:83]
	v_cndmask_b32_e64 v1, v1, v55, s[4:5]
	;; [unrolled: 1-line block ×6, first 2 shown]
	v_cmp_eq_u32_e64 s[90:91], 15, v79
	v_cndmask_b32_e64 v11, v11, v55, s[86:87]
	v_cndmask_b32_e64 v10, v10, v55, s[0:1]
	v_cndmask_b32_e32 v9, v9, v55, vcc
	v_cndmask_b32_e64 v8, v8, v55, s[98:99]
	v_cndmask_b32_e64 v7, v7, v55, s[96:97]
	;; [unrolled: 1-line block ×10, first 2 shown]
	ds_bpermute_b32 v54, v95, v54
	v_cndmask_b32_e64 v55, v55, v3, s[76:77]
	v_cndmask_b32_e64 v55, v55, v4, s[72:73]
	;; [unrolled: 1-line block ×4, first 2 shown]
	v_cmp_eq_u32_e64 s[52:53], 0, v79
	v_cndmask_b32_e64 v55, v55, v7, s[60:61]
	s_waitcnt lgkmcnt(0)
	v_cndmask_b32_e64 v31, v31, v54, s[46:47]
	v_cndmask_b32_e64 v16, v16, v54, s[52:53]
	v_cmp_eq_u32_e64 s[0:1], 1, v80
	v_cndmask_b32_e64 v55, v55, v8, s[56:57]
	v_cndmask_b32_e64 v17, v17, v54, s[90:91]
	;; [unrolled: 1-line block ×16, first 2 shown]
	v_cmp_eq_u32_e64 s[2:3], 2, v80
	v_cndmask_b32_e64 v55, v55, v9, s[54:55]
	v_cmp_eq_u32_e64 s[98:99], 3, v80
	v_cndmask_b32_e64 v54, v54, v30, s[2:3]
	v_cndmask_b32_e64 v55, v55, v10, s[50:51]
	v_cndmask_b32_e64 v54, v54, v29, s[98:99]
	v_cmp_eq_u32_e64 s[96:97], 4, v80
	v_cndmask_b32_e64 v55, v55, v11, s[70:71]
	v_cmp_eq_u32_e64 s[14:15], 5, v80
	v_cndmask_b32_e64 v54, v54, v28, s[96:97]
	v_cndmask_b32_e64 v55, v55, v12, s[66:67]
	v_cndmask_b32_e64 v54, v54, v27, s[14:15]
	v_cmp_eq_u32_e64 s[12:13], 6, v80
	v_cndmask_b32_e64 v55, v55, v13, s[62:63]
	v_cmp_eq_u32_e64 s[10:11], 7, v80
	v_cndmask_b32_e64 v54, v54, v26, s[12:13]
	v_cndmask_b32_e64 v55, v55, v14, s[92:93]
	v_cndmask_b32_e64 v54, v54, v25, s[10:11]
	v_cmp_eq_u32_e64 s[8:9], 8, v80
	v_cndmask_b32_e64 v55, v55, v15, s[94:95]
	v_cmp_eq_u32_e64 s[6:7], 9, v80
	v_cndmask_b32_e64 v54, v54, v24, s[8:9]
	ds_bpermute_b32 v55, v95, v55
	v_cndmask_b32_e64 v54, v54, v23, s[6:7]
	v_cmp_eq_u32_e32 vcc, 10, v80
	v_cmp_eq_u32_e64 s[80:81], 11, v80
	v_cmp_eq_u32_e64 s[86:87], 12, v80
	v_cndmask_b32_e32 v54, v54, v22, vcc
	v_cndmask_b32_e64 v54, v54, v21, s[80:81]
	v_cndmask_b32_e64 v54, v54, v20, s[86:87]
	v_cmp_eq_u32_e64 s[88:89], 13, v80
	s_waitcnt lgkmcnt(0)
	v_cndmask_b32_e64 v13, v13, v55, s[62:63]
	v_cmp_eq_u32_e64 s[62:63], 14, v80
	v_cndmask_b32_e64 v54, v54, v19, s[88:89]
	v_cndmask_b32_e64 v12, v12, v55, s[66:67]
	;; [unrolled: 1-line block ×3, first 2 shown]
	v_cmp_eq_u32_e64 s[66:67], 15, v80
	v_cndmask_b32_e64 v57, v11, v55, s[70:71]
	v_cmp_eq_u32_e64 s[70:71], 0, v80
	v_cndmask_b32_e64 v54, v54, v17, s[66:67]
	ds_bpermute_b32 v54, v95, v54
	v_cndmask_b32_e64 v15, v15, v55, s[94:95]
	v_cndmask_b32_e64 v14, v14, v55, s[92:93]
	;; [unrolled: 1-line block ×4, first 2 shown]
	s_waitcnt lgkmcnt(0)
	v_cndmask_b32_e64 v17, v17, v54, s[66:67]
	v_cndmask_b32_e64 v18, v18, v54, s[62:63]
	;; [unrolled: 1-line block ×5, first 2 shown]
	v_cndmask_b32_e32 v22, v22, v54, vcc
	v_cndmask_b32_e64 v23, v23, v54, s[6:7]
	v_cndmask_b32_e64 v24, v24, v54, s[8:9]
	;; [unrolled: 1-line block ×28, first 2 shown]
	v_cmp_eq_u32_e64 s[50:51], 1, v81
	v_cndmask_b32_e64 v0, v0, v54, s[24:25]
	v_cmp_eq_u32_e64 s[54:55], 2, v81
	v_cndmask_b32_e64 v10, v16, v31, s[50:51]
	v_cndmask_b32_e64 v0, v0, v57, s[40:41]
	v_cndmask_b32_e64 v9, v10, v30, s[54:55]
	v_cmp_eq_u32_e64 s[56:57], 3, v81
	v_cndmask_b32_e64 v0, v0, v12, s[58:59]
	v_cmp_eq_u32_e64 s[60:61], 4, v81
	v_cndmask_b32_e64 v8, v9, v29, s[56:57]
	v_cndmask_b32_e64 v0, v0, v13, s[82:83]
	v_cndmask_b32_e64 v7, v8, v28, s[60:61]
	;; [unrolled: 6-line block ×3, first 2 shown]
	v_cmp_eq_u32_e64 s[72:73], 7, v81
	ds_bpermute_b32 v67, v95, v0
	v_cmp_eq_u32_e64 s[76:77], 8, v81
	v_cndmask_b32_e64 v4, v5, v25, s[72:73]
	v_cmp_eq_u32_e64 s[78:79], 9, v81
	v_cndmask_b32_e64 v3, v4, v24, s[76:77]
	;; [unrolled: 2-line block ×4, first 2 shown]
	s_waitcnt lgkmcnt(0)
	v_cndmask_b32_e64 v68, v15, v67, s[90:91]
	v_cndmask_b32_e64 v0, v0, v21, s[74:75]
	v_cmp_eq_u32_e64 s[90:91], 12, v81
	v_cndmask_b32_e64 v69, v14, v67, s[84:85]
	v_cmp_eq_u32_e64 s[84:85], 13, v81
	v_cndmask_b32_e64 v0, v0, v20, s[90:91]
	v_cndmask_b32_e64 v97, v13, v67, s[82:83]
	;; [unrolled: 1-line block ×3, first 2 shown]
	v_cmp_eq_u32_e64 s[82:83], 14, v81
	v_cndmask_b32_e64 v98, v12, v67, s[58:59]
	v_cmp_eq_u32_e64 s[58:59], 15, v81
	v_cndmask_b32_e64 v0, v0, v18, s[82:83]
	s_nop 0
	v_cndmask_b32_e64 v0, v0, v17, s[58:59]
	ds_bpermute_b32 v1, v95, v0
	s_waitcnt lgkmcnt(0)
	v_cndmask_b32_e64 v12, v27, v1, s[64:65]
	v_cndmask_b32_e64 v13, v28, v1, s[60:61]
	;; [unrolled: 1-line block ×29, first 2 shown]
	v_cmp_eq_u32_e64 s[40:41], 0, v81
	v_cndmask_b32_e64 v19, v58, v67, s[26:27]
	v_cndmask_b32_e64 v29, v29, v20, s[8:9]
	v_cndmask_b32_e64 v3, v18, v1, s[82:83]
	v_cndmask_b32_e64 v15, v30, v1, s[54:55]
	v_cndmask_b32_e64 v0, v31, v1, s[50:51]
	v_cndmask_b32_e64 v1, v16, v1, s[40:41]
	v_cndmask_b32_e64 v16, v54, v67, s[24:25]
	v_cndmask_b32_e64 v29, v29, v19, s[6:7]
	v_cndmask_b32_e32 v29, v29, v16, vcc
	v_cndmask_b32_e64 v29, v29, v17, s[80:81]
	v_cndmask_b32_e64 v29, v29, v98, s[86:87]
	;; [unrolled: 1-line block ×5, first 2 shown]
	ds_bpermute_b32 v29, v95, v29
	v_cmp_eq_u32_e64 s[24:25], 1, v82
	v_cmp_eq_u32_e64 s[26:27], 2, v82
	;; [unrolled: 1-line block ×3, first 2 shown]
	v_cndmask_b32_e64 v18, v1, v0, s[24:25]
	s_waitcnt lgkmcnt(0)
	v_cndmask_b32_e64 v65, v27, v29, s[0:1]
	v_cndmask_b32_e64 v66, v28, v29, s[70:71]
	;; [unrolled: 1-line block ×18, first 2 shown]
	v_cndmask_b32_e32 v16, v16, v29, vcc
	v_cndmask_b32_e64 v19, v19, v57, s[78:79]
	v_cndmask_b32_e64 v17, v17, v29, s[80:81]
	;; [unrolled: 1-line block ×12, first 2 shown]
	ds_bpermute_b32 v67, v95, v19
	v_cndmask_b32_e64 v18, v18, v15, s[26:27]
	v_cndmask_b32_e64 v18, v18, v14, s[28:29]
	v_cmp_eq_u32_e64 s[30:31], 4, v82
	v_cmp_eq_u32_e64 s[34:35], 5, v82
	s_waitcnt lgkmcnt(0)
	v_cndmask_b32_e64 v23, v17, v67, s[74:75]
	v_cndmask_b32_e64 v24, v16, v67, s[48:49]
	v_cndmask_b32_e64 v16, v65, v67, s[50:51]
	v_cndmask_b32_e64 v17, v66, v67, s[40:41]
	v_cndmask_b32_e64 v21, v54, v67, s[84:85]
	v_cndmask_b32_e64 v22, v55, v67, s[90:91]
	v_cndmask_b32_e64 v54, v64, v67, s[54:55]
	v_cndmask_b32_e64 v55, v17, v16, s[24:25]
	v_cndmask_b32_e64 v20, v31, v67, s[82:83]
	v_cndmask_b32_e64 v31, v63, v67, s[56:57]
	v_cndmask_b32_e64 v55, v55, v54, s[26:27]
	v_cndmask_b32_e64 v19, v30, v67, s[58:59]
	v_cndmask_b32_e64 v30, v62, v67, s[60:61]
	v_cndmask_b32_e64 v55, v55, v31, s[28:29]
	v_cndmask_b32_e64 v18, v18, v13, s[30:31]
	v_cndmask_b32_e64 v29, v61, v67, s[64:65]
	v_cndmask_b32_e64 v55, v55, v30, s[30:31]
	v_cndmask_b32_e64 v18, v18, v12, s[34:35]
	v_cmp_eq_u32_e64 s[36:37], 6, v82
	v_cndmask_b32_e64 v28, v60, v67, s[68:69]
	v_cndmask_b32_e64 v55, v55, v29, s[34:35]
	v_cndmask_b32_e64 v18, v18, v11, s[36:37]
	v_cmp_eq_u32_e64 s[38:39], 7, v82
	v_cndmask_b32_e64 v27, v59, v67, s[72:73]
	v_cndmask_b32_e64 v55, v55, v28, s[36:37]
	v_cndmask_b32_e64 v18, v18, v10, s[38:39]
	;; [unrolled: 4-line block ×4, first 2 shown]
	v_cmp_eq_u32_e64 s[46:47], 10, v82
	v_cndmask_b32_e64 v55, v55, v25, s[44:45]
	v_cmp_eq_u32_e64 s[52:53], 11, v82
	v_cndmask_b32_e64 v18, v18, v7, s[46:47]
	v_cndmask_b32_e64 v55, v55, v24, s[46:47]
	;; [unrolled: 1-line block ×3, first 2 shown]
	v_cmp_eq_u32_e64 s[66:67], 12, v82
	v_cndmask_b32_e64 v55, v55, v23, s[52:53]
	v_cmp_eq_u32_e64 s[62:63], 13, v82
	v_cndmask_b32_e64 v18, v18, v5, s[66:67]
	v_cndmask_b32_e64 v55, v55, v22, s[66:67]
	;; [unrolled: 1-line block ×3, first 2 shown]
	v_cmp_eq_u32_e32 vcc, 14, v82
	v_cndmask_b32_e64 v55, v55, v21, s[62:63]
	v_cmp_eq_u32_e64 s[6:7], 15, v82
	v_cndmask_b32_e32 v18, v18, v3, vcc
	v_cndmask_b32_e32 v55, v55, v20, vcc
	v_cndmask_b32_e64 v18, v18, v2, s[6:7]
	v_cndmask_b32_e64 v55, v55, v19, s[6:7]
	ds_bpermute_b32 v18, v95, v18
	ds_bpermute_b32 v58, v95, v55
	v_readlane_b32 s53, v105, 34
	s_nop 1
	v_cmp_lt_i32_e32 vcc, s53, v84
	s_and_saveexec_b64 s[40:41], vcc
	v_readlane_b32 s44, v105, 2
	v_readlane_b32 s45, v105, 3
	;; [unrolled: 1-line block ×11, first 2 shown]
	s_cbranch_execz .LBB261_32
; %bb.24:                               ;   in Loop: Header=BB261_7 Depth=1
	s_mul_i32 s0, s52, s17
	s_ashr_i32 s1, s0, 31
	s_lshl_b64 s[0:1], s[0:1], 1
	s_add_u32 s2, s48, s0
	v_cmp_eq_u32_e64 s[34:35], 1, v82
	v_cmp_eq_u32_e64 s[36:37], 0, v82
	s_addc_u32 s3, s49, s1
	s_ashr_i32 s55, s54, 31
	s_waitcnt lgkmcnt(1)
	v_cndmask_b32_e64 v55, v0, v18, s[34:35]
	v_cndmask_b32_e64 v57, v1, v18, s[36:37]
	s_lshl_b64 s[0:1], s[54:55], 1
	s_waitcnt lgkmcnt(0)
	v_cndmask_b32_e64 v59, v16, v58, s[34:35]
	v_cndmask_b32_e64 v60, v17, v58, s[36:37]
	v_cvt_f16_f32_e32 v57, v57
	v_cvt_f16_f32_sdwa v55, v55 dst_sel:WORD_1 dst_unused:UNUSED_PAD src0_sel:DWORD
	s_add_u32 s42, s2, s0
	v_cvt_f16_f32_e32 v60, v60
	v_cvt_f16_f32_sdwa v59, v59 dst_sel:WORD_1 dst_unused:UNUSED_PAD src0_sel:DWORD
	s_addc_u32 s43, s3, s1
	v_lshl_add_u64 v[0:1], s[42:43], 0, v[32:33]
	v_cmp_eq_u32_e32 vcc, 15, v82
	v_cmp_eq_u32_e64 s[6:7], 14, v82
	v_cmp_eq_u32_e64 s[8:9], 13, v82
	;; [unrolled: 1-line block ×13, first 2 shown]
	v_lshl_add_u64 v[16:17], v[34:35], 1, v[0:1]
	v_or_b32_e32 v55, v55, v57
	v_cmp_lt_i32_e64 s[34:35], s53, v85
	;;#ASMSTART
	global_atomic_pk_add_f16 v[16:17], v55, off
	
	;;#ASMEND
	v_lshl_add_u64 v[16:17], v[16:17], 0, 64
	v_or_b32_e32 v55, v59, v60
	;;#ASMSTART
	global_atomic_pk_add_f16 v[16:17], v55, off
	
	;;#ASMEND
	s_and_b64 exec, exec, s[34:35]
	s_cbranch_execz .LBB261_32
; %bb.25:                               ;   in Loop: Header=BB261_7 Depth=1
	v_cndmask_b32_e32 v2, v2, v18, vcc
	v_cndmask_b32_e64 v3, v3, v18, s[6:7]
	v_cndmask_b32_e64 v16, v4, v18, s[8:9]
	;; [unrolled: 1-line block ×19, first 2 shown]
	v_cvt_f16_f32_e32 v22, v18
	v_cvt_f16_f32_sdwa v23, v65 dst_sel:WORD_1 dst_unused:UNUSED_PAD src0_sel:DWORD
	v_cvt_f16_f32_e32 v21, v21
	v_cvt_f16_f32_sdwa v20, v20 dst_sel:WORD_1 dst_unused:UNUSED_PAD src0_sel:DWORD
	v_cndmask_b32_e32 v4, v19, v58, vcc
	v_cndmask_b32_e64 v9, v24, v58, s[14:15]
	v_cndmask_b32_e64 v10, v25, v58, s[0:1]
	;; [unrolled: 1-line block ×7, first 2 shown]
	v_lshl_add_u64 v[18:19], v[36:37], 1, v[0:1]
	v_cmp_lt_i32_e32 vcc, s53, v86
	v_or_b32_e32 v22, v23, v22
	;;#ASMSTART
	global_atomic_pk_add_f16 v[18:19], v22, off
	
	;;#ASMEND
	v_lshl_add_u64 v[18:19], v[18:19], 0, 64
	v_or_b32_e32 v20, v20, v21
	;;#ASMSTART
	global_atomic_pk_add_f16 v[18:19], v20, off
	
	;;#ASMEND
	s_and_b64 exec, exec, vcc
	s_cbranch_execz .LBB261_32
; %bb.26:                               ;   in Loop: Header=BB261_7 Depth=1
	v_cvt_f16_f32_e32 v20, v64
	v_cvt_f16_f32_sdwa v21, v63 dst_sel:WORD_1 dst_unused:UNUSED_PAD src0_sel:DWORD
	v_cvt_f16_f32_e32 v22, v15
	v_cvt_f16_f32_sdwa v23, v14 dst_sel:WORD_1 dst_unused:UNUSED_PAD src0_sel:DWORD
	v_lshl_add_u64 v[18:19], v[38:39], 1, v[0:1]
	v_or_b32_e32 v14, v21, v20
	v_cmp_lt_i32_e32 vcc, s53, v87
	;;#ASMSTART
	global_atomic_pk_add_f16 v[18:19], v14, off
	
	;;#ASMEND
	v_lshl_add_u64 v[14:15], v[18:19], 0, 64
	v_or_b32_e32 v18, v23, v22
	;;#ASMSTART
	global_atomic_pk_add_f16 v[14:15], v18, off
	
	;;#ASMEND
	s_and_b64 exec, exec, vcc
	s_cbranch_execz .LBB261_32
; %bb.27:                               ;   in Loop: Header=BB261_7 Depth=1
	v_cvt_f16_f32_e32 v18, v62
	v_cvt_f16_f32_sdwa v19, v61 dst_sel:WORD_1 dst_unused:UNUSED_PAD src0_sel:DWORD
	v_cvt_f16_f32_e32 v20, v13
	v_cvt_f16_f32_sdwa v21, v12 dst_sel:WORD_1 dst_unused:UNUSED_PAD src0_sel:DWORD
	v_lshl_add_u64 v[14:15], v[40:41], 1, v[0:1]
	v_or_b32_e32 v12, v19, v18
	v_cmp_lt_i32_e32 vcc, s53, v88
	;; [unrolled: 20-line block ×5, first 2 shown]
	;;#ASMSTART
	global_atomic_pk_add_f16 v[8:9], v6, off
	
	;;#ASMEND
	v_lshl_add_u64 v[6:7], v[8:9], 0, 64
	v_or_b32_e32 v8, v13, v12
	;;#ASMSTART
	global_atomic_pk_add_f16 v[6:7], v8, off
	
	;;#ASMEND
	s_and_b64 exec, exec, vcc
	s_cbranch_execz .LBB261_32
; %bb.31:                               ;   in Loop: Header=BB261_7 Depth=1
	v_cvt_f16_f32_e32 v3, v3
	v_cvt_f16_f32_sdwa v2, v2 dst_sel:WORD_1 dst_unused:UNUSED_PAD src0_sel:DWORD
	v_cvt_f16_f32_e32 v5, v5
	v_cvt_f16_f32_sdwa v4, v4 dst_sel:WORD_1 dst_unused:UNUSED_PAD src0_sel:DWORD
	v_lshl_add_u64 v[0:1], v[48:49], 1, v[0:1]
	v_or_b32_e32 v2, v2, v3
	;;#ASMSTART
	global_atomic_pk_add_f16 v[0:1], v2, off
	
	;;#ASMEND
	v_lshl_add_u64 v[0:1], v[0:1], 0, 64
	v_or_b32_e32 v2, v4, v5
	;;#ASMSTART
	global_atomic_pk_add_f16 v[0:1], v2, off
	
	;;#ASMEND
.LBB261_32:                             ;   in Loop: Header=BB261_7 Depth=1
	s_or_b64 exec, exec, s[40:41]
	v_readlane_b32 s14, v105, 10
	v_readlane_b32 s24, v105, 12
	;; [unrolled: 1-line block ×6, first 2 shown]
	v_subrev_u32_e32 v96, s20, v96
	v_readlane_b32 s11, v105, 0
	v_readlane_b32 s12, v105, 1
	v_readlane_b32 s15, v105, 11
	v_readlane_b32 s25, v105, 13
	v_readlane_b32 s13, v105, 14
	v_readlane_b32 s26, v105, 15
	v_readlane_b32 s27, v105, 16
	v_readlane_b32 s29, v105, 18
	v_readlane_b32 s30, v105, 19
	v_readlane_b32 s31, v105, 20
	v_readlane_b32 s34, v105, 21
	v_readlane_b32 s35, v105, 22
	v_readlane_b32 s36, v105, 23
	v_readlane_b32 s37, v105, 24
	v_readlane_b32 s38, v105, 25
	v_readlane_b32 s39, v105, 35
	v_readlane_b32 s41, v105, 33
	v_readlane_b32 s5, v105, 29
	v_readlane_b32 s3, v105, 27
.LBB261_33:                             ;   in Loop: Header=BB261_7 Depth=1
	s_or_b64 exec, exec, s[2:3]
.LBB261_34:                             ;   in Loop: Header=BB261_7 Depth=1
	s_andn2_saveexec_b64 s[0:1], s[4:5]
	s_cbranch_execz .LBB261_43
; %bb.35:                               ;   in Loop: Header=BB261_7 Depth=1
	s_lshl_b32 s10, s20, 1
	v_cmp_gt_i32_e32 vcc, s10, v96
	s_and_saveexec_b64 s[2:3], vcc
	s_cbranch_execz .LBB261_42
; %bb.36:                               ;   in Loop: Header=BB261_7 Depth=1
	s_mul_i32 s4, s54, s19
	s_ashr_i32 s5, s4, 31
	s_add_u32 s4, s46, s4
	s_addc_u32 s5, s47, s5
	s_ashr_i32 s6, s39, 31
	s_add_u32 s4, s4, s39
	s_addc_u32 s5, s5, s6
	v_lshl_add_u64 v[0:1], s[4:5], 0, v[52:53]
	v_lshl_add_u64 v[16:17], v[0:1], 0, v[50:51]
	s_mov_b64 s[4:5], 0
	s_branch .LBB261_38
.LBB261_37:                             ;   in Loop: Header=BB261_38 Depth=2
	s_or_b64 exec, exec, s[6:7]
	v_lshl_add_u32 v20, v18, 12, v92
	;;#ASMSTART
	s_waitcnt vmcnt(3)
	;;#ASMEND
	ds_write2_b32 v20, v12, v13 offset1:32
	ds_write2_b32 v20, v14, v15 offset0:64 offset1:96
	v_add_u32_e32 v12, 0x400, v20
	;;#ASMSTART
	s_waitcnt vmcnt(2)
	;;#ASMEND
	ds_write2_b32 v12, v8, v9 offset1:32
	ds_write2_b32 v12, v10, v11 offset0:64 offset1:96
	v_add_u32_e32 v8, 0x800, v20
	;; [unrolled: 6-line block ×3, first 2 shown]
	v_add_u32_e32 v96, s22, v96
	;;#ASMSTART
	s_waitcnt vmcnt(0)
	;;#ASMEND
	ds_write2_b32 v4, v0, v1 offset1:32
	ds_write2_b32 v4, v2, v3 offset0:64 offset1:96
	v_add_u32_e32 v0, 1, v71
	v_add_u32_e32 v56, s22, v18
	v_cmp_le_i32_e32 vcc, s10, v96
	ds_write_b32 v19, v0 offset:24
	v_add_u32_e32 v0, 2, v71
	s_or_b64 s[4:5], vcc, s[4:5]
	v_cmp_lt_i32_e32 vcc, 3, v56
	s_nop 1
	v_cndmask_b32_e32 v71, v71, v0, vcc
	s_andn2_b64 exec, exec, s[4:5]
	s_cbranch_execz .LBB261_41
.LBB261_38:                             ;   Parent Loop BB261_7 Depth=1
                                        ; =>  This Loop Header: Depth=2
                                        ;       Child Loop BB261_40 Depth 3
	v_cmp_gt_i32_e32 vcc, 4, v56
	s_nop 1
	v_cndmask_b32_e64 v0, -4, 0, vcc
	s_waitcnt lgkmcnt(1)
	v_add_u32_e32 v18, v0, v56
	v_lshrrev_b32_e32 v0, 31, v96
	v_add_u32_e32 v0, v96, v0
	v_and_b32_e32 v1, -2, v0
	v_lshlrev_b32_e32 v0, 6, v0
	v_sub_u32_e32 v2, v96, v1
	v_and_b32_e32 v0, 0xffffff80, v0
	v_ashrrev_i32_e32 v1, 31, v0
	v_mul_lo_u32 v2, s31, v2
	v_lshl_add_u64 v[0:1], v[16:17], 0, v[0:1]
	v_ashrrev_i32_e32 v3, 31, v2
	v_lshl_add_u64 v[0:1], v[0:1], 0, v[2:3]
	v_lshlrev_b32_e32 v19, 2, v18
	;;#ASMSTART
	global_load_dwordx4 v[12:15], v[0:1], off offset:0   sc0 sc1 nt  
	global_load_dwordx4 v[8:11], v[0:1], off offset:32  sc0 sc1 nt  
	global_load_dwordx4 v[4:7], v[0:1], off offset:64  sc0 sc1 nt  
	;; [unrolled: 1-line block ×3, first 2 shown]
	
	;;#ASMEND
	ds_read_b32 v20, v19 offset:40984
	v_add_u32_e32 v19, 0xa000, v19
	s_waitcnt lgkmcnt(0)
	v_cmp_ne_u32_e32 vcc, v20, v71
	s_and_saveexec_b64 s[6:7], vcc
	s_cbranch_execz .LBB261_37
; %bb.39:                               ;   in Loop: Header=BB261_38 Depth=2
	s_mov_b64 s[8:9], 0
.LBB261_40:                             ;   Parent Loop BB261_7 Depth=1
                                        ;     Parent Loop BB261_38 Depth=2
                                        ; =>    This Inner Loop Header: Depth=3
	;;#ASMSTART
	s_sleep 0
	;;#ASMEND
	ds_read_b32 v20, v19 offset:24
	s_waitcnt lgkmcnt(0)
	v_cmp_eq_u32_e32 vcc, v20, v71
	s_or_b64 s[8:9], vcc, s[8:9]
	s_andn2_b64 exec, exec, s[8:9]
	s_cbranch_execnz .LBB261_40
	s_branch .LBB261_37
.LBB261_41:                             ;   in Loop: Header=BB261_7 Depth=1
	s_or_b64 exec, exec, s[4:5]
.LBB261_42:                             ;   in Loop: Header=BB261_7 Depth=1
	s_or_b64 exec, exec, s[2:3]
	v_subrev_u32_e32 v96, s10, v96
.LBB261_43:                             ;   in Loop: Header=BB261_7 Depth=1
	s_or_b64 exec, exec, s[0:1]
.LBB261_44:                             ;   in Loop: Header=BB261_7 Depth=1
	s_andn2_saveexec_b64 s[0:1], s[40:41]
	s_cbranch_execz .LBB261_6
; %bb.45:                               ;   in Loop: Header=BB261_7 Depth=1
	s_mul_i32 s20, s20, 3
	v_cmp_gt_i32_e32 vcc, s20, v96
	s_and_saveexec_b64 s[2:3], vcc
	s_cbranch_execz .LBB261_5
; %bb.46:                               ;   in Loop: Header=BB261_7 Depth=1
	s_mul_i32 s4, s52, s18
	s_max_i32 s6, s53, 0
	s_ashr_i32 s5, s4, 31
	s_add_u32 s4, s44, s4
	v_add_u32_e32 v2, s6, v72
	s_movk_i32 s6, 0x60
	s_addc_u32 s5, s45, s5
	s_ashr_i32 s7, s39, 31
	v_cmp_gt_u32_e32 vcc, s6, v2
	s_add_u32 s4, s4, s39
	s_addc_u32 s5, s5, s7
	v_cndmask_b32_e32 v0, 0, v93, vcc
	v_ashrrev_i32_e32 v1, 31, v0
	v_lshl_add_u64 v[0:1], s[4:5], 0, v[0:1]
	v_lshl_add_u64 v[16:17], v[0:1], 0, v[50:51]
	s_waitcnt lgkmcnt(1)
	v_sub_u32_e32 v18, 0x5f, v2
	s_mov_b64 s[4:5], 0
	s_branch .LBB261_48
.LBB261_47:                             ;   in Loop: Header=BB261_48 Depth=2
	s_or_b64 exec, exec, s[6:7]
	v_lshl_or_b32 v21, v19, 12, v94
	;;#ASMSTART
	s_waitcnt vmcnt(3)
	;;#ASMEND
	ds_write2_b32 v21, v12, v13 offset1:32
	ds_write2_b32 v21, v14, v15 offset0:64 offset1:96
	v_add_u32_e32 v12, 0x400, v21
	;;#ASMSTART
	s_waitcnt vmcnt(2)
	;;#ASMEND
	ds_write2_b32 v12, v8, v9 offset1:32
	ds_write2_b32 v12, v10, v11 offset0:64 offset1:96
	v_add_u32_e32 v8, 0x800, v21
	;; [unrolled: 6-line block ×3, first 2 shown]
	v_add_u32_e32 v96, s21, v96
	;;#ASMSTART
	s_waitcnt vmcnt(0)
	;;#ASMEND
	ds_write2_b32 v4, v0, v1 offset1:32
	ds_write2_b32 v4, v2, v3 offset0:64 offset1:96
	v_add_u32_e32 v0, 1, v71
	v_add_u32_e32 v56, s21, v19
	v_cmp_le_i32_e32 vcc, s20, v96
	ds_write_b32 v20, v0
	v_add_u32_e32 v0, 2, v71
	s_or_b64 s[4:5], vcc, s[4:5]
	v_cmp_lt_i32_e32 vcc, 5, v56
	s_nop 1
	v_cndmask_b32_e32 v71, v71, v0, vcc
	s_andn2_b64 exec, exec, s[4:5]
	s_cbranch_execz .LBB261_4
.LBB261_48:                             ;   Parent Loop BB261_7 Depth=1
                                        ; =>  This Loop Header: Depth=2
                                        ;       Child Loop BB261_50 Depth 3
	v_cmp_gt_i32_e32 vcc, 6, v56
	s_mov_b32 s6, 0x55555556
	s_nop 0
	v_cndmask_b32_e64 v0, -6, 0, vcc
	v_add_u32_e32 v19, v0, v56
	v_mul_hi_i32 v0, v96, s6
	v_lshrrev_b32_e32 v1, 31, v0
	v_add_u32_e32 v0, v0, v1
	v_lshl_add_u32 v1, v0, 1, v0
	v_sub_u32_e32 v1, v96, v1
	v_lshlrev_b32_e32 v1, 5, v1
	v_cmp_le_i32_e32 vcc, v1, v18
	v_lshlrev_b32_e32 v0, 7, v0
	v_lshlrev_b32_e32 v20, 2, v19
	v_cndmask_b32_e32 v2, 0, v1, vcc
	v_ashrrev_i32_e32 v1, 31, v0
	v_mul_lo_u32 v2, v2, s18
	v_lshl_add_u64 v[0:1], v[16:17], 0, v[0:1]
	v_ashrrev_i32_e32 v3, 31, v2
	v_lshl_add_u64 v[0:1], v[0:1], 0, v[2:3]
	;;#ASMSTART
	global_load_dwordx4 v[12:15], v[0:1], off offset:0   
	global_load_dwordx4 v[8:11], v[0:1], off offset:32  
	;; [unrolled: 1-line block ×4, first 2 shown]
	
	;;#ASMEND
	ds_read_b32 v21, v20 offset:40960
	v_add_u32_e32 v20, 0xa000, v20
	s_waitcnt lgkmcnt(0)
	v_cmp_ne_u32_e32 vcc, v21, v71
	s_and_saveexec_b64 s[6:7], vcc
	s_cbranch_execz .LBB261_47
; %bb.49:                               ;   in Loop: Header=BB261_48 Depth=2
	s_mov_b64 s[8:9], 0
.LBB261_50:                             ;   Parent Loop BB261_7 Depth=1
                                        ;     Parent Loop BB261_48 Depth=2
                                        ; =>    This Inner Loop Header: Depth=3
	;;#ASMSTART
	s_sleep 0
	;;#ASMEND
	ds_read_b32 v21, v20
	s_waitcnt lgkmcnt(0)
	v_cmp_eq_u32_e32 vcc, v21, v71
	s_or_b64 s[8:9], vcc, s[8:9]
	s_andn2_b64 exec, exec, s[8:9]
	s_cbranch_execnz .LBB261_50
	s_branch .LBB261_47
.LBB261_51:
	s_endpgm
	.section	.rodata,"a",@progbits
	.p2align	6, 0x0
	.amdhsa_kernel _Z19_skinny_gemm_kernelILi3ELi2ELi2ELi32ELi8EEvPKhS1_P6__halfPKfiiiiiiii
		.amdhsa_group_segment_fixed_size 41000
		.amdhsa_private_segment_fixed_size 0
		.amdhsa_kernarg_size 64
		.amdhsa_user_sgpr_count 2
		.amdhsa_user_sgpr_dispatch_ptr 0
		.amdhsa_user_sgpr_queue_ptr 0
		.amdhsa_user_sgpr_kernarg_segment_ptr 1
		.amdhsa_user_sgpr_dispatch_id 0
		.amdhsa_user_sgpr_kernarg_preload_length 0
		.amdhsa_user_sgpr_kernarg_preload_offset 0
		.amdhsa_user_sgpr_private_segment_size 0
		.amdhsa_uses_dynamic_stack 0
		.amdhsa_enable_private_segment 0
		.amdhsa_system_sgpr_workgroup_id_x 1
		.amdhsa_system_sgpr_workgroup_id_y 0
		.amdhsa_system_sgpr_workgroup_id_z 0
		.amdhsa_system_sgpr_workgroup_info 0
		.amdhsa_system_vgpr_workitem_id 0
		.amdhsa_next_free_vgpr 106
		.amdhsa_next_free_sgpr 100
		.amdhsa_accum_offset 108
		.amdhsa_reserve_vcc 1
		.amdhsa_float_round_mode_32 0
		.amdhsa_float_round_mode_16_64 0
		.amdhsa_float_denorm_mode_32 3
		.amdhsa_float_denorm_mode_16_64 3
		.amdhsa_dx10_clamp 1
		.amdhsa_ieee_mode 1
		.amdhsa_fp16_overflow 0
		.amdhsa_tg_split 0
		.amdhsa_exception_fp_ieee_invalid_op 0
		.amdhsa_exception_fp_denorm_src 0
		.amdhsa_exception_fp_ieee_div_zero 0
		.amdhsa_exception_fp_ieee_overflow 0
		.amdhsa_exception_fp_ieee_underflow 0
		.amdhsa_exception_fp_ieee_inexact 0
		.amdhsa_exception_int_div_zero 0
	.end_amdhsa_kernel
	.section	.text._Z19_skinny_gemm_kernelILi3ELi2ELi2ELi32ELi8EEvPKhS1_P6__halfPKfiiiiiiii,"axG",@progbits,_Z19_skinny_gemm_kernelILi3ELi2ELi2ELi32ELi8EEvPKhS1_P6__halfPKfiiiiiiii,comdat
.Lfunc_end261:
	.size	_Z19_skinny_gemm_kernelILi3ELi2ELi2ELi32ELi8EEvPKhS1_P6__halfPKfiiiiiiii, .Lfunc_end261-_Z19_skinny_gemm_kernelILi3ELi2ELi2ELi32ELi8EEvPKhS1_P6__halfPKfiiiiiiii
                                        ; -- End function
	.set _Z19_skinny_gemm_kernelILi3ELi2ELi2ELi32ELi8EEvPKhS1_P6__halfPKfiiiiiiii.num_vgpr, 106
	.set _Z19_skinny_gemm_kernelILi3ELi2ELi2ELi32ELi8EEvPKhS1_P6__halfPKfiiiiiiii.num_agpr, 0
	.set _Z19_skinny_gemm_kernelILi3ELi2ELi2ELi32ELi8EEvPKhS1_P6__halfPKfiiiiiiii.numbered_sgpr, 100
	.set _Z19_skinny_gemm_kernelILi3ELi2ELi2ELi32ELi8EEvPKhS1_P6__halfPKfiiiiiiii.num_named_barrier, 0
	.set _Z19_skinny_gemm_kernelILi3ELi2ELi2ELi32ELi8EEvPKhS1_P6__halfPKfiiiiiiii.private_seg_size, 0
	.set _Z19_skinny_gemm_kernelILi3ELi2ELi2ELi32ELi8EEvPKhS1_P6__halfPKfiiiiiiii.uses_vcc, 1
	.set _Z19_skinny_gemm_kernelILi3ELi2ELi2ELi32ELi8EEvPKhS1_P6__halfPKfiiiiiiii.uses_flat_scratch, 0
	.set _Z19_skinny_gemm_kernelILi3ELi2ELi2ELi32ELi8EEvPKhS1_P6__halfPKfiiiiiiii.has_dyn_sized_stack, 0
	.set _Z19_skinny_gemm_kernelILi3ELi2ELi2ELi32ELi8EEvPKhS1_P6__halfPKfiiiiiiii.has_recursion, 0
	.set _Z19_skinny_gemm_kernelILi3ELi2ELi2ELi32ELi8EEvPKhS1_P6__halfPKfiiiiiiii.has_indirect_call, 0
	.section	.AMDGPU.csdata,"",@progbits
; Kernel info:
; codeLenInByte = 10152
; TotalNumSgprs: 106
; NumVgprs: 106
; NumAgprs: 0
; TotalNumVgprs: 106
; ScratchSize: 0
; MemoryBound: 0
; FloatMode: 240
; IeeeMode: 1
; LDSByteSize: 41000 bytes/workgroup (compile time only)
; SGPRBlocks: 13
; VGPRBlocks: 13
; NumSGPRsForWavesPerEU: 106
; NumVGPRsForWavesPerEU: 106
; AccumOffset: 108
; Occupancy: 4
; WaveLimiterHint : 0
; COMPUTE_PGM_RSRC2:SCRATCH_EN: 0
; COMPUTE_PGM_RSRC2:USER_SGPR: 2
; COMPUTE_PGM_RSRC2:TRAP_HANDLER: 0
; COMPUTE_PGM_RSRC2:TGID_X_EN: 1
; COMPUTE_PGM_RSRC2:TGID_Y_EN: 0
; COMPUTE_PGM_RSRC2:TGID_Z_EN: 0
; COMPUTE_PGM_RSRC2:TIDIG_COMP_CNT: 0
; COMPUTE_PGM_RSRC3_GFX90A:ACCUM_OFFSET: 26
; COMPUTE_PGM_RSRC3_GFX90A:TG_SPLIT: 0
	.section	.text._Z19_skinny_gemm_kernelILi3ELi2ELi3ELi16ELi4EEvPKhS1_P6__halfPKfiiiiiiii,"axG",@progbits,_Z19_skinny_gemm_kernelILi3ELi2ELi3ELi16ELi4EEvPKhS1_P6__halfPKfiiiiiiii,comdat
	.protected	_Z19_skinny_gemm_kernelILi3ELi2ELi3ELi16ELi4EEvPKhS1_P6__halfPKfiiiiiiii ; -- Begin function _Z19_skinny_gemm_kernelILi3ELi2ELi3ELi16ELi4EEvPKhS1_P6__halfPKfiiiiiiii
	.globl	_Z19_skinny_gemm_kernelILi3ELi2ELi3ELi16ELi4EEvPKhS1_P6__halfPKfiiiiiiii
	.p2align	8
	.type	_Z19_skinny_gemm_kernelILi3ELi2ELi3ELi16ELi4EEvPKhS1_P6__halfPKfiiiiiiii,@function
_Z19_skinny_gemm_kernelILi3ELi2ELi3ELi16ELi4EEvPKhS1_P6__halfPKfiiiiiiii: ; @_Z19_skinny_gemm_kernelILi3ELi2ELi3ELi16ELi4EEvPKhS1_P6__halfPKfiiiiiiii
; %bb.0:
	v_cmp_gt_u32_e32 vcc, 15, v0
	v_lshlrev_b32_e32 v1, 2, v0
	s_and_saveexec_b64 s[4:5], vcc
; %bb.1:
	v_mov_b32_e32 v2, 0
	ds_write_b32 v1, v2 offset:30720
; %bb.2:
	s_or_b64 exec, exec, s[4:5]
	s_load_dwordx8 s[16:23], s[0:1], 0x20
	s_waitcnt lgkmcnt(0)
	s_barrier
	s_add_i32 s3, s16, 47
	s_add_i32 s4, s17, 31
	s_mul_hi_i32 s3, s3, 0x2aaaaaab
	s_lshr_b32 s5, s3, 31
	s_ashr_i32 s33, s3, 3
	s_ashr_i32 s3, s4, 31
	s_lshr_b32 s3, s3, 27
	s_add_i32 s4, s4, s3
	s_add_i32 s33, s33, s5
	s_ashr_i32 s48, s4, 5
	s_mul_i32 s3, s48, s33
	s_mul_i32 s3, s3, s20
	s_add_i32 s4, s3, 0x12f
	s_mul_hi_i32 s4, s4, 0x6bca1af3
	s_lshr_b32 s5, s4, 31
	s_ashr_i32 s4, s4, 7
	s_add_i32 s4, s4, s5
	s_add_i32 s5, s2, 1
	s_mul_i32 s5, s4, s5
	v_cvt_f64_i32_e32 v[2:3], s3
	v_cvt_f64_u32_e32 v[4:5], s5
	v_min_f64 v[2:3], v[2:3], v[4:5]
	v_cvt_i32_f64_e32 v25, v[2:3]
	s_mul_i32 s49, s4, s2
	v_cmp_ge_i32_e32 vcc, s49, v25
	s_cbranch_vccnz .LBB262_55
; %bb.3:
	v_lshrrev_b32_e32 v2, 6, v0
	s_add_i32 s4, s22, s21
	s_load_dwordx8 s[24:31], s[0:1], 0x0
	v_cmp_le_i32_e64 s[0:1], s4, v2
	v_mov_b32_e32 v3, s21
	v_cmp_le_i32_e64 s[2:3], s21, v2
	v_mov_b32_e32 v4, s22
	v_cndmask_b32_e64 v4, 0, v4, s[0:1]
	v_cndmask_b32_e64 v3, 0, v3, s[2:3]
	s_abs_i32 s5, s20
	v_add_u32_e32 v3, v3, v4
	v_cvt_f32_u32_e32 v4, s5
	v_sub_u32_e32 v40, v2, v3
	s_ashr_i32 s6, s18, 31
	s_lshr_b32 s6, s6, 25
	v_rcp_iflag_f32_e32 v3, v4
	s_sub_i32 s9, 0, s5
	s_add_i32 s6, s18, s6
	s_ashr_i32 s6, s6, 7
	v_mul_f32_e32 v3, 0x4f7ffffe, v3
	v_cvt_u32_f32_e32 v3, v3
	s_abs_i32 s8, s6
	s_xor_b32 s7, s6, s20
	s_ashr_i32 s7, s7, 31
	v_readfirstlane_b32 s10, v3
	s_mul_i32 s9, s9, s10
	s_mul_hi_u32 s9, s10, s9
	s_add_i32 s10, s10, s9
	s_mul_hi_u32 s9, s8, s10
	s_mul_i32 s10, s9, s5
	s_sub_i32 s8, s8, s10
	s_add_i32 s10, s9, 1
	s_sub_i32 s11, s8, s5
	s_cmp_ge_u32 s8, s5
	s_cselect_b32 s9, s10, s9
	s_cselect_b32 s8, s11, s8
	s_add_i32 s10, s9, 1
	s_cmp_ge_u32 s8, s5
	s_cselect_b32 s5, s10, s9
	s_xor_b32 s5, s5, s7
	s_sub_i32 s50, s5, s7
	s_add_i32 s20, s20, -1
	s_mul_i32 s5, s50, s20
	s_add_i32 s4, s4, s23
	s_sub_i32 s51, s6, s5
	v_cmp_gt_i32_e64 s[4:5], s4, v2
	v_lshlrev_b32_e32 v2, 1, v0
	v_lshlrev_b32_e32 v3, 4, v0
	v_and_b32_e32 v1, 60, v1
	v_and_b32_e32 v2, 64, v2
	;; [unrolled: 1-line block ×3, first 2 shown]
	v_or3_b32 v67, v1, v2, v4
	v_and_b32_e32 v1, 1, v0
	v_lshrrev_b32_e32 v4, 2, v0
	s_abs_i32 s52, s33
	v_and_or_b32 v72, v4, 12, v1
	v_cvt_f32_u32_e32 v4, s52
	v_lshlrev_b32_e32 v2, 1, v1
	v_and_b32_e32 v24, 14, v0
	v_sub_u32_e32 v2, v0, v2
	v_bitop3_b32 v69, v0, 1, v0 bitop3:0xc
	v_bitop3_b32 v70, v0, 3, 1 bitop3:0x6c
	v_and_b32_e32 v32, 48, v3
	v_bfe_u32 v75, v0, 2, 4
	v_and_b32_e32 v1, 60, v0
	v_lshlrev_b32_e32 v3, 8, v0
	v_lshlrev_b32_e32 v0, 6, v0
	v_and_b32_e32 v3, 0x200, v3
	v_and_b32_e32 v0, 64, v0
	v_or3_b32 v76, v1, v3, v0
	v_rcp_iflag_f32_e32 v0, v4
	s_abs_i32 s54, s48
	v_cvt_f32_u32_e32 v1, s54
	v_mad_u64_u32 v[26:27], s[6:7], s17, v72, v[24:25]
	v_mul_f32_e32 v0, 0x4f7ffffe, v0
	v_cvt_u32_f32_e32 v0, v0
	v_rcp_iflag_f32_e32 v1, v1
	s_lshl_b32 s6, s17, 4
	v_add_u32_e32 v28, s6, v26
	v_readfirstlane_b32 s7, v0
	v_mul_f32_e32 v0, 0x4f7ffffe, v1
	v_cvt_u32_f32_e32 v0, v0
	v_add_u32_e32 v30, s6, v28
	s_sub_i32 s6, 0, s52
	s_mul_i32 s6, s6, s7
	s_mul_hi_u32 s6, s7, s6
	v_add_u32_e32 v2, 1, v2
	s_add_i32 s56, s7, s6
	s_sub_i32 s6, 0, s54
	v_readfirstlane_b32 s7, v0
	v_mbcnt_lo_u32_b32 v0, -1, 0
	v_and_b32_e32 v2, 63, v2
	s_mul_i32 s6, s6, s7
	v_mbcnt_hi_u32_b32 v0, -1, v0
	v_mul_lo_u32 v34, s19, v75
	s_mul_hi_u32 s6, s7, s6
	v_and_or_b32 v0, v0, 64, v2
	v_cndmask_b32_e64 v66, 0, 1, s[0:1]
	v_or_b32_e32 v68, 0x4800, v67
	s_ashr_i32 s35, s17, 31
	s_mov_b32 s34, s17
	v_or_b32_e32 v71, 16, v24
	v_ashrrev_i32_e32 v27, 31, v26
	v_or_b32_e32 v73, 16, v72
	v_ashrrev_i32_e32 v29, 31, v28
	;; [unrolled: 2-line block ×3, first 2 shown]
	v_ashrrev_i32_e32 v35, 31, v34
	v_mov_b32_e32 v33, 0
	v_or_b32_e32 v77, 0x4800, v76
	s_lshl_b32 s53, s19, 4
	v_mul_lo_u32 v78, s18, v75
	s_ashr_i32 s55, s33, 31
	s_ashr_i32 s57, s48, 31
	s_add_i32 s58, s7, s6
	s_movk_i32 s59, 0x1800
	s_mov_b32 s60, 0x55555556
	v_lshlrev_b32_e32 v79, 2, v0
	v_mov_b32_e32 v80, v40
	s_branch .LBB262_7
.LBB262_4:                              ;   in Loop: Header=BB262_7 Depth=1
	s_or_b64 exec, exec, s[10:11]
.LBB262_5:                              ;   in Loop: Header=BB262_7 Depth=1
	s_or_b64 exec, exec, s[8:9]
	v_subrev_u32_e32 v80, s64, v80
.LBB262_6:                              ;   in Loop: Header=BB262_7 Depth=1
	s_or_b64 exec, exec, s[6:7]
	s_add_i32 s49, s49, 1
	v_cmp_ge_i32_e32 vcc, s49, v25
	s_cbranch_vccnz .LBB262_55
.LBB262_7:                              ; =>This Loop Header: Depth=1
                                        ;     Child Loop BB262_13 Depth 2
                                        ;       Child Loop BB262_15 Depth 3
                                        ;       Child Loop BB262_18 Depth 3
	;; [unrolled: 1-line block ×5, first 2 shown]
                                        ;     Child Loop BB262_42 Depth 2
                                        ;       Child Loop BB262_44 Depth 3
                                        ;     Child Loop BB262_52 Depth 2
                                        ;       Child Loop BB262_54 Depth 3
	s_abs_i32 s7, s49
	s_mul_hi_u32 s8, s7, s56
	s_mul_i32 s9, s8, s52
	s_ashr_i32 s6, s49, 31
	s_sub_i32 s7, s7, s9
	s_xor_b32 s6, s6, s55
	s_add_i32 s9, s8, 1
	s_sub_i32 s10, s7, s52
	s_cmp_ge_u32 s7, s52
	s_cselect_b32 s8, s9, s8
	s_cselect_b32 s7, s10, s7
	s_add_i32 s9, s8, 1
	s_cmp_ge_u32 s7, s52
	s_cselect_b32 s7, s9, s8
	s_xor_b32 s7, s7, s6
	s_sub_i32 s6, s7, s6
	s_abs_i32 s8, s6
	s_mul_hi_u32 s9, s8, s58
	s_mul_i32 s7, s6, s33
	s_mul_i32 s10, s9, s54
	s_sub_i32 s61, s49, s7
	s_ashr_i32 s7, s6, 31
	s_sub_i32 s8, s8, s10
	s_xor_b32 s7, s7, s57
	s_add_i32 s10, s9, 1
	s_sub_i32 s11, s8, s54
	s_cmp_ge_u32 s8, s54
	s_cselect_b32 s9, s10, s9
	s_cselect_b32 s8, s11, s8
	s_add_i32 s10, s9, 1
	s_cmp_ge_u32 s8, s54
	s_cselect_b32 s8, s10, s9
	s_xor_b32 s8, s8, s7
	s_sub_i32 s7, s8, s7
	s_mul_i32 s8, s7, s50
	s_lshl_b32 s62, s8, 7
	s_mul_i32 s61, s61, 48
	s_cmp_eq_u32 s7, s20
	s_cselect_b32 s64, s51, s50
	s_sub_i32 s8, s61, s16
	s_add_i32 s8, s8, 48
	s_max_i32 s63, s8, 0
	s_and_saveexec_b64 s[8:9], s[2:3]
	s_xor_b64 s[36:37], exec, s[8:9]
	s_cbranch_execz .LBB262_48
; %bb.8:                                ;   in Loop: Header=BB262_7 Depth=1
	s_mul_i32 s7, s7, s48
	s_sub_i32 s6, s6, s7
	s_lshl_b32 s6, s6, 5
	s_sub_i32 s14, s6, s17
	s_add_i32 s14, s14, 32
	s_max_i32 s7, s14, 0
	s_sub_i32 s38, s6, s7
	s_and_saveexec_b64 s[6:7], s[0:1]
	s_xor_b64 s[40:41], exec, s[6:7]
	s_cbranch_execz .LBB262_38
; %bb.9:                                ;   in Loop: Header=BB262_7 Depth=1
	s_and_saveexec_b64 s[42:43], s[4:5]
	s_cbranch_execz .LBB262_37
; %bb.10:                               ;   in Loop: Header=BB262_7 Depth=1
	s_waitcnt lgkmcnt(0)
	global_load_dword v81, v33, s[30:31]
	v_mov_b32_e32 v23, 0
	v_cmp_gt_i32_e32 vcc, s64, v80
	v_mov_b32_e32 v22, v23
	v_mov_b32_e32 v21, v23
	;; [unrolled: 1-line block ×23, first 2 shown]
	s_and_saveexec_b64 s[6:7], vcc
	s_cbranch_execz .LBB262_29
; %bb.11:                               ;   in Loop: Header=BB262_7 Depth=1
	v_mov_b32_e32 v0, 0
	s_mov_b64 s[8:9], 0
	v_mov_b32_e32 v1, v0
	v_mov_b32_e32 v2, v0
	;; [unrolled: 1-line block ×23, first 2 shown]
	s_branch .LBB262_13
.LBB262_12:                             ;   in Loop: Header=BB262_13 Depth=2
	s_or_b64 exec, exec, s[10:11]
	v_add_u32_e32 v42, 0x800, v84
	ds_read2_b32 v[40:41], v42 offset1:32
	v_add_u32_e32 v44, 0xc00, v84
	v_add_u32_e32 v80, s23, v80
	s_waitcnt lgkmcnt(0)
	v_mfma_f32_16x16x32_fp8_fp8 v[16:19], v[36:37], v[40:41], v[16:19]
	ds_read2_b32 v[36:37], v42 offset0:128 offset1:160
	ds_read2_b32 v[42:43], v44 offset1:32
	ds_read2_b32 v[44:45], v44 offset0:128 offset1:160
	v_mfma_f32_16x16x32_fp8_fp8 v[8:11], v[52:53], v[40:41], v[8:11]
	;;#ASMSTART
	s_waitcnt lgkmcnt(0)
	;;#ASMEND
	ds_write_b32 v83, v85 offset:30760
	v_mfma_f32_16x16x32_fp8_fp8 v[0:3], v[60:61], v[40:41], v[0:3]
	v_add_u32_e32 v40, s23, v82
	v_cmp_lt_i32_e32 vcc, 2, v40
	s_waitcnt lgkmcnt(3)
	v_mfma_f32_16x16x32_fp8_fp8 v[16:19], v[46:47], v[36:37], v[16:19]
	v_mfma_f32_16x16x32_fp8_fp8 v[8:11], v[54:55], v[36:37], v[8:11]
	;; [unrolled: 1-line block ×3, first 2 shown]
	v_add_u32_e32 v36, 2, v66
	v_cndmask_b32_e32 v66, v66, v36, vcc
	v_cmp_le_i32_e32 vcc, s64, v80
	s_waitcnt lgkmcnt(2)
	v_mfma_f32_16x16x32_fp8_fp8 v[16:19], v[48:49], v[42:43], v[16:19]
	s_or_b64 s[8:9], vcc, s[8:9]
	v_mfma_f32_16x16x32_fp8_fp8 v[8:11], v[56:57], v[42:43], v[8:11]
	v_mfma_f32_16x16x32_fp8_fp8 v[0:3], v[64:65], v[42:43], v[0:3]
	s_waitcnt lgkmcnt(1)
	v_mfma_f32_16x16x32_fp8_fp8 v[16:19], v[50:51], v[44:45], v[16:19]
	v_mfma_f32_16x16x32_fp8_fp8 v[8:11], v[58:59], v[44:45], v[8:11]
	;; [unrolled: 1-line block ×3, first 2 shown]
	s_andn2_b64 exec, exec, s[8:9]
	s_cbranch_execz .LBB262_28
.LBB262_13:                             ;   Parent Loop BB262_7 Depth=1
                                        ; =>  This Loop Header: Depth=2
                                        ;       Child Loop BB262_15 Depth 3
                                        ;       Child Loop BB262_18 Depth 3
	;; [unrolled: 1-line block ×5, first 2 shown]
	v_cmp_gt_i32_e32 vcc, 3, v40
	s_nop 1
	v_cndmask_b32_e64 v36, -3, 0, vcc
	v_add_u32_e32 v82, v36, v40
	v_lshlrev_b32_e32 v83, 3, v82
	ds_read_b32 v36, v83 offset:30756
	s_waitcnt lgkmcnt(0)
	v_cmp_ne_u32_e32 vcc, v36, v66
	s_and_saveexec_b64 s[10:11], vcc
	s_cbranch_execz .LBB262_16
; %bb.14:                               ;   in Loop: Header=BB262_13 Depth=2
	s_mov_b64 s[12:13], 0
.LBB262_15:                             ;   Parent Loop BB262_7 Depth=1
                                        ;     Parent Loop BB262_13 Depth=2
                                        ; =>    This Inner Loop Header: Depth=3
	;;#ASMSTART
	s_sleep 0
	;;#ASMEND
	ds_read_b32 v36, v83 offset:30756
	s_waitcnt lgkmcnt(0)
	v_cmp_eq_u32_e32 vcc, v36, v66
	s_or_b64 s[12:13], vcc, s[12:13]
	s_andn2_b64 exec, exec, s[12:13]
	s_cbranch_execnz .LBB262_15
.LBB262_16:                             ;   in Loop: Header=BB262_13 Depth=2
	s_or_b64 exec, exec, s[10:11]
	v_lshlrev_b32_e32 v36, 12, v82
	v_add_u32_e32 v84, v68, v36
	v_add_u32_e32 v36, 0x400, v84
	;; [unrolled: 1-line block ×3, first 2 shown]
	ds_read2_b32 v[38:39], v84 offset1:32
	ds_read2_b32 v[40:41], v84 offset0:128 offset1:160
	ds_read2_b32 v[44:45], v36 offset1:32
	ds_read2_b32 v[42:43], v36 offset0:128 offset1:160
	;;#ASMSTART
	s_waitcnt lgkmcnt(0)
	;;#ASMEND
	ds_write_b32 v83, v85 offset:30756
	v_mul_lo_u32 v86, v82, 12
	ds_read_b32 v36, v86 offset:30720
	s_waitcnt lgkmcnt(0)
	v_cmp_ne_u32_e32 vcc, v36, v66
	s_and_saveexec_b64 s[10:11], vcc
	s_cbranch_execz .LBB262_19
; %bb.17:                               ;   in Loop: Header=BB262_13 Depth=2
	s_mov_b64 s[12:13], 0
.LBB262_18:                             ;   Parent Loop BB262_7 Depth=1
                                        ;     Parent Loop BB262_13 Depth=2
                                        ; =>    This Inner Loop Header: Depth=3
	;;#ASMSTART
	s_sleep 0
	;;#ASMEND
	ds_read_b32 v36, v86 offset:30720
	s_waitcnt lgkmcnt(0)
	v_cmp_eq_u32_e32 vcc, v36, v66
	s_or_b64 s[12:13], vcc, s[12:13]
	s_andn2_b64 exec, exec, s[12:13]
	s_cbranch_execnz .LBB262_18
.LBB262_19:                             ;   in Loop: Header=BB262_13 Depth=2
	s_or_b64 exec, exec, s[10:11]
	v_mul_lo_u32 v52, v82, s59
	v_or_b32_e32 v48, v67, v52
	ds_read2_b32 v[36:37], v48 offset1:32
	ds_read2_b32 v[46:47], v48 offset0:128 offset1:160
	v_add_u32_e32 v50, 0x400, v48
	ds_read2_b32 v[48:49], v50 offset1:32
	ds_read2_b32 v[50:51], v50 offset0:128 offset1:160
	ds_read_b32 v53, v86 offset:30724
	ds_write_b32 v86, v85 offset:30720
	s_waitcnt lgkmcnt(5)
	v_mfma_f32_16x16x32_fp8_fp8 v[20:23], v[36:37], v[38:39], v[20:23]
	s_waitcnt lgkmcnt(1)
	v_cmp_ne_u32_e32 vcc, v53, v66
	v_mfma_f32_16x16x32_fp8_fp8 v[20:23], v[46:47], v[40:41], v[20:23]
	v_mfma_f32_16x16x32_fp8_fp8 v[20:23], v[48:49], v[44:45], v[20:23]
	;; [unrolled: 1-line block ×3, first 2 shown]
	s_and_saveexec_b64 s[10:11], vcc
	s_cbranch_execz .LBB262_22
; %bb.20:                               ;   in Loop: Header=BB262_13 Depth=2
	s_mov_b64 s[12:13], 0
.LBB262_21:                             ;   Parent Loop BB262_7 Depth=1
                                        ;     Parent Loop BB262_13 Depth=2
                                        ; =>    This Inner Loop Header: Depth=3
	;;#ASMSTART
	s_sleep 0
	;;#ASMEND
	ds_read_b32 v53, v86 offset:30724
	s_waitcnt lgkmcnt(0)
	v_cmp_eq_u32_e32 vcc, v53, v66
	s_or_b64 s[12:13], vcc, s[12:13]
	s_andn2_b64 exec, exec, s[12:13]
	s_cbranch_execnz .LBB262_21
.LBB262_22:                             ;   in Loop: Header=BB262_13 Depth=2
	s_or_b64 exec, exec, s[10:11]
	v_add_u32_e32 v64, v67, v52
	v_add_u32_e32 v54, 0x800, v64
	ds_read2_b32 v[52:53], v54 offset1:32
	ds_read2_b32 v[54:55], v54 offset0:128 offset1:160
	v_add_u32_e32 v58, 0xc00, v64
	ds_read2_b32 v[56:57], v58 offset1:32
	ds_read2_b32 v[58:59], v58 offset0:128 offset1:160
	ds_read_b32 v60, v86 offset:30728
	ds_write_b32 v86, v85 offset:30724
	s_waitcnt lgkmcnt(5)
	v_mfma_f32_16x16x32_fp8_fp8 v[12:15], v[52:53], v[38:39], v[12:15]
	s_waitcnt lgkmcnt(1)
	v_cmp_ne_u32_e32 vcc, v60, v66
	v_mfma_f32_16x16x32_fp8_fp8 v[12:15], v[54:55], v[40:41], v[12:15]
	v_mfma_f32_16x16x32_fp8_fp8 v[12:15], v[56:57], v[44:45], v[12:15]
	;; [unrolled: 1-line block ×3, first 2 shown]
	s_and_saveexec_b64 s[10:11], vcc
	s_cbranch_execz .LBB262_25
; %bb.23:                               ;   in Loop: Header=BB262_13 Depth=2
	s_mov_b64 s[12:13], 0
.LBB262_24:                             ;   Parent Loop BB262_7 Depth=1
                                        ;     Parent Loop BB262_13 Depth=2
                                        ; =>    This Inner Loop Header: Depth=3
	;;#ASMSTART
	s_sleep 0
	;;#ASMEND
	ds_read_b32 v60, v86 offset:30728
	s_waitcnt lgkmcnt(0)
	v_cmp_eq_u32_e32 vcc, v60, v66
	s_or_b64 s[12:13], vcc, s[12:13]
	s_andn2_b64 exec, exec, s[12:13]
	s_cbranch_execnz .LBB262_24
.LBB262_25:                             ;   in Loop: Header=BB262_13 Depth=2
	s_or_b64 exec, exec, s[10:11]
	v_add_u32_e32 v62, 0x1000, v64
	ds_read2_b32 v[60:61], v62 offset1:32
	ds_read2_b32 v[62:63], v62 offset0:128 offset1:160
	v_add_u32_e32 v87, 0x1400, v64
	ds_read2_b32 v[64:65], v87 offset1:32
	ds_write_b32 v86, v85 offset:30728
	s_waitcnt lgkmcnt(3)
	v_mfma_f32_16x16x32_fp8_fp8 v[4:7], v[60:61], v[38:39], v[4:7]
	ds_read2_b32 v[38:39], v87 offset0:128 offset1:160
	s_waitcnt lgkmcnt(3)
	v_mfma_f32_16x16x32_fp8_fp8 v[4:7], v[62:63], v[40:41], v[4:7]
	ds_read_b32 v40, v83 offset:30760
	s_waitcnt lgkmcnt(0)
	v_cmp_ne_u32_e32 vcc, v40, v66
	v_mfma_f32_16x16x32_fp8_fp8 v[4:7], v[64:65], v[44:45], v[4:7]
	v_mfma_f32_16x16x32_fp8_fp8 v[4:7], v[38:39], v[42:43], v[4:7]
	s_and_saveexec_b64 s[10:11], vcc
	s_cbranch_execz .LBB262_12
; %bb.26:                               ;   in Loop: Header=BB262_13 Depth=2
	s_mov_b64 s[12:13], 0
.LBB262_27:                             ;   Parent Loop BB262_7 Depth=1
                                        ;     Parent Loop BB262_13 Depth=2
                                        ; =>    This Inner Loop Header: Depth=3
	;;#ASMSTART
	s_sleep 0
	;;#ASMEND
	ds_read_b32 v40, v83 offset:30760
	s_waitcnt lgkmcnt(0)
	v_cmp_eq_u32_e32 vcc, v40, v66
	s_or_b64 s[12:13], vcc, s[12:13]
	s_andn2_b64 exec, exec, s[12:13]
	s_cbranch_execnz .LBB262_27
	s_branch .LBB262_12
.LBB262_28:                             ;   in Loop: Header=BB262_7 Depth=1
	s_or_b64 exec, exec, s[8:9]
.LBB262_29:                             ;   in Loop: Header=BB262_7 Depth=1
	s_or_b64 exec, exec, s[6:7]
	v_cmp_le_i32_e32 vcc, s14, v24
	v_cmp_eq_u32_e64 s[6:7], 2, v69
	v_cmp_eq_u32_e64 s[8:9], 3, v69
	s_waitcnt vmcnt(0)
	v_cndmask_b32_e32 v36, 0, v81, vcc
	v_pk_mul_f32 v[20:21], v[36:37], v[20:21] op_sel_hi:[0,1]
	v_cmp_eq_u32_e32 vcc, 1, v69
	v_pk_mul_f32 v[38:39], v[36:37], v[22:23] op_sel_hi:[0,1]
	v_cmp_eq_u32_e64 s[10:11], 0, v69
	v_cndmask_b32_e32 v22, v20, v21, vcc
	v_cndmask_b32_e64 v22, v22, v38, s[6:7]
	v_cndmask_b32_e64 v22, v22, v39, s[8:9]
	ds_bpermute_b32 v37, v79, v22
	v_cmp_le_i32_e64 s[14:15], s14, v71
	v_cmp_eq_u32_e64 s[12:13], 1, v70
	v_add_u32_e32 v41, s63, v72
	s_waitcnt lgkmcnt(0)
	v_cndmask_b32_e64 v22, v39, v37, s[8:9]
	v_cndmask_b32_e64 v23, v38, v37, s[6:7]
	v_cndmask_b32_e32 v21, v21, v37, vcc
	v_cndmask_b32_e64 v37, v20, v37, s[10:11]
	v_cndmask_b32_e64 v20, 0, v81, s[14:15]
	v_pk_mul_f32 v[44:45], v[20:21], v[16:17] op_sel_hi:[0,1]
	v_pk_mul_f32 v[42:43], v[20:21], v[18:19] op_sel_hi:[0,1]
	v_cndmask_b32_e32 v16, v44, v45, vcc
	v_cndmask_b32_e64 v16, v16, v42, s[6:7]
	v_cndmask_b32_e64 v16, v16, v43, s[8:9]
	ds_bpermute_b32 v17, v79, v16
	v_cndmask_b32_e64 v38, v37, v21, s[12:13]
	v_cmp_eq_u32_e32 vcc, 2, v70
	v_cmp_eq_u32_e64 s[14:15], 3, v70
	s_waitcnt lgkmcnt(0)
	v_cndmask_b32_e64 v19, v42, v17, s[6:7]
	v_cndmask_b32_e32 v16, v38, v23, vcc
	v_cndmask_b32_e64 v16, v16, v22, s[14:15]
	v_cmp_ne_u32_e64 s[6:7], 0, v69
	ds_bpermute_b32 v38, v79, v16
	v_cndmask_b32_e64 v18, v43, v17, s[8:9]
	v_cndmask_b32_e64 v16, v45, v17, s[6:7]
	;; [unrolled: 1-line block ×4, first 2 shown]
	v_cndmask_b32_e32 v39, v39, v19, vcc
	v_cndmask_b32_e64 v39, v39, v18, s[14:15]
	ds_bpermute_b32 v39, v79, v39
	v_cmp_gt_u32_e32 vcc, 48, v41
	s_and_saveexec_b64 s[44:45], vcc
	s_cbranch_execz .LBB262_36
; %bb.30:                               ;   in Loop: Header=BB262_7 Depth=1
	v_cmp_eq_u32_e64 s[8:9], 1, v70
	v_cmp_eq_u32_e64 s[10:11], 0, v70
	v_cmp_eq_u32_e32 vcc, 3, v70
	s_waitcnt lgkmcnt(1)
	v_cndmask_b32_e64 v21, v21, v38, s[8:9]
	s_waitcnt lgkmcnt(0)
	v_cndmask_b32_e64 v42, v16, v39, s[8:9]
	s_mul_i32 s8, s61, s17
	s_ashr_i32 s9, s8, 31
	s_lshl_b64 s[8:9], s[8:9], 1
	v_cndmask_b32_e64 v37, v37, v38, s[10:11]
	v_cndmask_b32_e64 v43, v17, v39, s[10:11]
	s_add_u32 s10, s28, s8
	s_addc_u32 s11, s29, s9
	s_ashr_i32 s39, s38, 31
	v_cvt_f16_f32_e32 v37, v37
	v_cvt_f16_f32_sdwa v21, v21 dst_sel:WORD_1 dst_unused:UNUSED_PAD src0_sel:DWORD
	s_lshl_b64 s[8:9], s[38:39], 1
	v_cvt_f16_f32_e32 v44, v43
	v_cvt_f16_f32_sdwa v45, v42 dst_sel:WORD_1 dst_unused:UNUSED_PAD src0_sel:DWORD
	s_add_u32 s46, s10, s8
	s_addc_u32 s47, s11, s9
	v_cmp_eq_u32_e64 s[6:7], 2, v70
	v_lshl_add_u64 v[16:17], v[26:27], 1, s[46:47]
	v_or_b32_e32 v21, v21, v37
	v_cmp_gt_u32_e64 s[8:9], 46, v41
	;;#ASMSTART
	global_atomic_pk_add_f16 v[16:17], v21, off
	
	;;#ASMEND
	v_lshl_add_u64 v[42:43], v[16:17], 0, 32
	v_or_b32_e32 v21, v45, v44
	;;#ASMSTART
	global_atomic_pk_add_f16 v[42:43], v21, off
	
	;;#ASMEND
	s_and_b64 exec, exec, s[8:9]
	s_cbranch_execz .LBB262_36
; %bb.31:                               ;   in Loop: Header=BB262_7 Depth=1
	v_mov_b32_e32 v37, v36
	v_cndmask_b32_e32 v22, v22, v38, vcc
	v_cndmask_b32_e64 v23, v23, v38, s[6:7]
	v_cndmask_b32_e32 v38, v18, v39, vcc
	v_cndmask_b32_e64 v39, v19, v39, s[6:7]
	v_mov_b32_e32 v18, v36
	v_mov_b32_e32 v19, v36
	v_pk_mul_f32 v[14:15], v[18:19], v[14:15]
	v_pk_mul_f32 v[18:19], v[36:37], v[12:13]
	v_cmp_eq_u32_e32 vcc, 1, v69
	v_cmp_eq_u32_e64 s[6:7], 2, v69
	v_cmp_eq_u32_e64 s[8:9], 3, v69
	v_cndmask_b32_e32 v12, v18, v19, vcc
	v_cndmask_b32_e64 v12, v12, v14, s[6:7]
	v_cndmask_b32_e64 v12, v12, v15, s[8:9]
	v_cvt_f16_f32_e32 v23, v23
	v_cvt_f16_f32_sdwa v22, v22 dst_sel:WORD_1 dst_unused:UNUSED_PAD src0_sel:DWORD
	ds_bpermute_b32 v41, v79, v12
	v_mov_b32_e32 v21, v20
	v_lshl_add_u64 v[16:17], s[34:35], 2, v[16:17]
	v_or_b32_e32 v22, v22, v23
	v_cmp_eq_u32_e64 s[10:11], 0, v69
	;;#ASMSTART
	global_atomic_pk_add_f16 v[16:17], v22, off
	
	;;#ASMEND
	v_cvt_f16_f32_e32 v42, v39
	v_cvt_f16_f32_sdwa v43, v38 dst_sel:WORD_1 dst_unused:UNUSED_PAD src0_sel:DWORD
	v_lshl_add_u64 v[22:23], v[16:17], 0, 32
	s_waitcnt lgkmcnt(0)
	v_cndmask_b32_e64 v12, v15, v41, s[8:9]
	v_cndmask_b32_e32 v15, v19, v41, vcc
	v_cndmask_b32_e64 v16, v18, v41, s[10:11]
	v_mov_b32_e32 v18, v20
	v_mov_b32_e32 v19, v20
	v_pk_mul_f32 v[38:39], v[20:21], v[8:9]
	v_pk_mul_f32 v[18:19], v[18:19], v[10:11]
	v_cndmask_b32_e32 v8, v38, v39, vcc
	v_cndmask_b32_e64 v8, v8, v18, s[6:7]
	v_cndmask_b32_e64 v8, v8, v19, s[8:9]
	ds_bpermute_b32 v9, v79, v8
	v_cmp_eq_u32_e64 s[12:13], 1, v70
	v_cndmask_b32_e64 v13, v14, v41, s[6:7]
	v_cmp_eq_u32_e32 vcc, 2, v70
	v_cndmask_b32_e64 v14, v16, v15, s[12:13]
	v_cmp_eq_u32_e64 s[14:15], 3, v70
	v_cndmask_b32_e32 v8, v14, v13, vcc
	s_waitcnt lgkmcnt(0)
	v_cndmask_b32_e64 v11, v18, v9, s[6:7]
	v_cndmask_b32_e64 v8, v8, v12, s[14:15]
	v_cmp_ne_u32_e64 s[6:7], 0, v69
	ds_bpermute_b32 v14, v79, v8
	v_cndmask_b32_e64 v10, v19, v9, s[8:9]
	v_cndmask_b32_e64 v8, v39, v9, s[6:7]
	;; [unrolled: 1-line block ×4, first 2 shown]
	v_cndmask_b32_e32 v17, v17, v11, vcc
	v_cndmask_b32_e64 v17, v17, v10, s[14:15]
	ds_bpermute_b32 v17, v79, v17
	v_or_b32_e32 v18, v43, v42
	;;#ASMSTART
	global_atomic_pk_add_f16 v[22:23], v18, off
	
	;;#ASMEND
	v_add_u32_e32 v18, s63, v73
	v_cmp_gt_u32_e32 vcc, 48, v18
	s_and_b64 exec, exec, vcc
	s_cbranch_execz .LBB262_36
; %bb.32:                               ;   in Loop: Header=BB262_7 Depth=1
	v_cmp_eq_u32_e64 s[8:9], 1, v70
	v_cmp_eq_u32_e64 s[10:11], 0, v70
	v_cmp_eq_u32_e32 vcc, 3, v70
	s_waitcnt lgkmcnt(1)
	v_cndmask_b32_e64 v15, v15, v14, s[8:9]
	v_cndmask_b32_e64 v16, v16, v14, s[10:11]
	s_waitcnt lgkmcnt(0)
	v_cndmask_b32_e64 v19, v8, v17, s[8:9]
	v_cndmask_b32_e64 v22, v9, v17, s[10:11]
	v_cvt_f16_f32_e32 v16, v16
	v_cvt_f16_f32_sdwa v15, v15 dst_sel:WORD_1 dst_unused:UNUSED_PAD src0_sel:DWORD
	v_cvt_f16_f32_e32 v38, v22
	v_cvt_f16_f32_sdwa v19, v19 dst_sel:WORD_1 dst_unused:UNUSED_PAD src0_sel:DWORD
	v_cmp_eq_u32_e64 s[6:7], 2, v70
	v_lshl_add_u64 v[8:9], v[28:29], 1, s[46:47]
	v_or_b32_e32 v15, v15, v16
	v_cmp_gt_u32_e64 s[8:9], 46, v18
	;;#ASMSTART
	global_atomic_pk_add_f16 v[8:9], v15, off
	
	;;#ASMEND
	v_lshl_add_u64 v[22:23], v[8:9], 0, 32
	v_or_b32_e32 v15, v19, v38
	;;#ASMSTART
	global_atomic_pk_add_f16 v[22:23], v15, off
	
	;;#ASMEND
	s_and_b64 exec, exec, s[8:9]
	s_cbranch_execz .LBB262_36
; %bb.33:                               ;   in Loop: Header=BB262_7 Depth=1
	v_cndmask_b32_e32 v12, v12, v14, vcc
	v_cndmask_b32_e64 v13, v13, v14, s[6:7]
	v_cndmask_b32_e32 v14, v10, v17, vcc
	v_cndmask_b32_e64 v15, v11, v17, s[6:7]
	v_mov_b32_e32 v10, v36
	v_mov_b32_e32 v11, v36
	v_pk_mul_f32 v[6:7], v[10:11], v[6:7]
	v_pk_mul_f32 v[10:11], v[36:37], v[4:5]
	v_cmp_eq_u32_e32 vcc, 1, v69
	v_cmp_eq_u32_e64 s[6:7], 2, v69
	v_cmp_eq_u32_e64 s[8:9], 3, v69
	v_cndmask_b32_e32 v4, v10, v11, vcc
	v_cndmask_b32_e64 v4, v4, v6, s[6:7]
	v_cndmask_b32_e64 v4, v4, v7, s[8:9]
	v_cvt_f16_f32_e32 v13, v13
	v_cvt_f16_f32_sdwa v12, v12 dst_sel:WORD_1 dst_unused:UNUSED_PAD src0_sel:DWORD
	ds_bpermute_b32 v16, v79, v4
	v_lshl_add_u64 v[8:9], s[34:35], 2, v[8:9]
	v_cmp_eq_u32_e64 s[10:11], 0, v69
	v_or_b32_e32 v12, v12, v13
	;;#ASMSTART
	global_atomic_pk_add_f16 v[8:9], v12, off
	
	;;#ASMEND
	v_lshl_add_u64 v[12:13], v[8:9], 0, 32
	s_waitcnt lgkmcnt(0)
	v_cndmask_b32_e64 v4, v7, v16, s[8:9]
	v_cndmask_b32_e64 v5, v6, v16, s[6:7]
	v_cndmask_b32_e32 v6, v11, v16, vcc
	v_cndmask_b32_e64 v7, v10, v16, s[10:11]
	v_mov_b32_e32 v8, v20
	v_mov_b32_e32 v9, v20
	v_pk_mul_f32 v[10:11], v[20:21], v[0:1]
	v_pk_mul_f32 v[8:9], v[8:9], v[2:3]
	v_cndmask_b32_e32 v0, v10, v11, vcc
	v_cndmask_b32_e64 v0, v0, v8, s[6:7]
	v_cndmask_b32_e64 v0, v0, v9, s[8:9]
	ds_bpermute_b32 v1, v79, v0
	v_cmp_eq_u32_e64 s[12:13], 1, v70
	v_cmp_eq_u32_e32 vcc, 2, v70
	v_cmp_eq_u32_e64 s[14:15], 3, v70
	v_cndmask_b32_e64 v16, v7, v6, s[12:13]
	v_cndmask_b32_e32 v0, v16, v5, vcc
	v_cndmask_b32_e64 v0, v0, v4, s[14:15]
	s_waitcnt lgkmcnt(0)
	v_cndmask_b32_e64 v8, v8, v1, s[6:7]
	v_cmp_ne_u32_e64 s[6:7], 0, v69
	ds_bpermute_b32 v2, v79, v0
	v_cndmask_b32_e64 v3, v9, v1, s[8:9]
	v_cndmask_b32_e64 v0, v11, v1, s[6:7]
	;; [unrolled: 1-line block ×4, first 2 shown]
	v_cvt_f16_f32_e32 v15, v15
	v_cvt_f16_f32_sdwa v14, v14 dst_sel:WORD_1 dst_unused:UNUSED_PAD src0_sel:DWORD
	v_cndmask_b32_e32 v9, v9, v8, vcc
	v_cndmask_b32_e64 v9, v9, v3, s[14:15]
	ds_bpermute_b32 v9, v79, v9
	v_or_b32_e32 v10, v14, v15
	;;#ASMSTART
	global_atomic_pk_add_f16 v[12:13], v10, off
	
	;;#ASMEND
	v_add_u32_e32 v10, s63, v74
	v_cmp_gt_u32_e32 vcc, 48, v10
	s_and_b64 exec, exec, vcc
	s_cbranch_execz .LBB262_36
; %bb.34:                               ;   in Loop: Header=BB262_7 Depth=1
	v_cmp_eq_u32_e64 s[8:9], 1, v70
	v_cmp_eq_u32_e64 s[10:11], 0, v70
	v_cmp_eq_u32_e32 vcc, 3, v70
	s_waitcnt lgkmcnt(1)
	v_cndmask_b32_e64 v6, v6, v2, s[8:9]
	v_cndmask_b32_e64 v7, v7, v2, s[10:11]
	s_waitcnt lgkmcnt(0)
	v_cndmask_b32_e64 v11, v0, v9, s[8:9]
	v_cndmask_b32_e64 v12, v1, v9, s[10:11]
	v_cvt_f16_f32_e32 v7, v7
	v_cvt_f16_f32_sdwa v6, v6 dst_sel:WORD_1 dst_unused:UNUSED_PAD src0_sel:DWORD
	v_cvt_f16_f32_e32 v12, v12
	v_cvt_f16_f32_sdwa v11, v11 dst_sel:WORD_1 dst_unused:UNUSED_PAD src0_sel:DWORD
	v_cmp_eq_u32_e64 s[6:7], 2, v70
	v_lshl_add_u64 v[0:1], v[30:31], 1, s[46:47]
	v_or_b32_e32 v6, v6, v7
	v_cmp_gt_u32_e64 s[8:9], 46, v10
	;;#ASMSTART
	global_atomic_pk_add_f16 v[0:1], v6, off
	
	;;#ASMEND
	v_lshl_add_u64 v[6:7], v[0:1], 0, 32
	v_or_b32_e32 v11, v11, v12
	;;#ASMSTART
	global_atomic_pk_add_f16 v[6:7], v11, off
	
	;;#ASMEND
	s_and_b64 exec, exec, s[8:9]
	s_cbranch_execz .LBB262_36
; %bb.35:                               ;   in Loop: Header=BB262_7 Depth=1
	v_cndmask_b32_e32 v4, v4, v2, vcc
	v_cndmask_b32_e64 v2, v5, v2, s[6:7]
	v_cndmask_b32_e32 v3, v3, v9, vcc
	v_cndmask_b32_e64 v5, v8, v9, s[6:7]
	v_cvt_f16_f32_e32 v2, v2
	v_cvt_f16_f32_sdwa v4, v4 dst_sel:WORD_1 dst_unused:UNUSED_PAD src0_sel:DWORD
	v_cvt_f16_f32_e32 v5, v5
	v_cvt_f16_f32_sdwa v3, v3 dst_sel:WORD_1 dst_unused:UNUSED_PAD src0_sel:DWORD
	v_lshl_add_u64 v[0:1], s[34:35], 2, v[0:1]
	v_or_b32_e32 v2, v4, v2
	;;#ASMSTART
	global_atomic_pk_add_f16 v[0:1], v2, off
	
	;;#ASMEND
	v_lshl_add_u64 v[0:1], v[0:1], 0, 32
	v_or_b32_e32 v2, v3, v5
	;;#ASMSTART
	global_atomic_pk_add_f16 v[0:1], v2, off
	
	;;#ASMEND
.LBB262_36:                             ;   in Loop: Header=BB262_7 Depth=1
	s_or_b64 exec, exec, s[44:45]
	v_subrev_u32_e32 v80, s64, v80
.LBB262_37:                             ;   in Loop: Header=BB262_7 Depth=1
	s_or_b64 exec, exec, s[42:43]
.LBB262_38:                             ;   in Loop: Header=BB262_7 Depth=1
	s_andn2_saveexec_b64 s[6:7], s[40:41]
	s_cbranch_execz .LBB262_47
; %bb.39:                               ;   in Loop: Header=BB262_7 Depth=1
	s_lshl_b32 s39, s64, 1
	v_cmp_gt_i32_e32 vcc, s39, v80
	s_and_saveexec_b64 s[8:9], vcc
	s_cbranch_execz .LBB262_46
; %bb.40:                               ;   in Loop: Header=BB262_7 Depth=1
	s_mul_i32 s10, s38, s19
	s_ashr_i32 s11, s10, 31
	s_waitcnt lgkmcnt(0)
	s_add_u32 s10, s26, s10
	s_addc_u32 s11, s27, s11
	s_ashr_i32 s12, s62, 31
	s_add_u32 s10, s10, s62
	s_addc_u32 s11, s11, s12
	v_lshl_add_u64 v[0:1], s[10:11], 0, v[34:35]
	v_lshl_add_u64 v[8:9], v[0:1], 0, v[32:33]
	s_mov_b64 s[10:11], 0
	s_branch .LBB262_42
.LBB262_41:                             ;   in Loop: Header=BB262_42 Depth=2
	s_or_b64 exec, exec, s[12:13]
	v_lshl_add_u32 v12, v10, 11, v77
	;;#ASMSTART
	s_waitcnt vmcnt(1)
	;;#ASMEND
	ds_write2_b32 v12, v4, v5 offset1:32
	ds_write2_b32 v12, v6, v7 offset0:64 offset1:96
	v_add_u32_e32 v4, 0x400, v12
	v_add_u32_e32 v80, s22, v80
	;;#ASMSTART
	s_waitcnt vmcnt(0)
	;;#ASMEND
	ds_write2_b32 v4, v0, v1 offset1:32
	ds_write2_b32 v4, v2, v3 offset0:64 offset1:96
	v_add_u32_e32 v0, 1, v66
	v_add_u32_e32 v40, s22, v10
	v_cmp_le_i32_e32 vcc, s39, v80
	ds_write_b32 v11, v0 offset:36
	v_add_u32_e32 v0, 2, v66
	s_or_b64 s[10:11], vcc, s[10:11]
	v_cmp_lt_i32_e32 vcc, 5, v40
	s_nop 1
	v_cndmask_b32_e32 v66, v66, v0, vcc
	s_andn2_b64 exec, exec, s[10:11]
	s_cbranch_execz .LBB262_45
.LBB262_42:                             ;   Parent Loop BB262_7 Depth=1
                                        ; =>  This Loop Header: Depth=2
                                        ;       Child Loop BB262_44 Depth 3
	v_cmp_gt_i32_e32 vcc, 6, v40
	s_nop 1
	v_cndmask_b32_e64 v0, -6, 0, vcc
	v_add_u32_e32 v10, v0, v40
	v_lshrrev_b32_e32 v0, 31, v80
	v_add_u32_e32 v0, v80, v0
	v_and_b32_e32 v1, -2, v0
	v_lshlrev_b32_e32 v0, 6, v0
	v_sub_u32_e32 v2, v80, v1
	v_and_b32_e32 v0, 0xffffff80, v0
	v_ashrrev_i32_e32 v1, 31, v0
	v_mul_lo_u32 v2, s53, v2
	v_lshl_add_u64 v[0:1], v[8:9], 0, v[0:1]
	v_ashrrev_i32_e32 v3, 31, v2
	v_lshl_add_u64 v[0:1], v[0:1], 0, v[2:3]
	v_lshlrev_b32_e32 v11, 2, v10
	;;#ASMSTART
	global_load_dwordx4 v[4:7], v[0:1], off offset:0   sc0 sc1 nt  
	global_load_dwordx4 v[0:3], v[0:1], off offset:64  sc0 sc1 nt  
	
	;;#ASMEND
	ds_read_b32 v12, v11 offset:30756
	v_add_u32_e32 v11, 0x7800, v11
	s_waitcnt lgkmcnt(0)
	v_cmp_ne_u32_e32 vcc, v12, v66
	s_and_saveexec_b64 s[12:13], vcc
	s_cbranch_execz .LBB262_41
; %bb.43:                               ;   in Loop: Header=BB262_42 Depth=2
	s_mov_b64 s[14:15], 0
.LBB262_44:                             ;   Parent Loop BB262_7 Depth=1
                                        ;     Parent Loop BB262_42 Depth=2
                                        ; =>    This Inner Loop Header: Depth=3
	;;#ASMSTART
	s_sleep 0
	;;#ASMEND
	ds_read_b32 v12, v11 offset:36
	s_waitcnt lgkmcnt(0)
	v_cmp_eq_u32_e32 vcc, v12, v66
	s_or_b64 s[14:15], vcc, s[14:15]
	s_andn2_b64 exec, exec, s[14:15]
	s_cbranch_execnz .LBB262_44
	s_branch .LBB262_41
.LBB262_45:                             ;   in Loop: Header=BB262_7 Depth=1
	s_or_b64 exec, exec, s[10:11]
.LBB262_46:                             ;   in Loop: Header=BB262_7 Depth=1
	s_or_b64 exec, exec, s[8:9]
	v_subrev_u32_e32 v80, s39, v80
.LBB262_47:                             ;   in Loop: Header=BB262_7 Depth=1
	s_or_b64 exec, exec, s[6:7]
.LBB262_48:                             ;   in Loop: Header=BB262_7 Depth=1
	s_andn2_saveexec_b64 s[6:7], s[36:37]
	s_cbranch_execz .LBB262_6
; %bb.49:                               ;   in Loop: Header=BB262_7 Depth=1
	s_mul_i32 s64, s64, 3
	v_cmp_gt_i32_e32 vcc, s64, v80
	s_and_saveexec_b64 s[8:9], vcc
	s_cbranch_execz .LBB262_5
; %bb.50:                               ;   in Loop: Header=BB262_7 Depth=1
	s_mul_i32 s61, s61, s18
	s_ashr_i32 s10, s61, 31
	s_waitcnt lgkmcnt(0)
	s_add_u32 s11, s24, s61
	v_add_u32_e32 v2, s63, v75
	s_addc_u32 s12, s25, s10
	s_ashr_i32 s13, s62, 31
	v_cmp_gt_u32_e32 vcc, 48, v2
	s_add_u32 s10, s11, s62
	s_addc_u32 s11, s12, s13
	v_cndmask_b32_e32 v0, 0, v78, vcc
	v_ashrrev_i32_e32 v1, 31, v0
	v_lshl_add_u64 v[0:1], s[10:11], 0, v[0:1]
	v_lshl_add_u64 v[8:9], v[0:1], 0, v[32:33]
	v_sub_u32_e32 v10, 47, v2
	s_mov_b64 s[10:11], 0
	s_branch .LBB262_52
.LBB262_51:                             ;   in Loop: Header=BB262_52 Depth=2
	s_or_b64 exec, exec, s[12:13]
	v_lshl_or_b32 v13, v11, 11, v76
	;;#ASMSTART
	s_waitcnt vmcnt(1)
	;;#ASMEND
	ds_write2_b32 v13, v4, v5 offset1:32
	ds_write2_b32 v13, v6, v7 offset0:64 offset1:96
	v_add_u32_e32 v4, 0x400, v13
	v_add_u32_e32 v80, s21, v80
	;;#ASMSTART
	s_waitcnt vmcnt(0)
	;;#ASMEND
	ds_write2_b32 v4, v0, v1 offset1:32
	ds_write2_b32 v4, v2, v3 offset0:64 offset1:96
	v_add_u32_e32 v0, 1, v66
	v_add_u32_e32 v40, s21, v11
	v_cmp_le_i32_e32 vcc, s64, v80
	ds_write_b32 v12, v0
	v_add_u32_e32 v0, 2, v66
	s_or_b64 s[10:11], vcc, s[10:11]
	v_cmp_lt_i32_e32 vcc, 8, v40
	s_nop 1
	v_cndmask_b32_e32 v66, v66, v0, vcc
	s_andn2_b64 exec, exec, s[10:11]
	s_cbranch_execz .LBB262_4
.LBB262_52:                             ;   Parent Loop BB262_7 Depth=1
                                        ; =>  This Loop Header: Depth=2
                                        ;       Child Loop BB262_54 Depth 3
	v_cmp_gt_i32_e32 vcc, 9, v40
	s_nop 1
	v_cndmask_b32_e64 v0, -9, 0, vcc
	v_add_u32_e32 v11, v0, v40
	v_mul_hi_i32 v0, v80, s60
	v_lshrrev_b32_e32 v1, 31, v0
	v_add_u32_e32 v0, v0, v1
	v_lshl_add_u32 v1, v0, 1, v0
	v_sub_u32_e32 v1, v80, v1
	v_lshlrev_b32_e32 v1, 4, v1
	v_cmp_le_i32_e32 vcc, v1, v10
	v_lshlrev_b32_e32 v0, 7, v0
	v_lshlrev_b32_e32 v12, 2, v11
	v_cndmask_b32_e32 v2, 0, v1, vcc
	v_ashrrev_i32_e32 v1, 31, v0
	v_mul_lo_u32 v2, v2, s18
	v_lshl_add_u64 v[0:1], v[8:9], 0, v[0:1]
	v_ashrrev_i32_e32 v3, 31, v2
	v_lshl_add_u64 v[0:1], v[0:1], 0, v[2:3]
	;;#ASMSTART
	global_load_dwordx4 v[4:7], v[0:1], off offset:0   
	global_load_dwordx4 v[0:3], v[0:1], off offset:64  
	
	;;#ASMEND
	ds_read_b32 v13, v12 offset:30720
	v_add_u32_e32 v12, 0x7800, v12
	s_waitcnt lgkmcnt(0)
	v_cmp_ne_u32_e32 vcc, v13, v66
	s_and_saveexec_b64 s[12:13], vcc
	s_cbranch_execz .LBB262_51
; %bb.53:                               ;   in Loop: Header=BB262_52 Depth=2
	s_mov_b64 s[14:15], 0
.LBB262_54:                             ;   Parent Loop BB262_7 Depth=1
                                        ;     Parent Loop BB262_52 Depth=2
                                        ; =>    This Inner Loop Header: Depth=3
	;;#ASMSTART
	s_sleep 0
	;;#ASMEND
	ds_read_b32 v13, v12
	s_waitcnt lgkmcnt(0)
	v_cmp_eq_u32_e32 vcc, v13, v66
	s_or_b64 s[14:15], vcc, s[14:15]
	s_andn2_b64 exec, exec, s[14:15]
	s_cbranch_execnz .LBB262_54
	s_branch .LBB262_51
.LBB262_55:
	s_endpgm
	.section	.rodata,"a",@progbits
	.p2align	6, 0x0
	.amdhsa_kernel _Z19_skinny_gemm_kernelILi3ELi2ELi3ELi16ELi4EEvPKhS1_P6__halfPKfiiiiiiii
		.amdhsa_group_segment_fixed_size 30780
		.amdhsa_private_segment_fixed_size 0
		.amdhsa_kernarg_size 64
		.amdhsa_user_sgpr_count 2
		.amdhsa_user_sgpr_dispatch_ptr 0
		.amdhsa_user_sgpr_queue_ptr 0
		.amdhsa_user_sgpr_kernarg_segment_ptr 1
		.amdhsa_user_sgpr_dispatch_id 0
		.amdhsa_user_sgpr_kernarg_preload_length 0
		.amdhsa_user_sgpr_kernarg_preload_offset 0
		.amdhsa_user_sgpr_private_segment_size 0
		.amdhsa_uses_dynamic_stack 0
		.amdhsa_enable_private_segment 0
		.amdhsa_system_sgpr_workgroup_id_x 1
		.amdhsa_system_sgpr_workgroup_id_y 0
		.amdhsa_system_sgpr_workgroup_id_z 0
		.amdhsa_system_sgpr_workgroup_info 0
		.amdhsa_system_vgpr_workitem_id 0
		.amdhsa_next_free_vgpr 88
		.amdhsa_next_free_sgpr 65
		.amdhsa_accum_offset 88
		.amdhsa_reserve_vcc 1
		.amdhsa_float_round_mode_32 0
		.amdhsa_float_round_mode_16_64 0
		.amdhsa_float_denorm_mode_32 3
		.amdhsa_float_denorm_mode_16_64 3
		.amdhsa_dx10_clamp 1
		.amdhsa_ieee_mode 1
		.amdhsa_fp16_overflow 0
		.amdhsa_tg_split 0
		.amdhsa_exception_fp_ieee_invalid_op 0
		.amdhsa_exception_fp_denorm_src 0
		.amdhsa_exception_fp_ieee_div_zero 0
		.amdhsa_exception_fp_ieee_overflow 0
		.amdhsa_exception_fp_ieee_underflow 0
		.amdhsa_exception_fp_ieee_inexact 0
		.amdhsa_exception_int_div_zero 0
	.end_amdhsa_kernel
	.section	.text._Z19_skinny_gemm_kernelILi3ELi2ELi3ELi16ELi4EEvPKhS1_P6__halfPKfiiiiiiii,"axG",@progbits,_Z19_skinny_gemm_kernelILi3ELi2ELi3ELi16ELi4EEvPKhS1_P6__halfPKfiiiiiiii,comdat
.Lfunc_end262:
	.size	_Z19_skinny_gemm_kernelILi3ELi2ELi3ELi16ELi4EEvPKhS1_P6__halfPKfiiiiiiii, .Lfunc_end262-_Z19_skinny_gemm_kernelILi3ELi2ELi3ELi16ELi4EEvPKhS1_P6__halfPKfiiiiiiii
                                        ; -- End function
	.set _Z19_skinny_gemm_kernelILi3ELi2ELi3ELi16ELi4EEvPKhS1_P6__halfPKfiiiiiiii.num_vgpr, 88
	.set _Z19_skinny_gemm_kernelILi3ELi2ELi3ELi16ELi4EEvPKhS1_P6__halfPKfiiiiiiii.num_agpr, 0
	.set _Z19_skinny_gemm_kernelILi3ELi2ELi3ELi16ELi4EEvPKhS1_P6__halfPKfiiiiiiii.numbered_sgpr, 65
	.set _Z19_skinny_gemm_kernelILi3ELi2ELi3ELi16ELi4EEvPKhS1_P6__halfPKfiiiiiiii.num_named_barrier, 0
	.set _Z19_skinny_gemm_kernelILi3ELi2ELi3ELi16ELi4EEvPKhS1_P6__halfPKfiiiiiiii.private_seg_size, 0
	.set _Z19_skinny_gemm_kernelILi3ELi2ELi3ELi16ELi4EEvPKhS1_P6__halfPKfiiiiiiii.uses_vcc, 1
	.set _Z19_skinny_gemm_kernelILi3ELi2ELi3ELi16ELi4EEvPKhS1_P6__halfPKfiiiiiiii.uses_flat_scratch, 0
	.set _Z19_skinny_gemm_kernelILi3ELi2ELi3ELi16ELi4EEvPKhS1_P6__halfPKfiiiiiiii.has_dyn_sized_stack, 0
	.set _Z19_skinny_gemm_kernelILi3ELi2ELi3ELi16ELi4EEvPKhS1_P6__halfPKfiiiiiiii.has_recursion, 0
	.set _Z19_skinny_gemm_kernelILi3ELi2ELi3ELi16ELi4EEvPKhS1_P6__halfPKfiiiiiiii.has_indirect_call, 0
	.section	.AMDGPU.csdata,"",@progbits
; Kernel info:
; codeLenInByte = 4900
; TotalNumSgprs: 71
; NumVgprs: 88
; NumAgprs: 0
; TotalNumVgprs: 88
; ScratchSize: 0
; MemoryBound: 0
; FloatMode: 240
; IeeeMode: 1
; LDSByteSize: 30780 bytes/workgroup (compile time only)
; SGPRBlocks: 8
; VGPRBlocks: 10
; NumSGPRsForWavesPerEU: 71
; NumVGPRsForWavesPerEU: 88
; AccumOffset: 88
; Occupancy: 5
; WaveLimiterHint : 0
; COMPUTE_PGM_RSRC2:SCRATCH_EN: 0
; COMPUTE_PGM_RSRC2:USER_SGPR: 2
; COMPUTE_PGM_RSRC2:TRAP_HANDLER: 0
; COMPUTE_PGM_RSRC2:TGID_X_EN: 1
; COMPUTE_PGM_RSRC2:TGID_Y_EN: 0
; COMPUTE_PGM_RSRC2:TGID_Z_EN: 0
; COMPUTE_PGM_RSRC2:TIDIG_COMP_CNT: 0
; COMPUTE_PGM_RSRC3_GFX90A:ACCUM_OFFSET: 21
; COMPUTE_PGM_RSRC3_GFX90A:TG_SPLIT: 0
	.section	.text._Z19_skinny_gemm_kernelILi3ELi2ELi3ELi16ELi8EEvPKhS1_P6__halfPKfiiiiiiii,"axG",@progbits,_Z19_skinny_gemm_kernelILi3ELi2ELi3ELi16ELi8EEvPKhS1_P6__halfPKfiiiiiiii,comdat
	.protected	_Z19_skinny_gemm_kernelILi3ELi2ELi3ELi16ELi8EEvPKhS1_P6__halfPKfiiiiiiii ; -- Begin function _Z19_skinny_gemm_kernelILi3ELi2ELi3ELi16ELi8EEvPKhS1_P6__halfPKfiiiiiiii
	.globl	_Z19_skinny_gemm_kernelILi3ELi2ELi3ELi16ELi8EEvPKhS1_P6__halfPKfiiiiiiii
	.p2align	8
	.type	_Z19_skinny_gemm_kernelILi3ELi2ELi3ELi16ELi8EEvPKhS1_P6__halfPKfiiiiiiii,@function
_Z19_skinny_gemm_kernelILi3ELi2ELi3ELi16ELi8EEvPKhS1_P6__halfPKfiiiiiiii: ; @_Z19_skinny_gemm_kernelILi3ELi2ELi3ELi16ELi8EEvPKhS1_P6__halfPKfiiiiiiii
; %bb.0:
	v_cmp_gt_u32_e32 vcc, 15, v0
	v_lshlrev_b32_e32 v1, 2, v0
	s_and_saveexec_b64 s[4:5], vcc
; %bb.1:
	v_mov_b32_e32 v2, 0
	ds_write_b32 v1, v2 offset:61440
; %bb.2:
	s_or_b64 exec, exec, s[4:5]
	s_load_dwordx8 s[16:23], s[0:1], 0x20
	s_waitcnt lgkmcnt(0)
	s_barrier
	s_add_i32 s3, s16, 47
	s_add_i32 s4, s17, 31
	s_mul_hi_i32 s3, s3, 0x2aaaaaab
	s_lshr_b32 s5, s3, 31
	s_ashr_i32 s33, s3, 3
	s_ashr_i32 s3, s4, 31
	s_lshr_b32 s3, s3, 27
	s_add_i32 s4, s4, s3
	s_add_i32 s33, s33, s5
	s_ashr_i32 s48, s4, 5
	s_mul_i32 s3, s48, s33
	s_mul_i32 s3, s3, s20
	s_add_i32 s4, s3, 0x12f
	s_mul_hi_i32 s4, s4, 0x6bca1af3
	s_lshr_b32 s5, s4, 31
	s_ashr_i32 s4, s4, 7
	s_add_i32 s4, s4, s5
	s_add_i32 s5, s2, 1
	s_mul_i32 s5, s4, s5
	v_cvt_f64_i32_e32 v[2:3], s3
	v_cvt_f64_u32_e32 v[4:5], s5
	v_min_f64 v[2:3], v[2:3], v[4:5]
	v_cvt_i32_f64_e32 v25, v[2:3]
	s_mul_i32 s49, s4, s2
	v_cmp_ge_i32_e32 vcc, s49, v25
	s_cbranch_vccnz .LBB263_55
; %bb.3:
	v_lshrrev_b32_e32 v2, 6, v0
	s_add_i32 s4, s22, s21
	s_load_dwordx8 s[24:31], s[0:1], 0x0
	v_cmp_le_i32_e64 s[0:1], s4, v2
	v_mov_b32_e32 v3, s21
	v_cmp_le_i32_e64 s[2:3], s21, v2
	v_mov_b32_e32 v4, s22
	v_cndmask_b32_e64 v4, 0, v4, s[0:1]
	v_cndmask_b32_e64 v3, 0, v3, s[2:3]
	s_abs_i32 s5, s20
	v_add_u32_e32 v3, v3, v4
	v_cvt_f32_u32_e32 v4, s5
	v_sub_u32_e32 v42, v2, v3
	s_ashr_i32 s6, s18, 31
	s_lshr_b32 s6, s6, 24
	v_rcp_iflag_f32_e32 v3, v4
	s_sub_i32 s9, 0, s5
	s_add_i32 s6, s18, s6
	s_ashr_i32 s6, s6, 8
	v_mul_f32_e32 v3, 0x4f7ffffe, v3
	v_cvt_u32_f32_e32 v3, v3
	s_abs_i32 s8, s6
	s_xor_b32 s7, s6, s20
	s_ashr_i32 s7, s7, 31
	v_readfirstlane_b32 s10, v3
	s_mul_i32 s9, s9, s10
	s_mul_hi_u32 s9, s10, s9
	s_add_i32 s10, s10, s9
	s_mul_hi_u32 s9, s8, s10
	s_mul_i32 s10, s9, s5
	s_sub_i32 s8, s8, s10
	s_add_i32 s10, s9, 1
	s_sub_i32 s11, s8, s5
	s_cmp_ge_u32 s8, s5
	s_cselect_b32 s9, s10, s9
	s_cselect_b32 s8, s11, s8
	s_add_i32 s10, s9, 1
	s_cmp_ge_u32 s8, s5
	s_cselect_b32 s5, s10, s9
	s_xor_b32 s5, s5, s7
	s_sub_i32 s50, s5, s7
	s_add_i32 s20, s20, -1
	s_mul_i32 s5, s50, s20
	s_add_i32 s4, s4, s23
	s_sub_i32 s51, s6, s5
	v_cmp_gt_i32_e64 s[4:5], s4, v2
	v_lshlrev_b32_e32 v2, 1, v0
	v_lshlrev_b32_e32 v3, 4, v0
	v_and_b32_e32 v1, 60, v1
	v_and_b32_e32 v2, 64, v2
	;; [unrolled: 1-line block ×3, first 2 shown]
	v_or3_b32 v93, v1, v2, v4
	v_and_b32_e32 v1, 1, v0
	v_lshrrev_b32_e32 v4, 2, v0
	s_abs_i32 s52, s33
	v_and_or_b32 v98, v4, 12, v1
	v_cvt_f32_u32_e32 v4, s52
	v_lshlrev_b32_e32 v2, 1, v1
	v_and_b32_e32 v24, 14, v0
	v_sub_u32_e32 v2, v0, v2
	v_bitop3_b32 v95, v0, 1, v0 bitop3:0xc
	v_bitop3_b32 v96, v0, 3, 1 bitop3:0x6c
	v_and_b32_e32 v32, 48, v3
	v_bfe_u32 v101, v0, 2, 4
	v_and_b32_e32 v1, 60, v0
	v_lshlrev_b32_e32 v3, 8, v0
	v_lshlrev_b32_e32 v0, 6, v0
	v_and_b32_e32 v3, 0x200, v3
	v_and_b32_e32 v0, 64, v0
	v_or3_b32 v102, v1, v3, v0
	v_rcp_iflag_f32_e32 v0, v4
	s_abs_i32 s54, s48
	v_cvt_f32_u32_e32 v1, s54
	v_mad_u64_u32 v[26:27], s[6:7], s17, v98, v[24:25]
	v_mul_f32_e32 v0, 0x4f7ffffe, v0
	v_cvt_u32_f32_e32 v0, v0
	v_rcp_iflag_f32_e32 v1, v1
	s_lshl_b32 s6, s17, 4
	v_add_u32_e32 v28, s6, v26
	v_readfirstlane_b32 s7, v0
	v_mul_f32_e32 v0, 0x4f7ffffe, v1
	v_cvt_u32_f32_e32 v0, v0
	v_add_u32_e32 v30, s6, v28
	s_sub_i32 s6, 0, s52
	s_mul_i32 s6, s6, s7
	s_mul_hi_u32 s6, s7, s6
	v_add_u32_e32 v2, 1, v2
	s_add_i32 s56, s7, s6
	s_sub_i32 s6, 0, s54
	v_readfirstlane_b32 s7, v0
	v_mbcnt_lo_u32_b32 v0, -1, 0
	v_and_b32_e32 v2, 63, v2
	s_mul_i32 s6, s6, s7
	v_mbcnt_hi_u32_b32 v0, -1, v0
	v_mul_lo_u32 v34, s19, v101
	s_mul_hi_u32 s6, s7, s6
	v_and_or_b32 v0, v0, 64, v2
	v_cndmask_b32_e64 v92, 0, 1, s[0:1]
	v_or_b32_e32 v94, 0x9000, v93
	s_ashr_i32 s35, s17, 31
	s_mov_b32 s34, s17
	v_or_b32_e32 v97, 16, v24
	v_ashrrev_i32_e32 v27, 31, v26
	v_or_b32_e32 v99, 16, v98
	v_ashrrev_i32_e32 v29, 31, v28
	v_or_b32_e32 v100, 32, v98
	v_ashrrev_i32_e32 v31, 31, v30
	v_ashrrev_i32_e32 v35, 31, v34
	v_mov_b32_e32 v33, 0
	v_or_b32_e32 v103, 0x9000, v102
	s_lshl_b32 s53, s19, 4
	v_mul_lo_u32 v104, s18, v101
	s_ashr_i32 s55, s33, 31
	s_ashr_i32 s57, s48, 31
	s_add_i32 s58, s7, s6
	s_movk_i32 s59, 0x3000
	s_mov_b32 s60, 0x55555556
	v_lshlrev_b32_e32 v105, 2, v0
	v_mov_b32_e32 v106, v42
	s_branch .LBB263_7
.LBB263_4:                              ;   in Loop: Header=BB263_7 Depth=1
	s_or_b64 exec, exec, s[10:11]
.LBB263_5:                              ;   in Loop: Header=BB263_7 Depth=1
	s_or_b64 exec, exec, s[8:9]
	v_subrev_u32_e32 v106, s64, v106
.LBB263_6:                              ;   in Loop: Header=BB263_7 Depth=1
	s_or_b64 exec, exec, s[6:7]
	s_add_i32 s49, s49, 1
	v_cmp_ge_i32_e32 vcc, s49, v25
	s_cbranch_vccnz .LBB263_55
.LBB263_7:                              ; =>This Loop Header: Depth=1
                                        ;     Child Loop BB263_13 Depth 2
                                        ;       Child Loop BB263_15 Depth 3
                                        ;       Child Loop BB263_18 Depth 3
	;; [unrolled: 1-line block ×5, first 2 shown]
                                        ;     Child Loop BB263_42 Depth 2
                                        ;       Child Loop BB263_44 Depth 3
                                        ;     Child Loop BB263_52 Depth 2
                                        ;       Child Loop BB263_54 Depth 3
	s_abs_i32 s7, s49
	s_mul_hi_u32 s8, s7, s56
	s_mul_i32 s9, s8, s52
	s_ashr_i32 s6, s49, 31
	s_sub_i32 s7, s7, s9
	s_xor_b32 s6, s6, s55
	s_add_i32 s9, s8, 1
	s_sub_i32 s10, s7, s52
	s_cmp_ge_u32 s7, s52
	s_cselect_b32 s8, s9, s8
	s_cselect_b32 s7, s10, s7
	s_add_i32 s9, s8, 1
	s_cmp_ge_u32 s7, s52
	s_cselect_b32 s7, s9, s8
	s_xor_b32 s7, s7, s6
	s_sub_i32 s6, s7, s6
	s_abs_i32 s8, s6
	s_mul_hi_u32 s9, s8, s58
	s_mul_i32 s7, s6, s33
	s_mul_i32 s10, s9, s54
	s_sub_i32 s61, s49, s7
	s_ashr_i32 s7, s6, 31
	s_sub_i32 s8, s8, s10
	s_xor_b32 s7, s7, s57
	s_add_i32 s10, s9, 1
	s_sub_i32 s11, s8, s54
	s_cmp_ge_u32 s8, s54
	s_cselect_b32 s9, s10, s9
	s_cselect_b32 s8, s11, s8
	s_add_i32 s10, s9, 1
	s_cmp_ge_u32 s8, s54
	s_cselect_b32 s8, s10, s9
	s_xor_b32 s8, s8, s7
	s_sub_i32 s7, s8, s7
	s_mul_i32 s8, s7, s50
	s_lshl_b32 s62, s8, 8
	s_mul_i32 s61, s61, 48
	s_cmp_eq_u32 s7, s20
	s_cselect_b32 s64, s51, s50
	s_sub_i32 s8, s61, s16
	s_add_i32 s8, s8, 48
	s_max_i32 s63, s8, 0
	s_and_saveexec_b64 s[8:9], s[2:3]
	s_xor_b64 s[36:37], exec, s[8:9]
	s_cbranch_execz .LBB263_48
; %bb.8:                                ;   in Loop: Header=BB263_7 Depth=1
	s_mul_i32 s7, s7, s48
	s_sub_i32 s6, s6, s7
	s_lshl_b32 s6, s6, 5
	s_sub_i32 s14, s6, s17
	s_add_i32 s14, s14, 32
	s_max_i32 s7, s14, 0
	s_sub_i32 s38, s6, s7
	s_and_saveexec_b64 s[6:7], s[0:1]
	s_xor_b64 s[40:41], exec, s[6:7]
	s_cbranch_execz .LBB263_38
; %bb.9:                                ;   in Loop: Header=BB263_7 Depth=1
	s_and_saveexec_b64 s[42:43], s[4:5]
	s_cbranch_execz .LBB263_37
; %bb.10:                               ;   in Loop: Header=BB263_7 Depth=1
	s_waitcnt lgkmcnt(0)
	global_load_dword v107, v33, s[30:31]
	v_mov_b32_e32 v23, 0
	v_cmp_gt_i32_e32 vcc, s64, v106
	v_mov_b32_e32 v22, v23
	v_mov_b32_e32 v21, v23
	;; [unrolled: 1-line block ×23, first 2 shown]
	s_and_saveexec_b64 s[6:7], vcc
	s_cbranch_execz .LBB263_29
; %bb.11:                               ;   in Loop: Header=BB263_7 Depth=1
	v_mov_b32_e32 v0, 0
	s_mov_b64 s[8:9], 0
	v_mov_b32_e32 v1, v0
	v_mov_b32_e32 v2, v0
	;; [unrolled: 1-line block ×23, first 2 shown]
	s_branch .LBB263_13
.LBB263_12:                             ;   in Loop: Header=BB263_13 Depth=2
	s_or_b64 exec, exec, s[10:11]
	v_add_u32_e32 v48, 0x1000, v110
	ds_read2_b32 v[46:47], v48 offset1:32
	v_add_u32_e32 v50, 0x1400, v110
	v_add_u32_e32 v106, s23, v106
	s_waitcnt lgkmcnt(0)
	v_mfma_f32_16x16x32_fp8_fp8 v[16:19], v[36:37], v[46:47], v[16:19]
	ds_read2_b32 v[36:37], v48 offset0:128 offset1:160
	ds_read2_b32 v[48:49], v50 offset1:32
	ds_read2_b32 v[50:51], v50 offset0:128 offset1:160
	v_mfma_f32_16x16x32_fp8_fp8 v[8:11], v[68:69], v[46:47], v[8:11]
	v_mfma_f32_16x16x32_fp8_fp8 v[0:3], v[84:85], v[46:47], v[0:3]
	s_waitcnt lgkmcnt(2)
	v_mfma_f32_16x16x32_fp8_fp8 v[16:19], v[54:55], v[36:37], v[16:19]
	v_add_u32_e32 v54, 0x1800, v110
	ds_read2_b32 v[52:53], v54 offset1:32
	ds_read2_b32 v[54:55], v54 offset0:128 offset1:160
	v_mfma_f32_16x16x32_fp8_fp8 v[8:11], v[70:71], v[36:37], v[8:11]
	v_mfma_f32_16x16x32_fp8_fp8 v[0:3], v[86:87], v[36:37], v[0:3]
	v_add_u32_e32 v36, 2, v92
	s_waitcnt lgkmcnt(3)
	v_mfma_f32_16x16x32_fp8_fp8 v[16:19], v[60:61], v[48:49], v[16:19]
	v_add_u32_e32 v60, 0x1c00, v110
	v_mfma_f32_16x16x32_fp8_fp8 v[8:11], v[72:73], v[48:49], v[8:11]
	v_mfma_f32_16x16x32_fp8_fp8 v[0:3], v[88:89], v[48:49], v[0:3]
	s_waitcnt lgkmcnt(2)
	v_mfma_f32_16x16x32_fp8_fp8 v[16:19], v[56:57], v[50:51], v[16:19]
	ds_read2_b32 v[56:57], v60 offset1:32
	v_mfma_f32_16x16x32_fp8_fp8 v[8:11], v[74:75], v[50:51], v[8:11]
	v_mfma_f32_16x16x32_fp8_fp8 v[0:3], v[90:91], v[50:51], v[0:3]
	s_waitcnt lgkmcnt(2)
	v_mfma_f32_16x16x32_fp8_fp8 v[16:19], v[62:63], v[52:53], v[16:19]
	v_mfma_f32_16x16x32_fp8_fp8 v[8:11], v[76:77], v[52:53], v[8:11]
	;; [unrolled: 1-line block ×3, first 2 shown]
	v_add_u32_e32 v42, s23, v108
	v_cmp_lt_i32_e32 vcc, 2, v42
	s_waitcnt lgkmcnt(1)
	v_mfma_f32_16x16x32_fp8_fp8 v[16:19], v[58:59], v[54:55], v[16:19]
	ds_read2_b32 v[58:59], v60 offset0:128 offset1:160
	v_cndmask_b32_e32 v92, v92, v36, vcc
	v_cmp_le_i32_e32 vcc, s64, v106
	v_mfma_f32_16x16x32_fp8_fp8 v[8:11], v[78:79], v[54:55], v[8:11]
	s_or_b64 s[8:9], vcc, s[8:9]
	;;#ASMSTART
	s_waitcnt lgkmcnt(0)
	;;#ASMEND
	ds_write_b32 v109, v111 offset:61480
	v_mfma_f32_16x16x32_fp8_fp8 v[0:3], v[44:45], v[54:55], v[0:3]
	s_waitcnt lgkmcnt(2)
	v_mfma_f32_16x16x32_fp8_fp8 v[16:19], v[64:65], v[56:57], v[16:19]
	v_mfma_f32_16x16x32_fp8_fp8 v[8:11], v[80:81], v[56:57], v[8:11]
	;; [unrolled: 1-line block ×3, first 2 shown]
	s_waitcnt lgkmcnt(1)
	v_mfma_f32_16x16x32_fp8_fp8 v[16:19], v[66:67], v[58:59], v[16:19]
	v_mfma_f32_16x16x32_fp8_fp8 v[8:11], v[82:83], v[58:59], v[8:11]
	;; [unrolled: 1-line block ×3, first 2 shown]
	s_andn2_b64 exec, exec, s[8:9]
	s_cbranch_execz .LBB263_28
.LBB263_13:                             ;   Parent Loop BB263_7 Depth=1
                                        ; =>  This Loop Header: Depth=2
                                        ;       Child Loop BB263_15 Depth 3
                                        ;       Child Loop BB263_18 Depth 3
	;; [unrolled: 1-line block ×5, first 2 shown]
	v_cmp_gt_i32_e32 vcc, 3, v42
	s_nop 1
	v_cndmask_b32_e64 v36, -3, 0, vcc
	v_add_u32_e32 v108, v36, v42
	v_lshlrev_b32_e32 v109, 3, v108
	ds_read_b32 v36, v109 offset:61476
	s_waitcnt lgkmcnt(0)
	v_cmp_ne_u32_e32 vcc, v36, v92
	s_and_saveexec_b64 s[10:11], vcc
	s_cbranch_execz .LBB263_16
; %bb.14:                               ;   in Loop: Header=BB263_13 Depth=2
	s_mov_b64 s[12:13], 0
.LBB263_15:                             ;   Parent Loop BB263_7 Depth=1
                                        ;     Parent Loop BB263_13 Depth=2
                                        ; =>    This Inner Loop Header: Depth=3
	;;#ASMSTART
	s_sleep 0
	;;#ASMEND
	ds_read_b32 v36, v109 offset:61476
	s_waitcnt lgkmcnt(0)
	v_cmp_eq_u32_e32 vcc, v36, v92
	s_or_b64 s[12:13], vcc, s[12:13]
	s_andn2_b64 exec, exec, s[12:13]
	s_cbranch_execnz .LBB263_15
.LBB263_16:                             ;   in Loop: Header=BB263_13 Depth=2
	s_or_b64 exec, exec, s[10:11]
	v_lshlrev_b32_e32 v36, 13, v108
	v_add_u32_e32 v110, v94, v36
	v_add_u32_e32 v36, 0x400, v110
	ds_read2_b32 v[38:39], v110 offset1:32
	ds_read2_b32 v[40:41], v110 offset0:128 offset1:160
	ds_read2_b32 v[42:43], v36 offset1:32
	ds_read2_b32 v[44:45], v36 offset0:128 offset1:160
	v_add_u32_e32 v36, 0x800, v110
	ds_read2_b32 v[46:47], v36 offset1:32
	ds_read2_b32 v[48:49], v36 offset0:128 offset1:160
	v_add_u32_e32 v36, 0xc00, v110
	v_add_u32_e32 v111, 1, v92
	ds_read2_b32 v[52:53], v36 offset1:32
	ds_read2_b32 v[50:51], v36 offset0:128 offset1:160
	;;#ASMSTART
	s_waitcnt lgkmcnt(0)
	;;#ASMEND
	ds_write_b32 v109, v111 offset:61476
	v_mul_lo_u32 v112, v108, 12
	ds_read_b32 v36, v112 offset:61440
	s_waitcnt lgkmcnt(0)
	v_cmp_ne_u32_e32 vcc, v36, v92
	s_and_saveexec_b64 s[10:11], vcc
	s_cbranch_execz .LBB263_19
; %bb.17:                               ;   in Loop: Header=BB263_13 Depth=2
	s_mov_b64 s[12:13], 0
.LBB263_18:                             ;   Parent Loop BB263_7 Depth=1
                                        ;     Parent Loop BB263_13 Depth=2
                                        ; =>    This Inner Loop Header: Depth=3
	;;#ASMSTART
	s_sleep 0
	;;#ASMEND
	ds_read_b32 v36, v112 offset:61440
	s_waitcnt lgkmcnt(0)
	v_cmp_eq_u32_e32 vcc, v36, v92
	s_or_b64 s[12:13], vcc, s[12:13]
	s_andn2_b64 exec, exec, s[12:13]
	s_cbranch_execnz .LBB263_18
.LBB263_19:                             ;   in Loop: Header=BB263_13 Depth=2
	s_or_b64 exec, exec, s[10:11]
	v_mul_lo_u32 v68, v108, s59
	v_or_b32_e32 v64, v93, v68
	ds_read2_b32 v[36:37], v64 offset1:32
	ds_read2_b32 v[54:55], v64 offset0:128 offset1:160
	v_add_u32_e32 v56, 0x400, v64
	ds_read2_b32 v[60:61], v56 offset1:32
	ds_read2_b32 v[56:57], v56 offset0:128 offset1:160
	v_add_u32_e32 v58, 0x800, v64
	ds_read2_b32 v[62:63], v58 offset1:32
	ds_read2_b32 v[58:59], v58 offset0:128 offset1:160
	v_add_u32_e32 v66, 0xc00, v64
	s_waitcnt lgkmcnt(5)
	v_mfma_f32_16x16x32_fp8_fp8 v[20:23], v[36:37], v[38:39], v[20:23]
	ds_read2_b32 v[64:65], v66 offset1:32
	ds_read2_b32 v[66:67], v66 offset0:128 offset1:160
	ds_read_b32 v69, v112 offset:61444
	ds_write_b32 v112, v111 offset:61440
	s_waitcnt lgkmcnt(8)
	v_mfma_f32_16x16x32_fp8_fp8 v[20:23], v[54:55], v[40:41], v[20:23]
	s_waitcnt lgkmcnt(1)
	v_cmp_ne_u32_e32 vcc, v69, v92
	v_mfma_f32_16x16x32_fp8_fp8 v[20:23], v[60:61], v[42:43], v[20:23]
	v_mfma_f32_16x16x32_fp8_fp8 v[20:23], v[56:57], v[44:45], v[20:23]
	;; [unrolled: 1-line block ×6, first 2 shown]
	s_and_saveexec_b64 s[10:11], vcc
	s_cbranch_execz .LBB263_22
; %bb.20:                               ;   in Loop: Header=BB263_13 Depth=2
	s_mov_b64 s[12:13], 0
.LBB263_21:                             ;   Parent Loop BB263_7 Depth=1
                                        ;     Parent Loop BB263_13 Depth=2
                                        ; =>    This Inner Loop Header: Depth=3
	;;#ASMSTART
	s_sleep 0
	;;#ASMEND
	ds_read_b32 v69, v112 offset:61444
	s_waitcnt lgkmcnt(0)
	v_cmp_eq_u32_e32 vcc, v69, v92
	s_or_b64 s[12:13], vcc, s[12:13]
	s_andn2_b64 exec, exec, s[12:13]
	s_cbranch_execnz .LBB263_21
.LBB263_22:                             ;   in Loop: Header=BB263_13 Depth=2
	s_or_b64 exec, exec, s[10:11]
	v_add_u32_e32 v113, v93, v68
	v_add_u32_e32 v70, 0x1000, v113
	ds_read2_b32 v[68:69], v70 offset1:32
	ds_read2_b32 v[70:71], v70 offset0:128 offset1:160
	v_add_u32_e32 v74, 0x1400, v113
	ds_read2_b32 v[72:73], v74 offset1:32
	ds_read2_b32 v[74:75], v74 offset0:128 offset1:160
	;; [unrolled: 3-line block ×3, first 2 shown]
	v_add_u32_e32 v82, 0x1c00, v113
	s_waitcnt lgkmcnt(5)
	v_mfma_f32_16x16x32_fp8_fp8 v[12:15], v[68:69], v[38:39], v[12:15]
	ds_read2_b32 v[80:81], v82 offset1:32
	ds_read2_b32 v[82:83], v82 offset0:128 offset1:160
	ds_read_b32 v84, v112 offset:61448
	ds_write_b32 v112, v111 offset:61444
	s_waitcnt lgkmcnt(8)
	v_mfma_f32_16x16x32_fp8_fp8 v[12:15], v[70:71], v[40:41], v[12:15]
	s_waitcnt lgkmcnt(1)
	v_cmp_ne_u32_e32 vcc, v84, v92
	v_mfma_f32_16x16x32_fp8_fp8 v[12:15], v[72:73], v[42:43], v[12:15]
	v_mfma_f32_16x16x32_fp8_fp8 v[12:15], v[74:75], v[44:45], v[12:15]
	;; [unrolled: 1-line block ×6, first 2 shown]
	s_and_saveexec_b64 s[10:11], vcc
	s_cbranch_execz .LBB263_25
; %bb.23:                               ;   in Loop: Header=BB263_13 Depth=2
	s_mov_b64 s[12:13], 0
.LBB263_24:                             ;   Parent Loop BB263_7 Depth=1
                                        ;     Parent Loop BB263_13 Depth=2
                                        ; =>    This Inner Loop Header: Depth=3
	;;#ASMSTART
	s_sleep 0
	;;#ASMEND
	ds_read_b32 v84, v112 offset:61448
	s_waitcnt lgkmcnt(0)
	v_cmp_eq_u32_e32 vcc, v84, v92
	s_or_b64 s[12:13], vcc, s[12:13]
	s_andn2_b64 exec, exec, s[12:13]
	s_cbranch_execnz .LBB263_24
.LBB263_25:                             ;   in Loop: Header=BB263_13 Depth=2
	s_or_b64 exec, exec, s[10:11]
	v_add_u32_e32 v86, 0x2000, v113
	ds_read2_b32 v[84:85], v86 offset1:32
	ds_read2_b32 v[86:87], v86 offset0:128 offset1:160
	v_add_u32_e32 v90, 0x2400, v113
	ds_read2_b32 v[88:89], v90 offset1:32
	ds_read2_b32 v[90:91], v90 offset0:128 offset1:160
	s_waitcnt lgkmcnt(3)
	v_mfma_f32_16x16x32_fp8_fp8 v[4:7], v[84:85], v[38:39], v[4:7]
	v_add_u32_e32 v38, 0x2800, v113
	ds_write_b32 v112, v111 offset:61448
	s_waitcnt lgkmcnt(3)
	v_mfma_f32_16x16x32_fp8_fp8 v[4:7], v[86:87], v[40:41], v[4:7]
	s_waitcnt lgkmcnt(2)
	v_mfma_f32_16x16x32_fp8_fp8 v[4:7], v[88:89], v[42:43], v[4:7]
	ds_read2_b32 v[42:43], v38 offset1:32
	s_waitcnt lgkmcnt(2)
	v_mfma_f32_16x16x32_fp8_fp8 v[4:7], v[90:91], v[44:45], v[4:7]
	ds_read2_b32 v[44:45], v38 offset0:128 offset1:160
	v_add_u32_e32 v38, 0x2c00, v113
	ds_read2_b32 v[40:41], v38 offset1:32
	ds_read2_b32 v[38:39], v38 offset0:128 offset1:160
	s_waitcnt lgkmcnt(3)
	v_mfma_f32_16x16x32_fp8_fp8 v[4:7], v[42:43], v[46:47], v[4:7]
	ds_read_b32 v46, v109 offset:61480
	s_waitcnt lgkmcnt(0)
	v_cmp_ne_u32_e32 vcc, v46, v92
	v_mfma_f32_16x16x32_fp8_fp8 v[4:7], v[44:45], v[48:49], v[4:7]
	v_mfma_f32_16x16x32_fp8_fp8 v[4:7], v[40:41], v[52:53], v[4:7]
	v_mfma_f32_16x16x32_fp8_fp8 v[4:7], v[38:39], v[50:51], v[4:7]
	s_and_saveexec_b64 s[10:11], vcc
	s_cbranch_execz .LBB263_12
; %bb.26:                               ;   in Loop: Header=BB263_13 Depth=2
	s_mov_b64 s[12:13], 0
.LBB263_27:                             ;   Parent Loop BB263_7 Depth=1
                                        ;     Parent Loop BB263_13 Depth=2
                                        ; =>    This Inner Loop Header: Depth=3
	;;#ASMSTART
	s_sleep 0
	;;#ASMEND
	ds_read_b32 v46, v109 offset:61480
	s_waitcnt lgkmcnt(0)
	v_cmp_eq_u32_e32 vcc, v46, v92
	s_or_b64 s[12:13], vcc, s[12:13]
	s_andn2_b64 exec, exec, s[12:13]
	s_cbranch_execnz .LBB263_27
	s_branch .LBB263_12
.LBB263_28:                             ;   in Loop: Header=BB263_7 Depth=1
	s_or_b64 exec, exec, s[8:9]
.LBB263_29:                             ;   in Loop: Header=BB263_7 Depth=1
	s_or_b64 exec, exec, s[6:7]
	v_cmp_le_i32_e32 vcc, s14, v24
	v_cmp_eq_u32_e64 s[6:7], 2, v95
	v_cmp_eq_u32_e64 s[8:9], 3, v95
	s_waitcnt vmcnt(0)
	v_cndmask_b32_e32 v36, 0, v107, vcc
	v_pk_mul_f32 v[20:21], v[36:37], v[20:21] op_sel_hi:[0,1]
	v_cmp_eq_u32_e32 vcc, 1, v95
	v_pk_mul_f32 v[38:39], v[36:37], v[22:23] op_sel_hi:[0,1]
	v_cmp_eq_u32_e64 s[10:11], 0, v95
	v_cndmask_b32_e32 v22, v20, v21, vcc
	v_cndmask_b32_e64 v22, v22, v38, s[6:7]
	v_cndmask_b32_e64 v22, v22, v39, s[8:9]
	ds_bpermute_b32 v37, v105, v22
	v_cmp_le_i32_e64 s[14:15], s14, v97
	v_cmp_eq_u32_e64 s[12:13], 1, v96
	s_waitcnt lgkmcnt(0)
	v_cndmask_b32_e64 v22, v39, v37, s[8:9]
	v_cndmask_b32_e64 v23, v38, v37, s[6:7]
	v_cndmask_b32_e32 v21, v21, v37, vcc
	v_cndmask_b32_e64 v37, v20, v37, s[10:11]
	v_cndmask_b32_e64 v20, 0, v107, s[14:15]
	v_pk_mul_f32 v[44:45], v[20:21], v[16:17] op_sel_hi:[0,1]
	v_pk_mul_f32 v[40:41], v[20:21], v[18:19] op_sel_hi:[0,1]
	v_cndmask_b32_e32 v16, v44, v45, vcc
	v_cndmask_b32_e64 v16, v16, v40, s[6:7]
	v_cndmask_b32_e64 v16, v16, v41, s[8:9]
	ds_bpermute_b32 v17, v105, v16
	v_cndmask_b32_e64 v38, v37, v21, s[12:13]
	v_cmp_eq_u32_e32 vcc, 2, v96
	v_cmp_eq_u32_e64 s[14:15], 3, v96
	s_waitcnt lgkmcnt(0)
	v_cndmask_b32_e64 v19, v40, v17, s[6:7]
	v_cndmask_b32_e32 v16, v38, v23, vcc
	v_cndmask_b32_e64 v16, v16, v22, s[14:15]
	v_cmp_ne_u32_e64 s[6:7], 0, v95
	ds_bpermute_b32 v38, v105, v16
	v_cndmask_b32_e64 v18, v41, v17, s[8:9]
	v_cndmask_b32_e64 v16, v45, v17, s[6:7]
	;; [unrolled: 1-line block ×4, first 2 shown]
	v_cndmask_b32_e32 v39, v39, v19, vcc
	v_cndmask_b32_e64 v39, v39, v18, s[14:15]
	ds_bpermute_b32 v39, v105, v39
	v_add_u32_e32 v40, s63, v98
	v_cmp_gt_u32_e32 vcc, 48, v40
	s_and_saveexec_b64 s[44:45], vcc
	s_cbranch_execz .LBB263_36
; %bb.30:                               ;   in Loop: Header=BB263_7 Depth=1
	v_cmp_eq_u32_e64 s[8:9], 1, v96
	v_cmp_eq_u32_e64 s[10:11], 0, v96
	v_cmp_eq_u32_e32 vcc, 3, v96
	s_waitcnt lgkmcnt(1)
	v_cndmask_b32_e64 v21, v21, v38, s[8:9]
	s_waitcnt lgkmcnt(0)
	v_cndmask_b32_e64 v41, v16, v39, s[8:9]
	s_mul_i32 s8, s61, s17
	s_ashr_i32 s9, s8, 31
	s_lshl_b64 s[8:9], s[8:9], 1
	v_cndmask_b32_e64 v37, v37, v38, s[10:11]
	v_cndmask_b32_e64 v43, v17, v39, s[10:11]
	s_add_u32 s10, s28, s8
	s_addc_u32 s11, s29, s9
	s_ashr_i32 s39, s38, 31
	v_cvt_f16_f32_e32 v37, v37
	v_cvt_f16_f32_sdwa v21, v21 dst_sel:WORD_1 dst_unused:UNUSED_PAD src0_sel:DWORD
	s_lshl_b64 s[8:9], s[38:39], 1
	v_cvt_f16_f32_e32 v43, v43
	v_cvt_f16_f32_sdwa v41, v41 dst_sel:WORD_1 dst_unused:UNUSED_PAD src0_sel:DWORD
	s_add_u32 s46, s10, s8
	s_addc_u32 s47, s11, s9
	v_cmp_eq_u32_e64 s[6:7], 2, v96
	v_lshl_add_u64 v[16:17], v[26:27], 1, s[46:47]
	v_or_b32_e32 v21, v21, v37
	v_cmp_gt_u32_e64 s[8:9], 46, v40
	;;#ASMSTART
	global_atomic_pk_add_f16 v[16:17], v21, off
	
	;;#ASMEND
	v_lshl_add_u64 v[44:45], v[16:17], 0, 32
	v_or_b32_e32 v21, v41, v43
	;;#ASMSTART
	global_atomic_pk_add_f16 v[44:45], v21, off
	
	;;#ASMEND
	s_and_b64 exec, exec, s[8:9]
	s_cbranch_execz .LBB263_36
; %bb.31:                               ;   in Loop: Header=BB263_7 Depth=1
	v_mov_b32_e32 v37, v36
	v_cndmask_b32_e32 v22, v22, v38, vcc
	v_cndmask_b32_e64 v23, v23, v38, s[6:7]
	v_cndmask_b32_e32 v38, v18, v39, vcc
	v_cndmask_b32_e64 v39, v19, v39, s[6:7]
	v_mov_b32_e32 v18, v36
	v_mov_b32_e32 v19, v36
	v_pk_mul_f32 v[14:15], v[18:19], v[14:15]
	v_pk_mul_f32 v[18:19], v[36:37], v[12:13]
	v_cmp_eq_u32_e32 vcc, 1, v95
	v_cmp_eq_u32_e64 s[6:7], 2, v95
	v_cmp_eq_u32_e64 s[8:9], 3, v95
	v_cndmask_b32_e32 v12, v18, v19, vcc
	v_cndmask_b32_e64 v12, v12, v14, s[6:7]
	v_cndmask_b32_e64 v12, v12, v15, s[8:9]
	v_cvt_f16_f32_e32 v23, v23
	v_cvt_f16_f32_sdwa v22, v22 dst_sel:WORD_1 dst_unused:UNUSED_PAD src0_sel:DWORD
	ds_bpermute_b32 v40, v105, v12
	v_mov_b32_e32 v21, v20
	v_lshl_add_u64 v[16:17], s[34:35], 2, v[16:17]
	v_or_b32_e32 v22, v22, v23
	v_cmp_eq_u32_e64 s[10:11], 0, v95
	;;#ASMSTART
	global_atomic_pk_add_f16 v[16:17], v22, off
	
	;;#ASMEND
	v_cvt_f16_f32_e32 v41, v39
	v_cvt_f16_f32_sdwa v43, v38 dst_sel:WORD_1 dst_unused:UNUSED_PAD src0_sel:DWORD
	v_lshl_add_u64 v[22:23], v[16:17], 0, 32
	s_waitcnt lgkmcnt(0)
	v_cndmask_b32_e64 v12, v15, v40, s[8:9]
	v_cndmask_b32_e32 v15, v19, v40, vcc
	v_cndmask_b32_e64 v16, v18, v40, s[10:11]
	v_mov_b32_e32 v18, v20
	v_mov_b32_e32 v19, v20
	v_pk_mul_f32 v[38:39], v[20:21], v[8:9]
	v_pk_mul_f32 v[18:19], v[18:19], v[10:11]
	v_cndmask_b32_e32 v8, v38, v39, vcc
	v_cndmask_b32_e64 v8, v8, v18, s[6:7]
	v_cndmask_b32_e64 v8, v8, v19, s[8:9]
	ds_bpermute_b32 v9, v105, v8
	v_cmp_eq_u32_e64 s[12:13], 1, v96
	v_cndmask_b32_e64 v13, v14, v40, s[6:7]
	v_cmp_eq_u32_e32 vcc, 2, v96
	v_cndmask_b32_e64 v14, v16, v15, s[12:13]
	v_cmp_eq_u32_e64 s[14:15], 3, v96
	v_cndmask_b32_e32 v8, v14, v13, vcc
	s_waitcnt lgkmcnt(0)
	v_cndmask_b32_e64 v11, v18, v9, s[6:7]
	v_cndmask_b32_e64 v8, v8, v12, s[14:15]
	v_cmp_ne_u32_e64 s[6:7], 0, v95
	ds_bpermute_b32 v14, v105, v8
	v_cndmask_b32_e64 v10, v19, v9, s[8:9]
	v_cndmask_b32_e64 v8, v39, v9, s[6:7]
	;; [unrolled: 1-line block ×4, first 2 shown]
	v_cndmask_b32_e32 v17, v17, v11, vcc
	v_cndmask_b32_e64 v17, v17, v10, s[14:15]
	ds_bpermute_b32 v17, v105, v17
	v_or_b32_e32 v18, v43, v41
	;;#ASMSTART
	global_atomic_pk_add_f16 v[22:23], v18, off
	
	;;#ASMEND
	v_add_u32_e32 v18, s63, v99
	v_cmp_gt_u32_e32 vcc, 48, v18
	s_and_b64 exec, exec, vcc
	s_cbranch_execz .LBB263_36
; %bb.32:                               ;   in Loop: Header=BB263_7 Depth=1
	v_cmp_eq_u32_e64 s[8:9], 1, v96
	v_cmp_eq_u32_e64 s[10:11], 0, v96
	v_cmp_eq_u32_e32 vcc, 3, v96
	s_waitcnt lgkmcnt(1)
	v_cndmask_b32_e64 v15, v15, v14, s[8:9]
	v_cndmask_b32_e64 v16, v16, v14, s[10:11]
	s_waitcnt lgkmcnt(0)
	v_cndmask_b32_e64 v19, v8, v17, s[8:9]
	v_cndmask_b32_e64 v22, v9, v17, s[10:11]
	v_cvt_f16_f32_e32 v16, v16
	v_cvt_f16_f32_sdwa v15, v15 dst_sel:WORD_1 dst_unused:UNUSED_PAD src0_sel:DWORD
	v_cvt_f16_f32_e32 v38, v22
	v_cvt_f16_f32_sdwa v19, v19 dst_sel:WORD_1 dst_unused:UNUSED_PAD src0_sel:DWORD
	v_cmp_eq_u32_e64 s[6:7], 2, v96
	v_lshl_add_u64 v[8:9], v[28:29], 1, s[46:47]
	v_or_b32_e32 v15, v15, v16
	v_cmp_gt_u32_e64 s[8:9], 46, v18
	;;#ASMSTART
	global_atomic_pk_add_f16 v[8:9], v15, off
	
	;;#ASMEND
	v_lshl_add_u64 v[22:23], v[8:9], 0, 32
	v_or_b32_e32 v15, v19, v38
	;;#ASMSTART
	global_atomic_pk_add_f16 v[22:23], v15, off
	
	;;#ASMEND
	s_and_b64 exec, exec, s[8:9]
	s_cbranch_execz .LBB263_36
; %bb.33:                               ;   in Loop: Header=BB263_7 Depth=1
	v_cndmask_b32_e32 v12, v12, v14, vcc
	v_cndmask_b32_e64 v13, v13, v14, s[6:7]
	v_cndmask_b32_e32 v14, v10, v17, vcc
	v_cndmask_b32_e64 v15, v11, v17, s[6:7]
	v_mov_b32_e32 v10, v36
	v_mov_b32_e32 v11, v36
	v_pk_mul_f32 v[6:7], v[10:11], v[6:7]
	v_pk_mul_f32 v[10:11], v[36:37], v[4:5]
	v_cmp_eq_u32_e32 vcc, 1, v95
	v_cmp_eq_u32_e64 s[6:7], 2, v95
	v_cmp_eq_u32_e64 s[8:9], 3, v95
	v_cndmask_b32_e32 v4, v10, v11, vcc
	v_cndmask_b32_e64 v4, v4, v6, s[6:7]
	v_cndmask_b32_e64 v4, v4, v7, s[8:9]
	v_cvt_f16_f32_e32 v13, v13
	v_cvt_f16_f32_sdwa v12, v12 dst_sel:WORD_1 dst_unused:UNUSED_PAD src0_sel:DWORD
	ds_bpermute_b32 v16, v105, v4
	v_lshl_add_u64 v[8:9], s[34:35], 2, v[8:9]
	v_cmp_eq_u32_e64 s[10:11], 0, v95
	v_or_b32_e32 v12, v12, v13
	;;#ASMSTART
	global_atomic_pk_add_f16 v[8:9], v12, off
	
	;;#ASMEND
	v_lshl_add_u64 v[12:13], v[8:9], 0, 32
	s_waitcnt lgkmcnt(0)
	v_cndmask_b32_e64 v4, v7, v16, s[8:9]
	v_cndmask_b32_e64 v5, v6, v16, s[6:7]
	v_cndmask_b32_e32 v6, v11, v16, vcc
	v_cndmask_b32_e64 v7, v10, v16, s[10:11]
	v_mov_b32_e32 v8, v20
	v_mov_b32_e32 v9, v20
	v_pk_mul_f32 v[10:11], v[20:21], v[0:1]
	v_pk_mul_f32 v[8:9], v[8:9], v[2:3]
	v_cndmask_b32_e32 v0, v10, v11, vcc
	v_cndmask_b32_e64 v0, v0, v8, s[6:7]
	v_cndmask_b32_e64 v0, v0, v9, s[8:9]
	ds_bpermute_b32 v1, v105, v0
	v_cmp_eq_u32_e64 s[12:13], 1, v96
	v_cmp_eq_u32_e32 vcc, 2, v96
	v_cmp_eq_u32_e64 s[14:15], 3, v96
	v_cndmask_b32_e64 v16, v7, v6, s[12:13]
	v_cndmask_b32_e32 v0, v16, v5, vcc
	v_cndmask_b32_e64 v0, v0, v4, s[14:15]
	s_waitcnt lgkmcnt(0)
	v_cndmask_b32_e64 v8, v8, v1, s[6:7]
	v_cmp_ne_u32_e64 s[6:7], 0, v95
	ds_bpermute_b32 v2, v105, v0
	v_cndmask_b32_e64 v3, v9, v1, s[8:9]
	v_cndmask_b32_e64 v0, v11, v1, s[6:7]
	;; [unrolled: 1-line block ×4, first 2 shown]
	v_cvt_f16_f32_e32 v15, v15
	v_cvt_f16_f32_sdwa v14, v14 dst_sel:WORD_1 dst_unused:UNUSED_PAD src0_sel:DWORD
	v_cndmask_b32_e32 v9, v9, v8, vcc
	v_cndmask_b32_e64 v9, v9, v3, s[14:15]
	ds_bpermute_b32 v9, v105, v9
	v_or_b32_e32 v10, v14, v15
	;;#ASMSTART
	global_atomic_pk_add_f16 v[12:13], v10, off
	
	;;#ASMEND
	v_add_u32_e32 v10, s63, v100
	v_cmp_gt_u32_e32 vcc, 48, v10
	s_and_b64 exec, exec, vcc
	s_cbranch_execz .LBB263_36
; %bb.34:                               ;   in Loop: Header=BB263_7 Depth=1
	v_cmp_eq_u32_e64 s[8:9], 1, v96
	v_cmp_eq_u32_e64 s[10:11], 0, v96
	v_cmp_eq_u32_e32 vcc, 3, v96
	s_waitcnt lgkmcnt(1)
	v_cndmask_b32_e64 v6, v6, v2, s[8:9]
	v_cndmask_b32_e64 v7, v7, v2, s[10:11]
	s_waitcnt lgkmcnt(0)
	v_cndmask_b32_e64 v11, v0, v9, s[8:9]
	v_cndmask_b32_e64 v12, v1, v9, s[10:11]
	v_cvt_f16_f32_e32 v7, v7
	v_cvt_f16_f32_sdwa v6, v6 dst_sel:WORD_1 dst_unused:UNUSED_PAD src0_sel:DWORD
	v_cvt_f16_f32_e32 v12, v12
	v_cvt_f16_f32_sdwa v11, v11 dst_sel:WORD_1 dst_unused:UNUSED_PAD src0_sel:DWORD
	v_cmp_eq_u32_e64 s[6:7], 2, v96
	v_lshl_add_u64 v[0:1], v[30:31], 1, s[46:47]
	v_or_b32_e32 v6, v6, v7
	v_cmp_gt_u32_e64 s[8:9], 46, v10
	;;#ASMSTART
	global_atomic_pk_add_f16 v[0:1], v6, off
	
	;;#ASMEND
	v_lshl_add_u64 v[6:7], v[0:1], 0, 32
	v_or_b32_e32 v11, v11, v12
	;;#ASMSTART
	global_atomic_pk_add_f16 v[6:7], v11, off
	
	;;#ASMEND
	s_and_b64 exec, exec, s[8:9]
	s_cbranch_execz .LBB263_36
; %bb.35:                               ;   in Loop: Header=BB263_7 Depth=1
	v_cndmask_b32_e32 v4, v4, v2, vcc
	v_cndmask_b32_e64 v2, v5, v2, s[6:7]
	v_cndmask_b32_e32 v3, v3, v9, vcc
	v_cndmask_b32_e64 v5, v8, v9, s[6:7]
	v_cvt_f16_f32_e32 v2, v2
	v_cvt_f16_f32_sdwa v4, v4 dst_sel:WORD_1 dst_unused:UNUSED_PAD src0_sel:DWORD
	v_cvt_f16_f32_e32 v5, v5
	v_cvt_f16_f32_sdwa v3, v3 dst_sel:WORD_1 dst_unused:UNUSED_PAD src0_sel:DWORD
	v_lshl_add_u64 v[0:1], s[34:35], 2, v[0:1]
	v_or_b32_e32 v2, v4, v2
	;;#ASMSTART
	global_atomic_pk_add_f16 v[0:1], v2, off
	
	;;#ASMEND
	v_lshl_add_u64 v[0:1], v[0:1], 0, 32
	v_or_b32_e32 v2, v3, v5
	;;#ASMSTART
	global_atomic_pk_add_f16 v[0:1], v2, off
	
	;;#ASMEND
.LBB263_36:                             ;   in Loop: Header=BB263_7 Depth=1
	s_or_b64 exec, exec, s[44:45]
	v_subrev_u32_e32 v106, s64, v106
.LBB263_37:                             ;   in Loop: Header=BB263_7 Depth=1
	s_or_b64 exec, exec, s[42:43]
.LBB263_38:                             ;   in Loop: Header=BB263_7 Depth=1
	s_andn2_saveexec_b64 s[6:7], s[40:41]
	s_cbranch_execz .LBB263_47
; %bb.39:                               ;   in Loop: Header=BB263_7 Depth=1
	s_lshl_b32 s39, s64, 1
	v_cmp_gt_i32_e32 vcc, s39, v106
	s_and_saveexec_b64 s[8:9], vcc
	s_cbranch_execz .LBB263_46
; %bb.40:                               ;   in Loop: Header=BB263_7 Depth=1
	s_mul_i32 s10, s38, s19
	s_ashr_i32 s11, s10, 31
	s_waitcnt lgkmcnt(0)
	s_add_u32 s10, s26, s10
	s_addc_u32 s11, s27, s11
	s_ashr_i32 s12, s62, 31
	s_add_u32 s10, s10, s62
	s_addc_u32 s11, s11, s12
	v_lshl_add_u64 v[0:1], s[10:11], 0, v[34:35]
	v_lshl_add_u64 v[16:17], v[0:1], 0, v[32:33]
	s_mov_b64 s[10:11], 0
	s_branch .LBB263_42
.LBB263_41:                             ;   in Loop: Header=BB263_42 Depth=2
	s_or_b64 exec, exec, s[12:13]
	v_lshl_add_u32 v20, v18, 12, v103
	;;#ASMSTART
	s_waitcnt vmcnt(3)
	;;#ASMEND
	ds_write2_b32 v20, v12, v13 offset1:32
	ds_write2_b32 v20, v14, v15 offset0:64 offset1:96
	v_add_u32_e32 v12, 0x400, v20
	;;#ASMSTART
	s_waitcnt vmcnt(2)
	;;#ASMEND
	ds_write2_b32 v12, v8, v9 offset1:32
	ds_write2_b32 v12, v10, v11 offset0:64 offset1:96
	v_add_u32_e32 v8, 0x800, v20
	;; [unrolled: 6-line block ×3, first 2 shown]
	v_add_u32_e32 v106, s22, v106
	;;#ASMSTART
	s_waitcnt vmcnt(0)
	;;#ASMEND
	ds_write2_b32 v4, v0, v1 offset1:32
	ds_write2_b32 v4, v2, v3 offset0:64 offset1:96
	v_add_u32_e32 v0, 1, v92
	v_add_u32_e32 v42, s22, v18
	v_cmp_le_i32_e32 vcc, s39, v106
	ds_write_b32 v19, v0 offset:36
	v_add_u32_e32 v0, 2, v92
	s_or_b64 s[10:11], vcc, s[10:11]
	v_cmp_lt_i32_e32 vcc, 5, v42
	s_nop 1
	v_cndmask_b32_e32 v92, v92, v0, vcc
	s_andn2_b64 exec, exec, s[10:11]
	s_cbranch_execz .LBB263_45
.LBB263_42:                             ;   Parent Loop BB263_7 Depth=1
                                        ; =>  This Loop Header: Depth=2
                                        ;       Child Loop BB263_44 Depth 3
	v_cmp_gt_i32_e32 vcc, 6, v42
	s_nop 1
	v_cndmask_b32_e64 v0, -6, 0, vcc
	v_add_u32_e32 v18, v0, v42
	v_lshrrev_b32_e32 v0, 31, v106
	v_add_u32_e32 v0, v106, v0
	v_and_b32_e32 v1, -2, v0
	v_lshlrev_b32_e32 v0, 7, v0
	v_sub_u32_e32 v2, v106, v1
	v_and_b32_e32 v0, 0xffffff00, v0
	v_ashrrev_i32_e32 v1, 31, v0
	v_mul_lo_u32 v2, s53, v2
	v_lshl_add_u64 v[0:1], v[16:17], 0, v[0:1]
	v_ashrrev_i32_e32 v3, 31, v2
	v_lshl_add_u64 v[0:1], v[0:1], 0, v[2:3]
	v_lshlrev_b32_e32 v19, 2, v18
	;;#ASMSTART
	global_load_dwordx4 v[12:15], v[0:1], off offset:0    sc0 sc1 nt  
	global_load_dwordx4 v[8:11], v[0:1], off offset:64   sc0 sc1 nt  
	global_load_dwordx4 v[4:7], v[0:1], off offset:128  sc0 sc1 nt  
	global_load_dwordx4 v[0:3], v[0:1], off offset:192  sc0 sc1 nt  
	
	;;#ASMEND
	ds_read_b32 v20, v19 offset:61476
	v_add_u32_e32 v19, 0xf000, v19
	s_waitcnt lgkmcnt(0)
	v_cmp_ne_u32_e32 vcc, v20, v92
	s_and_saveexec_b64 s[12:13], vcc
	s_cbranch_execz .LBB263_41
; %bb.43:                               ;   in Loop: Header=BB263_42 Depth=2
	s_mov_b64 s[14:15], 0
.LBB263_44:                             ;   Parent Loop BB263_7 Depth=1
                                        ;     Parent Loop BB263_42 Depth=2
                                        ; =>    This Inner Loop Header: Depth=3
	;;#ASMSTART
	s_sleep 0
	;;#ASMEND
	ds_read_b32 v20, v19 offset:36
	s_waitcnt lgkmcnt(0)
	v_cmp_eq_u32_e32 vcc, v20, v92
	s_or_b64 s[14:15], vcc, s[14:15]
	s_andn2_b64 exec, exec, s[14:15]
	s_cbranch_execnz .LBB263_44
	s_branch .LBB263_41
.LBB263_45:                             ;   in Loop: Header=BB263_7 Depth=1
	s_or_b64 exec, exec, s[10:11]
.LBB263_46:                             ;   in Loop: Header=BB263_7 Depth=1
	s_or_b64 exec, exec, s[8:9]
	v_subrev_u32_e32 v106, s39, v106
.LBB263_47:                             ;   in Loop: Header=BB263_7 Depth=1
	s_or_b64 exec, exec, s[6:7]
.LBB263_48:                             ;   in Loop: Header=BB263_7 Depth=1
	s_andn2_saveexec_b64 s[6:7], s[36:37]
	s_cbranch_execz .LBB263_6
; %bb.49:                               ;   in Loop: Header=BB263_7 Depth=1
	s_mul_i32 s64, s64, 3
	v_cmp_gt_i32_e32 vcc, s64, v106
	s_and_saveexec_b64 s[8:9], vcc
	s_cbranch_execz .LBB263_5
; %bb.50:                               ;   in Loop: Header=BB263_7 Depth=1
	s_mul_i32 s61, s61, s18
	s_ashr_i32 s10, s61, 31
	s_waitcnt lgkmcnt(0)
	s_add_u32 s11, s24, s61
	v_add_u32_e32 v2, s63, v101
	s_addc_u32 s12, s25, s10
	s_ashr_i32 s13, s62, 31
	v_cmp_gt_u32_e32 vcc, 48, v2
	s_add_u32 s10, s11, s62
	s_addc_u32 s11, s12, s13
	v_cndmask_b32_e32 v0, 0, v104, vcc
	v_ashrrev_i32_e32 v1, 31, v0
	v_lshl_add_u64 v[0:1], s[10:11], 0, v[0:1]
	v_lshl_add_u64 v[16:17], v[0:1], 0, v[32:33]
	v_sub_u32_e32 v18, 47, v2
	s_mov_b64 s[10:11], 0
	s_branch .LBB263_52
.LBB263_51:                             ;   in Loop: Header=BB263_52 Depth=2
	s_or_b64 exec, exec, s[12:13]
	v_lshl_or_b32 v21, v19, 12, v102
	;;#ASMSTART
	s_waitcnt vmcnt(3)
	;;#ASMEND
	ds_write2_b32 v21, v12, v13 offset1:32
	ds_write2_b32 v21, v14, v15 offset0:64 offset1:96
	v_add_u32_e32 v12, 0x400, v21
	;;#ASMSTART
	s_waitcnt vmcnt(2)
	;;#ASMEND
	ds_write2_b32 v12, v8, v9 offset1:32
	ds_write2_b32 v12, v10, v11 offset0:64 offset1:96
	v_add_u32_e32 v8, 0x800, v21
	;; [unrolled: 6-line block ×3, first 2 shown]
	v_add_u32_e32 v106, s21, v106
	;;#ASMSTART
	s_waitcnt vmcnt(0)
	;;#ASMEND
	ds_write2_b32 v4, v0, v1 offset1:32
	ds_write2_b32 v4, v2, v3 offset0:64 offset1:96
	v_add_u32_e32 v0, 1, v92
	v_add_u32_e32 v42, s21, v19
	v_cmp_le_i32_e32 vcc, s64, v106
	ds_write_b32 v20, v0
	v_add_u32_e32 v0, 2, v92
	s_or_b64 s[10:11], vcc, s[10:11]
	v_cmp_lt_i32_e32 vcc, 8, v42
	s_nop 1
	v_cndmask_b32_e32 v92, v92, v0, vcc
	s_andn2_b64 exec, exec, s[10:11]
	s_cbranch_execz .LBB263_4
.LBB263_52:                             ;   Parent Loop BB263_7 Depth=1
                                        ; =>  This Loop Header: Depth=2
                                        ;       Child Loop BB263_54 Depth 3
	v_cmp_gt_i32_e32 vcc, 9, v42
	s_nop 1
	v_cndmask_b32_e64 v0, -9, 0, vcc
	v_add_u32_e32 v19, v0, v42
	v_mul_hi_i32 v0, v106, s60
	v_lshrrev_b32_e32 v1, 31, v0
	v_add_u32_e32 v0, v0, v1
	v_lshl_add_u32 v1, v0, 1, v0
	v_sub_u32_e32 v1, v106, v1
	v_lshlrev_b32_e32 v1, 4, v1
	v_cmp_le_i32_e32 vcc, v1, v18
	v_lshlrev_b32_e32 v0, 8, v0
	v_lshlrev_b32_e32 v20, 2, v19
	v_cndmask_b32_e32 v2, 0, v1, vcc
	v_ashrrev_i32_e32 v1, 31, v0
	v_mul_lo_u32 v2, v2, s18
	v_lshl_add_u64 v[0:1], v[16:17], 0, v[0:1]
	v_ashrrev_i32_e32 v3, 31, v2
	v_lshl_add_u64 v[0:1], v[0:1], 0, v[2:3]
	;;#ASMSTART
	global_load_dwordx4 v[12:15], v[0:1], off offset:0    
	global_load_dwordx4 v[8:11], v[0:1], off offset:64   
	;; [unrolled: 1-line block ×4, first 2 shown]
	
	;;#ASMEND
	ds_read_b32 v21, v20 offset:61440
	v_add_u32_e32 v20, 0xf000, v20
	s_waitcnt lgkmcnt(0)
	v_cmp_ne_u32_e32 vcc, v21, v92
	s_and_saveexec_b64 s[12:13], vcc
	s_cbranch_execz .LBB263_51
; %bb.53:                               ;   in Loop: Header=BB263_52 Depth=2
	s_mov_b64 s[14:15], 0
.LBB263_54:                             ;   Parent Loop BB263_7 Depth=1
                                        ;     Parent Loop BB263_52 Depth=2
                                        ; =>    This Inner Loop Header: Depth=3
	;;#ASMSTART
	s_sleep 0
	;;#ASMEND
	ds_read_b32 v21, v20
	s_waitcnt lgkmcnt(0)
	v_cmp_eq_u32_e32 vcc, v21, v92
	s_or_b64 s[14:15], vcc, s[14:15]
	s_andn2_b64 exec, exec, s[14:15]
	s_cbranch_execnz .LBB263_54
	s_branch .LBB263_51
.LBB263_55:
	s_endpgm
	.section	.rodata,"a",@progbits
	.p2align	6, 0x0
	.amdhsa_kernel _Z19_skinny_gemm_kernelILi3ELi2ELi3ELi16ELi8EEvPKhS1_P6__halfPKfiiiiiiii
		.amdhsa_group_segment_fixed_size 61500
		.amdhsa_private_segment_fixed_size 0
		.amdhsa_kernarg_size 64
		.amdhsa_user_sgpr_count 2
		.amdhsa_user_sgpr_dispatch_ptr 0
		.amdhsa_user_sgpr_queue_ptr 0
		.amdhsa_user_sgpr_kernarg_segment_ptr 1
		.amdhsa_user_sgpr_dispatch_id 0
		.amdhsa_user_sgpr_kernarg_preload_length 0
		.amdhsa_user_sgpr_kernarg_preload_offset 0
		.amdhsa_user_sgpr_private_segment_size 0
		.amdhsa_uses_dynamic_stack 0
		.amdhsa_enable_private_segment 0
		.amdhsa_system_sgpr_workgroup_id_x 1
		.amdhsa_system_sgpr_workgroup_id_y 0
		.amdhsa_system_sgpr_workgroup_id_z 0
		.amdhsa_system_sgpr_workgroup_info 0
		.amdhsa_system_vgpr_workitem_id 0
		.amdhsa_next_free_vgpr 114
		.amdhsa_next_free_sgpr 65
		.amdhsa_accum_offset 116
		.amdhsa_reserve_vcc 1
		.amdhsa_float_round_mode_32 0
		.amdhsa_float_round_mode_16_64 0
		.amdhsa_float_denorm_mode_32 3
		.amdhsa_float_denorm_mode_16_64 3
		.amdhsa_dx10_clamp 1
		.amdhsa_ieee_mode 1
		.amdhsa_fp16_overflow 0
		.amdhsa_tg_split 0
		.amdhsa_exception_fp_ieee_invalid_op 0
		.amdhsa_exception_fp_denorm_src 0
		.amdhsa_exception_fp_ieee_div_zero 0
		.amdhsa_exception_fp_ieee_overflow 0
		.amdhsa_exception_fp_ieee_underflow 0
		.amdhsa_exception_fp_ieee_inexact 0
		.amdhsa_exception_int_div_zero 0
	.end_amdhsa_kernel
	.section	.text._Z19_skinny_gemm_kernelILi3ELi2ELi3ELi16ELi8EEvPKhS1_P6__halfPKfiiiiiiii,"axG",@progbits,_Z19_skinny_gemm_kernelILi3ELi2ELi3ELi16ELi8EEvPKhS1_P6__halfPKfiiiiiiii,comdat
.Lfunc_end263:
	.size	_Z19_skinny_gemm_kernelILi3ELi2ELi3ELi16ELi8EEvPKhS1_P6__halfPKfiiiiiiii, .Lfunc_end263-_Z19_skinny_gemm_kernelILi3ELi2ELi3ELi16ELi8EEvPKhS1_P6__halfPKfiiiiiiii
                                        ; -- End function
	.set _Z19_skinny_gemm_kernelILi3ELi2ELi3ELi16ELi8EEvPKhS1_P6__halfPKfiiiiiiii.num_vgpr, 114
	.set _Z19_skinny_gemm_kernelILi3ELi2ELi3ELi16ELi8EEvPKhS1_P6__halfPKfiiiiiiii.num_agpr, 0
	.set _Z19_skinny_gemm_kernelILi3ELi2ELi3ELi16ELi8EEvPKhS1_P6__halfPKfiiiiiiii.numbered_sgpr, 65
	.set _Z19_skinny_gemm_kernelILi3ELi2ELi3ELi16ELi8EEvPKhS1_P6__halfPKfiiiiiiii.num_named_barrier, 0
	.set _Z19_skinny_gemm_kernelILi3ELi2ELi3ELi16ELi8EEvPKhS1_P6__halfPKfiiiiiiii.private_seg_size, 0
	.set _Z19_skinny_gemm_kernelILi3ELi2ELi3ELi16ELi8EEvPKhS1_P6__halfPKfiiiiiiii.uses_vcc, 1
	.set _Z19_skinny_gemm_kernelILi3ELi2ELi3ELi16ELi8EEvPKhS1_P6__halfPKfiiiiiiii.uses_flat_scratch, 0
	.set _Z19_skinny_gemm_kernelILi3ELi2ELi3ELi16ELi8EEvPKhS1_P6__halfPKfiiiiiiii.has_dyn_sized_stack, 0
	.set _Z19_skinny_gemm_kernelILi3ELi2ELi3ELi16ELi8EEvPKhS1_P6__halfPKfiiiiiiii.has_recursion, 0
	.set _Z19_skinny_gemm_kernelILi3ELi2ELi3ELi16ELi8EEvPKhS1_P6__halfPKfiiiiiiii.has_indirect_call, 0
	.section	.AMDGPU.csdata,"",@progbits
; Kernel info:
; codeLenInByte = 5592
; TotalNumSgprs: 71
; NumVgprs: 114
; NumAgprs: 0
; TotalNumVgprs: 114
; ScratchSize: 0
; MemoryBound: 0
; FloatMode: 240
; IeeeMode: 1
; LDSByteSize: 61500 bytes/workgroup (compile time only)
; SGPRBlocks: 8
; VGPRBlocks: 14
; NumSGPRsForWavesPerEU: 71
; NumVGPRsForWavesPerEU: 114
; AccumOffset: 116
; Occupancy: 4
; WaveLimiterHint : 0
; COMPUTE_PGM_RSRC2:SCRATCH_EN: 0
; COMPUTE_PGM_RSRC2:USER_SGPR: 2
; COMPUTE_PGM_RSRC2:TRAP_HANDLER: 0
; COMPUTE_PGM_RSRC2:TGID_X_EN: 1
; COMPUTE_PGM_RSRC2:TGID_Y_EN: 0
; COMPUTE_PGM_RSRC2:TGID_Z_EN: 0
; COMPUTE_PGM_RSRC2:TIDIG_COMP_CNT: 0
; COMPUTE_PGM_RSRC3_GFX90A:ACCUM_OFFSET: 28
; COMPUTE_PGM_RSRC3_GFX90A:TG_SPLIT: 0
	.section	.text._Z19_skinny_gemm_kernelILi3ELi2ELi3ELi32ELi4EEvPKhS1_P6__halfPKfiiiiiiii,"axG",@progbits,_Z19_skinny_gemm_kernelILi3ELi2ELi3ELi32ELi4EEvPKhS1_P6__halfPKfiiiiiiii,comdat
	.protected	_Z19_skinny_gemm_kernelILi3ELi2ELi3ELi32ELi4EEvPKhS1_P6__halfPKfiiiiiiii ; -- Begin function _Z19_skinny_gemm_kernelILi3ELi2ELi3ELi32ELi4EEvPKhS1_P6__halfPKfiiiiiiii
	.globl	_Z19_skinny_gemm_kernelILi3ELi2ELi3ELi32ELi4EEvPKhS1_P6__halfPKfiiiiiiii
	.p2align	8
	.type	_Z19_skinny_gemm_kernelILi3ELi2ELi3ELi32ELi4EEvPKhS1_P6__halfPKfiiiiiiii,@function
_Z19_skinny_gemm_kernelILi3ELi2ELi3ELi32ELi4EEvPKhS1_P6__halfPKfiiiiiiii: ; @_Z19_skinny_gemm_kernelILi3ELi2ELi3ELi32ELi4EEvPKhS1_P6__halfPKfiiiiiiii
; %bb.0:
	v_cmp_gt_u32_e32 vcc, 15, v0
	s_and_saveexec_b64 s[4:5], vcc
; %bb.1:
	v_lshlrev_b32_e32 v1, 2, v0
	v_mov_b32_e32 v2, 0
	ds_write_b32 v1, v2 offset:30720
; %bb.2:
	s_or_b64 exec, exec, s[4:5]
	s_load_dwordx8 s[16:23], s[0:1], 0x20
	s_waitcnt lgkmcnt(0)
	s_barrier
	s_add_i32 s3, s16, 0x5f
	s_mul_hi_i32 s3, s3, 0x2aaaaaab
	s_add_i32 s4, s17, 63
	s_lshr_b32 s5, s3, 31
	s_ashr_i32 s3, s3, 4
	s_add_i32 s11, s3, s5
	s_ashr_i32 s3, s4, 31
	s_lshr_b32 s3, s3, 26
	s_add_i32 s4, s4, s3
	s_ashr_i32 s12, s4, 6
	s_mul_i32 s3, s12, s11
	s_mul_i32 s3, s3, s20
	s_add_i32 s4, s3, 0x12f
	s_mul_hi_i32 s4, s4, 0x6bca1af3
	s_lshr_b32 s5, s4, 31
	s_ashr_i32 s4, s4, 7
	s_add_i32 s4, s4, s5
	s_add_i32 s5, s2, 1
	s_mul_i32 s5, s4, s5
	v_cvt_f64_i32_e32 v[2:3], s3
	v_cvt_f64_u32_e32 v[4:5], s5
	v_min_f64 v[2:3], v[2:3], v[4:5]
	v_cvt_i32_f64_e32 v62, v[2:3]
	s_mul_i32 s33, s4, s2
	v_cmp_ge_i32_e32 vcc, s33, v62
	s_cbranch_vccnz .LBB264_51
; %bb.3:
	s_load_dwordx8 s[44:51], s[0:1], 0x0
	v_lshrrev_b32_e32 v1, 6, v0
	s_add_i32 s0, s22, s21
	v_cmp_le_i32_e64 s[14:15], s0, v1
	v_mov_b32_e32 v2, s21
	v_cmp_le_i32_e64 s[24:25], s21, v1
	v_mov_b32_e32 v3, s22
	v_cndmask_b32_e64 v3, 0, v3, s[14:15]
	v_cndmask_b32_e64 v2, 0, v2, s[24:25]
	s_abs_i32 s1, s20
	v_add_u32_e32 v2, v2, v3
	v_cvt_f32_u32_e32 v3, s1
	v_sub_u32_e32 v56, v1, v2
	s_ashr_i32 s2, s18, 31
	s_lshr_b32 s2, s2, 26
	v_rcp_iflag_f32_e32 v2, v3
	s_sub_i32 s5, 0, s1
	s_add_i32 s2, s18, s2
	s_ashr_i32 s2, s2, 6
	v_mul_f32_e32 v2, 0x4f7ffffe, v2
	v_cvt_u32_f32_e32 v2, v2
	s_abs_i32 s4, s2
	s_xor_b32 s3, s2, s20
	s_ashr_i32 s3, s3, 31
	v_readfirstlane_b32 s6, v2
	s_mul_i32 s5, s5, s6
	s_mul_hi_u32 s5, s6, s5
	s_add_i32 s6, s6, s5
	s_mul_hi_u32 s5, s4, s6
	s_mul_i32 s6, s5, s1
	s_sub_i32 s4, s4, s6
	s_add_i32 s6, s5, 1
	s_sub_i32 s7, s4, s1
	s_cmp_ge_u32 s4, s1
	s_cselect_b32 s5, s6, s5
	s_cselect_b32 s4, s7, s4
	s_add_i32 s6, s5, 1
	s_cmp_ge_u32 s4, s1
	s_cselect_b32 s1, s6, s5
	s_add_i32 s0, s0, s23
	v_and_b32_e32 v64, 31, v0
	v_lshrrev_b32_e32 v2, 3, v0
	v_cmp_gt_i32_e64 s[28:29], s0, v1
	v_lshlrev_b32_e32 v1, 2, v64
	v_and_b32_e32 v3, 4, v2
	v_and_b32_e32 v5, 1, v0
	v_lshlrev_b32_e32 v2, 6, v3
	v_or_b32_e32 v4, 0x4800, v1
	v_or_b32_e32 v3, v3, v5
	;; [unrolled: 1-line block ×4, first 2 shown]
	v_lshlrev_b32_e32 v2, 1, v5
	v_or_b32_e32 v5, 2, v3
	v_sub_u32_e32 v77, 32, v5
	v_or_b32_e32 v5, 8, v3
	v_sub_u32_e32 v78, 32, v5
	;; [unrolled: 2-line block ×5, first 2 shown]
	v_mul_lo_u32 v34, s17, v3
	v_sub_u32_e32 v81, 32, v5
	v_or_b32_e32 v5, 24, v3
	v_or_b32_e32 v3, 26, v3
                                        ; implicit-def: $vgpr99 : SGPR spill to VGPR lane
	s_add_i32 s26, s20, -1
	v_sub_u32_e32 v83, 32, v3
	v_lshrrev_b32_e32 v3, 1, v0
	s_abs_i32 s20, s11
	v_writelane_b32 v99, s11, 0
	v_and_b32_e32 v50, 16, v3
	v_cvt_f32_u32_e32 v3, s20
	v_writelane_b32 v99, s12, 1
	v_sub_u32_e32 v2, v0, v2
	s_waitcnt lgkmcnt(0)
	v_writelane_b32 v99, s44, 2
	v_add_u32_e32 v2, 1, v2
	v_and_b32_e32 v6, 63, v2
	v_writelane_b32 v99, s45, 3
	v_bitop3_b32 v67, v0, 1, v0 bitop3:0xc
	v_bitop3_b32 v68, v0, 3, 1 bitop3:0x6c
	;; [unrolled: 1-line block ×8, first 2 shown]
	v_and_b32_e32 v2, 30, v0
	v_lshlrev_b32_e32 v0, 4, v0
	v_writelane_b32 v99, s46, 4
	v_and_b32_e32 v0, 0x200, v0
	v_rcp_iflag_f32_e32 v3, v3
	s_abs_i32 s99, s12
	v_writelane_b32 v99, s47, 5
	s_xor_b32 s1, s1, s3
	v_or_b32_e32 v86, v1, v0
	v_cvt_f32_u32_e32 v1, s99
	v_writelane_b32 v99, s48, 6
	s_sub_i32 s13, s1, s3
	v_writelane_b32 v99, s49, 7
	s_mul_i32 s1, s13, s26
	s_lshl_b32 s0, s17, 1
	v_writelane_b32 v99, s50, 8
	s_sub_i32 s27, s2, s1
	v_add_u32_e32 v36, s0, v34
	s_mul_i32 s1, s17, 6
	v_or_b32_e32 v84, v4, v0
	v_mul_f32_e32 v0, 0x4f7ffffe, v3
	v_writelane_b32 v99, s51, 9
	v_cndmask_b32_e64 v63, 0, 1, s[14:15]
	v_add_u32_e32 v38, s1, v36
	v_cvt_u32_f32_e32 v0, v0
	v_rcp_iflag_f32_e32 v1, v1
	v_writelane_b32 v99, s14, 10
	v_add_u32_e32 v40, s0, v38
	v_add_u32_e32 v42, s1, v40
	v_writelane_b32 v99, s15, 11
	v_writelane_b32 v99, s24, 12
	v_add_u32_e32 v44, s0, v42
	v_add_u32_e32 v46, s1, v44
	v_writelane_b32 v99, s25, 13
	v_readfirstlane_b32 s1, v0
	v_mul_f32_e32 v0, 0x4f7ffffe, v1
	v_writelane_b32 v99, s13, 14
	v_cvt_u32_f32_e32 v0, v0
	v_writelane_b32 v99, s26, 15
	v_add_u32_e32 v48, s0, v46
	s_sub_i32 s0, 0, s20
	v_writelane_b32 v99, s27, 16
	s_mul_i32 s0, s0, s1
	v_writelane_b32 v99, s28, 17
	s_lshl_b32 s30, s19, 5
	s_mul_hi_u32 s0, s1, s0
	v_writelane_b32 v99, s29, 18
	s_ashr_i32 s31, s11, 31
	s_add_i32 s34, s1, s0
	s_sub_i32 s0, 0, s99
	v_readfirstlane_b32 s1, v0
	v_mbcnt_lo_u32_b32 v0, -1, 0
	v_writelane_b32 v99, s30, 19
	s_mul_i32 s0, s0, s1
	v_mbcnt_hi_u32_b32 v0, -1, v0
	v_writelane_b32 v99, s31, 20
	v_mov_b32_e32 v33, 0
	v_mul_lo_u32 v52, s19, v64
	s_ashr_i32 s35, s12, 31
	s_mul_hi_u32 s0, s1, s0
	v_and_or_b32 v0, v0, 64, v6
	v_writelane_b32 v99, s34, 21
	v_or_b32_e32 v75, 32, v64
	v_ashrrev_i32_e32 v35, 31, v34
	v_ashrrev_i32_e32 v37, 31, v36
	;; [unrolled: 1-line block ×6, first 2 shown]
	v_sub_u32_e32 v82, 32, v5
	v_ashrrev_i32_e32 v47, 31, v46
	v_ashrrev_i32_e32 v49, 31, v48
	;; [unrolled: 1-line block ×3, first 2 shown]
	v_mov_b32_e32 v51, v33
	v_mul_lo_u32 v85, s18, v64
	s_add_i32 s36, s1, s0
	v_lshlrev_b32_e32 v32, 1, v2
	v_lshlrev_b32_e32 v87, 2, v0
	v_mov_b32_e32 v88, v56
	v_writelane_b32 v99, s35, 22
	v_writelane_b32 v99, s36, 23
	s_branch .LBB264_7
.LBB264_4:                              ;   in Loop: Header=BB264_7 Depth=1
	s_or_b64 exec, exec, s[4:5]
.LBB264_5:                              ;   in Loop: Header=BB264_7 Depth=1
	s_or_b64 exec, exec, s[2:3]
	v_subrev_u32_e32 v88, s98, v88
.LBB264_6:                              ;   in Loop: Header=BB264_7 Depth=1
	s_or_b64 exec, exec, s[0:1]
	s_add_i32 s33, s33, 1
	v_cmp_ge_i32_e32 vcc, s33, v62
	s_cbranch_vccnz .LBB264_51
.LBB264_7:                              ; =>This Loop Header: Depth=1
                                        ;     Child Loop BB264_13 Depth 2
                                        ;       Child Loop BB264_15 Depth 3
                                        ;       Child Loop BB264_18 Depth 3
	;; [unrolled: 1-line block ×3, first 2 shown]
                                        ;     Child Loop BB264_38 Depth 2
                                        ;       Child Loop BB264_40 Depth 3
                                        ;     Child Loop BB264_48 Depth 2
                                        ;       Child Loop BB264_50 Depth 3
	s_abs_i32 s1, s33
	s_mul_hi_u32 s2, s1, s34
	s_mul_i32 s3, s2, s20
	s_ashr_i32 s0, s33, 31
	s_sub_i32 s1, s1, s3
	s_xor_b32 s0, s0, s31
	s_add_i32 s3, s2, 1
	s_sub_i32 s4, s1, s20
	s_cmp_ge_u32 s1, s20
	s_cselect_b32 s2, s3, s2
	s_cselect_b32 s1, s4, s1
	s_add_i32 s3, s2, 1
	s_cmp_ge_u32 s1, s20
	s_cselect_b32 s1, s3, s2
	s_xor_b32 s1, s1, s0
	s_sub_i32 s0, s1, s0
	s_abs_i32 s2, s0
	s_mul_i32 s1, s0, s11
	s_mul_hi_u32 s3, s2, s36
	s_sub_i32 s1, s33, s1
	s_mul_i32 s4, s3, s99
	s_mul_i32 s52, s1, 0x60
	s_ashr_i32 s1, s0, 31
	s_sub_i32 s2, s2, s4
	s_xor_b32 s1, s1, s35
	s_add_i32 s4, s3, 1
	s_sub_i32 s5, s2, s99
	s_cmp_ge_u32 s2, s99
	s_cselect_b32 s3, s4, s3
	s_cselect_b32 s2, s5, s2
	s_add_i32 s4, s3, 1
	s_cmp_ge_u32 s2, s99
	s_cselect_b32 s2, s4, s3
	s_xor_b32 s2, s2, s1
	s_sub_i32 s1, s2, s1
	s_mul_i32 s2, s1, s13
	s_lshl_b32 s37, s2, 6
	s_cmp_eq_u32 s1, s26
	s_cselect_b32 s98, s27, s13
	s_sub_i32 s2, s52, s16
	s_add_i32 s53, s2, 0x60
	s_and_saveexec_b64 s[2:3], s[24:25]
	s_xor_b64 s[38:39], exec, s[2:3]
	s_cbranch_execz .LBB264_44
; %bb.8:                                ;   in Loop: Header=BB264_7 Depth=1
	s_mul_i32 s1, s1, s12
	s_sub_i32 s0, s0, s1
	s_lshl_b32 s0, s0, 6
	s_sub_i32 s90, s0, s17
	s_add_i32 s90, s90, 64
	s_max_i32 s1, s90, 0
	s_sub_i32 s54, s0, s1
	s_and_saveexec_b64 s[0:1], s[14:15]
	s_xor_b64 s[4:5], exec, s[0:1]
	s_cbranch_execz .LBB264_34
; %bb.9:                                ;   in Loop: Header=BB264_7 Depth=1
	s_and_saveexec_b64 s[2:3], s[28:29]
	s_cbranch_execz .LBB264_33
; %bb.10:                               ;   in Loop: Header=BB264_7 Depth=1
	global_load_dword v89, v33, s[50:51]
	v_writelane_b32 v99, s2, 24
	v_mov_b32_e32 v31, 0
	v_cmp_gt_i32_e32 vcc, s98, v88
	v_writelane_b32 v99, s3, 25
	v_writelane_b32 v99, s4, 26
	v_mov_b32_e32 v30, v31
	v_mov_b32_e32 v29, v31
	;; [unrolled: 1-line block ×12, first 2 shown]
	s_waitcnt lgkmcnt(1)
	v_mov_b32_e32 v18, v31
	v_mov_b32_e32 v17, v31
	;; [unrolled: 1-line block ×19, first 2 shown]
	v_writelane_b32 v99, s5, 27
	s_and_saveexec_b64 s[0:1], vcc
	s_cbranch_execz .LBB264_23
; %bb.11:                               ;   in Loop: Header=BB264_7 Depth=1
	v_mov_b32_e32 v0, 0
	s_mov_b64 s[2:3], 0
	v_mov_b32_e32 v1, v0
	v_mov_b32_e32 v2, v0
	;; [unrolled: 1-line block ×31, first 2 shown]
	s_branch .LBB264_13
.LBB264_12:                             ;   in Loop: Header=BB264_13 Depth=2
	s_or_b64 exec, exec, s[4:5]
	v_add_u32_e32 v96, 0x800, v93
	ds_read2_b32 v[94:95], v96 offset1:32
	v_add_u32_e32 v88, s23, v88
	s_waitcnt lgkmcnt(0)
	v_mfma_f32_32x32x16_fp8_fp8 v[0:15], v[60:61], v[94:95], v[0:15]
	ds_read2_b32 v[60:61], v96 offset0:128 offset1:160
	s_waitcnt lgkmcnt(0)
	v_mfma_f32_32x32x16_fp8_fp8 v[0:15], v[58:59], v[60:61], v[0:15]
	v_add_u32_e32 v60, 0xc00, v93
	ds_read2_b32 v[58:59], v60 offset1:32
	ds_read2_b32 v[60:61], v60 offset0:128 offset1:160
	ds_write_b32 v91, v92 offset:30732
	s_waitcnt lgkmcnt(2)
	v_mfma_f32_32x32x16_fp8_fp8 v[0:15], v[56:57], v[58:59], v[0:15]
	v_add_u32_e32 v56, s23, v90
	v_add_u32_e32 v57, 2, v63
	v_cmp_lt_i32_e32 vcc, 2, v56
	s_nop 1
	v_cndmask_b32_e32 v63, v63, v57, vcc
	v_cmp_le_i32_e32 vcc, s98, v88
	s_waitcnt lgkmcnt(1)
	v_mfma_f32_32x32x16_fp8_fp8 v[0:15], v[54:55], v[60:61], v[0:15]
	s_or_b64 s[2:3], vcc, s[2:3]
	s_andn2_b64 exec, exec, s[2:3]
	s_cbranch_execz .LBB264_22
.LBB264_13:                             ;   Parent Loop BB264_7 Depth=1
                                        ; =>  This Loop Header: Depth=2
                                        ;       Child Loop BB264_15 Depth 3
                                        ;       Child Loop BB264_18 Depth 3
	;; [unrolled: 1-line block ×3, first 2 shown]
	v_cmp_gt_i32_e32 vcc, 3, v56
	s_nop 1
	v_cndmask_b32_e64 v54, -3, 0, vcc
	v_add_u32_e32 v90, v54, v56
	v_lshlrev_b32_e32 v91, 4, v90
	ds_read_b32 v54, v91 offset:30720
	s_waitcnt lgkmcnt(0)
	v_cmp_ne_u32_e32 vcc, v54, v63
	s_and_saveexec_b64 s[4:5], vcc
	s_cbranch_execz .LBB264_16
; %bb.14:                               ;   in Loop: Header=BB264_13 Depth=2
	s_mov_b64 s[6:7], 0
.LBB264_15:                             ;   Parent Loop BB264_7 Depth=1
                                        ;     Parent Loop BB264_13 Depth=2
                                        ; =>    This Inner Loop Header: Depth=3
	;;#ASMSTART
	s_sleep 0
	;;#ASMEND
	ds_read_b32 v54, v91 offset:30720
	s_waitcnt lgkmcnt(0)
	v_cmp_eq_u32_e32 vcc, v54, v63
	s_or_b64 s[6:7], vcc, s[6:7]
	s_andn2_b64 exec, exec, s[6:7]
	s_cbranch_execnz .LBB264_15
.LBB264_16:                             ;   in Loop: Header=BB264_13 Depth=2
	s_or_b64 exec, exec, s[4:5]
	v_lshl_or_b32 v54, v90, 11, v65
	ds_read2_b32 v[60:61], v54 offset1:32
	ds_read2_b32 v[58:59], v54 offset0:128 offset1:160
	v_add_u32_e32 v54, 0x400, v54
	ds_read2_b32 v[56:57], v54 offset1:32
	ds_read_b32 v93, v91 offset:30724
	ds_read2_b32 v[54:55], v54 offset0:128 offset1:160
	v_add_u32_e32 v92, 1, v63
	ds_write_b32 v91, v92 offset:30720
	s_waitcnt lgkmcnt(2)
	v_cmp_ne_u32_e32 vcc, v93, v63
	s_and_saveexec_b64 s[4:5], vcc
	s_cbranch_execz .LBB264_19
; %bb.17:                               ;   in Loop: Header=BB264_13 Depth=2
	s_mov_b64 s[6:7], 0
.LBB264_18:                             ;   Parent Loop BB264_7 Depth=1
                                        ;     Parent Loop BB264_13 Depth=2
                                        ; =>    This Inner Loop Header: Depth=3
	;;#ASMSTART
	s_sleep 0
	;;#ASMEND
	ds_read_b32 v93, v91 offset:30724
	s_waitcnt lgkmcnt(0)
	v_cmp_eq_u32_e32 vcc, v93, v63
	s_or_b64 s[6:7], vcc, s[6:7]
	s_andn2_b64 exec, exec, s[6:7]
	s_cbranch_execnz .LBB264_18
.LBB264_19:                             ;   in Loop: Header=BB264_13 Depth=2
	s_or_b64 exec, exec, s[4:5]
	v_lshlrev_b32_e32 v93, 12, v90
	v_add_u32_e32 v93, v66, v93
	ds_read2_b32 v[94:95], v93 offset1:32
	v_add_u32_e32 v96, 0x400, v93
	ds_write_b32 v91, v92 offset:30724
	s_waitcnt lgkmcnt(1)
	v_mfma_f32_32x32x16_fp8_fp8 v[16:31], v[60:61], v[94:95], v[16:31]
	ds_read2_b32 v[94:95], v93 offset0:128 offset1:160
	s_waitcnt lgkmcnt(0)
	v_mfma_f32_32x32x16_fp8_fp8 v[16:31], v[58:59], v[94:95], v[16:31]
	ds_read2_b32 v[94:95], v96 offset1:32
	s_waitcnt lgkmcnt(0)
	v_mfma_f32_32x32x16_fp8_fp8 v[16:31], v[56:57], v[94:95], v[16:31]
	ds_read2_b32 v[94:95], v96 offset0:128 offset1:160
	ds_read_b32 v96, v91 offset:30732
	s_waitcnt lgkmcnt(0)
	v_cmp_ne_u32_e32 vcc, v96, v63
	v_mfma_f32_32x32x16_fp8_fp8 v[16:31], v[54:55], v[94:95], v[16:31]
	s_and_saveexec_b64 s[4:5], vcc
	s_cbranch_execz .LBB264_12
; %bb.20:                               ;   in Loop: Header=BB264_13 Depth=2
	s_mov_b64 s[6:7], 0
.LBB264_21:                             ;   Parent Loop BB264_7 Depth=1
                                        ;     Parent Loop BB264_13 Depth=2
                                        ; =>    This Inner Loop Header: Depth=3
	;;#ASMSTART
	s_sleep 0
	;;#ASMEND
	ds_read_b32 v94, v91 offset:30732
	s_waitcnt lgkmcnt(0)
	v_cmp_eq_u32_e32 vcc, v94, v63
	s_or_b64 s[6:7], vcc, s[6:7]
	s_andn2_b64 exec, exec, s[6:7]
	s_cbranch_execnz .LBB264_21
	s_branch .LBB264_12
.LBB264_22:                             ;   in Loop: Header=BB264_7 Depth=1
	s_or_b64 exec, exec, s[2:3]
.LBB264_23:                             ;   in Loop: Header=BB264_7 Depth=1
	v_writelane_b32 v99, s54, 28
	s_nop 1
	v_writelane_b32 v99, s55, 29
	v_writelane_b32 v99, s38, 30
	s_nop 1
	v_writelane_b32 v99, s39, 31
	v_writelane_b32 v99, s53, 32
	;; [unrolled: 1-line block ×4, first 2 shown]
	s_or_b64 exec, exec, s[0:1]
	v_cmp_le_i32_e32 vcc, s90, v64
	v_cmp_eq_u32_e64 s[86:87], 1, v67
	v_cmp_eq_u32_e64 s[50:51], 2, v67
	s_waitcnt vmcnt(0)
	v_cndmask_b32_e32 v54, 0, v89, vcc
	v_pk_mul_f32 v[16:17], v[54:55], v[16:17] op_sel_hi:[0,1]
	v_pk_mul_f32 v[30:31], v[54:55], v[30:31] op_sel_hi:[0,1]
	;; [unrolled: 1-line block ×8, first 2 shown]
	v_cndmask_b32_e64 v54, v16, v17, s[86:87]
	v_cndmask_b32_e64 v54, v54, v18, s[50:51]
	v_cmp_eq_u32_e64 s[54:55], 3, v67
	v_cmp_eq_u32_e64 s[56:57], 4, v67
	v_cmp_eq_u32_e64 s[60:61], 5, v67
	v_cndmask_b32_e64 v54, v54, v19, s[54:55]
	v_cndmask_b32_e64 v54, v54, v20, s[56:57]
	v_cndmask_b32_e64 v54, v54, v21, s[60:61]
	v_cmp_eq_u32_e64 s[64:65], 6, v67
	v_cmp_eq_u32_e64 s[68:69], 7, v67
	v_cmp_eq_u32_e64 s[72:73], 8, v67
	v_cndmask_b32_e64 v54, v54, v22, s[64:65]
	;; [unrolled: 6-line block ×5, first 2 shown]
	ds_bpermute_b32 v54, v87, v54
	v_cmp_eq_u32_e64 s[26:27], 2, v68
	v_cmp_eq_u32_e64 s[28:29], 3, v68
	;; [unrolled: 1-line block ×4, first 2 shown]
	s_waitcnt lgkmcnt(0)
	v_cndmask_b32_e64 v17, v17, v54, s[86:87]
	v_cndmask_b32_e64 v16, v16, v54, s[70:71]
	v_cndmask_b32_e64 v90, v18, v54, s[50:51]
	v_cndmask_b32_e64 v18, v16, v17, s[24:25]
	v_cndmask_b32_e64 v61, v19, v54, s[54:55]
	v_cndmask_b32_e64 v18, v18, v90, s[26:27]
	v_cndmask_b32_e64 v60, v20, v54, s[56:57]
	v_cndmask_b32_e64 v18, v18, v61, s[28:29]
	v_cndmask_b32_e64 v59, v21, v54, s[60:61]
	v_cndmask_b32_e64 v18, v18, v60, s[30:31]
	v_cndmask_b32_e64 v58, v22, v54, s[64:65]
	v_cndmask_b32_e64 v18, v18, v59, s[34:35]
	v_cmp_eq_u32_e64 s[36:37], 6, v68
	v_cndmask_b32_e64 v57, v23, v54, s[68:69]
	v_cmp_eq_u32_e64 s[38:39], 7, v68
	v_cndmask_b32_e64 v18, v18, v58, s[36:37]
	v_cndmask_b32_e64 v55, v24, v54, s[72:73]
	v_cndmask_b32_e64 v18, v18, v57, s[38:39]
	v_cmp_eq_u32_e64 s[42:43], 8, v68
	v_cndmask_b32_e64 v25, v25, v54, s[76:77]
	v_cmp_eq_u32_e64 s[44:45], 9, v68
	v_cndmask_b32_e64 v18, v18, v55, s[42:43]
	v_cndmask_b32_e64 v26, v26, v54, s[78:79]
	v_cndmask_b32_e64 v18, v18, v25, s[44:45]
	v_cmp_eq_u32_e64 s[46:47], 10, v68
	v_cndmask_b32_e64 v27, v27, v54, s[74:75]
	v_cmp_eq_u32_e64 s[48:49], 11, v68
	v_cndmask_b32_e64 v18, v18, v26, s[46:47]
	v_cndmask_b32_e64 v28, v28, v54, s[80:81]
	v_cndmask_b32_e64 v18, v18, v27, s[48:49]
	v_cmp_eq_u32_e64 s[52:53], 12, v68
	v_cndmask_b32_e64 v29, v29, v54, s[82:83]
	v_cmp_eq_u32_e64 s[58:59], 13, v68
	v_cndmask_b32_e64 v18, v18, v28, s[52:53]
	v_cndmask_b32_e64 v30, v30, v54, s[84:85]
	v_cndmask_b32_e64 v18, v18, v29, s[58:59]
	v_cmp_eq_u32_e64 s[62:63], 14, v68
	v_cndmask_b32_e64 v31, v31, v54, s[88:89]
	v_cmp_eq_u32_e64 s[66:67], 15, v68
	v_cndmask_b32_e64 v18, v18, v30, s[62:63]
	v_cmp_le_i32_e64 s[90:91], s90, v75
	v_cndmask_b32_e64 v18, v18, v31, s[66:67]
	ds_bpermute_b32 v54, v87, v18
	v_cmp_eq_u32_e64 s[40:41], 0, v68
	v_cmp_eq_u32_e64 s[2:3], 1, v69
	;; [unrolled: 1-line block ×4, first 2 shown]
	s_waitcnt lgkmcnt(0)
	v_cndmask_b32_e64 v22, v27, v54, s[48:49]
	v_cndmask_b32_e64 v27, v58, v54, s[36:37]
	;; [unrolled: 1-line block ×3, first 2 shown]
	v_pk_mul_f32 v[0:1], v[58:59], v[0:1] op_sel_hi:[0,1]
	v_cndmask_b32_e64 v24, v25, v54, s[44:45]
	v_cndmask_b32_e64 v25, v55, v54, s[42:43]
	v_pk_mul_f32 v[2:3], v[58:59], v[2:3] op_sel_hi:[0,1]
	v_cndmask_b32_e64 v55, v0, v1, s[86:87]
	v_cndmask_b32_e64 v55, v55, v2, s[50:51]
	;; [unrolled: 3-line block ×6, first 2 shown]
	v_cndmask_b32_e64 v17, v17, v54, s[24:25]
	v_cndmask_b32_e64 v16, v16, v54, s[40:41]
	v_pk_mul_f32 v[12:13], v[58:59], v[12:13] op_sel_hi:[0,1]
	v_cndmask_b32_e64 v55, v55, v11, s[74:75]
	v_cndmask_b32_e64 v18, v31, v54, s[66:67]
	;; [unrolled: 1-line block ×14, first 2 shown]
	v_pk_mul_f32 v[14:15], v[58:59], v[14:15] op_sel_hi:[0,1]
	v_cndmask_b32_e64 v55, v55, v13, s[82:83]
	v_cndmask_b32_e64 v54, v54, v30, s[8:9]
	v_cmp_eq_u32_e64 s[10:11], 4, v69
	v_cndmask_b32_e64 v55, v55, v14, s[84:85]
	v_cmp_eq_u32_e64 s[12:13], 5, v69
	v_cndmask_b32_e64 v54, v54, v29, s[10:11]
	v_cndmask_b32_e64 v55, v55, v15, s[88:89]
	;; [unrolled: 1-line block ×3, first 2 shown]
	v_cmp_eq_u32_e64 s[14:15], 6, v69
	ds_bpermute_b32 v55, v87, v55
	v_cmp_eq_u32_e64 s[96:97], 7, v69
	v_cndmask_b32_e64 v54, v54, v27, s[14:15]
	v_cmp_eq_u32_e64 s[4:5], 8, v69
	v_cndmask_b32_e64 v54, v54, v26, s[96:97]
	v_cmp_eq_u32_e32 vcc, 9, v69
	v_cndmask_b32_e64 v54, v54, v25, s[4:5]
	v_cmp_eq_u32_e64 s[0:1], 10, v69
	v_cndmask_b32_e32 v54, v54, v24, vcc
	v_cmp_eq_u32_e64 s[86:87], 11, v69
	v_cndmask_b32_e64 v54, v54, v23, s[0:1]
	s_waitcnt lgkmcnt(0)
	v_cndmask_b32_e64 v2, v2, v55, s[50:51]
	v_cmp_ne_u32_e64 s[50:51], 0, v67
	v_cndmask_b32_e64 v54, v54, v22, s[86:87]
	v_cmp_eq_u32_e64 s[90:91], 12, v69
	v_cndmask_b32_e64 v1, v1, v55, s[50:51]
	v_cndmask_b32_e64 v0, v0, v55, s[70:71]
	;; [unrolled: 1-line block ×4, first 2 shown]
	v_cmp_eq_u32_e64 s[88:89], 13, v69
	v_cndmask_b32_e64 v14, v14, v55, s[84:85]
	v_cndmask_b32_e64 v13, v13, v55, s[82:83]
	;; [unrolled: 1-line block ×14, first 2 shown]
	v_cmp_eq_u32_e64 s[84:85], 14, v69
	v_cndmask_b32_e64 v55, v55, v2, s[26:27]
	v_cmp_eq_u32_e64 s[82:83], 15, v69
	v_cndmask_b32_e64 v54, v54, v19, s[84:85]
	v_cndmask_b32_e64 v55, v55, v3, s[28:29]
	;; [unrolled: 1-line block ×4, first 2 shown]
	ds_bpermute_b32 v54, v87, v54
	v_cndmask_b32_e64 v55, v55, v5, s[34:35]
	v_cndmask_b32_e64 v55, v55, v6, s[36:37]
	v_cndmask_b32_e64 v55, v55, v7, s[38:39]
	v_cndmask_b32_e64 v55, v55, v8, s[42:43]
	v_cmp_eq_u32_e64 s[80:81], 0, v69
	v_cndmask_b32_e64 v55, v55, v9, s[44:45]
	s_waitcnt lgkmcnt(0)
	v_cndmask_b32_e64 v17, v17, v54, s[2:3]
	v_cndmask_b32_e64 v16, v16, v54, s[80:81]
	v_cmp_eq_u32_e64 s[74:75], 1, v70
	v_cndmask_b32_e64 v55, v55, v10, s[46:47]
	v_cndmask_b32_e64 v18, v18, v54, s[82:83]
	;; [unrolled: 1-line block ×7, first 2 shown]
	v_cndmask_b32_e32 v24, v24, v54, vcc
	v_cndmask_b32_e64 v25, v25, v54, s[4:5]
	v_cndmask_b32_e64 v26, v26, v54, s[96:97]
	;; [unrolled: 1-line block ×8, first 2 shown]
	v_cmp_eq_u32_e64 s[78:79], 2, v70
	v_cndmask_b32_e64 v55, v55, v11, s[48:49]
	v_cmp_eq_u32_e64 s[76:77], 3, v70
	v_cndmask_b32_e64 v54, v54, v31, s[78:79]
	v_cndmask_b32_e64 v55, v55, v12, s[52:53]
	;; [unrolled: 1-line block ×3, first 2 shown]
	v_cmp_eq_u32_e64 s[72:73], 4, v70
	v_cndmask_b32_e64 v55, v55, v13, s[58:59]
	v_cmp_eq_u32_e64 s[68:69], 5, v70
	v_cndmask_b32_e64 v54, v54, v29, s[72:73]
	v_cndmask_b32_e64 v55, v55, v14, s[62:63]
	;; [unrolled: 1-line block ×3, first 2 shown]
	v_cmp_eq_u32_e64 s[64:65], 6, v70
	v_cndmask_b32_e64 v55, v55, v15, s[66:67]
	v_cmp_eq_u32_e64 s[60:61], 7, v70
	v_cndmask_b32_e64 v54, v54, v27, s[64:65]
	ds_bpermute_b32 v55, v87, v55
	v_cndmask_b32_e64 v54, v54, v26, s[60:61]
	v_cmp_eq_u32_e64 s[56:57], 8, v70
	v_cmp_eq_u32_e64 s[54:55], 9, v70
	;; [unrolled: 1-line block ×3, first 2 shown]
	v_cndmask_b32_e64 v54, v54, v25, s[56:57]
	v_cndmask_b32_e64 v54, v54, v24, s[54:55]
	;; [unrolled: 1-line block ×3, first 2 shown]
	v_cmp_eq_u32_e64 s[70:71], 11, v70
	s_waitcnt lgkmcnt(0)
	v_cndmask_b32_e64 v15, v15, v55, s[66:67]
	v_cmp_eq_u32_e64 s[66:67], 12, v70
	v_cndmask_b32_e64 v54, v54, v22, s[70:71]
	v_cndmask_b32_e64 v14, v14, v55, s[62:63]
	;; [unrolled: 1-line block ×3, first 2 shown]
	v_cmp_eq_u32_e64 s[62:63], 13, v70
	v_cndmask_b32_e64 v1, v1, v55, s[24:25]
	v_cndmask_b32_e64 v0, v0, v55, s[40:41]
	;; [unrolled: 1-line block ×4, first 2 shown]
	v_cmp_eq_u32_e64 s[92:93], 14, v70
	v_cndmask_b32_e64 v12, v12, v55, s[52:53]
	v_cndmask_b32_e64 v11, v11, v55, s[48:49]
	;; [unrolled: 1-line block ×13, first 2 shown]
	v_cmp_eq_u32_e64 s[94:95], 15, v70
	v_cndmask_b32_e64 v55, v55, v2, s[6:7]
	v_cndmask_b32_e64 v55, v55, v3, s[8:9]
	;; [unrolled: 1-line block ×3, first 2 shown]
	ds_bpermute_b32 v54, v87, v54
	v_cndmask_b32_e64 v55, v55, v4, s[10:11]
	v_cndmask_b32_e64 v55, v55, v5, s[12:13]
	;; [unrolled: 1-line block ×4, first 2 shown]
	v_cmp_eq_u32_e64 s[48:49], 0, v70
	v_cndmask_b32_e64 v55, v55, v8, s[4:5]
	s_waitcnt lgkmcnt(0)
	v_cndmask_b32_e64 v17, v17, v54, s[74:75]
	v_cndmask_b32_e64 v16, v16, v54, s[48:49]
	v_cmp_eq_u32_e64 s[46:47], 1, v71
	v_cndmask_b32_e32 v55, v55, v9, vcc
	v_cndmask_b32_e64 v18, v18, v54, s[94:95]
	v_cndmask_b32_e64 v19, v19, v54, s[92:93]
	;; [unrolled: 1-line block ×15, first 2 shown]
	v_cmp_eq_u32_e64 s[44:45], 2, v71
	v_cndmask_b32_e64 v55, v55, v10, s[0:1]
	v_cmp_eq_u32_e64 s[42:43], 3, v71
	v_cndmask_b32_e64 v54, v54, v31, s[44:45]
	v_cndmask_b32_e64 v55, v55, v11, s[86:87]
	v_cndmask_b32_e64 v54, v54, v30, s[42:43]
	v_cmp_eq_u32_e64 s[38:39], 4, v71
	v_cndmask_b32_e64 v55, v55, v12, s[90:91]
	v_cmp_eq_u32_e64 s[36:37], 5, v71
	v_cndmask_b32_e64 v54, v54, v29, s[38:39]
	v_cndmask_b32_e64 v55, v55, v13, s[88:89]
	v_cndmask_b32_e64 v54, v54, v28, s[36:37]
	;; [unrolled: 6-line block ×3, first 2 shown]
	v_cmp_eq_u32_e64 s[28:29], 8, v71
	ds_bpermute_b32 v55, v87, v55
	v_cmp_eq_u32_e64 s[26:27], 9, v71
	v_cndmask_b32_e64 v54, v54, v25, s[28:29]
	v_cmp_eq_u32_e64 s[24:25], 10, v71
	v_cndmask_b32_e64 v54, v54, v24, s[26:27]
	;; [unrolled: 2-line block ×4, first 2 shown]
	s_waitcnt lgkmcnt(0)
	v_cndmask_b32_e64 v15, v15, v55, s[82:83]
	v_cndmask_b32_e64 v54, v54, v21, s[58:59]
	v_cmp_eq_u32_e64 s[82:83], 13, v71
	v_cndmask_b32_e64 v14, v14, v55, s[84:85]
	v_cmp_eq_u32_e64 s[84:85], 14, v71
	v_cndmask_b32_e64 v54, v54, v20, s[82:83]
	v_cndmask_b32_e64 v1, v1, v55, s[2:3]
	;; [unrolled: 1-line block ×6, first 2 shown]
	v_cmp_eq_u32_e64 s[90:91], 15, v71
	v_cndmask_b32_e64 v11, v11, v55, s[86:87]
	v_cndmask_b32_e64 v10, v10, v55, s[0:1]
	v_cndmask_b32_e32 v9, v9, v55, vcc
	v_cndmask_b32_e64 v8, v8, v55, s[4:5]
	v_cndmask_b32_e64 v7, v7, v55, s[96:97]
	;; [unrolled: 1-line block ×10, first 2 shown]
	ds_bpermute_b32 v54, v87, v54
	v_cndmask_b32_e64 v55, v55, v3, s[76:77]
	v_cndmask_b32_e64 v55, v55, v4, s[72:73]
	;; [unrolled: 1-line block ×3, first 2 shown]
	v_cmp_eq_u32_e64 s[52:53], 0, v71
	v_cndmask_b32_e64 v55, v55, v6, s[64:65]
	v_cndmask_b32_e64 v55, v55, v7, s[60:61]
	v_writelane_b32 v99, s52, 35
	s_waitcnt lgkmcnt(0)
	v_cndmask_b32_e64 v17, v17, v54, s[46:47]
	v_cndmask_b32_e64 v55, v55, v8, s[56:57]
	v_writelane_b32 v99, s53, 36
	v_cndmask_b32_e64 v16, v16, v54, s[52:53]
	v_cmp_eq_u32_e64 s[52:53], 1, v72
	v_cndmask_b32_e64 v18, v18, v54, s[90:91]
	v_cndmask_b32_e64 v19, v19, v54, s[84:85]
	;; [unrolled: 1-line block ×15, first 2 shown]
	v_cmp_eq_u32_e64 s[0:1], 2, v72
	v_cndmask_b32_e64 v55, v55, v9, s[54:55]
	v_cmp_eq_u32_e64 s[4:5], 3, v72
	v_cndmask_b32_e64 v54, v54, v31, s[0:1]
	v_cndmask_b32_e64 v55, v55, v10, s[50:51]
	v_cndmask_b32_e64 v54, v54, v30, s[4:5]
	v_cmp_eq_u32_e64 s[96:97], 4, v72
	v_cndmask_b32_e64 v55, v55, v11, s[70:71]
	v_cmp_eq_u32_e64 s[14:15], 5, v72
	v_cndmask_b32_e64 v54, v54, v29, s[96:97]
	v_cndmask_b32_e64 v55, v55, v12, s[66:67]
	v_cndmask_b32_e64 v54, v54, v28, s[14:15]
	;; [unrolled: 6-line block ×3, first 2 shown]
	v_cmp_eq_u32_e64 s[8:9], 8, v72
	v_cndmask_b32_e64 v55, v55, v15, s[94:95]
	v_cmp_eq_u32_e64 s[6:7], 9, v72
	v_cndmask_b32_e64 v54, v54, v25, s[8:9]
	ds_bpermute_b32 v55, v87, v55
	v_cndmask_b32_e64 v54, v54, v24, s[6:7]
	v_cmp_eq_u32_e32 vcc, 10, v72
	v_cmp_eq_u32_e64 s[80:81], 11, v72
	v_cmp_eq_u32_e64 s[86:87], 12, v72
	v_cndmask_b32_e32 v54, v54, v23, vcc
	v_cndmask_b32_e64 v54, v54, v22, s[80:81]
	v_cndmask_b32_e64 v54, v54, v21, s[86:87]
	v_cmp_eq_u32_e64 s[88:89], 13, v72
	s_waitcnt lgkmcnt(0)
	v_cndmask_b32_e64 v13, v13, v55, s[62:63]
	v_cmp_eq_u32_e64 s[62:63], 14, v72
	v_cndmask_b32_e64 v54, v54, v20, s[88:89]
	v_cndmask_b32_e64 v12, v12, v55, s[66:67]
	v_cndmask_b32_e64 v54, v54, v19, s[62:63]
	v_cmp_eq_u32_e64 s[66:67], 15, v72
	v_cndmask_b32_e64 v57, v11, v55, s[70:71]
	v_cmp_eq_u32_e64 s[70:71], 0, v72
	v_cndmask_b32_e64 v54, v54, v18, s[66:67]
	ds_bpermute_b32 v54, v87, v54
	v_cndmask_b32_e64 v15, v15, v55, s[94:95]
	v_cndmask_b32_e64 v14, v14, v55, s[92:93]
	;; [unrolled: 1-line block ×4, first 2 shown]
	s_waitcnt lgkmcnt(0)
	v_cndmask_b32_e64 v18, v18, v54, s[66:67]
	v_cndmask_b32_e64 v19, v19, v54, s[62:63]
	;; [unrolled: 1-line block ×5, first 2 shown]
	v_cndmask_b32_e32 v23, v23, v54, vcc
	v_cndmask_b32_e64 v24, v24, v54, s[6:7]
	v_cndmask_b32_e64 v25, v25, v54, s[8:9]
	;; [unrolled: 1-line block ×28, first 2 shown]
	v_cmp_eq_u32_e64 s[50:51], 1, v73
	v_cndmask_b32_e64 v0, v0, v54, s[24:25]
	v_cmp_eq_u32_e64 s[54:55], 2, v73
	v_cndmask_b32_e64 v10, v16, v17, s[50:51]
	v_cndmask_b32_e64 v0, v0, v57, s[40:41]
	v_cndmask_b32_e64 v9, v10, v31, s[54:55]
	v_cmp_eq_u32_e64 s[56:57], 3, v73
	v_cndmask_b32_e64 v0, v0, v12, s[58:59]
	v_cmp_eq_u32_e64 s[60:61], 4, v73
	v_cndmask_b32_e64 v8, v9, v30, s[56:57]
	v_cndmask_b32_e64 v0, v0, v13, s[82:83]
	v_cndmask_b32_e64 v7, v8, v29, s[60:61]
	;; [unrolled: 6-line block ×3, first 2 shown]
	v_cmp_eq_u32_e64 s[72:73], 7, v73
	ds_bpermute_b32 v94, v87, v0
	v_cmp_eq_u32_e64 s[76:77], 8, v73
	v_cndmask_b32_e64 v4, v5, v26, s[72:73]
	v_cmp_eq_u32_e64 s[78:79], 9, v73
	v_cndmask_b32_e64 v3, v4, v25, s[76:77]
	;; [unrolled: 2-line block ×4, first 2 shown]
	s_waitcnt lgkmcnt(0)
	v_cndmask_b32_e64 v95, v15, v94, s[90:91]
	v_cndmask_b32_e64 v0, v0, v22, s[74:75]
	v_cmp_eq_u32_e64 s[90:91], 12, v73
	v_cndmask_b32_e64 v96, v14, v94, s[84:85]
	v_cmp_eq_u32_e64 s[84:85], 13, v73
	v_cndmask_b32_e64 v0, v0, v21, s[90:91]
	v_cndmask_b32_e64 v97, v13, v94, s[82:83]
	;; [unrolled: 1-line block ×3, first 2 shown]
	v_cmp_eq_u32_e64 s[82:83], 14, v73
	v_cndmask_b32_e64 v98, v12, v94, s[58:59]
	v_cmp_eq_u32_e64 s[58:59], 15, v73
	v_cndmask_b32_e64 v0, v0, v19, s[82:83]
	v_readlane_b32 s2, v99, 35
	v_cndmask_b32_e64 v0, v0, v18, s[58:59]
	ds_bpermute_b32 v1, v87, v0
	v_readlane_b32 s3, v99, 36
	s_waitcnt lgkmcnt(0)
	v_cndmask_b32_e64 v11, v27, v1, s[68:69]
	v_cndmask_b32_e64 v12, v28, v1, s[64:65]
	;; [unrolled: 1-line block ×4, first 2 shown]
	s_mov_b64 s[2:3], s[52:53]
	v_cndmask_b32_e64 v10, v26, v1, s[72:73]
	v_cndmask_b32_e64 v13, v29, v1, s[60:61]
	;; [unrolled: 1-line block ×25, first 2 shown]
	v_cmp_eq_u32_e64 s[40:41], 0, v73
	v_cndmask_b32_e64 v19, v58, v94, s[26:27]
	v_cndmask_b32_e64 v29, v29, v20, s[8:9]
	;; [unrolled: 1-line block ×8, first 2 shown]
	v_cndmask_b32_e32 v29, v29, v16, vcc
	v_cndmask_b32_e64 v29, v29, v17, s[80:81]
	v_cndmask_b32_e64 v29, v29, v98, s[86:87]
	;; [unrolled: 1-line block ×5, first 2 shown]
	ds_bpermute_b32 v29, v87, v29
	v_cmp_eq_u32_e64 s[24:25], 1, v74
	v_cmp_eq_u32_e64 s[26:27], 2, v74
	;; [unrolled: 1-line block ×3, first 2 shown]
	v_cndmask_b32_e64 v18, v1, v0, s[24:25]
	s_waitcnt lgkmcnt(0)
	v_cndmask_b32_e64 v92, v27, v29, s[2:3]
	v_cndmask_b32_e64 v93, v28, v29, s[70:71]
	;; [unrolled: 1-line block ×18, first 2 shown]
	v_cndmask_b32_e32 v16, v16, v29, vcc
	v_cndmask_b32_e64 v19, v19, v57, s[78:79]
	v_cndmask_b32_e64 v17, v17, v29, s[80:81]
	;; [unrolled: 1-line block ×12, first 2 shown]
	ds_bpermute_b32 v94, v87, v19
	v_cndmask_b32_e64 v18, v18, v15, s[26:27]
	v_cndmask_b32_e64 v18, v18, v14, s[28:29]
	v_cmp_eq_u32_e64 s[30:31], 4, v74
	v_cmp_eq_u32_e64 s[34:35], 5, v74
	s_waitcnt lgkmcnt(0)
	v_cndmask_b32_e64 v23, v17, v94, s[74:75]
	v_cndmask_b32_e64 v24, v16, v94, s[48:49]
	;; [unrolled: 1-line block ×18, first 2 shown]
	v_cmp_eq_u32_e64 s[36:37], 6, v74
	v_cndmask_b32_e64 v28, v60, v94, s[68:69]
	v_cndmask_b32_e64 v55, v55, v29, s[34:35]
	v_cndmask_b32_e64 v18, v18, v11, s[36:37]
	v_cmp_eq_u32_e64 s[38:39], 7, v74
	v_cndmask_b32_e64 v27, v59, v94, s[72:73]
	v_cndmask_b32_e64 v55, v55, v28, s[36:37]
	v_cndmask_b32_e64 v18, v18, v10, s[38:39]
	;; [unrolled: 4-line block ×4, first 2 shown]
	v_cmp_eq_u32_e64 s[46:47], 10, v74
	v_cndmask_b32_e64 v55, v55, v25, s[44:45]
	v_cmp_eq_u32_e64 s[52:53], 11, v74
	v_cndmask_b32_e64 v18, v18, v7, s[46:47]
	v_cndmask_b32_e64 v55, v55, v24, s[46:47]
	;; [unrolled: 1-line block ×3, first 2 shown]
	v_cmp_eq_u32_e64 s[66:67], 12, v74
	v_cndmask_b32_e64 v55, v55, v23, s[52:53]
	v_cmp_eq_u32_e64 s[62:63], 13, v74
	v_cndmask_b32_e64 v18, v18, v5, s[66:67]
	v_cndmask_b32_e64 v55, v55, v22, s[66:67]
	;; [unrolled: 1-line block ×3, first 2 shown]
	v_cmp_eq_u32_e32 vcc, 14, v74
	v_cndmask_b32_e64 v55, v55, v21, s[62:63]
	v_cmp_eq_u32_e64 s[6:7], 15, v74
	v_cndmask_b32_e32 v18, v18, v3, vcc
	v_cndmask_b32_e32 v55, v55, v20, vcc
	v_cndmask_b32_e64 v18, v18, v2, s[6:7]
	v_cndmask_b32_e64 v55, v55, v19, s[6:7]
	ds_bpermute_b32 v18, v87, v18
	ds_bpermute_b32 v58, v87, v55
	v_readlane_b32 s53, v99, 32
	s_nop 1
	v_cmp_lt_i32_e32 vcc, s53, v76
	s_and_saveexec_b64 s[40:41], vcc
	v_readlane_b32 s44, v99, 2
	v_readlane_b32 s45, v99, 3
	;; [unrolled: 1-line block ×11, first 2 shown]
	s_cbranch_execz .LBB264_32
; %bb.24:                               ;   in Loop: Header=BB264_7 Depth=1
	s_mul_i32 s0, s52, s17
	s_ashr_i32 s1, s0, 31
	s_lshl_b64 s[0:1], s[0:1], 1
	s_add_u32 s2, s48, s0
	v_cmp_eq_u32_e64 s[34:35], 1, v74
	v_cmp_eq_u32_e64 s[36:37], 0, v74
	s_addc_u32 s3, s49, s1
	s_ashr_i32 s55, s54, 31
	s_waitcnt lgkmcnt(1)
	v_cndmask_b32_e64 v55, v0, v18, s[34:35]
	v_cndmask_b32_e64 v57, v1, v18, s[36:37]
	s_lshl_b64 s[0:1], s[54:55], 1
	s_waitcnt lgkmcnt(0)
	v_cndmask_b32_e64 v59, v16, v58, s[34:35]
	v_cndmask_b32_e64 v60, v17, v58, s[36:37]
	v_cvt_f16_f32_e32 v57, v57
	v_cvt_f16_f32_sdwa v55, v55 dst_sel:WORD_1 dst_unused:UNUSED_PAD src0_sel:DWORD
	s_add_u32 s42, s2, s0
	v_cvt_f16_f32_e32 v60, v60
	v_cvt_f16_f32_sdwa v59, v59 dst_sel:WORD_1 dst_unused:UNUSED_PAD src0_sel:DWORD
	s_addc_u32 s43, s3, s1
	v_lshl_add_u64 v[0:1], s[42:43], 0, v[32:33]
	v_cmp_eq_u32_e32 vcc, 15, v74
	v_cmp_eq_u32_e64 s[6:7], 14, v74
	v_cmp_eq_u32_e64 s[8:9], 13, v74
	;; [unrolled: 1-line block ×13, first 2 shown]
	v_lshl_add_u64 v[16:17], v[34:35], 1, v[0:1]
	v_or_b32_e32 v55, v55, v57
	v_cmp_lt_i32_e64 s[34:35], s53, v77
	;;#ASMSTART
	global_atomic_pk_add_f16 v[16:17], v55, off
	
	;;#ASMEND
	v_lshl_add_u64 v[16:17], v[16:17], 0, 64
	v_or_b32_e32 v55, v59, v60
	;;#ASMSTART
	global_atomic_pk_add_f16 v[16:17], v55, off
	
	;;#ASMEND
	s_and_b64 exec, exec, s[34:35]
	s_cbranch_execz .LBB264_32
; %bb.25:                               ;   in Loop: Header=BB264_7 Depth=1
	v_cndmask_b32_e32 v2, v2, v18, vcc
	v_cndmask_b32_e64 v3, v3, v18, s[6:7]
	v_cndmask_b32_e64 v16, v4, v18, s[8:9]
	;; [unrolled: 1-line block ×19, first 2 shown]
	v_cvt_f16_f32_e32 v22, v18
	v_cvt_f16_f32_sdwa v23, v92 dst_sel:WORD_1 dst_unused:UNUSED_PAD src0_sel:DWORD
	v_cvt_f16_f32_e32 v21, v21
	v_cvt_f16_f32_sdwa v20, v20 dst_sel:WORD_1 dst_unused:UNUSED_PAD src0_sel:DWORD
	v_cndmask_b32_e32 v4, v19, v58, vcc
	v_cndmask_b32_e64 v9, v24, v58, s[14:15]
	v_cndmask_b32_e64 v10, v25, v58, s[0:1]
	;; [unrolled: 1-line block ×7, first 2 shown]
	v_lshl_add_u64 v[18:19], v[36:37], 1, v[0:1]
	v_cmp_lt_i32_e32 vcc, s53, v78
	v_or_b32_e32 v22, v23, v22
	;;#ASMSTART
	global_atomic_pk_add_f16 v[18:19], v22, off
	
	;;#ASMEND
	v_lshl_add_u64 v[18:19], v[18:19], 0, 64
	v_or_b32_e32 v20, v20, v21
	;;#ASMSTART
	global_atomic_pk_add_f16 v[18:19], v20, off
	
	;;#ASMEND
	s_and_b64 exec, exec, vcc
	s_cbranch_execz .LBB264_32
; %bb.26:                               ;   in Loop: Header=BB264_7 Depth=1
	v_cvt_f16_f32_e32 v20, v91
	v_cvt_f16_f32_sdwa v21, v90 dst_sel:WORD_1 dst_unused:UNUSED_PAD src0_sel:DWORD
	v_cvt_f16_f32_e32 v22, v15
	v_cvt_f16_f32_sdwa v23, v14 dst_sel:WORD_1 dst_unused:UNUSED_PAD src0_sel:DWORD
	v_lshl_add_u64 v[18:19], v[38:39], 1, v[0:1]
	v_or_b32_e32 v14, v21, v20
	v_cmp_lt_i32_e32 vcc, s53, v79
	;;#ASMSTART
	global_atomic_pk_add_f16 v[18:19], v14, off
	
	;;#ASMEND
	v_lshl_add_u64 v[14:15], v[18:19], 0, 64
	v_or_b32_e32 v18, v23, v22
	;;#ASMSTART
	global_atomic_pk_add_f16 v[14:15], v18, off
	
	;;#ASMEND
	s_and_b64 exec, exec, vcc
	s_cbranch_execz .LBB264_32
; %bb.27:                               ;   in Loop: Header=BB264_7 Depth=1
	v_cvt_f16_f32_e32 v18, v89
	v_cvt_f16_f32_sdwa v19, v61 dst_sel:WORD_1 dst_unused:UNUSED_PAD src0_sel:DWORD
	v_cvt_f16_f32_e32 v20, v13
	v_cvt_f16_f32_sdwa v21, v12 dst_sel:WORD_1 dst_unused:UNUSED_PAD src0_sel:DWORD
	v_lshl_add_u64 v[14:15], v[40:41], 1, v[0:1]
	v_or_b32_e32 v12, v19, v18
	v_cmp_lt_i32_e32 vcc, s53, v80
	;; [unrolled: 20-line block ×5, first 2 shown]
	;;#ASMSTART
	global_atomic_pk_add_f16 v[8:9], v6, off
	
	;;#ASMEND
	v_lshl_add_u64 v[6:7], v[8:9], 0, 64
	v_or_b32_e32 v8, v13, v12
	;;#ASMSTART
	global_atomic_pk_add_f16 v[6:7], v8, off
	
	;;#ASMEND
	s_and_b64 exec, exec, vcc
	s_cbranch_execz .LBB264_32
; %bb.31:                               ;   in Loop: Header=BB264_7 Depth=1
	v_cvt_f16_f32_e32 v3, v3
	v_cvt_f16_f32_sdwa v2, v2 dst_sel:WORD_1 dst_unused:UNUSED_PAD src0_sel:DWORD
	v_cvt_f16_f32_e32 v5, v5
	v_cvt_f16_f32_sdwa v4, v4 dst_sel:WORD_1 dst_unused:UNUSED_PAD src0_sel:DWORD
	v_lshl_add_u64 v[0:1], v[48:49], 1, v[0:1]
	v_or_b32_e32 v2, v2, v3
	;;#ASMSTART
	global_atomic_pk_add_f16 v[0:1], v2, off
	
	;;#ASMEND
	v_lshl_add_u64 v[0:1], v[0:1], 0, 64
	v_or_b32_e32 v2, v4, v5
	;;#ASMSTART
	global_atomic_pk_add_f16 v[0:1], v2, off
	
	;;#ASMEND
.LBB264_32:                             ;   in Loop: Header=BB264_7 Depth=1
	s_or_b64 exec, exec, s[40:41]
	v_readlane_b32 s14, v99, 10
	v_readlane_b32 s24, v99, 12
	;; [unrolled: 1-line block ×6, first 2 shown]
	v_subrev_u32_e32 v88, s98, v88
	v_readlane_b32 s11, v99, 0
	v_readlane_b32 s12, v99, 1
	;; [unrolled: 1-line block ×17, first 2 shown]
.LBB264_33:                             ;   in Loop: Header=BB264_7 Depth=1
	s_or_b64 exec, exec, s[2:3]
.LBB264_34:                             ;   in Loop: Header=BB264_7 Depth=1
	s_andn2_saveexec_b64 s[0:1], s[4:5]
	s_cbranch_execz .LBB264_43
; %bb.35:                               ;   in Loop: Header=BB264_7 Depth=1
	s_lshl_b32 s10, s98, 1
	v_cmp_gt_i32_e32 vcc, s10, v88
	s_and_saveexec_b64 s[2:3], vcc
	s_cbranch_execz .LBB264_42
; %bb.36:                               ;   in Loop: Header=BB264_7 Depth=1
	s_mul_i32 s4, s54, s19
	s_ashr_i32 s5, s4, 31
	s_add_u32 s4, s46, s4
	s_addc_u32 s5, s47, s5
	s_ashr_i32 s6, s37, 31
	s_add_u32 s4, s4, s37
	s_addc_u32 s5, s5, s6
	v_lshl_add_u64 v[0:1], s[4:5], 0, v[52:53]
	v_lshl_add_u64 v[8:9], v[0:1], 0, v[50:51]
	s_mov_b64 s[4:5], 0
	s_branch .LBB264_38
.LBB264_37:                             ;   in Loop: Header=BB264_38 Depth=2
	s_or_b64 exec, exec, s[6:7]
	v_lshl_add_u32 v12, v10, 11, v84
	;;#ASMSTART
	s_waitcnt vmcnt(1)
	;;#ASMEND
	ds_write2_b32 v12, v4, v5 offset1:32
	ds_write2_b32 v12, v6, v7 offset0:64 offset1:96
	v_add_u32_e32 v4, 0x400, v12
	v_add_u32_e32 v88, s22, v88
	;;#ASMSTART
	s_waitcnt vmcnt(0)
	;;#ASMEND
	ds_write2_b32 v4, v0, v1 offset1:32
	ds_write2_b32 v4, v2, v3 offset0:64 offset1:96
	v_add_u32_e32 v0, 1, v63
	v_add_u32_e32 v56, s22, v10
	v_cmp_le_i32_e32 vcc, s10, v88
	ds_write_b32 v11, v0 offset:36
	v_add_u32_e32 v0, 2, v63
	s_or_b64 s[4:5], vcc, s[4:5]
	v_cmp_lt_i32_e32 vcc, 5, v56
	s_nop 1
	v_cndmask_b32_e32 v63, v63, v0, vcc
	s_andn2_b64 exec, exec, s[4:5]
	s_cbranch_execz .LBB264_41
.LBB264_38:                             ;   Parent Loop BB264_7 Depth=1
                                        ; =>  This Loop Header: Depth=2
                                        ;       Child Loop BB264_40 Depth 3
	v_cmp_gt_i32_e32 vcc, 6, v56
	s_nop 1
	v_cndmask_b32_e64 v0, -6, 0, vcc
	v_add_u32_e32 v10, v0, v56
	v_lshrrev_b32_e32 v0, 31, v88
	v_add_u32_e32 v0, v88, v0
	v_and_b32_e32 v1, -2, v0
	v_lshlrev_b32_e32 v0, 5, v0
	v_sub_u32_e32 v2, v88, v1
	v_and_b32_e32 v0, 0xffffffc0, v0
	v_ashrrev_i32_e32 v1, 31, v0
	v_mul_lo_u32 v2, s30, v2
	v_lshl_add_u64 v[0:1], v[8:9], 0, v[0:1]
	v_ashrrev_i32_e32 v3, 31, v2
	v_lshl_add_u64 v[0:1], v[0:1], 0, v[2:3]
	v_lshlrev_b32_e32 v11, 2, v10
	;;#ASMSTART
	global_load_dwordx4 v[4:7], v[0:1], off offset:0   sc0 sc1 nt  
	global_load_dwordx4 v[0:3], v[0:1], off offset:32  sc0 sc1 nt  
	
	;;#ASMEND
	ds_read_b32 v12, v11 offset:30756
	v_add_u32_e32 v11, 0x7800, v11
	s_waitcnt lgkmcnt(0)
	v_cmp_ne_u32_e32 vcc, v12, v63
	s_and_saveexec_b64 s[6:7], vcc
	s_cbranch_execz .LBB264_37
; %bb.39:                               ;   in Loop: Header=BB264_38 Depth=2
	s_mov_b64 s[8:9], 0
.LBB264_40:                             ;   Parent Loop BB264_7 Depth=1
                                        ;     Parent Loop BB264_38 Depth=2
                                        ; =>    This Inner Loop Header: Depth=3
	;;#ASMSTART
	s_sleep 0
	;;#ASMEND
	ds_read_b32 v12, v11 offset:36
	s_waitcnt lgkmcnt(0)
	v_cmp_eq_u32_e32 vcc, v12, v63
	s_or_b64 s[8:9], vcc, s[8:9]
	s_andn2_b64 exec, exec, s[8:9]
	s_cbranch_execnz .LBB264_40
	s_branch .LBB264_37
.LBB264_41:                             ;   in Loop: Header=BB264_7 Depth=1
	s_or_b64 exec, exec, s[4:5]
.LBB264_42:                             ;   in Loop: Header=BB264_7 Depth=1
	s_or_b64 exec, exec, s[2:3]
	v_subrev_u32_e32 v88, s10, v88
.LBB264_43:                             ;   in Loop: Header=BB264_7 Depth=1
	s_or_b64 exec, exec, s[0:1]
.LBB264_44:                             ;   in Loop: Header=BB264_7 Depth=1
	s_andn2_saveexec_b64 s[0:1], s[38:39]
	s_cbranch_execz .LBB264_6
; %bb.45:                               ;   in Loop: Header=BB264_7 Depth=1
	s_mul_i32 s98, s98, 3
	v_cmp_gt_i32_e32 vcc, s98, v88
	s_and_saveexec_b64 s[2:3], vcc
	s_cbranch_execz .LBB264_5
; %bb.46:                               ;   in Loop: Header=BB264_7 Depth=1
	s_mul_i32 s4, s52, s18
	s_max_i32 s6, s53, 0
	s_ashr_i32 s5, s4, 31
	s_add_u32 s4, s44, s4
	v_add_u32_e32 v2, s6, v64
	s_movk_i32 s6, 0x60
	s_addc_u32 s5, s45, s5
	s_ashr_i32 s7, s37, 31
	v_cmp_gt_u32_e32 vcc, s6, v2
	s_add_u32 s4, s4, s37
	s_addc_u32 s5, s5, s7
	v_cndmask_b32_e32 v0, 0, v85, vcc
	v_ashrrev_i32_e32 v1, 31, v0
	v_lshl_add_u64 v[0:1], s[4:5], 0, v[0:1]
	v_lshl_add_u64 v[8:9], v[0:1], 0, v[50:51]
	v_sub_u32_e32 v10, 0x5f, v2
	s_mov_b64 s[4:5], 0
	s_branch .LBB264_48
.LBB264_47:                             ;   in Loop: Header=BB264_48 Depth=2
	s_or_b64 exec, exec, s[6:7]
	v_lshl_or_b32 v13, v11, 11, v86
	;;#ASMSTART
	s_waitcnt vmcnt(1)
	;;#ASMEND
	ds_write2_b32 v13, v4, v5 offset1:32
	ds_write2_b32 v13, v6, v7 offset0:64 offset1:96
	v_add_u32_e32 v4, 0x400, v13
	v_add_u32_e32 v88, s21, v88
	;;#ASMSTART
	s_waitcnt vmcnt(0)
	;;#ASMEND
	ds_write2_b32 v4, v0, v1 offset1:32
	ds_write2_b32 v4, v2, v3 offset0:64 offset1:96
	v_add_u32_e32 v0, 1, v63
	v_add_u32_e32 v56, s21, v11
	v_cmp_le_i32_e32 vcc, s98, v88
	ds_write_b32 v12, v0
	v_add_u32_e32 v0, 2, v63
	s_or_b64 s[4:5], vcc, s[4:5]
	v_cmp_lt_i32_e32 vcc, 8, v56
	s_nop 1
	v_cndmask_b32_e32 v63, v63, v0, vcc
	s_andn2_b64 exec, exec, s[4:5]
	s_cbranch_execz .LBB264_4
.LBB264_48:                             ;   Parent Loop BB264_7 Depth=1
                                        ; =>  This Loop Header: Depth=2
                                        ;       Child Loop BB264_50 Depth 3
	v_cmp_gt_i32_e32 vcc, 9, v56
	s_mov_b32 s6, 0x55555556
	s_nop 0
	v_cndmask_b32_e64 v0, -9, 0, vcc
	v_add_u32_e32 v11, v0, v56
	v_mul_hi_i32 v0, v88, s6
	v_lshrrev_b32_e32 v1, 31, v0
	v_add_u32_e32 v0, v0, v1
	v_lshl_add_u32 v1, v0, 1, v0
	v_sub_u32_e32 v1, v88, v1
	v_lshlrev_b32_e32 v1, 5, v1
	v_cmp_le_i32_e32 vcc, v1, v10
	v_lshlrev_b32_e32 v0, 6, v0
	v_lshlrev_b32_e32 v12, 2, v11
	v_cndmask_b32_e32 v2, 0, v1, vcc
	v_ashrrev_i32_e32 v1, 31, v0
	v_mul_lo_u32 v2, v2, s18
	v_lshl_add_u64 v[0:1], v[8:9], 0, v[0:1]
	v_ashrrev_i32_e32 v3, 31, v2
	v_lshl_add_u64 v[0:1], v[0:1], 0, v[2:3]
	;;#ASMSTART
	global_load_dwordx4 v[4:7], v[0:1], off offset:0   
	global_load_dwordx4 v[0:3], v[0:1], off offset:32  
	
	;;#ASMEND
	ds_read_b32 v13, v12 offset:30720
	v_add_u32_e32 v12, 0x7800, v12
	s_waitcnt lgkmcnt(0)
	v_cmp_ne_u32_e32 vcc, v13, v63
	s_and_saveexec_b64 s[6:7], vcc
	s_cbranch_execz .LBB264_47
; %bb.49:                               ;   in Loop: Header=BB264_48 Depth=2
	s_mov_b64 s[8:9], 0
.LBB264_50:                             ;   Parent Loop BB264_7 Depth=1
                                        ;     Parent Loop BB264_48 Depth=2
                                        ; =>    This Inner Loop Header: Depth=3
	;;#ASMSTART
	s_sleep 0
	;;#ASMEND
	ds_read_b32 v13, v12
	s_waitcnt lgkmcnt(0)
	v_cmp_eq_u32_e32 vcc, v13, v63
	s_or_b64 s[8:9], vcc, s[8:9]
	s_andn2_b64 exec, exec, s[8:9]
	s_cbranch_execnz .LBB264_50
	s_branch .LBB264_47
.LBB264_51:
	s_endpgm
	.section	.rodata,"a",@progbits
	.p2align	6, 0x0
	.amdhsa_kernel _Z19_skinny_gemm_kernelILi3ELi2ELi3ELi32ELi4EEvPKhS1_P6__halfPKfiiiiiiii
		.amdhsa_group_segment_fixed_size 30780
		.amdhsa_private_segment_fixed_size 0
		.amdhsa_kernarg_size 64
		.amdhsa_user_sgpr_count 2
		.amdhsa_user_sgpr_dispatch_ptr 0
		.amdhsa_user_sgpr_queue_ptr 0
		.amdhsa_user_sgpr_kernarg_segment_ptr 1
		.amdhsa_user_sgpr_dispatch_id 0
		.amdhsa_user_sgpr_kernarg_preload_length 0
		.amdhsa_user_sgpr_kernarg_preload_offset 0
		.amdhsa_user_sgpr_private_segment_size 0
		.amdhsa_uses_dynamic_stack 0
		.amdhsa_enable_private_segment 0
		.amdhsa_system_sgpr_workgroup_id_x 1
		.amdhsa_system_sgpr_workgroup_id_y 0
		.amdhsa_system_sgpr_workgroup_id_z 0
		.amdhsa_system_sgpr_workgroup_info 0
		.amdhsa_system_vgpr_workitem_id 0
		.amdhsa_next_free_vgpr 100
		.amdhsa_next_free_sgpr 100
		.amdhsa_accum_offset 100
		.amdhsa_reserve_vcc 1
		.amdhsa_float_round_mode_32 0
		.amdhsa_float_round_mode_16_64 0
		.amdhsa_float_denorm_mode_32 3
		.amdhsa_float_denorm_mode_16_64 3
		.amdhsa_dx10_clamp 1
		.amdhsa_ieee_mode 1
		.amdhsa_fp16_overflow 0
		.amdhsa_tg_split 0
		.amdhsa_exception_fp_ieee_invalid_op 0
		.amdhsa_exception_fp_denorm_src 0
		.amdhsa_exception_fp_ieee_div_zero 0
		.amdhsa_exception_fp_ieee_overflow 0
		.amdhsa_exception_fp_ieee_underflow 0
		.amdhsa_exception_fp_ieee_inexact 0
		.amdhsa_exception_int_div_zero 0
	.end_amdhsa_kernel
	.section	.text._Z19_skinny_gemm_kernelILi3ELi2ELi3ELi32ELi4EEvPKhS1_P6__halfPKfiiiiiiii,"axG",@progbits,_Z19_skinny_gemm_kernelILi3ELi2ELi3ELi32ELi4EEvPKhS1_P6__halfPKfiiiiiiii,comdat
.Lfunc_end264:
	.size	_Z19_skinny_gemm_kernelILi3ELi2ELi3ELi32ELi4EEvPKhS1_P6__halfPKfiiiiiiii, .Lfunc_end264-_Z19_skinny_gemm_kernelILi3ELi2ELi3ELi32ELi4EEvPKhS1_P6__halfPKfiiiiiiii
                                        ; -- End function
	.set _Z19_skinny_gemm_kernelILi3ELi2ELi3ELi32ELi4EEvPKhS1_P6__halfPKfiiiiiiii.num_vgpr, 100
	.set _Z19_skinny_gemm_kernelILi3ELi2ELi3ELi32ELi4EEvPKhS1_P6__halfPKfiiiiiiii.num_agpr, 0
	.set _Z19_skinny_gemm_kernelILi3ELi2ELi3ELi32ELi4EEvPKhS1_P6__halfPKfiiiiiiii.numbered_sgpr, 100
	.set _Z19_skinny_gemm_kernelILi3ELi2ELi3ELi32ELi4EEvPKhS1_P6__halfPKfiiiiiiii.num_named_barrier, 0
	.set _Z19_skinny_gemm_kernelILi3ELi2ELi3ELi32ELi4EEvPKhS1_P6__halfPKfiiiiiiii.private_seg_size, 0
	.set _Z19_skinny_gemm_kernelILi3ELi2ELi3ELi32ELi4EEvPKhS1_P6__halfPKfiiiiiiii.uses_vcc, 1
	.set _Z19_skinny_gemm_kernelILi3ELi2ELi3ELi32ELi4EEvPKhS1_P6__halfPKfiiiiiiii.uses_flat_scratch, 0
	.set _Z19_skinny_gemm_kernelILi3ELi2ELi3ELi32ELi4EEvPKhS1_P6__halfPKfiiiiiiii.has_dyn_sized_stack, 0
	.set _Z19_skinny_gemm_kernelILi3ELi2ELi3ELi32ELi4EEvPKhS1_P6__halfPKfiiiiiiii.has_recursion, 0
	.set _Z19_skinny_gemm_kernelILi3ELi2ELi3ELi32ELi4EEvPKhS1_P6__halfPKfiiiiiiii.has_indirect_call, 0
	.section	.AMDGPU.csdata,"",@progbits
; Kernel info:
; codeLenInByte = 9680
; TotalNumSgprs: 106
; NumVgprs: 100
; NumAgprs: 0
; TotalNumVgprs: 100
; ScratchSize: 0
; MemoryBound: 0
; FloatMode: 240
; IeeeMode: 1
; LDSByteSize: 30780 bytes/workgroup (compile time only)
; SGPRBlocks: 13
; VGPRBlocks: 12
; NumSGPRsForWavesPerEU: 106
; NumVGPRsForWavesPerEU: 100
; AccumOffset: 100
; Occupancy: 4
; WaveLimiterHint : 0
; COMPUTE_PGM_RSRC2:SCRATCH_EN: 0
; COMPUTE_PGM_RSRC2:USER_SGPR: 2
; COMPUTE_PGM_RSRC2:TRAP_HANDLER: 0
; COMPUTE_PGM_RSRC2:TGID_X_EN: 1
; COMPUTE_PGM_RSRC2:TGID_Y_EN: 0
; COMPUTE_PGM_RSRC2:TGID_Z_EN: 0
; COMPUTE_PGM_RSRC2:TIDIG_COMP_CNT: 0
; COMPUTE_PGM_RSRC3_GFX90A:ACCUM_OFFSET: 24
; COMPUTE_PGM_RSRC3_GFX90A:TG_SPLIT: 0
	.section	.text._Z19_skinny_gemm_kernelILi3ELi2ELi3ELi32ELi8EEvPKhS1_P6__halfPKfiiiiiiii,"axG",@progbits,_Z19_skinny_gemm_kernelILi3ELi2ELi3ELi32ELi8EEvPKhS1_P6__halfPKfiiiiiiii,comdat
	.protected	_Z19_skinny_gemm_kernelILi3ELi2ELi3ELi32ELi8EEvPKhS1_P6__halfPKfiiiiiiii ; -- Begin function _Z19_skinny_gemm_kernelILi3ELi2ELi3ELi32ELi8EEvPKhS1_P6__halfPKfiiiiiiii
	.globl	_Z19_skinny_gemm_kernelILi3ELi2ELi3ELi32ELi8EEvPKhS1_P6__halfPKfiiiiiiii
	.p2align	8
	.type	_Z19_skinny_gemm_kernelILi3ELi2ELi3ELi32ELi8EEvPKhS1_P6__halfPKfiiiiiiii,@function
_Z19_skinny_gemm_kernelILi3ELi2ELi3ELi32ELi8EEvPKhS1_P6__halfPKfiiiiiiii: ; @_Z19_skinny_gemm_kernelILi3ELi2ELi3ELi32ELi8EEvPKhS1_P6__halfPKfiiiiiiii
; %bb.0:
	v_cmp_gt_u32_e32 vcc, 15, v0
	s_and_saveexec_b64 s[4:5], vcc
; %bb.1:
	v_lshlrev_b32_e32 v1, 2, v0
	v_mov_b32_e32 v2, 0
	ds_write_b32 v1, v2 offset:61440
; %bb.2:
	s_or_b64 exec, exec, s[4:5]
	s_load_dwordx8 s[16:23], s[0:1], 0x20
	s_waitcnt lgkmcnt(0)
	s_barrier
	s_add_i32 s3, s16, 0x5f
	s_mul_hi_i32 s3, s3, 0x2aaaaaab
	s_add_i32 s4, s17, 63
	s_lshr_b32 s5, s3, 31
	s_ashr_i32 s3, s3, 4
	s_add_i32 s11, s3, s5
	s_ashr_i32 s3, s4, 31
	s_lshr_b32 s3, s3, 26
	s_add_i32 s4, s4, s3
	s_ashr_i32 s12, s4, 6
	s_mul_i32 s3, s12, s11
	s_mul_i32 s3, s3, s20
	s_add_i32 s4, s3, 0x12f
	s_mul_hi_i32 s4, s4, 0x6bca1af3
	s_lshr_b32 s5, s4, 31
	s_ashr_i32 s4, s4, 7
	s_add_i32 s4, s4, s5
	s_add_i32 s5, s2, 1
	s_mul_i32 s5, s4, s5
	v_cvt_f64_i32_e32 v[2:3], s3
	v_cvt_f64_u32_e32 v[4:5], s5
	v_min_f64 v[2:3], v[2:3], v[4:5]
	v_cvt_i32_f64_e32 v70, v[2:3]
	s_mul_i32 s33, s4, s2
	v_cmp_ge_i32_e32 vcc, s33, v70
	s_cbranch_vccnz .LBB265_51
; %bb.3:
	s_load_dwordx8 s[44:51], s[0:1], 0x0
	v_lshrrev_b32_e32 v1, 6, v0
	s_add_i32 s0, s22, s21
	v_cmp_le_i32_e64 s[14:15], s0, v1
	v_mov_b32_e32 v2, s21
	v_cmp_le_i32_e64 s[24:25], s21, v1
	v_mov_b32_e32 v3, s22
	v_cndmask_b32_e64 v3, 0, v3, s[14:15]
	v_cndmask_b32_e64 v2, 0, v2, s[24:25]
	s_abs_i32 s1, s20
	v_add_u32_e32 v2, v2, v3
	v_cvt_f32_u32_e32 v3, s1
	v_sub_u32_e32 v56, v1, v2
	s_ashr_i32 s2, s18, 31
	s_lshr_b32 s2, s2, 25
	v_rcp_iflag_f32_e32 v2, v3
	s_sub_i32 s5, 0, s1
	s_add_i32 s2, s18, s2
	s_ashr_i32 s2, s2, 7
	v_mul_f32_e32 v2, 0x4f7ffffe, v2
	v_cvt_u32_f32_e32 v2, v2
	s_abs_i32 s4, s2
	s_xor_b32 s3, s2, s20
	s_ashr_i32 s3, s3, 31
	v_readfirstlane_b32 s6, v2
	s_mul_i32 s5, s5, s6
	s_mul_hi_u32 s5, s6, s5
	s_add_i32 s6, s6, s5
	s_mul_hi_u32 s5, s4, s6
	s_mul_i32 s6, s5, s1
	s_sub_i32 s4, s4, s6
	s_add_i32 s6, s5, 1
	s_sub_i32 s7, s4, s1
	s_cmp_ge_u32 s4, s1
	s_cselect_b32 s5, s6, s5
	s_cselect_b32 s4, s7, s4
	s_add_i32 s6, s5, 1
	s_cmp_ge_u32 s4, s1
	s_cselect_b32 s1, s6, s5
	s_add_i32 s0, s0, s23
	v_and_b32_e32 v72, 31, v0
	v_lshrrev_b32_e32 v2, 3, v0
	v_cmp_gt_i32_e64 s[28:29], s0, v1
	v_lshlrev_b32_e32 v1, 2, v72
	v_and_b32_e32 v3, 4, v2
	v_and_b32_e32 v5, 1, v0
	v_lshlrev_b32_e32 v2, 6, v3
	v_or_b32_e32 v4, 0x9000, v1
	v_or_b32_e32 v3, v3, v5
	v_or_b32_e32 v73, v1, v2
	v_or_b32_e32 v74, v4, v2
	v_lshlrev_b32_e32 v2, 1, v5
	v_or_b32_e32 v5, 2, v3
	v_sub_u32_e32 v85, 32, v5
	v_or_b32_e32 v5, 8, v3
	v_sub_u32_e32 v86, 32, v5
	;; [unrolled: 2-line block ×3, first 2 shown]
	v_or_b32_e32 v5, 16, v3
                                        ; implicit-def: $vgpr105 : SGPR spill to VGPR lane
	v_sub_u32_e32 v88, 32, v5
	v_or_b32_e32 v5, 18, v3
	v_writelane_b32 v105, s11, 0
	v_sub_u32_e32 v84, 32, v3
	v_mul_lo_u32 v34, s17, v3
	v_sub_u32_e32 v89, 32, v5
	v_or_b32_e32 v5, 24, v3
	v_or_b32_e32 v3, 26, v3
	v_writelane_b32 v105, s12, 1
	v_sub_u32_e32 v91, 32, v3
	v_lshrrev_b32_e32 v3, 1, v0
	s_abs_i32 s30, s11
	s_waitcnt lgkmcnt(0)
	v_writelane_b32 v105, s44, 2
	v_and_b32_e32 v50, 16, v3
	v_cvt_f32_u32_e32 v3, s30
	v_writelane_b32 v105, s45, 3
	v_sub_u32_e32 v2, v0, v2
	v_writelane_b32 v105, s46, 4
	v_add_u32_e32 v2, 1, v2
	v_writelane_b32 v105, s47, 5
	v_and_b32_e32 v6, 63, v2
	v_bitop3_b32 v75, v0, 1, v0 bitop3:0xc
	v_bitop3_b32 v76, v0, 3, 1 bitop3:0x6c
	;; [unrolled: 1-line block ×8, first 2 shown]
	v_and_b32_e32 v2, 30, v0
	v_lshlrev_b32_e32 v0, 4, v0
	v_writelane_b32 v105, s48, 6
	v_and_b32_e32 v0, 0x200, v0
	v_rcp_iflag_f32_e32 v3, v3
	s_abs_i32 s34, s12
	v_writelane_b32 v105, s49, 7
	s_xor_b32 s1, s1, s3
	v_or_b32_e32 v94, v1, v0
	v_cvt_f32_u32_e32 v1, s34
	v_writelane_b32 v105, s50, 8
	s_sub_i32 s13, s1, s3
	s_add_i32 s26, s20, -1
	v_writelane_b32 v105, s51, 9
	v_cndmask_b32_e64 v71, 0, 1, s[14:15]
	s_mul_i32 s1, s13, s26
	s_lshl_b32 s0, s17, 1
	v_writelane_b32 v105, s14, 10
	s_sub_i32 s27, s2, s1
	v_add_u32_e32 v36, s0, v34
	s_mul_i32 s1, s17, 6
	v_or_b32_e32 v92, v4, v0
	v_mul_f32_e32 v0, 0x4f7ffffe, v3
	v_writelane_b32 v105, s15, 11
	v_add_u32_e32 v38, s1, v36
	v_cvt_u32_f32_e32 v0, v0
	v_rcp_iflag_f32_e32 v1, v1
	v_writelane_b32 v105, s24, 12
	v_add_u32_e32 v40, s0, v38
	v_add_u32_e32 v42, s1, v40
	v_writelane_b32 v105, s25, 13
	v_writelane_b32 v105, s13, 14
	v_add_u32_e32 v44, s0, v42
	v_writelane_b32 v105, s26, 15
	v_add_u32_e32 v46, s1, v44
	v_readfirstlane_b32 s1, v0
	v_mul_f32_e32 v0, 0x4f7ffffe, v1
	v_writelane_b32 v105, s27, 16
	v_cvt_u32_f32_e32 v0, v0
	v_writelane_b32 v105, s28, 17
	v_add_u32_e32 v48, s0, v46
	s_sub_i32 s0, 0, s30
	v_writelane_b32 v105, s29, 18
	s_lshl_b32 s31, s19, 5
	s_mul_i32 s0, s0, s1
	v_writelane_b32 v105, s30, 19
	s_mul_hi_u32 s0, s1, s0
	v_writelane_b32 v105, s31, 20
	s_ashr_i32 s35, s11, 31
	s_add_i32 s36, s1, s0
	s_sub_i32 s0, 0, s34
	v_readfirstlane_b32 s1, v0
	v_mbcnt_lo_u32_b32 v0, -1, 0
	v_writelane_b32 v105, s34, 21
	s_mul_i32 s0, s0, s1
	v_mbcnt_hi_u32_b32 v0, -1, v0
	v_writelane_b32 v105, s35, 22
	v_mov_b32_e32 v33, 0
	v_mul_lo_u32 v52, s19, v72
	s_ashr_i32 s37, s12, 31
	s_mul_hi_u32 s0, s1, s0
	v_and_or_b32 v0, v0, 64, v6
	v_writelane_b32 v105, s36, 23
	v_or_b32_e32 v83, 32, v72
	v_ashrrev_i32_e32 v35, 31, v34
	v_ashrrev_i32_e32 v37, 31, v36
	;; [unrolled: 1-line block ×6, first 2 shown]
	v_sub_u32_e32 v90, 32, v5
	v_ashrrev_i32_e32 v47, 31, v46
	v_ashrrev_i32_e32 v49, 31, v48
	;; [unrolled: 1-line block ×3, first 2 shown]
	v_mov_b32_e32 v51, v33
	v_mul_lo_u32 v93, s18, v72
	s_add_i32 s38, s1, s0
	v_lshlrev_b32_e32 v32, 1, v2
	v_lshlrev_b32_e32 v95, 2, v0
	v_mov_b32_e32 v96, v56
	v_writelane_b32 v105, s37, 24
	v_writelane_b32 v105, s38, 25
	s_branch .LBB265_7
.LBB265_4:                              ;   in Loop: Header=BB265_7 Depth=1
	s_or_b64 exec, exec, s[4:5]
.LBB265_5:                              ;   in Loop: Header=BB265_7 Depth=1
	s_or_b64 exec, exec, s[2:3]
	v_subrev_u32_e32 v96, s20, v96
.LBB265_6:                              ;   in Loop: Header=BB265_7 Depth=1
	s_or_b64 exec, exec, s[0:1]
	s_add_i32 s33, s33, 1
	v_cmp_ge_i32_e32 vcc, s33, v70
	s_cbranch_vccnz .LBB265_51
.LBB265_7:                              ; =>This Loop Header: Depth=1
                                        ;     Child Loop BB265_13 Depth 2
                                        ;       Child Loop BB265_15 Depth 3
                                        ;       Child Loop BB265_18 Depth 3
	;; [unrolled: 1-line block ×3, first 2 shown]
                                        ;     Child Loop BB265_38 Depth 2
                                        ;       Child Loop BB265_40 Depth 3
                                        ;     Child Loop BB265_48 Depth 2
                                        ;       Child Loop BB265_50 Depth 3
	s_abs_i32 s1, s33
	s_mul_hi_u32 s2, s1, s36
	s_mul_i32 s3, s2, s30
	s_ashr_i32 s0, s33, 31
	s_sub_i32 s1, s1, s3
	s_xor_b32 s0, s0, s35
	s_add_i32 s3, s2, 1
	s_sub_i32 s4, s1, s30
	s_cmp_ge_u32 s1, s30
	s_cselect_b32 s2, s3, s2
	s_cselect_b32 s1, s4, s1
	s_add_i32 s3, s2, 1
	s_cmp_ge_u32 s1, s30
	s_cselect_b32 s1, s3, s2
	s_xor_b32 s1, s1, s0
	s_sub_i32 s0, s1, s0
	s_abs_i32 s2, s0
	s_mul_i32 s1, s0, s11
	s_mul_hi_u32 s3, s2, s38
	s_sub_i32 s1, s33, s1
	s_mul_i32 s4, s3, s34
	s_mul_i32 s52, s1, 0x60
	s_ashr_i32 s1, s0, 31
	s_sub_i32 s2, s2, s4
	s_xor_b32 s1, s1, s37
	s_add_i32 s4, s3, 1
	s_sub_i32 s5, s2, s34
	s_cmp_ge_u32 s2, s34
	s_cselect_b32 s3, s4, s3
	s_cselect_b32 s2, s5, s2
	s_add_i32 s4, s3, 1
	s_cmp_ge_u32 s2, s34
	s_cselect_b32 s2, s4, s3
	s_xor_b32 s2, s2, s1
	s_sub_i32 s1, s2, s1
	s_mul_i32 s2, s1, s13
	s_lshl_b32 s39, s2, 7
	s_cmp_eq_u32 s1, s26
	s_cselect_b32 s20, s27, s13
	s_sub_i32 s2, s52, s16
	s_add_i32 s53, s2, 0x60
	s_and_saveexec_b64 s[2:3], s[24:25]
	s_xor_b64 s[40:41], exec, s[2:3]
	s_cbranch_execz .LBB265_44
; %bb.8:                                ;   in Loop: Header=BB265_7 Depth=1
	s_mul_i32 s1, s1, s12
	s_sub_i32 s0, s0, s1
	s_lshl_b32 s0, s0, 6
	s_sub_i32 s90, s0, s17
	s_add_i32 s90, s90, 64
	s_max_i32 s1, s90, 0
	s_sub_i32 s54, s0, s1
	s_and_saveexec_b64 s[0:1], s[14:15]
	s_xor_b64 s[4:5], exec, s[0:1]
	s_cbranch_execz .LBB265_34
; %bb.9:                                ;   in Loop: Header=BB265_7 Depth=1
	s_and_saveexec_b64 s[2:3], s[28:29]
	s_cbranch_execz .LBB265_33
; %bb.10:                               ;   in Loop: Header=BB265_7 Depth=1
	global_load_dword v97, v33, s[50:51]
	v_writelane_b32 v105, s2, 26
	v_mov_b32_e32 v31, 0
	v_cmp_gt_i32_e32 vcc, s20, v96
	v_writelane_b32 v105, s3, 27
	v_writelane_b32 v105, s4, 28
	v_mov_b32_e32 v30, v31
	v_mov_b32_e32 v29, v31
	;; [unrolled: 1-line block ×12, first 2 shown]
	s_waitcnt lgkmcnt(1)
	v_mov_b32_e32 v18, v31
	v_mov_b32_e32 v17, v31
	v_mov_b32_e32 v16, v31
	v_mov_b32_e32 v15, v31
	v_mov_b32_e32 v14, v31
	v_mov_b32_e32 v13, v31
	v_mov_b32_e32 v12, v31
	v_mov_b32_e32 v11, v31
	v_mov_b32_e32 v10, v31
	v_mov_b32_e32 v9, v31
	v_mov_b32_e32 v8, v31
	v_mov_b32_e32 v7, v31
	v_mov_b32_e32 v6, v31
	v_mov_b32_e32 v5, v31
	v_mov_b32_e32 v4, v31
	v_mov_b32_e32 v3, v31
	v_mov_b32_e32 v2, v31
	v_mov_b32_e32 v1, v31
	v_mov_b32_e32 v0, v31
	v_writelane_b32 v105, s5, 29
	s_and_saveexec_b64 s[0:1], vcc
	s_cbranch_execz .LBB265_23
; %bb.11:                               ;   in Loop: Header=BB265_7 Depth=1
	v_mov_b32_e32 v0, 0
	s_mov_b64 s[2:3], 0
	v_mov_b32_e32 v1, v0
	v_mov_b32_e32 v2, v0
	;; [unrolled: 1-line block ×31, first 2 shown]
	s_branch .LBB265_13
.LBB265_12:                             ;   in Loop: Header=BB265_13 Depth=2
	s_or_b64 exec, exec, s[4:5]
	v_add_u32_e32 v104, 0x1000, v101
	ds_read2_b32 v[102:103], v104 offset1:32
	v_add_u32_e32 v96, s23, v96
	s_waitcnt lgkmcnt(0)
	v_mfma_f32_32x32x16_fp8_fp8 v[0:15], v[68:69], v[102:103], v[0:15]
	ds_read2_b32 v[68:69], v104 offset0:128 offset1:160
	s_waitcnt lgkmcnt(0)
	v_mfma_f32_32x32x16_fp8_fp8 v[0:15], v[66:67], v[68:69], v[0:15]
	v_add_u32_e32 v68, 0x1400, v101
	ds_read2_b32 v[66:67], v68 offset1:32
	s_waitcnt lgkmcnt(0)
	v_mfma_f32_32x32x16_fp8_fp8 v[0:15], v[64:65], v[66:67], v[0:15]
	ds_read2_b32 v[64:65], v68 offset0:128 offset1:160
	s_waitcnt lgkmcnt(0)
	v_mfma_f32_32x32x16_fp8_fp8 v[0:15], v[62:63], v[64:65], v[0:15]
	v_add_u32_e32 v64, 0x1800, v101
	ds_read2_b32 v[62:63], v64 offset1:32
	;; [unrolled: 7-line block ×3, first 2 shown]
	ds_read2_b32 v[60:61], v60 offset0:128 offset1:160
	ds_write_b32 v99, v100 offset:61452
	s_waitcnt lgkmcnt(2)
	v_mfma_f32_32x32x16_fp8_fp8 v[0:15], v[56:57], v[58:59], v[0:15]
	v_add_u32_e32 v56, s23, v98
	v_add_u32_e32 v57, 2, v71
	v_cmp_lt_i32_e32 vcc, 2, v56
	s_nop 1
	v_cndmask_b32_e32 v71, v71, v57, vcc
	v_cmp_le_i32_e32 vcc, s20, v96
	s_waitcnt lgkmcnt(1)
	v_mfma_f32_32x32x16_fp8_fp8 v[0:15], v[54:55], v[60:61], v[0:15]
	s_or_b64 s[2:3], vcc, s[2:3]
	s_andn2_b64 exec, exec, s[2:3]
	s_cbranch_execz .LBB265_22
.LBB265_13:                             ;   Parent Loop BB265_7 Depth=1
                                        ; =>  This Loop Header: Depth=2
                                        ;       Child Loop BB265_15 Depth 3
                                        ;       Child Loop BB265_18 Depth 3
	;; [unrolled: 1-line block ×3, first 2 shown]
	v_cmp_gt_i32_e32 vcc, 3, v56
	s_nop 1
	v_cndmask_b32_e64 v54, -3, 0, vcc
	v_add_u32_e32 v98, v54, v56
	v_lshlrev_b32_e32 v99, 4, v98
	ds_read_b32 v54, v99 offset:61440
	s_waitcnt lgkmcnt(0)
	v_cmp_ne_u32_e32 vcc, v54, v71
	s_and_saveexec_b64 s[4:5], vcc
	s_cbranch_execz .LBB265_16
; %bb.14:                               ;   in Loop: Header=BB265_13 Depth=2
	s_mov_b64 s[6:7], 0
.LBB265_15:                             ;   Parent Loop BB265_7 Depth=1
                                        ;     Parent Loop BB265_13 Depth=2
                                        ; =>    This Inner Loop Header: Depth=3
	;;#ASMSTART
	s_sleep 0
	;;#ASMEND
	ds_read_b32 v54, v99 offset:61440
	s_waitcnt lgkmcnt(0)
	v_cmp_eq_u32_e32 vcc, v54, v71
	s_or_b64 s[6:7], vcc, s[6:7]
	s_andn2_b64 exec, exec, s[6:7]
	s_cbranch_execnz .LBB265_15
.LBB265_16:                             ;   in Loop: Header=BB265_13 Depth=2
	s_or_b64 exec, exec, s[4:5]
	v_lshl_or_b32 v54, v98, 12, v73
	v_add_u32_e32 v55, 0x400, v54
	ds_read2_b32 v[68:69], v54 offset1:32
	ds_read2_b32 v[66:67], v54 offset0:128 offset1:160
	ds_read2_b32 v[64:65], v55 offset1:32
	ds_read2_b32 v[62:63], v55 offset0:128 offset1:160
	v_add_u32_e32 v55, 0x800, v54
	v_add_u32_e32 v54, 0xc00, v54
	ds_read2_b32 v[60:61], v55 offset1:32
	ds_read2_b32 v[58:59], v55 offset0:128 offset1:160
	ds_read2_b32 v[56:57], v54 offset1:32
	ds_read_b32 v101, v99 offset:61444
	ds_read2_b32 v[54:55], v54 offset0:128 offset1:160
	v_add_u32_e32 v100, 1, v71
	ds_write_b32 v99, v100 offset:61440
	s_waitcnt lgkmcnt(2)
	v_cmp_ne_u32_e32 vcc, v101, v71
	s_and_saveexec_b64 s[4:5], vcc
	s_cbranch_execz .LBB265_19
; %bb.17:                               ;   in Loop: Header=BB265_13 Depth=2
	s_mov_b64 s[6:7], 0
.LBB265_18:                             ;   Parent Loop BB265_7 Depth=1
                                        ;     Parent Loop BB265_13 Depth=2
                                        ; =>    This Inner Loop Header: Depth=3
	;;#ASMSTART
	s_sleep 0
	;;#ASMEND
	ds_read_b32 v101, v99 offset:61444
	s_waitcnt lgkmcnt(0)
	v_cmp_eq_u32_e32 vcc, v101, v71
	s_or_b64 s[6:7], vcc, s[6:7]
	s_andn2_b64 exec, exec, s[6:7]
	s_cbranch_execnz .LBB265_18
.LBB265_19:                             ;   in Loop: Header=BB265_13 Depth=2
	s_or_b64 exec, exec, s[4:5]
	v_lshlrev_b32_e32 v101, 13, v98
	v_add_u32_e32 v101, v74, v101
	ds_read2_b32 v[102:103], v101 offset1:32
	v_add_u32_e32 v104, 0x400, v101
	ds_write_b32 v99, v100 offset:61444
	s_waitcnt lgkmcnt(1)
	v_mfma_f32_32x32x16_fp8_fp8 v[16:31], v[68:69], v[102:103], v[16:31]
	ds_read2_b32 v[102:103], v101 offset0:128 offset1:160
	s_waitcnt lgkmcnt(0)
	v_mfma_f32_32x32x16_fp8_fp8 v[16:31], v[66:67], v[102:103], v[16:31]
	ds_read2_b32 v[102:103], v104 offset1:32
	s_waitcnt lgkmcnt(0)
	v_mfma_f32_32x32x16_fp8_fp8 v[16:31], v[64:65], v[102:103], v[16:31]
	ds_read2_b32 v[102:103], v104 offset0:128 offset1:160
	v_add_u32_e32 v104, 0x800, v101
	s_waitcnt lgkmcnt(0)
	v_mfma_f32_32x32x16_fp8_fp8 v[16:31], v[62:63], v[102:103], v[16:31]
	ds_read2_b32 v[102:103], v104 offset1:32
	s_waitcnt lgkmcnt(0)
	v_mfma_f32_32x32x16_fp8_fp8 v[16:31], v[60:61], v[102:103], v[16:31]
	ds_read2_b32 v[102:103], v104 offset0:128 offset1:160
	v_add_u32_e32 v104, 0xc00, v101
	s_waitcnt lgkmcnt(0)
	v_mfma_f32_32x32x16_fp8_fp8 v[16:31], v[58:59], v[102:103], v[16:31]
	ds_read2_b32 v[102:103], v104 offset1:32
	s_waitcnt lgkmcnt(0)
	v_mfma_f32_32x32x16_fp8_fp8 v[16:31], v[56:57], v[102:103], v[16:31]
	ds_read2_b32 v[102:103], v104 offset0:128 offset1:160
	ds_read_b32 v104, v99 offset:61452
	s_waitcnt lgkmcnt(0)
	v_cmp_ne_u32_e32 vcc, v104, v71
	v_mfma_f32_32x32x16_fp8_fp8 v[16:31], v[54:55], v[102:103], v[16:31]
	s_and_saveexec_b64 s[4:5], vcc
	s_cbranch_execz .LBB265_12
; %bb.20:                               ;   in Loop: Header=BB265_13 Depth=2
	s_mov_b64 s[6:7], 0
.LBB265_21:                             ;   Parent Loop BB265_7 Depth=1
                                        ;     Parent Loop BB265_13 Depth=2
                                        ; =>    This Inner Loop Header: Depth=3
	;;#ASMSTART
	s_sleep 0
	;;#ASMEND
	ds_read_b32 v102, v99 offset:61452
	s_waitcnt lgkmcnt(0)
	v_cmp_eq_u32_e32 vcc, v102, v71
	s_or_b64 s[6:7], vcc, s[6:7]
	s_andn2_b64 exec, exec, s[6:7]
	s_cbranch_execnz .LBB265_21
	s_branch .LBB265_12
.LBB265_22:                             ;   in Loop: Header=BB265_7 Depth=1
	s_or_b64 exec, exec, s[2:3]
.LBB265_23:                             ;   in Loop: Header=BB265_7 Depth=1
	v_writelane_b32 v105, s54, 30
	s_nop 1
	v_writelane_b32 v105, s55, 31
	v_writelane_b32 v105, s40, 32
	s_nop 1
	v_writelane_b32 v105, s41, 33
	v_writelane_b32 v105, s53, 34
	;; [unrolled: 1-line block ×4, first 2 shown]
	s_or_b64 exec, exec, s[0:1]
	v_cmp_le_i32_e32 vcc, s90, v72
	v_cmp_eq_u32_e64 s[86:87], 1, v75
	v_cmp_eq_u32_e64 s[50:51], 2, v75
	s_waitcnt vmcnt(0)
	v_cndmask_b32_e32 v54, 0, v97, vcc
	v_pk_mul_f32 v[16:17], v[54:55], v[16:17] op_sel_hi:[0,1]
	v_pk_mul_f32 v[30:31], v[54:55], v[30:31] op_sel_hi:[0,1]
	;; [unrolled: 1-line block ×8, first 2 shown]
	v_cndmask_b32_e64 v54, v16, v17, s[86:87]
	v_cndmask_b32_e64 v54, v54, v18, s[50:51]
	v_cmp_eq_u32_e64 s[54:55], 3, v75
	v_cmp_eq_u32_e64 s[56:57], 4, v75
	v_cmp_eq_u32_e64 s[60:61], 5, v75
	v_cndmask_b32_e64 v54, v54, v19, s[54:55]
	v_cndmask_b32_e64 v54, v54, v20, s[56:57]
	v_cndmask_b32_e64 v54, v54, v21, s[60:61]
	v_cmp_eq_u32_e64 s[64:65], 6, v75
	v_cmp_eq_u32_e64 s[68:69], 7, v75
	v_cmp_eq_u32_e64 s[72:73], 8, v75
	v_cndmask_b32_e64 v54, v54, v22, s[64:65]
	;; [unrolled: 6-line block ×5, first 2 shown]
	ds_bpermute_b32 v54, v95, v54
	v_cmp_eq_u32_e64 s[26:27], 2, v76
	v_cmp_eq_u32_e64 s[28:29], 3, v76
	;; [unrolled: 1-line block ×4, first 2 shown]
	s_waitcnt lgkmcnt(0)
	v_cndmask_b32_e64 v62, v17, v54, s[86:87]
	v_cndmask_b32_e64 v16, v16, v54, s[70:71]
	;; [unrolled: 1-line block ×12, first 2 shown]
	v_cmp_eq_u32_e64 s[36:37], 6, v76
	v_cndmask_b32_e64 v55, v23, v54, s[68:69]
	v_cmp_eq_u32_e64 s[38:39], 7, v76
	v_cndmask_b32_e64 v17, v17, v57, s[36:37]
	v_cndmask_b32_e64 v24, v24, v54, s[72:73]
	v_cndmask_b32_e64 v17, v17, v55, s[38:39]
	v_cmp_eq_u32_e64 s[42:43], 8, v76
	v_cndmask_b32_e64 v25, v25, v54, s[76:77]
	v_cmp_eq_u32_e64 s[44:45], 9, v76
	v_cndmask_b32_e64 v17, v17, v24, s[42:43]
	v_cndmask_b32_e64 v26, v26, v54, s[78:79]
	v_cndmask_b32_e64 v17, v17, v25, s[44:45]
	;; [unrolled: 6-line block ×4, first 2 shown]
	v_cmp_eq_u32_e64 s[62:63], 14, v76
	v_cndmask_b32_e64 v31, v31, v54, s[88:89]
	v_cmp_eq_u32_e64 s[66:67], 15, v76
	v_cndmask_b32_e64 v17, v17, v30, s[62:63]
	v_cmp_le_i32_e64 s[90:91], s90, v83
	v_cndmask_b32_e64 v17, v17, v31, s[66:67]
	ds_bpermute_b32 v54, v95, v17
	v_cmp_eq_u32_e64 s[40:41], 0, v76
	v_cmp_eq_u32_e64 s[4:5], 1, v77
	;; [unrolled: 1-line block ×4, first 2 shown]
	s_waitcnt lgkmcnt(0)
	v_cndmask_b32_e64 v21, v27, v54, s[48:49]
	v_cndmask_b32_e64 v27, v58, v54, s[34:35]
	;; [unrolled: 1-line block ×3, first 2 shown]
	v_pk_mul_f32 v[0:1], v[58:59], v[0:1] op_sel_hi:[0,1]
	v_cndmask_b32_e64 v23, v25, v54, s[44:45]
	v_cndmask_b32_e64 v25, v55, v54, s[38:39]
	v_pk_mul_f32 v[2:3], v[58:59], v[2:3] op_sel_hi:[0,1]
	v_cndmask_b32_e64 v55, v0, v1, s[86:87]
	v_cndmask_b32_e64 v55, v55, v2, s[50:51]
	;; [unrolled: 3-line block ×6, first 2 shown]
	v_cndmask_b32_e64 v17, v31, v54, s[66:67]
	v_cndmask_b32_e64 v31, v62, v54, s[24:25]
	;; [unrolled: 1-line block ×3, first 2 shown]
	v_pk_mul_f32 v[12:13], v[58:59], v[12:13] op_sel_hi:[0,1]
	v_cndmask_b32_e64 v55, v55, v11, s[74:75]
	v_cndmask_b32_e64 v18, v30, v54, s[62:63]
	;; [unrolled: 1-line block ×13, first 2 shown]
	v_pk_mul_f32 v[14:15], v[58:59], v[14:15] op_sel_hi:[0,1]
	v_cndmask_b32_e64 v55, v55, v13, s[82:83]
	v_cndmask_b32_e64 v54, v54, v29, s[8:9]
	v_cmp_eq_u32_e64 s[10:11], 4, v77
	v_cndmask_b32_e64 v55, v55, v14, s[84:85]
	v_cmp_eq_u32_e64 s[12:13], 5, v77
	v_cndmask_b32_e64 v54, v54, v28, s[10:11]
	v_cndmask_b32_e64 v55, v55, v15, s[88:89]
	;; [unrolled: 1-line block ×3, first 2 shown]
	v_cmp_eq_u32_e64 s[14:15], 6, v77
	ds_bpermute_b32 v55, v95, v55
	v_cmp_eq_u32_e64 s[96:97], 7, v77
	v_cndmask_b32_e64 v54, v54, v26, s[14:15]
	v_cmp_eq_u32_e64 s[98:99], 8, v77
	v_cndmask_b32_e64 v54, v54, v25, s[96:97]
	v_cmp_eq_u32_e32 vcc, 9, v77
	v_cndmask_b32_e64 v54, v54, v24, s[98:99]
	v_cmp_eq_u32_e64 s[0:1], 10, v77
	v_cndmask_b32_e32 v54, v54, v23, vcc
	v_cmp_eq_u32_e64 s[86:87], 11, v77
	v_cndmask_b32_e64 v54, v54, v22, s[0:1]
	s_waitcnt lgkmcnt(0)
	v_cndmask_b32_e64 v2, v2, v55, s[50:51]
	v_cmp_ne_u32_e64 s[50:51], 0, v75
	v_cndmask_b32_e64 v54, v54, v21, s[86:87]
	v_cmp_eq_u32_e64 s[90:91], 12, v77
	v_cndmask_b32_e64 v1, v1, v55, s[50:51]
	v_cndmask_b32_e64 v0, v0, v55, s[70:71]
	;; [unrolled: 1-line block ×4, first 2 shown]
	v_cmp_eq_u32_e64 s[88:89], 13, v77
	v_cndmask_b32_e64 v14, v14, v55, s[84:85]
	v_cndmask_b32_e64 v13, v13, v55, s[82:83]
	;; [unrolled: 1-line block ×14, first 2 shown]
	v_cmp_eq_u32_e64 s[84:85], 14, v77
	v_cndmask_b32_e64 v55, v55, v2, s[26:27]
	v_cmp_eq_u32_e64 s[82:83], 15, v77
	v_cndmask_b32_e64 v54, v54, v18, s[84:85]
	v_cndmask_b32_e64 v55, v55, v3, s[28:29]
	;; [unrolled: 1-line block ×4, first 2 shown]
	ds_bpermute_b32 v54, v95, v54
	v_cndmask_b32_e64 v55, v55, v5, s[34:35]
	v_cndmask_b32_e64 v55, v55, v6, s[36:37]
	;; [unrolled: 1-line block ×4, first 2 shown]
	v_cmp_eq_u32_e64 s[80:81], 0, v77
	v_cndmask_b32_e64 v55, v55, v9, s[44:45]
	s_waitcnt lgkmcnt(0)
	v_cndmask_b32_e64 v31, v31, v54, s[4:5]
	v_cndmask_b32_e64 v16, v16, v54, s[80:81]
	v_cmp_eq_u32_e64 s[74:75], 1, v78
	v_cndmask_b32_e64 v55, v55, v10, s[46:47]
	v_cndmask_b32_e64 v17, v17, v54, s[82:83]
	;; [unrolled: 1-line block ×7, first 2 shown]
	v_cndmask_b32_e32 v23, v23, v54, vcc
	v_cndmask_b32_e64 v24, v24, v54, s[98:99]
	v_cndmask_b32_e64 v25, v25, v54, s[96:97]
	;; [unrolled: 1-line block ×8, first 2 shown]
	v_cmp_eq_u32_e64 s[78:79], 2, v78
	v_cndmask_b32_e64 v55, v55, v11, s[48:49]
	v_cmp_eq_u32_e64 s[76:77], 3, v78
	v_cndmask_b32_e64 v54, v54, v30, s[78:79]
	v_cndmask_b32_e64 v55, v55, v12, s[52:53]
	;; [unrolled: 1-line block ×3, first 2 shown]
	v_cmp_eq_u32_e64 s[72:73], 4, v78
	v_cndmask_b32_e64 v55, v55, v13, s[58:59]
	v_cmp_eq_u32_e64 s[68:69], 5, v78
	v_cndmask_b32_e64 v54, v54, v28, s[72:73]
	v_cndmask_b32_e64 v55, v55, v14, s[62:63]
	;; [unrolled: 1-line block ×3, first 2 shown]
	v_cmp_eq_u32_e64 s[64:65], 6, v78
	v_cndmask_b32_e64 v55, v55, v15, s[66:67]
	v_cmp_eq_u32_e64 s[60:61], 7, v78
	v_cndmask_b32_e64 v54, v54, v26, s[64:65]
	ds_bpermute_b32 v55, v95, v55
	v_cndmask_b32_e64 v54, v54, v25, s[60:61]
	v_cmp_eq_u32_e64 s[56:57], 8, v78
	v_cmp_eq_u32_e64 s[54:55], 9, v78
	;; [unrolled: 1-line block ×3, first 2 shown]
	v_cndmask_b32_e64 v54, v54, v24, s[56:57]
	v_cndmask_b32_e64 v54, v54, v23, s[54:55]
	;; [unrolled: 1-line block ×3, first 2 shown]
	v_cmp_eq_u32_e64 s[70:71], 11, v78
	s_waitcnt lgkmcnt(0)
	v_cndmask_b32_e64 v15, v15, v55, s[66:67]
	v_cmp_eq_u32_e64 s[66:67], 12, v78
	v_cndmask_b32_e64 v54, v54, v21, s[70:71]
	v_cndmask_b32_e64 v14, v14, v55, s[62:63]
	;; [unrolled: 1-line block ×3, first 2 shown]
	v_cmp_eq_u32_e64 s[62:63], 13, v78
	v_cndmask_b32_e64 v1, v1, v55, s[24:25]
	v_cndmask_b32_e64 v0, v0, v55, s[40:41]
	;; [unrolled: 1-line block ×4, first 2 shown]
	v_cmp_eq_u32_e64 s[92:93], 14, v78
	v_cndmask_b32_e64 v12, v12, v55, s[52:53]
	v_cndmask_b32_e64 v11, v11, v55, s[48:49]
	;; [unrolled: 1-line block ×13, first 2 shown]
	v_cmp_eq_u32_e64 s[94:95], 15, v78
	v_cndmask_b32_e64 v55, v55, v2, s[6:7]
	v_cndmask_b32_e64 v55, v55, v3, s[8:9]
	;; [unrolled: 1-line block ×3, first 2 shown]
	ds_bpermute_b32 v54, v95, v54
	v_cndmask_b32_e64 v55, v55, v4, s[10:11]
	v_cndmask_b32_e64 v55, v55, v5, s[12:13]
	;; [unrolled: 1-line block ×4, first 2 shown]
	v_cmp_eq_u32_e64 s[48:49], 0, v78
	v_cndmask_b32_e64 v55, v55, v8, s[98:99]
	s_waitcnt lgkmcnt(0)
	v_cndmask_b32_e64 v31, v31, v54, s[74:75]
	v_cndmask_b32_e64 v16, v16, v54, s[48:49]
	v_cmp_eq_u32_e64 s[46:47], 1, v79
	v_cndmask_b32_e32 v55, v55, v9, vcc
	v_cndmask_b32_e64 v17, v17, v54, s[94:95]
	v_cndmask_b32_e64 v18, v18, v54, s[92:93]
	;; [unrolled: 1-line block ×15, first 2 shown]
	v_cmp_eq_u32_e64 s[44:45], 2, v79
	v_cndmask_b32_e64 v55, v55, v10, s[0:1]
	v_cmp_eq_u32_e64 s[42:43], 3, v79
	v_cndmask_b32_e64 v54, v54, v30, s[44:45]
	v_cndmask_b32_e64 v55, v55, v11, s[86:87]
	v_cndmask_b32_e64 v54, v54, v29, s[42:43]
	v_cmp_eq_u32_e64 s[38:39], 4, v79
	v_cndmask_b32_e64 v55, v55, v12, s[90:91]
	v_cmp_eq_u32_e64 s[36:37], 5, v79
	v_cndmask_b32_e64 v54, v54, v28, s[38:39]
	v_cndmask_b32_e64 v55, v55, v13, s[88:89]
	v_cndmask_b32_e64 v54, v54, v27, s[36:37]
	;; [unrolled: 6-line block ×3, first 2 shown]
	v_cmp_eq_u32_e64 s[28:29], 8, v79
	ds_bpermute_b32 v55, v95, v55
	v_cmp_eq_u32_e64 s[26:27], 9, v79
	v_cndmask_b32_e64 v54, v54, v24, s[28:29]
	v_cmp_eq_u32_e64 s[24:25], 10, v79
	v_cndmask_b32_e64 v54, v54, v23, s[26:27]
	;; [unrolled: 2-line block ×4, first 2 shown]
	s_waitcnt lgkmcnt(0)
	v_cndmask_b32_e64 v15, v15, v55, s[82:83]
	v_cndmask_b32_e64 v54, v54, v20, s[58:59]
	v_cmp_eq_u32_e64 s[82:83], 13, v79
	v_cndmask_b32_e64 v14, v14, v55, s[84:85]
	v_cmp_eq_u32_e64 s[84:85], 14, v79
	v_cndmask_b32_e64 v54, v54, v19, s[82:83]
	v_cndmask_b32_e64 v1, v1, v55, s[4:5]
	;; [unrolled: 1-line block ×6, first 2 shown]
	v_cmp_eq_u32_e64 s[90:91], 15, v79
	v_cndmask_b32_e64 v11, v11, v55, s[86:87]
	v_cndmask_b32_e64 v10, v10, v55, s[0:1]
	v_cndmask_b32_e32 v9, v9, v55, vcc
	v_cndmask_b32_e64 v8, v8, v55, s[98:99]
	v_cndmask_b32_e64 v7, v7, v55, s[96:97]
	;; [unrolled: 1-line block ×10, first 2 shown]
	ds_bpermute_b32 v54, v95, v54
	v_cndmask_b32_e64 v55, v55, v3, s[76:77]
	v_cndmask_b32_e64 v55, v55, v4, s[72:73]
	;; [unrolled: 1-line block ×4, first 2 shown]
	v_cmp_eq_u32_e64 s[52:53], 0, v79
	v_cndmask_b32_e64 v55, v55, v7, s[60:61]
	s_waitcnt lgkmcnt(0)
	v_cndmask_b32_e64 v31, v31, v54, s[46:47]
	v_cndmask_b32_e64 v16, v16, v54, s[52:53]
	v_cmp_eq_u32_e64 s[0:1], 1, v80
	v_cndmask_b32_e64 v55, v55, v8, s[56:57]
	v_cndmask_b32_e64 v17, v17, v54, s[90:91]
	;; [unrolled: 1-line block ×16, first 2 shown]
	v_cmp_eq_u32_e64 s[2:3], 2, v80
	v_cndmask_b32_e64 v55, v55, v9, s[54:55]
	v_cmp_eq_u32_e64 s[98:99], 3, v80
	v_cndmask_b32_e64 v54, v54, v30, s[2:3]
	v_cndmask_b32_e64 v55, v55, v10, s[50:51]
	v_cndmask_b32_e64 v54, v54, v29, s[98:99]
	v_cmp_eq_u32_e64 s[96:97], 4, v80
	v_cndmask_b32_e64 v55, v55, v11, s[70:71]
	v_cmp_eq_u32_e64 s[14:15], 5, v80
	v_cndmask_b32_e64 v54, v54, v28, s[96:97]
	v_cndmask_b32_e64 v55, v55, v12, s[66:67]
	v_cndmask_b32_e64 v54, v54, v27, s[14:15]
	;; [unrolled: 6-line block ×3, first 2 shown]
	v_cmp_eq_u32_e64 s[8:9], 8, v80
	v_cndmask_b32_e64 v55, v55, v15, s[94:95]
	v_cmp_eq_u32_e64 s[6:7], 9, v80
	v_cndmask_b32_e64 v54, v54, v24, s[8:9]
	ds_bpermute_b32 v55, v95, v55
	v_cndmask_b32_e64 v54, v54, v23, s[6:7]
	v_cmp_eq_u32_e32 vcc, 10, v80
	v_cmp_eq_u32_e64 s[80:81], 11, v80
	v_cmp_eq_u32_e64 s[86:87], 12, v80
	v_cndmask_b32_e32 v54, v54, v22, vcc
	v_cndmask_b32_e64 v54, v54, v21, s[80:81]
	v_cndmask_b32_e64 v54, v54, v20, s[86:87]
	v_cmp_eq_u32_e64 s[88:89], 13, v80
	s_waitcnt lgkmcnt(0)
	v_cndmask_b32_e64 v13, v13, v55, s[62:63]
	v_cmp_eq_u32_e64 s[62:63], 14, v80
	v_cndmask_b32_e64 v54, v54, v19, s[88:89]
	v_cndmask_b32_e64 v12, v12, v55, s[66:67]
	;; [unrolled: 1-line block ×3, first 2 shown]
	v_cmp_eq_u32_e64 s[66:67], 15, v80
	v_cndmask_b32_e64 v57, v11, v55, s[70:71]
	v_cmp_eq_u32_e64 s[70:71], 0, v80
	v_cndmask_b32_e64 v54, v54, v17, s[66:67]
	ds_bpermute_b32 v54, v95, v54
	v_cndmask_b32_e64 v15, v15, v55, s[94:95]
	v_cndmask_b32_e64 v14, v14, v55, s[92:93]
	;; [unrolled: 1-line block ×4, first 2 shown]
	s_waitcnt lgkmcnt(0)
	v_cndmask_b32_e64 v17, v17, v54, s[66:67]
	v_cndmask_b32_e64 v18, v18, v54, s[62:63]
	;; [unrolled: 1-line block ×5, first 2 shown]
	v_cndmask_b32_e32 v22, v22, v54, vcc
	v_cndmask_b32_e64 v23, v23, v54, s[6:7]
	v_cndmask_b32_e64 v24, v24, v54, s[8:9]
	;; [unrolled: 1-line block ×28, first 2 shown]
	v_cmp_eq_u32_e64 s[50:51], 1, v81
	v_cndmask_b32_e64 v0, v0, v54, s[24:25]
	v_cmp_eq_u32_e64 s[54:55], 2, v81
	v_cndmask_b32_e64 v10, v16, v31, s[50:51]
	v_cndmask_b32_e64 v0, v0, v57, s[40:41]
	v_cndmask_b32_e64 v9, v10, v30, s[54:55]
	v_cmp_eq_u32_e64 s[56:57], 3, v81
	v_cndmask_b32_e64 v0, v0, v12, s[58:59]
	v_cmp_eq_u32_e64 s[60:61], 4, v81
	v_cndmask_b32_e64 v8, v9, v29, s[56:57]
	v_cndmask_b32_e64 v0, v0, v13, s[82:83]
	v_cndmask_b32_e64 v7, v8, v28, s[60:61]
	;; [unrolled: 6-line block ×3, first 2 shown]
	v_cmp_eq_u32_e64 s[72:73], 7, v81
	ds_bpermute_b32 v67, v95, v0
	v_cmp_eq_u32_e64 s[76:77], 8, v81
	v_cndmask_b32_e64 v4, v5, v25, s[72:73]
	v_cmp_eq_u32_e64 s[78:79], 9, v81
	v_cndmask_b32_e64 v3, v4, v24, s[76:77]
	;; [unrolled: 2-line block ×4, first 2 shown]
	s_waitcnt lgkmcnt(0)
	v_cndmask_b32_e64 v68, v15, v67, s[90:91]
	v_cndmask_b32_e64 v0, v0, v21, s[74:75]
	v_cmp_eq_u32_e64 s[90:91], 12, v81
	v_cndmask_b32_e64 v69, v14, v67, s[84:85]
	v_cmp_eq_u32_e64 s[84:85], 13, v81
	v_cndmask_b32_e64 v0, v0, v20, s[90:91]
	v_cndmask_b32_e64 v97, v13, v67, s[82:83]
	;; [unrolled: 1-line block ×3, first 2 shown]
	v_cmp_eq_u32_e64 s[82:83], 14, v81
	v_cndmask_b32_e64 v98, v12, v67, s[58:59]
	v_cmp_eq_u32_e64 s[58:59], 15, v81
	v_cndmask_b32_e64 v0, v0, v18, s[82:83]
	s_nop 0
	v_cndmask_b32_e64 v0, v0, v17, s[58:59]
	ds_bpermute_b32 v1, v95, v0
	s_waitcnt lgkmcnt(0)
	v_cndmask_b32_e64 v12, v27, v1, s[64:65]
	v_cndmask_b32_e64 v13, v28, v1, s[60:61]
	;; [unrolled: 1-line block ×29, first 2 shown]
	v_cmp_eq_u32_e64 s[40:41], 0, v81
	v_cndmask_b32_e64 v19, v58, v67, s[26:27]
	v_cndmask_b32_e64 v29, v29, v20, s[8:9]
	;; [unrolled: 1-line block ×8, first 2 shown]
	v_cndmask_b32_e32 v29, v29, v16, vcc
	v_cndmask_b32_e64 v29, v29, v17, s[80:81]
	v_cndmask_b32_e64 v29, v29, v98, s[86:87]
	;; [unrolled: 1-line block ×5, first 2 shown]
	ds_bpermute_b32 v29, v95, v29
	v_cmp_eq_u32_e64 s[24:25], 1, v82
	v_cmp_eq_u32_e64 s[26:27], 2, v82
	;; [unrolled: 1-line block ×3, first 2 shown]
	v_cndmask_b32_e64 v18, v1, v0, s[24:25]
	s_waitcnt lgkmcnt(0)
	v_cndmask_b32_e64 v65, v27, v29, s[0:1]
	v_cndmask_b32_e64 v66, v28, v29, s[70:71]
	;; [unrolled: 1-line block ×18, first 2 shown]
	v_cndmask_b32_e32 v16, v16, v29, vcc
	v_cndmask_b32_e64 v19, v19, v57, s[78:79]
	v_cndmask_b32_e64 v17, v17, v29, s[80:81]
	;; [unrolled: 1-line block ×12, first 2 shown]
	ds_bpermute_b32 v67, v95, v19
	v_cndmask_b32_e64 v18, v18, v15, s[26:27]
	v_cndmask_b32_e64 v18, v18, v14, s[28:29]
	v_cmp_eq_u32_e64 s[30:31], 4, v82
	v_cmp_eq_u32_e64 s[34:35], 5, v82
	s_waitcnt lgkmcnt(0)
	v_cndmask_b32_e64 v23, v17, v67, s[74:75]
	v_cndmask_b32_e64 v24, v16, v67, s[48:49]
	;; [unrolled: 1-line block ×18, first 2 shown]
	v_cmp_eq_u32_e64 s[36:37], 6, v82
	v_cndmask_b32_e64 v28, v60, v67, s[68:69]
	v_cndmask_b32_e64 v55, v55, v29, s[34:35]
	v_cndmask_b32_e64 v18, v18, v11, s[36:37]
	v_cmp_eq_u32_e64 s[38:39], 7, v82
	v_cndmask_b32_e64 v27, v59, v67, s[72:73]
	v_cndmask_b32_e64 v55, v55, v28, s[36:37]
	v_cndmask_b32_e64 v18, v18, v10, s[38:39]
	;; [unrolled: 4-line block ×4, first 2 shown]
	v_cmp_eq_u32_e64 s[46:47], 10, v82
	v_cndmask_b32_e64 v55, v55, v25, s[44:45]
	v_cmp_eq_u32_e64 s[52:53], 11, v82
	v_cndmask_b32_e64 v18, v18, v7, s[46:47]
	v_cndmask_b32_e64 v55, v55, v24, s[46:47]
	;; [unrolled: 1-line block ×3, first 2 shown]
	v_cmp_eq_u32_e64 s[66:67], 12, v82
	v_cndmask_b32_e64 v55, v55, v23, s[52:53]
	v_cmp_eq_u32_e64 s[62:63], 13, v82
	v_cndmask_b32_e64 v18, v18, v5, s[66:67]
	v_cndmask_b32_e64 v55, v55, v22, s[66:67]
	;; [unrolled: 1-line block ×3, first 2 shown]
	v_cmp_eq_u32_e32 vcc, 14, v82
	v_cndmask_b32_e64 v55, v55, v21, s[62:63]
	v_cmp_eq_u32_e64 s[6:7], 15, v82
	v_cndmask_b32_e32 v18, v18, v3, vcc
	v_cndmask_b32_e32 v55, v55, v20, vcc
	v_cndmask_b32_e64 v18, v18, v2, s[6:7]
	v_cndmask_b32_e64 v55, v55, v19, s[6:7]
	ds_bpermute_b32 v18, v95, v18
	ds_bpermute_b32 v58, v95, v55
	v_readlane_b32 s53, v105, 34
	s_nop 1
	v_cmp_lt_i32_e32 vcc, s53, v84
	s_and_saveexec_b64 s[40:41], vcc
	v_readlane_b32 s44, v105, 2
	v_readlane_b32 s45, v105, 3
	;; [unrolled: 1-line block ×11, first 2 shown]
	s_cbranch_execz .LBB265_32
; %bb.24:                               ;   in Loop: Header=BB265_7 Depth=1
	s_mul_i32 s0, s52, s17
	s_ashr_i32 s1, s0, 31
	s_lshl_b64 s[0:1], s[0:1], 1
	s_add_u32 s2, s48, s0
	v_cmp_eq_u32_e64 s[34:35], 1, v82
	v_cmp_eq_u32_e64 s[36:37], 0, v82
	s_addc_u32 s3, s49, s1
	s_ashr_i32 s55, s54, 31
	s_waitcnt lgkmcnt(1)
	v_cndmask_b32_e64 v55, v0, v18, s[34:35]
	v_cndmask_b32_e64 v57, v1, v18, s[36:37]
	s_lshl_b64 s[0:1], s[54:55], 1
	s_waitcnt lgkmcnt(0)
	v_cndmask_b32_e64 v59, v16, v58, s[34:35]
	v_cndmask_b32_e64 v60, v17, v58, s[36:37]
	v_cvt_f16_f32_e32 v57, v57
	v_cvt_f16_f32_sdwa v55, v55 dst_sel:WORD_1 dst_unused:UNUSED_PAD src0_sel:DWORD
	s_add_u32 s42, s2, s0
	v_cvt_f16_f32_e32 v60, v60
	v_cvt_f16_f32_sdwa v59, v59 dst_sel:WORD_1 dst_unused:UNUSED_PAD src0_sel:DWORD
	s_addc_u32 s43, s3, s1
	v_lshl_add_u64 v[0:1], s[42:43], 0, v[32:33]
	v_cmp_eq_u32_e32 vcc, 15, v82
	v_cmp_eq_u32_e64 s[6:7], 14, v82
	v_cmp_eq_u32_e64 s[8:9], 13, v82
	;; [unrolled: 1-line block ×13, first 2 shown]
	v_lshl_add_u64 v[16:17], v[34:35], 1, v[0:1]
	v_or_b32_e32 v55, v55, v57
	v_cmp_lt_i32_e64 s[34:35], s53, v85
	;;#ASMSTART
	global_atomic_pk_add_f16 v[16:17], v55, off
	
	;;#ASMEND
	v_lshl_add_u64 v[16:17], v[16:17], 0, 64
	v_or_b32_e32 v55, v59, v60
	;;#ASMSTART
	global_atomic_pk_add_f16 v[16:17], v55, off
	
	;;#ASMEND
	s_and_b64 exec, exec, s[34:35]
	s_cbranch_execz .LBB265_32
; %bb.25:                               ;   in Loop: Header=BB265_7 Depth=1
	v_cndmask_b32_e32 v2, v2, v18, vcc
	v_cndmask_b32_e64 v3, v3, v18, s[6:7]
	v_cndmask_b32_e64 v16, v4, v18, s[8:9]
	;; [unrolled: 1-line block ×19, first 2 shown]
	v_cvt_f16_f32_e32 v22, v18
	v_cvt_f16_f32_sdwa v23, v65 dst_sel:WORD_1 dst_unused:UNUSED_PAD src0_sel:DWORD
	v_cvt_f16_f32_e32 v21, v21
	v_cvt_f16_f32_sdwa v20, v20 dst_sel:WORD_1 dst_unused:UNUSED_PAD src0_sel:DWORD
	v_cndmask_b32_e32 v4, v19, v58, vcc
	v_cndmask_b32_e64 v9, v24, v58, s[14:15]
	v_cndmask_b32_e64 v10, v25, v58, s[0:1]
	;; [unrolled: 1-line block ×7, first 2 shown]
	v_lshl_add_u64 v[18:19], v[36:37], 1, v[0:1]
	v_cmp_lt_i32_e32 vcc, s53, v86
	v_or_b32_e32 v22, v23, v22
	;;#ASMSTART
	global_atomic_pk_add_f16 v[18:19], v22, off
	
	;;#ASMEND
	v_lshl_add_u64 v[18:19], v[18:19], 0, 64
	v_or_b32_e32 v20, v20, v21
	;;#ASMSTART
	global_atomic_pk_add_f16 v[18:19], v20, off
	
	;;#ASMEND
	s_and_b64 exec, exec, vcc
	s_cbranch_execz .LBB265_32
; %bb.26:                               ;   in Loop: Header=BB265_7 Depth=1
	v_cvt_f16_f32_e32 v20, v64
	v_cvt_f16_f32_sdwa v21, v63 dst_sel:WORD_1 dst_unused:UNUSED_PAD src0_sel:DWORD
	v_cvt_f16_f32_e32 v22, v15
	v_cvt_f16_f32_sdwa v23, v14 dst_sel:WORD_1 dst_unused:UNUSED_PAD src0_sel:DWORD
	v_lshl_add_u64 v[18:19], v[38:39], 1, v[0:1]
	v_or_b32_e32 v14, v21, v20
	v_cmp_lt_i32_e32 vcc, s53, v87
	;;#ASMSTART
	global_atomic_pk_add_f16 v[18:19], v14, off
	
	;;#ASMEND
	v_lshl_add_u64 v[14:15], v[18:19], 0, 64
	v_or_b32_e32 v18, v23, v22
	;;#ASMSTART
	global_atomic_pk_add_f16 v[14:15], v18, off
	
	;;#ASMEND
	s_and_b64 exec, exec, vcc
	s_cbranch_execz .LBB265_32
; %bb.27:                               ;   in Loop: Header=BB265_7 Depth=1
	v_cvt_f16_f32_e32 v18, v62
	v_cvt_f16_f32_sdwa v19, v61 dst_sel:WORD_1 dst_unused:UNUSED_PAD src0_sel:DWORD
	v_cvt_f16_f32_e32 v20, v13
	v_cvt_f16_f32_sdwa v21, v12 dst_sel:WORD_1 dst_unused:UNUSED_PAD src0_sel:DWORD
	v_lshl_add_u64 v[14:15], v[40:41], 1, v[0:1]
	v_or_b32_e32 v12, v19, v18
	v_cmp_lt_i32_e32 vcc, s53, v88
	;; [unrolled: 20-line block ×5, first 2 shown]
	;;#ASMSTART
	global_atomic_pk_add_f16 v[8:9], v6, off
	
	;;#ASMEND
	v_lshl_add_u64 v[6:7], v[8:9], 0, 64
	v_or_b32_e32 v8, v13, v12
	;;#ASMSTART
	global_atomic_pk_add_f16 v[6:7], v8, off
	
	;;#ASMEND
	s_and_b64 exec, exec, vcc
	s_cbranch_execz .LBB265_32
; %bb.31:                               ;   in Loop: Header=BB265_7 Depth=1
	v_cvt_f16_f32_e32 v3, v3
	v_cvt_f16_f32_sdwa v2, v2 dst_sel:WORD_1 dst_unused:UNUSED_PAD src0_sel:DWORD
	v_cvt_f16_f32_e32 v5, v5
	v_cvt_f16_f32_sdwa v4, v4 dst_sel:WORD_1 dst_unused:UNUSED_PAD src0_sel:DWORD
	v_lshl_add_u64 v[0:1], v[48:49], 1, v[0:1]
	v_or_b32_e32 v2, v2, v3
	;;#ASMSTART
	global_atomic_pk_add_f16 v[0:1], v2, off
	
	;;#ASMEND
	v_lshl_add_u64 v[0:1], v[0:1], 0, 64
	v_or_b32_e32 v2, v4, v5
	;;#ASMSTART
	global_atomic_pk_add_f16 v[0:1], v2, off
	
	;;#ASMEND
.LBB265_32:                             ;   in Loop: Header=BB265_7 Depth=1
	s_or_b64 exec, exec, s[40:41]
	v_readlane_b32 s14, v105, 10
	v_readlane_b32 s24, v105, 12
	;; [unrolled: 1-line block ×6, first 2 shown]
	v_subrev_u32_e32 v96, s20, v96
	v_readlane_b32 s11, v105, 0
	v_readlane_b32 s12, v105, 1
	;; [unrolled: 1-line block ×19, first 2 shown]
.LBB265_33:                             ;   in Loop: Header=BB265_7 Depth=1
	s_or_b64 exec, exec, s[2:3]
.LBB265_34:                             ;   in Loop: Header=BB265_7 Depth=1
	s_andn2_saveexec_b64 s[0:1], s[4:5]
	s_cbranch_execz .LBB265_43
; %bb.35:                               ;   in Loop: Header=BB265_7 Depth=1
	s_lshl_b32 s10, s20, 1
	v_cmp_gt_i32_e32 vcc, s10, v96
	s_and_saveexec_b64 s[2:3], vcc
	s_cbranch_execz .LBB265_42
; %bb.36:                               ;   in Loop: Header=BB265_7 Depth=1
	s_mul_i32 s4, s54, s19
	s_ashr_i32 s5, s4, 31
	s_add_u32 s4, s46, s4
	s_addc_u32 s5, s47, s5
	s_ashr_i32 s6, s39, 31
	s_add_u32 s4, s4, s39
	s_addc_u32 s5, s5, s6
	v_lshl_add_u64 v[0:1], s[4:5], 0, v[52:53]
	v_lshl_add_u64 v[16:17], v[0:1], 0, v[50:51]
	s_mov_b64 s[4:5], 0
	s_branch .LBB265_38
.LBB265_37:                             ;   in Loop: Header=BB265_38 Depth=2
	s_or_b64 exec, exec, s[6:7]
	v_lshl_add_u32 v20, v18, 12, v92
	;;#ASMSTART
	s_waitcnt vmcnt(3)
	;;#ASMEND
	ds_write2_b32 v20, v12, v13 offset1:32
	ds_write2_b32 v20, v14, v15 offset0:64 offset1:96
	v_add_u32_e32 v12, 0x400, v20
	;;#ASMSTART
	s_waitcnt vmcnt(2)
	;;#ASMEND
	ds_write2_b32 v12, v8, v9 offset1:32
	ds_write2_b32 v12, v10, v11 offset0:64 offset1:96
	v_add_u32_e32 v8, 0x800, v20
	;; [unrolled: 6-line block ×3, first 2 shown]
	v_add_u32_e32 v96, s22, v96
	;;#ASMSTART
	s_waitcnt vmcnt(0)
	;;#ASMEND
	ds_write2_b32 v4, v0, v1 offset1:32
	ds_write2_b32 v4, v2, v3 offset0:64 offset1:96
	v_add_u32_e32 v0, 1, v71
	v_add_u32_e32 v56, s22, v18
	v_cmp_le_i32_e32 vcc, s10, v96
	ds_write_b32 v19, v0 offset:36
	v_add_u32_e32 v0, 2, v71
	s_or_b64 s[4:5], vcc, s[4:5]
	v_cmp_lt_i32_e32 vcc, 5, v56
	s_nop 1
	v_cndmask_b32_e32 v71, v71, v0, vcc
	s_andn2_b64 exec, exec, s[4:5]
	s_cbranch_execz .LBB265_41
.LBB265_38:                             ;   Parent Loop BB265_7 Depth=1
                                        ; =>  This Loop Header: Depth=2
                                        ;       Child Loop BB265_40 Depth 3
	v_cmp_gt_i32_e32 vcc, 6, v56
	s_nop 1
	v_cndmask_b32_e64 v0, -6, 0, vcc
	s_waitcnt lgkmcnt(1)
	v_add_u32_e32 v18, v0, v56
	v_lshrrev_b32_e32 v0, 31, v96
	v_add_u32_e32 v0, v96, v0
	v_and_b32_e32 v1, -2, v0
	v_lshlrev_b32_e32 v0, 6, v0
	v_sub_u32_e32 v2, v96, v1
	v_and_b32_e32 v0, 0xffffff80, v0
	v_ashrrev_i32_e32 v1, 31, v0
	v_mul_lo_u32 v2, s31, v2
	v_lshl_add_u64 v[0:1], v[16:17], 0, v[0:1]
	v_ashrrev_i32_e32 v3, 31, v2
	v_lshl_add_u64 v[0:1], v[0:1], 0, v[2:3]
	v_lshlrev_b32_e32 v19, 2, v18
	;;#ASMSTART
	global_load_dwordx4 v[12:15], v[0:1], off offset:0   sc0 sc1 nt  
	global_load_dwordx4 v[8:11], v[0:1], off offset:32  sc0 sc1 nt  
	global_load_dwordx4 v[4:7], v[0:1], off offset:64  sc0 sc1 nt  
	;; [unrolled: 1-line block ×3, first 2 shown]
	
	;;#ASMEND
	ds_read_b32 v20, v19 offset:61476
	v_add_u32_e32 v19, 0xf000, v19
	s_waitcnt lgkmcnt(0)
	v_cmp_ne_u32_e32 vcc, v20, v71
	s_and_saveexec_b64 s[6:7], vcc
	s_cbranch_execz .LBB265_37
; %bb.39:                               ;   in Loop: Header=BB265_38 Depth=2
	s_mov_b64 s[8:9], 0
.LBB265_40:                             ;   Parent Loop BB265_7 Depth=1
                                        ;     Parent Loop BB265_38 Depth=2
                                        ; =>    This Inner Loop Header: Depth=3
	;;#ASMSTART
	s_sleep 0
	;;#ASMEND
	ds_read_b32 v20, v19 offset:36
	s_waitcnt lgkmcnt(0)
	v_cmp_eq_u32_e32 vcc, v20, v71
	s_or_b64 s[8:9], vcc, s[8:9]
	s_andn2_b64 exec, exec, s[8:9]
	s_cbranch_execnz .LBB265_40
	s_branch .LBB265_37
.LBB265_41:                             ;   in Loop: Header=BB265_7 Depth=1
	s_or_b64 exec, exec, s[4:5]
.LBB265_42:                             ;   in Loop: Header=BB265_7 Depth=1
	s_or_b64 exec, exec, s[2:3]
	v_subrev_u32_e32 v96, s10, v96
.LBB265_43:                             ;   in Loop: Header=BB265_7 Depth=1
	s_or_b64 exec, exec, s[0:1]
.LBB265_44:                             ;   in Loop: Header=BB265_7 Depth=1
	s_andn2_saveexec_b64 s[0:1], s[40:41]
	s_cbranch_execz .LBB265_6
; %bb.45:                               ;   in Loop: Header=BB265_7 Depth=1
	s_mul_i32 s20, s20, 3
	v_cmp_gt_i32_e32 vcc, s20, v96
	s_and_saveexec_b64 s[2:3], vcc
	s_cbranch_execz .LBB265_5
; %bb.46:                               ;   in Loop: Header=BB265_7 Depth=1
	s_mul_i32 s4, s52, s18
	s_max_i32 s6, s53, 0
	s_ashr_i32 s5, s4, 31
	s_add_u32 s4, s44, s4
	v_add_u32_e32 v2, s6, v72
	s_movk_i32 s6, 0x60
	s_addc_u32 s5, s45, s5
	s_ashr_i32 s7, s39, 31
	v_cmp_gt_u32_e32 vcc, s6, v2
	s_add_u32 s4, s4, s39
	s_addc_u32 s5, s5, s7
	v_cndmask_b32_e32 v0, 0, v93, vcc
	v_ashrrev_i32_e32 v1, 31, v0
	v_lshl_add_u64 v[0:1], s[4:5], 0, v[0:1]
	v_lshl_add_u64 v[16:17], v[0:1], 0, v[50:51]
	s_waitcnt lgkmcnt(1)
	v_sub_u32_e32 v18, 0x5f, v2
	s_mov_b64 s[4:5], 0
	s_branch .LBB265_48
.LBB265_47:                             ;   in Loop: Header=BB265_48 Depth=2
	s_or_b64 exec, exec, s[6:7]
	v_lshl_or_b32 v21, v19, 12, v94
	;;#ASMSTART
	s_waitcnt vmcnt(3)
	;;#ASMEND
	ds_write2_b32 v21, v12, v13 offset1:32
	ds_write2_b32 v21, v14, v15 offset0:64 offset1:96
	v_add_u32_e32 v12, 0x400, v21
	;;#ASMSTART
	s_waitcnt vmcnt(2)
	;;#ASMEND
	ds_write2_b32 v12, v8, v9 offset1:32
	ds_write2_b32 v12, v10, v11 offset0:64 offset1:96
	v_add_u32_e32 v8, 0x800, v21
	;; [unrolled: 6-line block ×3, first 2 shown]
	v_add_u32_e32 v96, s21, v96
	;;#ASMSTART
	s_waitcnt vmcnt(0)
	;;#ASMEND
	ds_write2_b32 v4, v0, v1 offset1:32
	ds_write2_b32 v4, v2, v3 offset0:64 offset1:96
	v_add_u32_e32 v0, 1, v71
	v_add_u32_e32 v56, s21, v19
	v_cmp_le_i32_e32 vcc, s20, v96
	ds_write_b32 v20, v0
	v_add_u32_e32 v0, 2, v71
	s_or_b64 s[4:5], vcc, s[4:5]
	v_cmp_lt_i32_e32 vcc, 8, v56
	s_nop 1
	v_cndmask_b32_e32 v71, v71, v0, vcc
	s_andn2_b64 exec, exec, s[4:5]
	s_cbranch_execz .LBB265_4
.LBB265_48:                             ;   Parent Loop BB265_7 Depth=1
                                        ; =>  This Loop Header: Depth=2
                                        ;       Child Loop BB265_50 Depth 3
	v_cmp_gt_i32_e32 vcc, 9, v56
	s_mov_b32 s6, 0x55555556
	s_nop 0
	v_cndmask_b32_e64 v0, -9, 0, vcc
	v_add_u32_e32 v19, v0, v56
	v_mul_hi_i32 v0, v96, s6
	v_lshrrev_b32_e32 v1, 31, v0
	v_add_u32_e32 v0, v0, v1
	v_lshl_add_u32 v1, v0, 1, v0
	v_sub_u32_e32 v1, v96, v1
	v_lshlrev_b32_e32 v1, 5, v1
	v_cmp_le_i32_e32 vcc, v1, v18
	v_lshlrev_b32_e32 v0, 7, v0
	v_lshlrev_b32_e32 v20, 2, v19
	v_cndmask_b32_e32 v2, 0, v1, vcc
	v_ashrrev_i32_e32 v1, 31, v0
	v_mul_lo_u32 v2, v2, s18
	v_lshl_add_u64 v[0:1], v[16:17], 0, v[0:1]
	v_ashrrev_i32_e32 v3, 31, v2
	v_lshl_add_u64 v[0:1], v[0:1], 0, v[2:3]
	;;#ASMSTART
	global_load_dwordx4 v[12:15], v[0:1], off offset:0   
	global_load_dwordx4 v[8:11], v[0:1], off offset:32  
	;; [unrolled: 1-line block ×4, first 2 shown]
	
	;;#ASMEND
	ds_read_b32 v21, v20 offset:61440
	v_add_u32_e32 v20, 0xf000, v20
	s_waitcnt lgkmcnt(0)
	v_cmp_ne_u32_e32 vcc, v21, v71
	s_and_saveexec_b64 s[6:7], vcc
	s_cbranch_execz .LBB265_47
; %bb.49:                               ;   in Loop: Header=BB265_48 Depth=2
	s_mov_b64 s[8:9], 0
.LBB265_50:                             ;   Parent Loop BB265_7 Depth=1
                                        ;     Parent Loop BB265_48 Depth=2
                                        ; =>    This Inner Loop Header: Depth=3
	;;#ASMSTART
	s_sleep 0
	;;#ASMEND
	ds_read_b32 v21, v20
	s_waitcnt lgkmcnt(0)
	v_cmp_eq_u32_e32 vcc, v21, v71
	s_or_b64 s[8:9], vcc, s[8:9]
	s_andn2_b64 exec, exec, s[8:9]
	s_cbranch_execnz .LBB265_50
	s_branch .LBB265_47
.LBB265_51:
	s_endpgm
	.section	.rodata,"a",@progbits
	.p2align	6, 0x0
	.amdhsa_kernel _Z19_skinny_gemm_kernelILi3ELi2ELi3ELi32ELi8EEvPKhS1_P6__halfPKfiiiiiiii
		.amdhsa_group_segment_fixed_size 61500
		.amdhsa_private_segment_fixed_size 0
		.amdhsa_kernarg_size 64
		.amdhsa_user_sgpr_count 2
		.amdhsa_user_sgpr_dispatch_ptr 0
		.amdhsa_user_sgpr_queue_ptr 0
		.amdhsa_user_sgpr_kernarg_segment_ptr 1
		.amdhsa_user_sgpr_dispatch_id 0
		.amdhsa_user_sgpr_kernarg_preload_length 0
		.amdhsa_user_sgpr_kernarg_preload_offset 0
		.amdhsa_user_sgpr_private_segment_size 0
		.amdhsa_uses_dynamic_stack 0
		.amdhsa_enable_private_segment 0
		.amdhsa_system_sgpr_workgroup_id_x 1
		.amdhsa_system_sgpr_workgroup_id_y 0
		.amdhsa_system_sgpr_workgroup_id_z 0
		.amdhsa_system_sgpr_workgroup_info 0
		.amdhsa_system_vgpr_workitem_id 0
		.amdhsa_next_free_vgpr 106
		.amdhsa_next_free_sgpr 100
		.amdhsa_accum_offset 108
		.amdhsa_reserve_vcc 1
		.amdhsa_float_round_mode_32 0
		.amdhsa_float_round_mode_16_64 0
		.amdhsa_float_denorm_mode_32 3
		.amdhsa_float_denorm_mode_16_64 3
		.amdhsa_dx10_clamp 1
		.amdhsa_ieee_mode 1
		.amdhsa_fp16_overflow 0
		.amdhsa_tg_split 0
		.amdhsa_exception_fp_ieee_invalid_op 0
		.amdhsa_exception_fp_denorm_src 0
		.amdhsa_exception_fp_ieee_div_zero 0
		.amdhsa_exception_fp_ieee_overflow 0
		.amdhsa_exception_fp_ieee_underflow 0
		.amdhsa_exception_fp_ieee_inexact 0
		.amdhsa_exception_int_div_zero 0
	.end_amdhsa_kernel
	.section	.text._Z19_skinny_gemm_kernelILi3ELi2ELi3ELi32ELi8EEvPKhS1_P6__halfPKfiiiiiiii,"axG",@progbits,_Z19_skinny_gemm_kernelILi3ELi2ELi3ELi32ELi8EEvPKhS1_P6__halfPKfiiiiiiii,comdat
.Lfunc_end265:
	.size	_Z19_skinny_gemm_kernelILi3ELi2ELi3ELi32ELi8EEvPKhS1_P6__halfPKfiiiiiiii, .Lfunc_end265-_Z19_skinny_gemm_kernelILi3ELi2ELi3ELi32ELi8EEvPKhS1_P6__halfPKfiiiiiiii
                                        ; -- End function
	.set _Z19_skinny_gemm_kernelILi3ELi2ELi3ELi32ELi8EEvPKhS1_P6__halfPKfiiiiiiii.num_vgpr, 106
	.set _Z19_skinny_gemm_kernelILi3ELi2ELi3ELi32ELi8EEvPKhS1_P6__halfPKfiiiiiiii.num_agpr, 0
	.set _Z19_skinny_gemm_kernelILi3ELi2ELi3ELi32ELi8EEvPKhS1_P6__halfPKfiiiiiiii.numbered_sgpr, 100
	.set _Z19_skinny_gemm_kernelILi3ELi2ELi3ELi32ELi8EEvPKhS1_P6__halfPKfiiiiiiii.num_named_barrier, 0
	.set _Z19_skinny_gemm_kernelILi3ELi2ELi3ELi32ELi8EEvPKhS1_P6__halfPKfiiiiiiii.private_seg_size, 0
	.set _Z19_skinny_gemm_kernelILi3ELi2ELi3ELi32ELi8EEvPKhS1_P6__halfPKfiiiiiiii.uses_vcc, 1
	.set _Z19_skinny_gemm_kernelILi3ELi2ELi3ELi32ELi8EEvPKhS1_P6__halfPKfiiiiiiii.uses_flat_scratch, 0
	.set _Z19_skinny_gemm_kernelILi3ELi2ELi3ELi32ELi8EEvPKhS1_P6__halfPKfiiiiiiii.has_dyn_sized_stack, 0
	.set _Z19_skinny_gemm_kernelILi3ELi2ELi3ELi32ELi8EEvPKhS1_P6__halfPKfiiiiiiii.has_recursion, 0
	.set _Z19_skinny_gemm_kernelILi3ELi2ELi3ELi32ELi8EEvPKhS1_P6__halfPKfiiiiiiii.has_indirect_call, 0
	.section	.AMDGPU.csdata,"",@progbits
; Kernel info:
; codeLenInByte = 10152
; TotalNumSgprs: 106
; NumVgprs: 106
; NumAgprs: 0
; TotalNumVgprs: 106
; ScratchSize: 0
; MemoryBound: 0
; FloatMode: 240
; IeeeMode: 1
; LDSByteSize: 61500 bytes/workgroup (compile time only)
; SGPRBlocks: 13
; VGPRBlocks: 13
; NumSGPRsForWavesPerEU: 106
; NumVGPRsForWavesPerEU: 106
; AccumOffset: 108
; Occupancy: 4
; WaveLimiterHint : 0
; COMPUTE_PGM_RSRC2:SCRATCH_EN: 0
; COMPUTE_PGM_RSRC2:USER_SGPR: 2
; COMPUTE_PGM_RSRC2:TRAP_HANDLER: 0
; COMPUTE_PGM_RSRC2:TGID_X_EN: 1
; COMPUTE_PGM_RSRC2:TGID_Y_EN: 0
; COMPUTE_PGM_RSRC2:TGID_Z_EN: 0
; COMPUTE_PGM_RSRC2:TIDIG_COMP_CNT: 0
; COMPUTE_PGM_RSRC3_GFX90A:ACCUM_OFFSET: 26
; COMPUTE_PGM_RSRC3_GFX90A:TG_SPLIT: 0
	.section	.text._Z19_skinny_gemm_kernelILi3ELi2ELi4ELi16ELi4EEvPKhS1_P6__halfPKfiiiiiiii,"axG",@progbits,_Z19_skinny_gemm_kernelILi3ELi2ELi4ELi16ELi4EEvPKhS1_P6__halfPKfiiiiiiii,comdat
	.protected	_Z19_skinny_gemm_kernelILi3ELi2ELi4ELi16ELi4EEvPKhS1_P6__halfPKfiiiiiiii ; -- Begin function _Z19_skinny_gemm_kernelILi3ELi2ELi4ELi16ELi4EEvPKhS1_P6__halfPKfiiiiiiii
	.globl	_Z19_skinny_gemm_kernelILi3ELi2ELi4ELi16ELi4EEvPKhS1_P6__halfPKfiiiiiiii
	.p2align	8
	.type	_Z19_skinny_gemm_kernelILi3ELi2ELi4ELi16ELi4EEvPKhS1_P6__halfPKfiiiiiiii,@function
_Z19_skinny_gemm_kernelILi3ELi2ELi4ELi16ELi4EEvPKhS1_P6__halfPKfiiiiiiii: ; @_Z19_skinny_gemm_kernelILi3ELi2ELi4ELi16ELi4EEvPKhS1_P6__halfPKfiiiiiiii
; %bb.0:
	v_cmp_gt_u32_e32 vcc, 20, v0
	v_lshlrev_b32_e32 v1, 2, v0
	s_and_saveexec_b64 s[4:5], vcc
; %bb.1:
	v_mov_b32_e32 v2, 0
	ds_write_b32 v1, v2 offset:40960
; %bb.2:
	s_or_b64 exec, exec, s[4:5]
	s_load_dwordx8 s[16:23], s[0:1], 0x20
	s_waitcnt lgkmcnt(0)
	s_barrier
	s_add_i32 s3, s16, 47
	s_add_i32 s4, s17, 31
	s_mul_hi_i32 s3, s3, 0x2aaaaaab
	s_lshr_b32 s5, s3, 31
	s_ashr_i32 s33, s3, 3
	s_ashr_i32 s3, s4, 31
	s_lshr_b32 s3, s3, 27
	s_add_i32 s4, s4, s3
	s_add_i32 s33, s33, s5
	s_ashr_i32 s48, s4, 5
	s_mul_i32 s3, s48, s33
	s_mul_i32 s3, s3, s20
	s_add_i32 s4, s3, 0x12f
	s_mul_hi_i32 s4, s4, 0x6bca1af3
	s_lshr_b32 s5, s4, 31
	s_ashr_i32 s4, s4, 7
	s_add_i32 s4, s4, s5
	s_add_i32 s5, s2, 1
	s_mul_i32 s5, s4, s5
	v_cvt_f64_i32_e32 v[2:3], s3
	v_cvt_f64_u32_e32 v[4:5], s5
	v_min_f64 v[2:3], v[2:3], v[4:5]
	v_cvt_i32_f64_e32 v25, v[2:3]
	s_mul_i32 s49, s4, s2
	v_cmp_ge_i32_e32 vcc, s49, v25
	s_cbranch_vccnz .LBB266_55
; %bb.3:
	v_lshrrev_b32_e32 v2, 6, v0
	s_add_i32 s4, s22, s21
	s_load_dwordx8 s[24:31], s[0:1], 0x0
	v_cmp_le_i32_e64 s[0:1], s4, v2
	v_mov_b32_e32 v3, s21
	v_cmp_le_i32_e64 s[2:3], s21, v2
	v_mov_b32_e32 v4, s22
	v_cndmask_b32_e64 v4, 0, v4, s[0:1]
	v_cndmask_b32_e64 v3, 0, v3, s[2:3]
	s_abs_i32 s5, s20
	v_add_u32_e32 v3, v3, v4
	v_cvt_f32_u32_e32 v4, s5
	v_sub_u32_e32 v40, v2, v3
	s_ashr_i32 s6, s18, 31
	s_lshr_b32 s6, s6, 25
	v_rcp_iflag_f32_e32 v3, v4
	s_sub_i32 s9, 0, s5
	s_add_i32 s6, s18, s6
	s_ashr_i32 s6, s6, 7
	v_mul_f32_e32 v3, 0x4f7ffffe, v3
	v_cvt_u32_f32_e32 v3, v3
	s_abs_i32 s8, s6
	s_xor_b32 s7, s6, s20
	s_ashr_i32 s7, s7, 31
	v_readfirstlane_b32 s10, v3
	s_mul_i32 s9, s9, s10
	s_mul_hi_u32 s9, s10, s9
	s_add_i32 s10, s10, s9
	s_mul_hi_u32 s9, s8, s10
	s_mul_i32 s10, s9, s5
	s_sub_i32 s8, s8, s10
	s_add_i32 s10, s9, 1
	s_sub_i32 s11, s8, s5
	s_cmp_ge_u32 s8, s5
	s_cselect_b32 s9, s10, s9
	s_cselect_b32 s8, s11, s8
	s_add_i32 s10, s9, 1
	s_cmp_ge_u32 s8, s5
	s_cselect_b32 s5, s10, s9
	s_xor_b32 s5, s5, s7
	s_sub_i32 s50, s5, s7
	s_add_i32 s20, s20, -1
	s_mul_i32 s5, s50, s20
	s_add_i32 s4, s4, s23
	s_sub_i32 s51, s6, s5
	v_cmp_gt_i32_e64 s[4:5], s4, v2
	v_lshlrev_b32_e32 v2, 1, v0
	v_lshlrev_b32_e32 v3, 4, v0
	v_and_b32_e32 v1, 60, v1
	v_and_b32_e32 v2, 64, v2
	;; [unrolled: 1-line block ×3, first 2 shown]
	v_or3_b32 v67, v1, v2, v4
	v_and_b32_e32 v1, 1, v0
	v_lshrrev_b32_e32 v4, 2, v0
	s_abs_i32 s52, s33
	v_and_or_b32 v72, v4, 12, v1
	v_cvt_f32_u32_e32 v4, s52
	v_lshlrev_b32_e32 v2, 1, v1
	v_and_b32_e32 v24, 14, v0
	v_sub_u32_e32 v2, v0, v2
	v_bitop3_b32 v69, v0, 1, v0 bitop3:0xc
	v_bitop3_b32 v70, v0, 3, 1 bitop3:0x6c
	v_and_b32_e32 v32, 48, v3
	v_bfe_u32 v75, v0, 2, 4
	v_and_b32_e32 v1, 60, v0
	v_lshlrev_b32_e32 v3, 8, v0
	v_lshlrev_b32_e32 v0, 6, v0
	v_and_b32_e32 v3, 0x200, v3
	v_and_b32_e32 v0, 64, v0
	v_or3_b32 v76, v1, v3, v0
	v_rcp_iflag_f32_e32 v0, v4
	s_abs_i32 s54, s48
	v_cvt_f32_u32_e32 v1, s54
	v_mad_u64_u32 v[26:27], s[6:7], s17, v72, v[24:25]
	v_mul_f32_e32 v0, 0x4f7ffffe, v0
	v_cvt_u32_f32_e32 v0, v0
	v_rcp_iflag_f32_e32 v1, v1
	s_lshl_b32 s6, s17, 4
	v_add_u32_e32 v28, s6, v26
	v_readfirstlane_b32 s7, v0
	v_mul_f32_e32 v0, 0x4f7ffffe, v1
	v_cvt_u32_f32_e32 v0, v0
	v_add_u32_e32 v30, s6, v28
	s_sub_i32 s6, 0, s52
	s_mul_i32 s6, s6, s7
	s_mul_hi_u32 s6, s7, s6
	v_add_u32_e32 v2, 1, v2
	s_add_i32 s56, s7, s6
	s_sub_i32 s6, 0, s54
	v_readfirstlane_b32 s7, v0
	v_mbcnt_lo_u32_b32 v0, -1, 0
	v_and_b32_e32 v2, 63, v2
	s_mul_i32 s6, s6, s7
	v_mbcnt_hi_u32_b32 v0, -1, v0
	v_mul_lo_u32 v34, s19, v75
	s_mul_hi_u32 s6, s7, s6
	v_and_or_b32 v0, v0, 64, v2
	v_cndmask_b32_e64 v66, 0, 1, s[0:1]
	v_or_b32_e32 v68, 0x6000, v67
	s_ashr_i32 s35, s17, 31
	s_mov_b32 s34, s17
	v_or_b32_e32 v71, 16, v24
	v_ashrrev_i32_e32 v27, 31, v26
	v_or_b32_e32 v73, 16, v72
	v_ashrrev_i32_e32 v29, 31, v28
	;; [unrolled: 2-line block ×3, first 2 shown]
	v_ashrrev_i32_e32 v35, 31, v34
	v_mov_b32_e32 v33, 0
	v_or_b32_e32 v77, 0x6000, v76
	s_lshl_b32 s53, s19, 4
	v_mul_lo_u32 v78, s18, v75
	s_ashr_i32 s55, s33, 31
	s_ashr_i32 s57, s48, 31
	s_add_i32 s58, s7, s6
	s_movk_i32 s59, 0x1800
	s_mov_b32 s60, 0x55555556
	v_lshlrev_b32_e32 v79, 2, v0
	v_mov_b32_e32 v80, v40
	s_branch .LBB266_7
.LBB266_4:                              ;   in Loop: Header=BB266_7 Depth=1
	s_or_b64 exec, exec, s[10:11]
.LBB266_5:                              ;   in Loop: Header=BB266_7 Depth=1
	s_or_b64 exec, exec, s[8:9]
	v_subrev_u32_e32 v80, s64, v80
.LBB266_6:                              ;   in Loop: Header=BB266_7 Depth=1
	s_or_b64 exec, exec, s[6:7]
	s_add_i32 s49, s49, 1
	v_cmp_ge_i32_e32 vcc, s49, v25
	s_cbranch_vccnz .LBB266_55
.LBB266_7:                              ; =>This Loop Header: Depth=1
                                        ;     Child Loop BB266_13 Depth 2
                                        ;       Child Loop BB266_15 Depth 3
                                        ;       Child Loop BB266_18 Depth 3
	;; [unrolled: 1-line block ×5, first 2 shown]
                                        ;     Child Loop BB266_42 Depth 2
                                        ;       Child Loop BB266_44 Depth 3
                                        ;     Child Loop BB266_52 Depth 2
                                        ;       Child Loop BB266_54 Depth 3
	s_abs_i32 s7, s49
	s_mul_hi_u32 s8, s7, s56
	s_mul_i32 s9, s8, s52
	s_ashr_i32 s6, s49, 31
	s_sub_i32 s7, s7, s9
	s_xor_b32 s6, s6, s55
	s_add_i32 s9, s8, 1
	s_sub_i32 s10, s7, s52
	s_cmp_ge_u32 s7, s52
	s_cselect_b32 s8, s9, s8
	s_cselect_b32 s7, s10, s7
	s_add_i32 s9, s8, 1
	s_cmp_ge_u32 s7, s52
	s_cselect_b32 s7, s9, s8
	s_xor_b32 s7, s7, s6
	s_sub_i32 s6, s7, s6
	s_abs_i32 s8, s6
	s_mul_hi_u32 s9, s8, s58
	s_mul_i32 s7, s6, s33
	s_mul_i32 s10, s9, s54
	s_sub_i32 s61, s49, s7
	s_ashr_i32 s7, s6, 31
	s_sub_i32 s8, s8, s10
	s_xor_b32 s7, s7, s57
	s_add_i32 s10, s9, 1
	s_sub_i32 s11, s8, s54
	s_cmp_ge_u32 s8, s54
	s_cselect_b32 s9, s10, s9
	s_cselect_b32 s8, s11, s8
	s_add_i32 s10, s9, 1
	s_cmp_ge_u32 s8, s54
	s_cselect_b32 s8, s10, s9
	s_xor_b32 s8, s8, s7
	s_sub_i32 s7, s8, s7
	s_mul_i32 s8, s7, s50
	s_lshl_b32 s62, s8, 7
	s_mul_i32 s61, s61, 48
	s_cmp_eq_u32 s7, s20
	s_cselect_b32 s64, s51, s50
	s_sub_i32 s8, s61, s16
	s_add_i32 s8, s8, 48
	s_max_i32 s63, s8, 0
	s_and_saveexec_b64 s[8:9], s[2:3]
	s_xor_b64 s[36:37], exec, s[8:9]
	s_cbranch_execz .LBB266_48
; %bb.8:                                ;   in Loop: Header=BB266_7 Depth=1
	s_mul_i32 s7, s7, s48
	s_sub_i32 s6, s6, s7
	s_lshl_b32 s6, s6, 5
	s_sub_i32 s14, s6, s17
	s_add_i32 s14, s14, 32
	s_max_i32 s7, s14, 0
	s_sub_i32 s38, s6, s7
	s_and_saveexec_b64 s[6:7], s[0:1]
	s_xor_b64 s[40:41], exec, s[6:7]
	s_cbranch_execz .LBB266_38
; %bb.9:                                ;   in Loop: Header=BB266_7 Depth=1
	s_and_saveexec_b64 s[42:43], s[4:5]
	s_cbranch_execz .LBB266_37
; %bb.10:                               ;   in Loop: Header=BB266_7 Depth=1
	s_waitcnt lgkmcnt(0)
	global_load_dword v81, v33, s[30:31]
	v_mov_b32_e32 v23, 0
	v_cmp_gt_i32_e32 vcc, s64, v80
	v_mov_b32_e32 v22, v23
	v_mov_b32_e32 v21, v23
	;; [unrolled: 1-line block ×23, first 2 shown]
	s_and_saveexec_b64 s[6:7], vcc
	s_cbranch_execz .LBB266_29
; %bb.11:                               ;   in Loop: Header=BB266_7 Depth=1
	v_mov_b32_e32 v0, 0
	s_mov_b64 s[8:9], 0
	v_mov_b32_e32 v1, v0
	v_mov_b32_e32 v2, v0
	;; [unrolled: 1-line block ×23, first 2 shown]
	s_branch .LBB266_13
.LBB266_12:                             ;   in Loop: Header=BB266_13 Depth=2
	s_or_b64 exec, exec, s[10:11]
	v_add_u32_e32 v42, 0x800, v84
	ds_read2_b32 v[40:41], v42 offset1:32
	v_add_u32_e32 v44, 0xc00, v84
	v_add_u32_e32 v80, s23, v80
	s_waitcnt lgkmcnt(0)
	v_mfma_f32_16x16x32_fp8_fp8 v[16:19], v[36:37], v[40:41], v[16:19]
	ds_read2_b32 v[36:37], v42 offset0:128 offset1:160
	ds_read2_b32 v[42:43], v44 offset1:32
	ds_read2_b32 v[44:45], v44 offset0:128 offset1:160
	v_mfma_f32_16x16x32_fp8_fp8 v[8:11], v[52:53], v[40:41], v[8:11]
	;;#ASMSTART
	s_waitcnt lgkmcnt(0)
	;;#ASMEND
	ds_write_b32 v83, v85 offset:41012
	v_mfma_f32_16x16x32_fp8_fp8 v[0:3], v[60:61], v[40:41], v[0:3]
	v_add_u32_e32 v40, s23, v82
	v_cmp_lt_i32_e32 vcc, 3, v40
	s_waitcnt lgkmcnt(3)
	v_mfma_f32_16x16x32_fp8_fp8 v[16:19], v[46:47], v[36:37], v[16:19]
	v_mfma_f32_16x16x32_fp8_fp8 v[8:11], v[54:55], v[36:37], v[8:11]
	;; [unrolled: 1-line block ×3, first 2 shown]
	v_add_u32_e32 v36, 2, v66
	v_cndmask_b32_e32 v66, v66, v36, vcc
	v_cmp_le_i32_e32 vcc, s64, v80
	s_waitcnt lgkmcnt(2)
	v_mfma_f32_16x16x32_fp8_fp8 v[16:19], v[48:49], v[42:43], v[16:19]
	s_or_b64 s[8:9], vcc, s[8:9]
	v_mfma_f32_16x16x32_fp8_fp8 v[8:11], v[56:57], v[42:43], v[8:11]
	v_mfma_f32_16x16x32_fp8_fp8 v[0:3], v[64:65], v[42:43], v[0:3]
	s_waitcnt lgkmcnt(1)
	v_mfma_f32_16x16x32_fp8_fp8 v[16:19], v[50:51], v[44:45], v[16:19]
	v_mfma_f32_16x16x32_fp8_fp8 v[8:11], v[58:59], v[44:45], v[8:11]
	;; [unrolled: 1-line block ×3, first 2 shown]
	s_andn2_b64 exec, exec, s[8:9]
	s_cbranch_execz .LBB266_28
.LBB266_13:                             ;   Parent Loop BB266_7 Depth=1
                                        ; =>  This Loop Header: Depth=2
                                        ;       Child Loop BB266_15 Depth 3
                                        ;       Child Loop BB266_18 Depth 3
                                        ;       Child Loop BB266_21 Depth 3
                                        ;       Child Loop BB266_24 Depth 3
                                        ;       Child Loop BB266_27 Depth 3
	v_cmp_gt_i32_e32 vcc, 4, v40
	s_nop 1
	v_cndmask_b32_e64 v36, -4, 0, vcc
	v_add_u32_e32 v82, v36, v40
	v_lshlrev_b32_e32 v83, 3, v82
	ds_read_b32 v36, v83 offset:41008
	s_waitcnt lgkmcnt(0)
	v_cmp_ne_u32_e32 vcc, v36, v66
	s_and_saveexec_b64 s[10:11], vcc
	s_cbranch_execz .LBB266_16
; %bb.14:                               ;   in Loop: Header=BB266_13 Depth=2
	s_mov_b64 s[12:13], 0
.LBB266_15:                             ;   Parent Loop BB266_7 Depth=1
                                        ;     Parent Loop BB266_13 Depth=2
                                        ; =>    This Inner Loop Header: Depth=3
	;;#ASMSTART
	s_sleep 0
	;;#ASMEND
	ds_read_b32 v36, v83 offset:41008
	s_waitcnt lgkmcnt(0)
	v_cmp_eq_u32_e32 vcc, v36, v66
	s_or_b64 s[12:13], vcc, s[12:13]
	s_andn2_b64 exec, exec, s[12:13]
	s_cbranch_execnz .LBB266_15
.LBB266_16:                             ;   in Loop: Header=BB266_13 Depth=2
	s_or_b64 exec, exec, s[10:11]
	v_lshlrev_b32_e32 v36, 12, v82
	v_add_u32_e32 v84, v68, v36
	v_add_u32_e32 v36, 0x400, v84
	;; [unrolled: 1-line block ×3, first 2 shown]
	ds_read2_b32 v[38:39], v84 offset1:32
	ds_read2_b32 v[40:41], v84 offset0:128 offset1:160
	ds_read2_b32 v[44:45], v36 offset1:32
	ds_read2_b32 v[42:43], v36 offset0:128 offset1:160
	;;#ASMSTART
	s_waitcnt lgkmcnt(0)
	;;#ASMEND
	ds_write_b32 v83, v85 offset:41008
	v_mul_lo_u32 v86, v82, 12
	ds_read_b32 v36, v86 offset:40960
	s_waitcnt lgkmcnt(0)
	v_cmp_ne_u32_e32 vcc, v36, v66
	s_and_saveexec_b64 s[10:11], vcc
	s_cbranch_execz .LBB266_19
; %bb.17:                               ;   in Loop: Header=BB266_13 Depth=2
	s_mov_b64 s[12:13], 0
.LBB266_18:                             ;   Parent Loop BB266_7 Depth=1
                                        ;     Parent Loop BB266_13 Depth=2
                                        ; =>    This Inner Loop Header: Depth=3
	;;#ASMSTART
	s_sleep 0
	;;#ASMEND
	ds_read_b32 v36, v86 offset:40960
	s_waitcnt lgkmcnt(0)
	v_cmp_eq_u32_e32 vcc, v36, v66
	s_or_b64 s[12:13], vcc, s[12:13]
	s_andn2_b64 exec, exec, s[12:13]
	s_cbranch_execnz .LBB266_18
.LBB266_19:                             ;   in Loop: Header=BB266_13 Depth=2
	s_or_b64 exec, exec, s[10:11]
	v_mul_lo_u32 v52, v82, s59
	v_or_b32_e32 v48, v67, v52
	ds_read2_b32 v[36:37], v48 offset1:32
	ds_read2_b32 v[46:47], v48 offset0:128 offset1:160
	v_add_u32_e32 v50, 0x400, v48
	ds_read2_b32 v[48:49], v50 offset1:32
	ds_read2_b32 v[50:51], v50 offset0:128 offset1:160
	ds_read_b32 v53, v86 offset:40964
	ds_write_b32 v86, v85 offset:40960
	s_waitcnt lgkmcnt(5)
	v_mfma_f32_16x16x32_fp8_fp8 v[20:23], v[36:37], v[38:39], v[20:23]
	s_waitcnt lgkmcnt(1)
	v_cmp_ne_u32_e32 vcc, v53, v66
	v_mfma_f32_16x16x32_fp8_fp8 v[20:23], v[46:47], v[40:41], v[20:23]
	v_mfma_f32_16x16x32_fp8_fp8 v[20:23], v[48:49], v[44:45], v[20:23]
	;; [unrolled: 1-line block ×3, first 2 shown]
	s_and_saveexec_b64 s[10:11], vcc
	s_cbranch_execz .LBB266_22
; %bb.20:                               ;   in Loop: Header=BB266_13 Depth=2
	s_mov_b64 s[12:13], 0
.LBB266_21:                             ;   Parent Loop BB266_7 Depth=1
                                        ;     Parent Loop BB266_13 Depth=2
                                        ; =>    This Inner Loop Header: Depth=3
	;;#ASMSTART
	s_sleep 0
	;;#ASMEND
	ds_read_b32 v53, v86 offset:40964
	s_waitcnt lgkmcnt(0)
	v_cmp_eq_u32_e32 vcc, v53, v66
	s_or_b64 s[12:13], vcc, s[12:13]
	s_andn2_b64 exec, exec, s[12:13]
	s_cbranch_execnz .LBB266_21
.LBB266_22:                             ;   in Loop: Header=BB266_13 Depth=2
	s_or_b64 exec, exec, s[10:11]
	v_add_u32_e32 v64, v67, v52
	v_add_u32_e32 v54, 0x800, v64
	ds_read2_b32 v[52:53], v54 offset1:32
	ds_read2_b32 v[54:55], v54 offset0:128 offset1:160
	v_add_u32_e32 v58, 0xc00, v64
	ds_read2_b32 v[56:57], v58 offset1:32
	ds_read2_b32 v[58:59], v58 offset0:128 offset1:160
	ds_read_b32 v60, v86 offset:40968
	ds_write_b32 v86, v85 offset:40964
	s_waitcnt lgkmcnt(5)
	v_mfma_f32_16x16x32_fp8_fp8 v[12:15], v[52:53], v[38:39], v[12:15]
	s_waitcnt lgkmcnt(1)
	v_cmp_ne_u32_e32 vcc, v60, v66
	v_mfma_f32_16x16x32_fp8_fp8 v[12:15], v[54:55], v[40:41], v[12:15]
	v_mfma_f32_16x16x32_fp8_fp8 v[12:15], v[56:57], v[44:45], v[12:15]
	;; [unrolled: 1-line block ×3, first 2 shown]
	s_and_saveexec_b64 s[10:11], vcc
	s_cbranch_execz .LBB266_25
; %bb.23:                               ;   in Loop: Header=BB266_13 Depth=2
	s_mov_b64 s[12:13], 0
.LBB266_24:                             ;   Parent Loop BB266_7 Depth=1
                                        ;     Parent Loop BB266_13 Depth=2
                                        ; =>    This Inner Loop Header: Depth=3
	;;#ASMSTART
	s_sleep 0
	;;#ASMEND
	ds_read_b32 v60, v86 offset:40968
	s_waitcnt lgkmcnt(0)
	v_cmp_eq_u32_e32 vcc, v60, v66
	s_or_b64 s[12:13], vcc, s[12:13]
	s_andn2_b64 exec, exec, s[12:13]
	s_cbranch_execnz .LBB266_24
.LBB266_25:                             ;   in Loop: Header=BB266_13 Depth=2
	s_or_b64 exec, exec, s[10:11]
	v_add_u32_e32 v62, 0x1000, v64
	ds_read2_b32 v[60:61], v62 offset1:32
	ds_read2_b32 v[62:63], v62 offset0:128 offset1:160
	v_add_u32_e32 v87, 0x1400, v64
	ds_read2_b32 v[64:65], v87 offset1:32
	ds_write_b32 v86, v85 offset:40968
	s_waitcnt lgkmcnt(3)
	v_mfma_f32_16x16x32_fp8_fp8 v[4:7], v[60:61], v[38:39], v[4:7]
	ds_read2_b32 v[38:39], v87 offset0:128 offset1:160
	s_waitcnt lgkmcnt(3)
	v_mfma_f32_16x16x32_fp8_fp8 v[4:7], v[62:63], v[40:41], v[4:7]
	ds_read_b32 v40, v83 offset:41012
	s_waitcnt lgkmcnt(0)
	v_cmp_ne_u32_e32 vcc, v40, v66
	v_mfma_f32_16x16x32_fp8_fp8 v[4:7], v[64:65], v[44:45], v[4:7]
	v_mfma_f32_16x16x32_fp8_fp8 v[4:7], v[38:39], v[42:43], v[4:7]
	s_and_saveexec_b64 s[10:11], vcc
	s_cbranch_execz .LBB266_12
; %bb.26:                               ;   in Loop: Header=BB266_13 Depth=2
	s_mov_b64 s[12:13], 0
.LBB266_27:                             ;   Parent Loop BB266_7 Depth=1
                                        ;     Parent Loop BB266_13 Depth=2
                                        ; =>    This Inner Loop Header: Depth=3
	;;#ASMSTART
	s_sleep 0
	;;#ASMEND
	ds_read_b32 v40, v83 offset:41012
	s_waitcnt lgkmcnt(0)
	v_cmp_eq_u32_e32 vcc, v40, v66
	s_or_b64 s[12:13], vcc, s[12:13]
	s_andn2_b64 exec, exec, s[12:13]
	s_cbranch_execnz .LBB266_27
	s_branch .LBB266_12
.LBB266_28:                             ;   in Loop: Header=BB266_7 Depth=1
	s_or_b64 exec, exec, s[8:9]
.LBB266_29:                             ;   in Loop: Header=BB266_7 Depth=1
	s_or_b64 exec, exec, s[6:7]
	v_cmp_le_i32_e32 vcc, s14, v24
	v_cmp_eq_u32_e64 s[6:7], 2, v69
	v_cmp_eq_u32_e64 s[8:9], 3, v69
	s_waitcnt vmcnt(0)
	v_cndmask_b32_e32 v36, 0, v81, vcc
	v_pk_mul_f32 v[20:21], v[36:37], v[20:21] op_sel_hi:[0,1]
	v_cmp_eq_u32_e32 vcc, 1, v69
	v_pk_mul_f32 v[38:39], v[36:37], v[22:23] op_sel_hi:[0,1]
	v_cmp_eq_u32_e64 s[10:11], 0, v69
	v_cndmask_b32_e32 v22, v20, v21, vcc
	v_cndmask_b32_e64 v22, v22, v38, s[6:7]
	v_cndmask_b32_e64 v22, v22, v39, s[8:9]
	ds_bpermute_b32 v37, v79, v22
	v_cmp_le_i32_e64 s[14:15], s14, v71
	v_cmp_eq_u32_e64 s[12:13], 1, v70
	v_add_u32_e32 v41, s63, v72
	s_waitcnt lgkmcnt(0)
	v_cndmask_b32_e64 v22, v39, v37, s[8:9]
	v_cndmask_b32_e64 v23, v38, v37, s[6:7]
	v_cndmask_b32_e32 v21, v21, v37, vcc
	v_cndmask_b32_e64 v37, v20, v37, s[10:11]
	v_cndmask_b32_e64 v20, 0, v81, s[14:15]
	v_pk_mul_f32 v[44:45], v[20:21], v[16:17] op_sel_hi:[0,1]
	v_pk_mul_f32 v[42:43], v[20:21], v[18:19] op_sel_hi:[0,1]
	v_cndmask_b32_e32 v16, v44, v45, vcc
	v_cndmask_b32_e64 v16, v16, v42, s[6:7]
	v_cndmask_b32_e64 v16, v16, v43, s[8:9]
	ds_bpermute_b32 v17, v79, v16
	v_cndmask_b32_e64 v38, v37, v21, s[12:13]
	v_cmp_eq_u32_e32 vcc, 2, v70
	v_cmp_eq_u32_e64 s[14:15], 3, v70
	s_waitcnt lgkmcnt(0)
	v_cndmask_b32_e64 v19, v42, v17, s[6:7]
	v_cndmask_b32_e32 v16, v38, v23, vcc
	v_cndmask_b32_e64 v16, v16, v22, s[14:15]
	v_cmp_ne_u32_e64 s[6:7], 0, v69
	ds_bpermute_b32 v38, v79, v16
	v_cndmask_b32_e64 v18, v43, v17, s[8:9]
	v_cndmask_b32_e64 v16, v45, v17, s[6:7]
	;; [unrolled: 1-line block ×4, first 2 shown]
	v_cndmask_b32_e32 v39, v39, v19, vcc
	v_cndmask_b32_e64 v39, v39, v18, s[14:15]
	ds_bpermute_b32 v39, v79, v39
	v_cmp_gt_u32_e32 vcc, 48, v41
	s_and_saveexec_b64 s[44:45], vcc
	s_cbranch_execz .LBB266_36
; %bb.30:                               ;   in Loop: Header=BB266_7 Depth=1
	v_cmp_eq_u32_e64 s[8:9], 1, v70
	v_cmp_eq_u32_e64 s[10:11], 0, v70
	v_cmp_eq_u32_e32 vcc, 3, v70
	s_waitcnt lgkmcnt(1)
	v_cndmask_b32_e64 v21, v21, v38, s[8:9]
	s_waitcnt lgkmcnt(0)
	v_cndmask_b32_e64 v42, v16, v39, s[8:9]
	s_mul_i32 s8, s61, s17
	s_ashr_i32 s9, s8, 31
	s_lshl_b64 s[8:9], s[8:9], 1
	v_cndmask_b32_e64 v37, v37, v38, s[10:11]
	v_cndmask_b32_e64 v43, v17, v39, s[10:11]
	s_add_u32 s10, s28, s8
	s_addc_u32 s11, s29, s9
	s_ashr_i32 s39, s38, 31
	v_cvt_f16_f32_e32 v37, v37
	v_cvt_f16_f32_sdwa v21, v21 dst_sel:WORD_1 dst_unused:UNUSED_PAD src0_sel:DWORD
	s_lshl_b64 s[8:9], s[38:39], 1
	v_cvt_f16_f32_e32 v44, v43
	v_cvt_f16_f32_sdwa v45, v42 dst_sel:WORD_1 dst_unused:UNUSED_PAD src0_sel:DWORD
	s_add_u32 s46, s10, s8
	s_addc_u32 s47, s11, s9
	v_cmp_eq_u32_e64 s[6:7], 2, v70
	v_lshl_add_u64 v[16:17], v[26:27], 1, s[46:47]
	v_or_b32_e32 v21, v21, v37
	v_cmp_gt_u32_e64 s[8:9], 46, v41
	;;#ASMSTART
	global_atomic_pk_add_f16 v[16:17], v21, off
	
	;;#ASMEND
	v_lshl_add_u64 v[42:43], v[16:17], 0, 32
	v_or_b32_e32 v21, v45, v44
	;;#ASMSTART
	global_atomic_pk_add_f16 v[42:43], v21, off
	
	;;#ASMEND
	s_and_b64 exec, exec, s[8:9]
	s_cbranch_execz .LBB266_36
; %bb.31:                               ;   in Loop: Header=BB266_7 Depth=1
	v_mov_b32_e32 v37, v36
	v_cndmask_b32_e32 v22, v22, v38, vcc
	v_cndmask_b32_e64 v23, v23, v38, s[6:7]
	v_cndmask_b32_e32 v38, v18, v39, vcc
	v_cndmask_b32_e64 v39, v19, v39, s[6:7]
	v_mov_b32_e32 v18, v36
	v_mov_b32_e32 v19, v36
	v_pk_mul_f32 v[14:15], v[18:19], v[14:15]
	v_pk_mul_f32 v[18:19], v[36:37], v[12:13]
	v_cmp_eq_u32_e32 vcc, 1, v69
	v_cmp_eq_u32_e64 s[6:7], 2, v69
	v_cmp_eq_u32_e64 s[8:9], 3, v69
	v_cndmask_b32_e32 v12, v18, v19, vcc
	v_cndmask_b32_e64 v12, v12, v14, s[6:7]
	v_cndmask_b32_e64 v12, v12, v15, s[8:9]
	v_cvt_f16_f32_e32 v23, v23
	v_cvt_f16_f32_sdwa v22, v22 dst_sel:WORD_1 dst_unused:UNUSED_PAD src0_sel:DWORD
	ds_bpermute_b32 v41, v79, v12
	v_mov_b32_e32 v21, v20
	v_lshl_add_u64 v[16:17], s[34:35], 2, v[16:17]
	v_or_b32_e32 v22, v22, v23
	v_cmp_eq_u32_e64 s[10:11], 0, v69
	;;#ASMSTART
	global_atomic_pk_add_f16 v[16:17], v22, off
	
	;;#ASMEND
	v_cvt_f16_f32_e32 v42, v39
	v_cvt_f16_f32_sdwa v43, v38 dst_sel:WORD_1 dst_unused:UNUSED_PAD src0_sel:DWORD
	v_lshl_add_u64 v[22:23], v[16:17], 0, 32
	s_waitcnt lgkmcnt(0)
	v_cndmask_b32_e64 v12, v15, v41, s[8:9]
	v_cndmask_b32_e32 v15, v19, v41, vcc
	v_cndmask_b32_e64 v16, v18, v41, s[10:11]
	v_mov_b32_e32 v18, v20
	v_mov_b32_e32 v19, v20
	v_pk_mul_f32 v[38:39], v[20:21], v[8:9]
	v_pk_mul_f32 v[18:19], v[18:19], v[10:11]
	v_cndmask_b32_e32 v8, v38, v39, vcc
	v_cndmask_b32_e64 v8, v8, v18, s[6:7]
	v_cndmask_b32_e64 v8, v8, v19, s[8:9]
	ds_bpermute_b32 v9, v79, v8
	v_cmp_eq_u32_e64 s[12:13], 1, v70
	v_cndmask_b32_e64 v13, v14, v41, s[6:7]
	v_cmp_eq_u32_e32 vcc, 2, v70
	v_cndmask_b32_e64 v14, v16, v15, s[12:13]
	v_cmp_eq_u32_e64 s[14:15], 3, v70
	v_cndmask_b32_e32 v8, v14, v13, vcc
	s_waitcnt lgkmcnt(0)
	v_cndmask_b32_e64 v11, v18, v9, s[6:7]
	v_cndmask_b32_e64 v8, v8, v12, s[14:15]
	v_cmp_ne_u32_e64 s[6:7], 0, v69
	ds_bpermute_b32 v14, v79, v8
	v_cndmask_b32_e64 v10, v19, v9, s[8:9]
	v_cndmask_b32_e64 v8, v39, v9, s[6:7]
	;; [unrolled: 1-line block ×4, first 2 shown]
	v_cndmask_b32_e32 v17, v17, v11, vcc
	v_cndmask_b32_e64 v17, v17, v10, s[14:15]
	ds_bpermute_b32 v17, v79, v17
	v_or_b32_e32 v18, v43, v42
	;;#ASMSTART
	global_atomic_pk_add_f16 v[22:23], v18, off
	
	;;#ASMEND
	v_add_u32_e32 v18, s63, v73
	v_cmp_gt_u32_e32 vcc, 48, v18
	s_and_b64 exec, exec, vcc
	s_cbranch_execz .LBB266_36
; %bb.32:                               ;   in Loop: Header=BB266_7 Depth=1
	v_cmp_eq_u32_e64 s[8:9], 1, v70
	v_cmp_eq_u32_e64 s[10:11], 0, v70
	v_cmp_eq_u32_e32 vcc, 3, v70
	s_waitcnt lgkmcnt(1)
	v_cndmask_b32_e64 v15, v15, v14, s[8:9]
	v_cndmask_b32_e64 v16, v16, v14, s[10:11]
	s_waitcnt lgkmcnt(0)
	v_cndmask_b32_e64 v19, v8, v17, s[8:9]
	v_cndmask_b32_e64 v22, v9, v17, s[10:11]
	v_cvt_f16_f32_e32 v16, v16
	v_cvt_f16_f32_sdwa v15, v15 dst_sel:WORD_1 dst_unused:UNUSED_PAD src0_sel:DWORD
	v_cvt_f16_f32_e32 v38, v22
	v_cvt_f16_f32_sdwa v19, v19 dst_sel:WORD_1 dst_unused:UNUSED_PAD src0_sel:DWORD
	v_cmp_eq_u32_e64 s[6:7], 2, v70
	v_lshl_add_u64 v[8:9], v[28:29], 1, s[46:47]
	v_or_b32_e32 v15, v15, v16
	v_cmp_gt_u32_e64 s[8:9], 46, v18
	;;#ASMSTART
	global_atomic_pk_add_f16 v[8:9], v15, off
	
	;;#ASMEND
	v_lshl_add_u64 v[22:23], v[8:9], 0, 32
	v_or_b32_e32 v15, v19, v38
	;;#ASMSTART
	global_atomic_pk_add_f16 v[22:23], v15, off
	
	;;#ASMEND
	s_and_b64 exec, exec, s[8:9]
	s_cbranch_execz .LBB266_36
; %bb.33:                               ;   in Loop: Header=BB266_7 Depth=1
	v_cndmask_b32_e32 v12, v12, v14, vcc
	v_cndmask_b32_e64 v13, v13, v14, s[6:7]
	v_cndmask_b32_e32 v14, v10, v17, vcc
	v_cndmask_b32_e64 v15, v11, v17, s[6:7]
	v_mov_b32_e32 v10, v36
	v_mov_b32_e32 v11, v36
	v_pk_mul_f32 v[6:7], v[10:11], v[6:7]
	v_pk_mul_f32 v[10:11], v[36:37], v[4:5]
	v_cmp_eq_u32_e32 vcc, 1, v69
	v_cmp_eq_u32_e64 s[6:7], 2, v69
	v_cmp_eq_u32_e64 s[8:9], 3, v69
	v_cndmask_b32_e32 v4, v10, v11, vcc
	v_cndmask_b32_e64 v4, v4, v6, s[6:7]
	v_cndmask_b32_e64 v4, v4, v7, s[8:9]
	v_cvt_f16_f32_e32 v13, v13
	v_cvt_f16_f32_sdwa v12, v12 dst_sel:WORD_1 dst_unused:UNUSED_PAD src0_sel:DWORD
	ds_bpermute_b32 v16, v79, v4
	v_lshl_add_u64 v[8:9], s[34:35], 2, v[8:9]
	v_cmp_eq_u32_e64 s[10:11], 0, v69
	v_or_b32_e32 v12, v12, v13
	;;#ASMSTART
	global_atomic_pk_add_f16 v[8:9], v12, off
	
	;;#ASMEND
	v_lshl_add_u64 v[12:13], v[8:9], 0, 32
	s_waitcnt lgkmcnt(0)
	v_cndmask_b32_e64 v4, v7, v16, s[8:9]
	v_cndmask_b32_e64 v5, v6, v16, s[6:7]
	v_cndmask_b32_e32 v6, v11, v16, vcc
	v_cndmask_b32_e64 v7, v10, v16, s[10:11]
	v_mov_b32_e32 v8, v20
	v_mov_b32_e32 v9, v20
	v_pk_mul_f32 v[10:11], v[20:21], v[0:1]
	v_pk_mul_f32 v[8:9], v[8:9], v[2:3]
	v_cndmask_b32_e32 v0, v10, v11, vcc
	v_cndmask_b32_e64 v0, v0, v8, s[6:7]
	v_cndmask_b32_e64 v0, v0, v9, s[8:9]
	ds_bpermute_b32 v1, v79, v0
	v_cmp_eq_u32_e64 s[12:13], 1, v70
	v_cmp_eq_u32_e32 vcc, 2, v70
	v_cmp_eq_u32_e64 s[14:15], 3, v70
	v_cndmask_b32_e64 v16, v7, v6, s[12:13]
	v_cndmask_b32_e32 v0, v16, v5, vcc
	v_cndmask_b32_e64 v0, v0, v4, s[14:15]
	s_waitcnt lgkmcnt(0)
	v_cndmask_b32_e64 v8, v8, v1, s[6:7]
	v_cmp_ne_u32_e64 s[6:7], 0, v69
	ds_bpermute_b32 v2, v79, v0
	v_cndmask_b32_e64 v3, v9, v1, s[8:9]
	v_cndmask_b32_e64 v0, v11, v1, s[6:7]
	;; [unrolled: 1-line block ×4, first 2 shown]
	v_cvt_f16_f32_e32 v15, v15
	v_cvt_f16_f32_sdwa v14, v14 dst_sel:WORD_1 dst_unused:UNUSED_PAD src0_sel:DWORD
	v_cndmask_b32_e32 v9, v9, v8, vcc
	v_cndmask_b32_e64 v9, v9, v3, s[14:15]
	ds_bpermute_b32 v9, v79, v9
	v_or_b32_e32 v10, v14, v15
	;;#ASMSTART
	global_atomic_pk_add_f16 v[12:13], v10, off
	
	;;#ASMEND
	v_add_u32_e32 v10, s63, v74
	v_cmp_gt_u32_e32 vcc, 48, v10
	s_and_b64 exec, exec, vcc
	s_cbranch_execz .LBB266_36
; %bb.34:                               ;   in Loop: Header=BB266_7 Depth=1
	v_cmp_eq_u32_e64 s[8:9], 1, v70
	v_cmp_eq_u32_e64 s[10:11], 0, v70
	v_cmp_eq_u32_e32 vcc, 3, v70
	s_waitcnt lgkmcnt(1)
	v_cndmask_b32_e64 v6, v6, v2, s[8:9]
	v_cndmask_b32_e64 v7, v7, v2, s[10:11]
	s_waitcnt lgkmcnt(0)
	v_cndmask_b32_e64 v11, v0, v9, s[8:9]
	v_cndmask_b32_e64 v12, v1, v9, s[10:11]
	v_cvt_f16_f32_e32 v7, v7
	v_cvt_f16_f32_sdwa v6, v6 dst_sel:WORD_1 dst_unused:UNUSED_PAD src0_sel:DWORD
	v_cvt_f16_f32_e32 v12, v12
	v_cvt_f16_f32_sdwa v11, v11 dst_sel:WORD_1 dst_unused:UNUSED_PAD src0_sel:DWORD
	v_cmp_eq_u32_e64 s[6:7], 2, v70
	v_lshl_add_u64 v[0:1], v[30:31], 1, s[46:47]
	v_or_b32_e32 v6, v6, v7
	v_cmp_gt_u32_e64 s[8:9], 46, v10
	;;#ASMSTART
	global_atomic_pk_add_f16 v[0:1], v6, off
	
	;;#ASMEND
	v_lshl_add_u64 v[6:7], v[0:1], 0, 32
	v_or_b32_e32 v11, v11, v12
	;;#ASMSTART
	global_atomic_pk_add_f16 v[6:7], v11, off
	
	;;#ASMEND
	s_and_b64 exec, exec, s[8:9]
	s_cbranch_execz .LBB266_36
; %bb.35:                               ;   in Loop: Header=BB266_7 Depth=1
	v_cndmask_b32_e32 v4, v4, v2, vcc
	v_cndmask_b32_e64 v2, v5, v2, s[6:7]
	v_cndmask_b32_e32 v3, v3, v9, vcc
	v_cndmask_b32_e64 v5, v8, v9, s[6:7]
	v_cvt_f16_f32_e32 v2, v2
	v_cvt_f16_f32_sdwa v4, v4 dst_sel:WORD_1 dst_unused:UNUSED_PAD src0_sel:DWORD
	v_cvt_f16_f32_e32 v5, v5
	v_cvt_f16_f32_sdwa v3, v3 dst_sel:WORD_1 dst_unused:UNUSED_PAD src0_sel:DWORD
	v_lshl_add_u64 v[0:1], s[34:35], 2, v[0:1]
	v_or_b32_e32 v2, v4, v2
	;;#ASMSTART
	global_atomic_pk_add_f16 v[0:1], v2, off
	
	;;#ASMEND
	v_lshl_add_u64 v[0:1], v[0:1], 0, 32
	v_or_b32_e32 v2, v3, v5
	;;#ASMSTART
	global_atomic_pk_add_f16 v[0:1], v2, off
	
	;;#ASMEND
.LBB266_36:                             ;   in Loop: Header=BB266_7 Depth=1
	s_or_b64 exec, exec, s[44:45]
	v_subrev_u32_e32 v80, s64, v80
.LBB266_37:                             ;   in Loop: Header=BB266_7 Depth=1
	s_or_b64 exec, exec, s[42:43]
.LBB266_38:                             ;   in Loop: Header=BB266_7 Depth=1
	s_andn2_saveexec_b64 s[6:7], s[40:41]
	s_cbranch_execz .LBB266_47
; %bb.39:                               ;   in Loop: Header=BB266_7 Depth=1
	s_lshl_b32 s39, s64, 1
	v_cmp_gt_i32_e32 vcc, s39, v80
	s_and_saveexec_b64 s[8:9], vcc
	s_cbranch_execz .LBB266_46
; %bb.40:                               ;   in Loop: Header=BB266_7 Depth=1
	s_mul_i32 s10, s38, s19
	s_ashr_i32 s11, s10, 31
	s_waitcnt lgkmcnt(0)
	s_add_u32 s10, s26, s10
	s_addc_u32 s11, s27, s11
	s_ashr_i32 s12, s62, 31
	s_add_u32 s10, s10, s62
	s_addc_u32 s11, s11, s12
	v_lshl_add_u64 v[0:1], s[10:11], 0, v[34:35]
	v_lshl_add_u64 v[8:9], v[0:1], 0, v[32:33]
	s_mov_b64 s[10:11], 0
	s_branch .LBB266_42
.LBB266_41:                             ;   in Loop: Header=BB266_42 Depth=2
	s_or_b64 exec, exec, s[12:13]
	v_lshl_add_u32 v12, v10, 11, v77
	;;#ASMSTART
	s_waitcnt vmcnt(1)
	;;#ASMEND
	ds_write2_b32 v12, v4, v5 offset1:32
	ds_write2_b32 v12, v6, v7 offset0:64 offset1:96
	v_add_u32_e32 v4, 0x400, v12
	v_add_u32_e32 v80, s22, v80
	;;#ASMSTART
	s_waitcnt vmcnt(0)
	;;#ASMEND
	ds_write2_b32 v4, v0, v1 offset1:32
	ds_write2_b32 v4, v2, v3 offset0:64 offset1:96
	v_add_u32_e32 v0, 1, v66
	v_add_u32_e32 v40, s22, v10
	v_cmp_le_i32_e32 vcc, s39, v80
	ds_write_b32 v11, v0 offset:48
	v_add_u32_e32 v0, 2, v66
	s_or_b64 s[10:11], vcc, s[10:11]
	v_cmp_lt_i32_e32 vcc, 7, v40
	s_nop 1
	v_cndmask_b32_e32 v66, v66, v0, vcc
	s_andn2_b64 exec, exec, s[10:11]
	s_cbranch_execz .LBB266_45
.LBB266_42:                             ;   Parent Loop BB266_7 Depth=1
                                        ; =>  This Loop Header: Depth=2
                                        ;       Child Loop BB266_44 Depth 3
	v_cmp_gt_i32_e32 vcc, 8, v40
	s_nop 1
	v_cndmask_b32_e64 v0, -8, 0, vcc
	v_add_u32_e32 v10, v0, v40
	v_lshrrev_b32_e32 v0, 31, v80
	v_add_u32_e32 v0, v80, v0
	v_and_b32_e32 v1, -2, v0
	v_lshlrev_b32_e32 v0, 6, v0
	v_sub_u32_e32 v2, v80, v1
	v_and_b32_e32 v0, 0xffffff80, v0
	v_ashrrev_i32_e32 v1, 31, v0
	v_mul_lo_u32 v2, s53, v2
	v_lshl_add_u64 v[0:1], v[8:9], 0, v[0:1]
	v_ashrrev_i32_e32 v3, 31, v2
	v_lshl_add_u64 v[0:1], v[0:1], 0, v[2:3]
	v_lshlrev_b32_e32 v11, 2, v10
	;;#ASMSTART
	global_load_dwordx4 v[4:7], v[0:1], off offset:0   sc0 sc1 nt  
	global_load_dwordx4 v[0:3], v[0:1], off offset:64  sc0 sc1 nt  
	
	;;#ASMEND
	ds_read_b32 v12, v11 offset:41008
	v_add_u32_e32 v11, 0xa000, v11
	s_waitcnt lgkmcnt(0)
	v_cmp_ne_u32_e32 vcc, v12, v66
	s_and_saveexec_b64 s[12:13], vcc
	s_cbranch_execz .LBB266_41
; %bb.43:                               ;   in Loop: Header=BB266_42 Depth=2
	s_mov_b64 s[14:15], 0
.LBB266_44:                             ;   Parent Loop BB266_7 Depth=1
                                        ;     Parent Loop BB266_42 Depth=2
                                        ; =>    This Inner Loop Header: Depth=3
	;;#ASMSTART
	s_sleep 0
	;;#ASMEND
	ds_read_b32 v12, v11 offset:48
	s_waitcnt lgkmcnt(0)
	v_cmp_eq_u32_e32 vcc, v12, v66
	s_or_b64 s[14:15], vcc, s[14:15]
	s_andn2_b64 exec, exec, s[14:15]
	s_cbranch_execnz .LBB266_44
	s_branch .LBB266_41
.LBB266_45:                             ;   in Loop: Header=BB266_7 Depth=1
	s_or_b64 exec, exec, s[10:11]
.LBB266_46:                             ;   in Loop: Header=BB266_7 Depth=1
	s_or_b64 exec, exec, s[8:9]
	v_subrev_u32_e32 v80, s39, v80
.LBB266_47:                             ;   in Loop: Header=BB266_7 Depth=1
	s_or_b64 exec, exec, s[6:7]
.LBB266_48:                             ;   in Loop: Header=BB266_7 Depth=1
	s_andn2_saveexec_b64 s[6:7], s[36:37]
	s_cbranch_execz .LBB266_6
; %bb.49:                               ;   in Loop: Header=BB266_7 Depth=1
	s_mul_i32 s64, s64, 3
	v_cmp_gt_i32_e32 vcc, s64, v80
	s_and_saveexec_b64 s[8:9], vcc
	s_cbranch_execz .LBB266_5
; %bb.50:                               ;   in Loop: Header=BB266_7 Depth=1
	s_mul_i32 s61, s61, s18
	s_ashr_i32 s10, s61, 31
	s_waitcnt lgkmcnt(0)
	s_add_u32 s11, s24, s61
	v_add_u32_e32 v2, s63, v75
	s_addc_u32 s12, s25, s10
	s_ashr_i32 s13, s62, 31
	v_cmp_gt_u32_e32 vcc, 48, v2
	s_add_u32 s10, s11, s62
	s_addc_u32 s11, s12, s13
	v_cndmask_b32_e32 v0, 0, v78, vcc
	v_ashrrev_i32_e32 v1, 31, v0
	v_lshl_add_u64 v[0:1], s[10:11], 0, v[0:1]
	v_lshl_add_u64 v[8:9], v[0:1], 0, v[32:33]
	v_sub_u32_e32 v10, 47, v2
	s_mov_b64 s[10:11], 0
	s_branch .LBB266_52
.LBB266_51:                             ;   in Loop: Header=BB266_52 Depth=2
	s_or_b64 exec, exec, s[12:13]
	v_lshl_or_b32 v13, v11, 11, v76
	;;#ASMSTART
	s_waitcnt vmcnt(1)
	;;#ASMEND
	ds_write2_b32 v13, v4, v5 offset1:32
	ds_write2_b32 v13, v6, v7 offset0:64 offset1:96
	v_add_u32_e32 v4, 0x400, v13
	v_add_u32_e32 v80, s21, v80
	;;#ASMSTART
	s_waitcnt vmcnt(0)
	;;#ASMEND
	ds_write2_b32 v4, v0, v1 offset1:32
	ds_write2_b32 v4, v2, v3 offset0:64 offset1:96
	v_add_u32_e32 v0, 1, v66
	v_add_u32_e32 v40, s21, v11
	v_cmp_le_i32_e32 vcc, s64, v80
	ds_write_b32 v12, v0
	v_add_u32_e32 v0, 2, v66
	s_or_b64 s[10:11], vcc, s[10:11]
	v_cmp_lt_i32_e32 vcc, 11, v40
	s_nop 1
	v_cndmask_b32_e32 v66, v66, v0, vcc
	s_andn2_b64 exec, exec, s[10:11]
	s_cbranch_execz .LBB266_4
.LBB266_52:                             ;   Parent Loop BB266_7 Depth=1
                                        ; =>  This Loop Header: Depth=2
                                        ;       Child Loop BB266_54 Depth 3
	v_cmp_gt_i32_e32 vcc, 12, v40
	s_nop 1
	v_cndmask_b32_e64 v0, -12, 0, vcc
	v_add_u32_e32 v11, v0, v40
	v_mul_hi_i32 v0, v80, s60
	v_lshrrev_b32_e32 v1, 31, v0
	v_add_u32_e32 v0, v0, v1
	v_lshl_add_u32 v1, v0, 1, v0
	v_sub_u32_e32 v1, v80, v1
	v_lshlrev_b32_e32 v1, 4, v1
	v_cmp_le_i32_e32 vcc, v1, v10
	v_lshlrev_b32_e32 v0, 7, v0
	v_lshlrev_b32_e32 v12, 2, v11
	v_cndmask_b32_e32 v2, 0, v1, vcc
	v_ashrrev_i32_e32 v1, 31, v0
	v_mul_lo_u32 v2, v2, s18
	v_lshl_add_u64 v[0:1], v[8:9], 0, v[0:1]
	v_ashrrev_i32_e32 v3, 31, v2
	v_lshl_add_u64 v[0:1], v[0:1], 0, v[2:3]
	;;#ASMSTART
	global_load_dwordx4 v[4:7], v[0:1], off offset:0   
	global_load_dwordx4 v[0:3], v[0:1], off offset:64  
	
	;;#ASMEND
	ds_read_b32 v13, v12 offset:40960
	v_add_u32_e32 v12, 0xa000, v12
	s_waitcnt lgkmcnt(0)
	v_cmp_ne_u32_e32 vcc, v13, v66
	s_and_saveexec_b64 s[12:13], vcc
	s_cbranch_execz .LBB266_51
; %bb.53:                               ;   in Loop: Header=BB266_52 Depth=2
	s_mov_b64 s[14:15], 0
.LBB266_54:                             ;   Parent Loop BB266_7 Depth=1
                                        ;     Parent Loop BB266_52 Depth=2
                                        ; =>    This Inner Loop Header: Depth=3
	;;#ASMSTART
	s_sleep 0
	;;#ASMEND
	ds_read_b32 v13, v12
	s_waitcnt lgkmcnt(0)
	v_cmp_eq_u32_e32 vcc, v13, v66
	s_or_b64 s[14:15], vcc, s[14:15]
	s_andn2_b64 exec, exec, s[14:15]
	s_cbranch_execnz .LBB266_54
	s_branch .LBB266_51
.LBB266_55:
	s_endpgm
	.section	.rodata,"a",@progbits
	.p2align	6, 0x0
	.amdhsa_kernel _Z19_skinny_gemm_kernelILi3ELi2ELi4ELi16ELi4EEvPKhS1_P6__halfPKfiiiiiiii
		.amdhsa_group_segment_fixed_size 41040
		.amdhsa_private_segment_fixed_size 0
		.amdhsa_kernarg_size 64
		.amdhsa_user_sgpr_count 2
		.amdhsa_user_sgpr_dispatch_ptr 0
		.amdhsa_user_sgpr_queue_ptr 0
		.amdhsa_user_sgpr_kernarg_segment_ptr 1
		.amdhsa_user_sgpr_dispatch_id 0
		.amdhsa_user_sgpr_kernarg_preload_length 0
		.amdhsa_user_sgpr_kernarg_preload_offset 0
		.amdhsa_user_sgpr_private_segment_size 0
		.amdhsa_uses_dynamic_stack 0
		.amdhsa_enable_private_segment 0
		.amdhsa_system_sgpr_workgroup_id_x 1
		.amdhsa_system_sgpr_workgroup_id_y 0
		.amdhsa_system_sgpr_workgroup_id_z 0
		.amdhsa_system_sgpr_workgroup_info 0
		.amdhsa_system_vgpr_workitem_id 0
		.amdhsa_next_free_vgpr 88
		.amdhsa_next_free_sgpr 65
		.amdhsa_accum_offset 88
		.amdhsa_reserve_vcc 1
		.amdhsa_float_round_mode_32 0
		.amdhsa_float_round_mode_16_64 0
		.amdhsa_float_denorm_mode_32 3
		.amdhsa_float_denorm_mode_16_64 3
		.amdhsa_dx10_clamp 1
		.amdhsa_ieee_mode 1
		.amdhsa_fp16_overflow 0
		.amdhsa_tg_split 0
		.amdhsa_exception_fp_ieee_invalid_op 0
		.amdhsa_exception_fp_denorm_src 0
		.amdhsa_exception_fp_ieee_div_zero 0
		.amdhsa_exception_fp_ieee_overflow 0
		.amdhsa_exception_fp_ieee_underflow 0
		.amdhsa_exception_fp_ieee_inexact 0
		.amdhsa_exception_int_div_zero 0
	.end_amdhsa_kernel
	.section	.text._Z19_skinny_gemm_kernelILi3ELi2ELi4ELi16ELi4EEvPKhS1_P6__halfPKfiiiiiiii,"axG",@progbits,_Z19_skinny_gemm_kernelILi3ELi2ELi4ELi16ELi4EEvPKhS1_P6__halfPKfiiiiiiii,comdat
.Lfunc_end266:
	.size	_Z19_skinny_gemm_kernelILi3ELi2ELi4ELi16ELi4EEvPKhS1_P6__halfPKfiiiiiiii, .Lfunc_end266-_Z19_skinny_gemm_kernelILi3ELi2ELi4ELi16ELi4EEvPKhS1_P6__halfPKfiiiiiiii
                                        ; -- End function
	.set _Z19_skinny_gemm_kernelILi3ELi2ELi4ELi16ELi4EEvPKhS1_P6__halfPKfiiiiiiii.num_vgpr, 88
	.set _Z19_skinny_gemm_kernelILi3ELi2ELi4ELi16ELi4EEvPKhS1_P6__halfPKfiiiiiiii.num_agpr, 0
	.set _Z19_skinny_gemm_kernelILi3ELi2ELi4ELi16ELi4EEvPKhS1_P6__halfPKfiiiiiiii.numbered_sgpr, 65
	.set _Z19_skinny_gemm_kernelILi3ELi2ELi4ELi16ELi4EEvPKhS1_P6__halfPKfiiiiiiii.num_named_barrier, 0
	.set _Z19_skinny_gemm_kernelILi3ELi2ELi4ELi16ELi4EEvPKhS1_P6__halfPKfiiiiiiii.private_seg_size, 0
	.set _Z19_skinny_gemm_kernelILi3ELi2ELi4ELi16ELi4EEvPKhS1_P6__halfPKfiiiiiiii.uses_vcc, 1
	.set _Z19_skinny_gemm_kernelILi3ELi2ELi4ELi16ELi4EEvPKhS1_P6__halfPKfiiiiiiii.uses_flat_scratch, 0
	.set _Z19_skinny_gemm_kernelILi3ELi2ELi4ELi16ELi4EEvPKhS1_P6__halfPKfiiiiiiii.has_dyn_sized_stack, 0
	.set _Z19_skinny_gemm_kernelILi3ELi2ELi4ELi16ELi4EEvPKhS1_P6__halfPKfiiiiiiii.has_recursion, 0
	.set _Z19_skinny_gemm_kernelILi3ELi2ELi4ELi16ELi4EEvPKhS1_P6__halfPKfiiiiiiii.has_indirect_call, 0
	.section	.AMDGPU.csdata,"",@progbits
; Kernel info:
; codeLenInByte = 4900
; TotalNumSgprs: 71
; NumVgprs: 88
; NumAgprs: 0
; TotalNumVgprs: 88
; ScratchSize: 0
; MemoryBound: 0
; FloatMode: 240
; IeeeMode: 1
; LDSByteSize: 41040 bytes/workgroup (compile time only)
; SGPRBlocks: 8
; VGPRBlocks: 10
; NumSGPRsForWavesPerEU: 71
; NumVGPRsForWavesPerEU: 88
; AccumOffset: 88
; Occupancy: 5
; WaveLimiterHint : 0
; COMPUTE_PGM_RSRC2:SCRATCH_EN: 0
; COMPUTE_PGM_RSRC2:USER_SGPR: 2
; COMPUTE_PGM_RSRC2:TRAP_HANDLER: 0
; COMPUTE_PGM_RSRC2:TGID_X_EN: 1
; COMPUTE_PGM_RSRC2:TGID_Y_EN: 0
; COMPUTE_PGM_RSRC2:TGID_Z_EN: 0
; COMPUTE_PGM_RSRC2:TIDIG_COMP_CNT: 0
; COMPUTE_PGM_RSRC3_GFX90A:ACCUM_OFFSET: 21
; COMPUTE_PGM_RSRC3_GFX90A:TG_SPLIT: 0
	.section	.text._Z19_skinny_gemm_kernelILi3ELi2ELi4ELi32ELi4EEvPKhS1_P6__halfPKfiiiiiiii,"axG",@progbits,_Z19_skinny_gemm_kernelILi3ELi2ELi4ELi32ELi4EEvPKhS1_P6__halfPKfiiiiiiii,comdat
	.protected	_Z19_skinny_gemm_kernelILi3ELi2ELi4ELi32ELi4EEvPKhS1_P6__halfPKfiiiiiiii ; -- Begin function _Z19_skinny_gemm_kernelILi3ELi2ELi4ELi32ELi4EEvPKhS1_P6__halfPKfiiiiiiii
	.globl	_Z19_skinny_gemm_kernelILi3ELi2ELi4ELi32ELi4EEvPKhS1_P6__halfPKfiiiiiiii
	.p2align	8
	.type	_Z19_skinny_gemm_kernelILi3ELi2ELi4ELi32ELi4EEvPKhS1_P6__halfPKfiiiiiiii,@function
_Z19_skinny_gemm_kernelILi3ELi2ELi4ELi32ELi4EEvPKhS1_P6__halfPKfiiiiiiii: ; @_Z19_skinny_gemm_kernelILi3ELi2ELi4ELi32ELi4EEvPKhS1_P6__halfPKfiiiiiiii
; %bb.0:
	v_cmp_gt_u32_e32 vcc, 20, v0
	s_and_saveexec_b64 s[4:5], vcc
; %bb.1:
	v_lshlrev_b32_e32 v1, 2, v0
	v_mov_b32_e32 v2, 0
	ds_write_b32 v1, v2 offset:40960
; %bb.2:
	s_or_b64 exec, exec, s[4:5]
	s_load_dwordx8 s[16:23], s[0:1], 0x20
	s_waitcnt lgkmcnt(0)
	s_barrier
	s_add_i32 s3, s16, 0x5f
	s_mul_hi_i32 s3, s3, 0x2aaaaaab
	s_add_i32 s4, s17, 63
	s_lshr_b32 s5, s3, 31
	s_ashr_i32 s3, s3, 4
	s_add_i32 s11, s3, s5
	s_ashr_i32 s3, s4, 31
	s_lshr_b32 s3, s3, 26
	s_add_i32 s4, s4, s3
	s_ashr_i32 s12, s4, 6
	s_mul_i32 s3, s12, s11
	s_mul_i32 s3, s3, s20
	s_add_i32 s4, s3, 0x12f
	s_mul_hi_i32 s4, s4, 0x6bca1af3
	s_lshr_b32 s5, s4, 31
	s_ashr_i32 s4, s4, 7
	s_add_i32 s4, s4, s5
	s_add_i32 s5, s2, 1
	s_mul_i32 s5, s4, s5
	v_cvt_f64_i32_e32 v[2:3], s3
	v_cvt_f64_u32_e32 v[4:5], s5
	v_min_f64 v[2:3], v[2:3], v[4:5]
	v_cvt_i32_f64_e32 v62, v[2:3]
	s_mul_i32 s33, s4, s2
	v_cmp_ge_i32_e32 vcc, s33, v62
	s_cbranch_vccnz .LBB267_51
; %bb.3:
	s_load_dwordx8 s[44:51], s[0:1], 0x0
	v_lshrrev_b32_e32 v1, 6, v0
	s_add_i32 s0, s22, s21
	v_cmp_le_i32_e64 s[14:15], s0, v1
	v_mov_b32_e32 v2, s21
	v_cmp_le_i32_e64 s[24:25], s21, v1
	v_mov_b32_e32 v3, s22
	v_cndmask_b32_e64 v3, 0, v3, s[14:15]
	v_cndmask_b32_e64 v2, 0, v2, s[24:25]
	s_abs_i32 s1, s20
	v_add_u32_e32 v2, v2, v3
	v_cvt_f32_u32_e32 v3, s1
	v_sub_u32_e32 v56, v1, v2
	s_ashr_i32 s2, s18, 31
	s_lshr_b32 s2, s2, 26
	v_rcp_iflag_f32_e32 v2, v3
	s_sub_i32 s5, 0, s1
	s_add_i32 s2, s18, s2
	s_ashr_i32 s2, s2, 6
	v_mul_f32_e32 v2, 0x4f7ffffe, v2
	v_cvt_u32_f32_e32 v2, v2
	s_abs_i32 s4, s2
	s_xor_b32 s3, s2, s20
	s_ashr_i32 s3, s3, 31
	v_readfirstlane_b32 s6, v2
	s_mul_i32 s5, s5, s6
	s_mul_hi_u32 s5, s6, s5
	s_add_i32 s6, s6, s5
	s_mul_hi_u32 s5, s4, s6
	s_mul_i32 s6, s5, s1
	s_sub_i32 s4, s4, s6
	s_add_i32 s6, s5, 1
	s_sub_i32 s7, s4, s1
	s_cmp_ge_u32 s4, s1
	s_cselect_b32 s5, s6, s5
	s_cselect_b32 s4, s7, s4
	s_add_i32 s6, s5, 1
	s_cmp_ge_u32 s4, s1
	s_cselect_b32 s1, s6, s5
	s_add_i32 s0, s0, s23
	v_and_b32_e32 v64, 31, v0
	v_lshrrev_b32_e32 v2, 3, v0
	v_cmp_gt_i32_e64 s[28:29], s0, v1
	v_lshlrev_b32_e32 v1, 2, v64
	v_and_b32_e32 v3, 4, v2
	v_and_b32_e32 v5, 1, v0
	v_lshlrev_b32_e32 v2, 6, v3
	v_or_b32_e32 v4, 0x6000, v1
	v_or_b32_e32 v3, v3, v5
	;; [unrolled: 1-line block ×4, first 2 shown]
	v_lshlrev_b32_e32 v2, 1, v5
	v_or_b32_e32 v5, 2, v3
	v_sub_u32_e32 v77, 32, v5
	v_or_b32_e32 v5, 8, v3
	v_sub_u32_e32 v78, 32, v5
	;; [unrolled: 2-line block ×5, first 2 shown]
	v_mul_lo_u32 v34, s17, v3
	v_sub_u32_e32 v81, 32, v5
	v_or_b32_e32 v5, 24, v3
	v_or_b32_e32 v3, 26, v3
                                        ; implicit-def: $vgpr99 : SGPR spill to VGPR lane
	s_add_i32 s26, s20, -1
	v_sub_u32_e32 v83, 32, v3
	v_lshrrev_b32_e32 v3, 1, v0
	s_abs_i32 s20, s11
	v_writelane_b32 v99, s11, 0
	v_and_b32_e32 v50, 16, v3
	v_cvt_f32_u32_e32 v3, s20
	v_writelane_b32 v99, s12, 1
	v_sub_u32_e32 v2, v0, v2
	s_waitcnt lgkmcnt(0)
	v_writelane_b32 v99, s44, 2
	v_add_u32_e32 v2, 1, v2
	v_and_b32_e32 v6, 63, v2
	v_writelane_b32 v99, s45, 3
	v_bitop3_b32 v67, v0, 1, v0 bitop3:0xc
	v_bitop3_b32 v68, v0, 3, 1 bitop3:0x6c
	;; [unrolled: 1-line block ×8, first 2 shown]
	v_and_b32_e32 v2, 30, v0
	v_lshlrev_b32_e32 v0, 4, v0
	v_writelane_b32 v99, s46, 4
	v_and_b32_e32 v0, 0x200, v0
	v_rcp_iflag_f32_e32 v3, v3
	s_abs_i32 s99, s12
	v_writelane_b32 v99, s47, 5
	s_xor_b32 s1, s1, s3
	v_or_b32_e32 v86, v1, v0
	v_cvt_f32_u32_e32 v1, s99
	v_writelane_b32 v99, s48, 6
	s_sub_i32 s13, s1, s3
	v_writelane_b32 v99, s49, 7
	s_mul_i32 s1, s13, s26
	s_lshl_b32 s0, s17, 1
	v_writelane_b32 v99, s50, 8
	s_sub_i32 s27, s2, s1
	v_add_u32_e32 v36, s0, v34
	s_mul_i32 s1, s17, 6
	v_or_b32_e32 v84, v4, v0
	v_mul_f32_e32 v0, 0x4f7ffffe, v3
	v_writelane_b32 v99, s51, 9
	v_cndmask_b32_e64 v63, 0, 1, s[14:15]
	v_add_u32_e32 v38, s1, v36
	v_cvt_u32_f32_e32 v0, v0
	v_rcp_iflag_f32_e32 v1, v1
	v_writelane_b32 v99, s14, 10
	v_add_u32_e32 v40, s0, v38
	v_add_u32_e32 v42, s1, v40
	v_writelane_b32 v99, s15, 11
	v_writelane_b32 v99, s24, 12
	v_add_u32_e32 v44, s0, v42
	v_add_u32_e32 v46, s1, v44
	v_writelane_b32 v99, s25, 13
	v_readfirstlane_b32 s1, v0
	v_mul_f32_e32 v0, 0x4f7ffffe, v1
	v_writelane_b32 v99, s13, 14
	v_cvt_u32_f32_e32 v0, v0
	v_writelane_b32 v99, s26, 15
	v_add_u32_e32 v48, s0, v46
	s_sub_i32 s0, 0, s20
	v_writelane_b32 v99, s27, 16
	s_mul_i32 s0, s0, s1
	v_writelane_b32 v99, s28, 17
	s_lshl_b32 s30, s19, 5
	s_mul_hi_u32 s0, s1, s0
	v_writelane_b32 v99, s29, 18
	s_ashr_i32 s31, s11, 31
	s_add_i32 s34, s1, s0
	s_sub_i32 s0, 0, s99
	v_readfirstlane_b32 s1, v0
	v_mbcnt_lo_u32_b32 v0, -1, 0
	v_writelane_b32 v99, s30, 19
	s_mul_i32 s0, s0, s1
	v_mbcnt_hi_u32_b32 v0, -1, v0
	v_writelane_b32 v99, s31, 20
	v_mov_b32_e32 v33, 0
	v_mul_lo_u32 v52, s19, v64
	s_ashr_i32 s35, s12, 31
	s_mul_hi_u32 s0, s1, s0
	v_and_or_b32 v0, v0, 64, v6
	v_writelane_b32 v99, s34, 21
	v_or_b32_e32 v75, 32, v64
	v_ashrrev_i32_e32 v35, 31, v34
	v_ashrrev_i32_e32 v37, 31, v36
	;; [unrolled: 1-line block ×6, first 2 shown]
	v_sub_u32_e32 v82, 32, v5
	v_ashrrev_i32_e32 v47, 31, v46
	v_ashrrev_i32_e32 v49, 31, v48
	v_ashrrev_i32_e32 v53, 31, v52
	v_mov_b32_e32 v51, v33
	v_mul_lo_u32 v85, s18, v64
	s_add_i32 s36, s1, s0
	v_lshlrev_b32_e32 v32, 1, v2
	v_lshlrev_b32_e32 v87, 2, v0
	v_mov_b32_e32 v88, v56
	v_writelane_b32 v99, s35, 22
	v_writelane_b32 v99, s36, 23
	s_branch .LBB267_7
.LBB267_4:                              ;   in Loop: Header=BB267_7 Depth=1
	s_or_b64 exec, exec, s[4:5]
.LBB267_5:                              ;   in Loop: Header=BB267_7 Depth=1
	s_or_b64 exec, exec, s[2:3]
	v_subrev_u32_e32 v88, s98, v88
.LBB267_6:                              ;   in Loop: Header=BB267_7 Depth=1
	s_or_b64 exec, exec, s[0:1]
	s_add_i32 s33, s33, 1
	v_cmp_ge_i32_e32 vcc, s33, v62
	s_cbranch_vccnz .LBB267_51
.LBB267_7:                              ; =>This Loop Header: Depth=1
                                        ;     Child Loop BB267_13 Depth 2
                                        ;       Child Loop BB267_15 Depth 3
                                        ;       Child Loop BB267_18 Depth 3
	;; [unrolled: 1-line block ×3, first 2 shown]
                                        ;     Child Loop BB267_38 Depth 2
                                        ;       Child Loop BB267_40 Depth 3
                                        ;     Child Loop BB267_48 Depth 2
                                        ;       Child Loop BB267_50 Depth 3
	s_abs_i32 s1, s33
	s_mul_hi_u32 s2, s1, s34
	s_mul_i32 s3, s2, s20
	s_ashr_i32 s0, s33, 31
	s_sub_i32 s1, s1, s3
	s_xor_b32 s0, s0, s31
	s_add_i32 s3, s2, 1
	s_sub_i32 s4, s1, s20
	s_cmp_ge_u32 s1, s20
	s_cselect_b32 s2, s3, s2
	s_cselect_b32 s1, s4, s1
	s_add_i32 s3, s2, 1
	s_cmp_ge_u32 s1, s20
	s_cselect_b32 s1, s3, s2
	s_xor_b32 s1, s1, s0
	s_sub_i32 s0, s1, s0
	s_abs_i32 s2, s0
	s_mul_i32 s1, s0, s11
	s_mul_hi_u32 s3, s2, s36
	s_sub_i32 s1, s33, s1
	s_mul_i32 s4, s3, s99
	s_mul_i32 s52, s1, 0x60
	s_ashr_i32 s1, s0, 31
	s_sub_i32 s2, s2, s4
	s_xor_b32 s1, s1, s35
	s_add_i32 s4, s3, 1
	s_sub_i32 s5, s2, s99
	s_cmp_ge_u32 s2, s99
	s_cselect_b32 s3, s4, s3
	s_cselect_b32 s2, s5, s2
	s_add_i32 s4, s3, 1
	s_cmp_ge_u32 s2, s99
	s_cselect_b32 s2, s4, s3
	s_xor_b32 s2, s2, s1
	s_sub_i32 s1, s2, s1
	s_mul_i32 s2, s1, s13
	s_lshl_b32 s37, s2, 6
	s_cmp_eq_u32 s1, s26
	s_cselect_b32 s98, s27, s13
	s_sub_i32 s2, s52, s16
	s_add_i32 s53, s2, 0x60
	s_and_saveexec_b64 s[2:3], s[24:25]
	s_xor_b64 s[38:39], exec, s[2:3]
	s_cbranch_execz .LBB267_44
; %bb.8:                                ;   in Loop: Header=BB267_7 Depth=1
	s_mul_i32 s1, s1, s12
	s_sub_i32 s0, s0, s1
	s_lshl_b32 s0, s0, 6
	s_sub_i32 s90, s0, s17
	s_add_i32 s90, s90, 64
	s_max_i32 s1, s90, 0
	s_sub_i32 s54, s0, s1
	s_and_saveexec_b64 s[0:1], s[14:15]
	s_xor_b64 s[4:5], exec, s[0:1]
	s_cbranch_execz .LBB267_34
; %bb.9:                                ;   in Loop: Header=BB267_7 Depth=1
	s_and_saveexec_b64 s[2:3], s[28:29]
	s_cbranch_execz .LBB267_33
; %bb.10:                               ;   in Loop: Header=BB267_7 Depth=1
	global_load_dword v89, v33, s[50:51]
	v_writelane_b32 v99, s2, 24
	v_mov_b32_e32 v31, 0
	v_cmp_gt_i32_e32 vcc, s98, v88
	v_writelane_b32 v99, s3, 25
	v_writelane_b32 v99, s4, 26
	v_mov_b32_e32 v30, v31
	v_mov_b32_e32 v29, v31
	;; [unrolled: 1-line block ×12, first 2 shown]
	s_waitcnt lgkmcnt(1)
	v_mov_b32_e32 v18, v31
	v_mov_b32_e32 v17, v31
	;; [unrolled: 1-line block ×19, first 2 shown]
	v_writelane_b32 v99, s5, 27
	s_and_saveexec_b64 s[0:1], vcc
	s_cbranch_execz .LBB267_23
; %bb.11:                               ;   in Loop: Header=BB267_7 Depth=1
	v_mov_b32_e32 v0, 0
	s_mov_b64 s[2:3], 0
	v_mov_b32_e32 v1, v0
	v_mov_b32_e32 v2, v0
	v_mov_b32_e32 v3, v0
	v_mov_b32_e32 v4, v0
	v_mov_b32_e32 v5, v0
	v_mov_b32_e32 v6, v0
	v_mov_b32_e32 v7, v0
	v_mov_b32_e32 v8, v0
	v_mov_b32_e32 v9, v0
	v_mov_b32_e32 v10, v0
	v_mov_b32_e32 v11, v0
	v_mov_b32_e32 v12, v0
	v_mov_b32_e32 v13, v0
	v_mov_b32_e32 v14, v0
	v_mov_b32_e32 v15, v0
	v_mov_b32_e32 v16, v0
	v_mov_b32_e32 v17, v0
	v_mov_b32_e32 v18, v0
	v_mov_b32_e32 v19, v0
	v_mov_b32_e32 v20, v0
	v_mov_b32_e32 v21, v0
	v_mov_b32_e32 v22, v0
	v_mov_b32_e32 v23, v0
	v_mov_b32_e32 v24, v0
	v_mov_b32_e32 v25, v0
	v_mov_b32_e32 v26, v0
	v_mov_b32_e32 v27, v0
	v_mov_b32_e32 v28, v0
	v_mov_b32_e32 v29, v0
	v_mov_b32_e32 v30, v0
	v_mov_b32_e32 v31, v0
	s_branch .LBB267_13
.LBB267_12:                             ;   in Loop: Header=BB267_13 Depth=2
	s_or_b64 exec, exec, s[4:5]
	v_add_u32_e32 v96, 0x800, v93
	ds_read2_b32 v[94:95], v96 offset1:32
	v_add_u32_e32 v88, s23, v88
	s_waitcnt lgkmcnt(0)
	v_mfma_f32_32x32x16_fp8_fp8 v[0:15], v[60:61], v[94:95], v[0:15]
	ds_read2_b32 v[60:61], v96 offset0:128 offset1:160
	s_waitcnt lgkmcnt(0)
	v_mfma_f32_32x32x16_fp8_fp8 v[0:15], v[58:59], v[60:61], v[0:15]
	v_add_u32_e32 v60, 0xc00, v93
	ds_read2_b32 v[58:59], v60 offset1:32
	ds_read2_b32 v[60:61], v60 offset0:128 offset1:160
	ds_write_b32 v91, v92 offset:40972
	s_waitcnt lgkmcnt(2)
	v_mfma_f32_32x32x16_fp8_fp8 v[0:15], v[56:57], v[58:59], v[0:15]
	v_add_u32_e32 v56, s23, v90
	v_add_u32_e32 v57, 2, v63
	v_cmp_lt_i32_e32 vcc, 3, v56
	s_nop 1
	v_cndmask_b32_e32 v63, v63, v57, vcc
	v_cmp_le_i32_e32 vcc, s98, v88
	s_waitcnt lgkmcnt(1)
	v_mfma_f32_32x32x16_fp8_fp8 v[0:15], v[54:55], v[60:61], v[0:15]
	s_or_b64 s[2:3], vcc, s[2:3]
	s_andn2_b64 exec, exec, s[2:3]
	s_cbranch_execz .LBB267_22
.LBB267_13:                             ;   Parent Loop BB267_7 Depth=1
                                        ; =>  This Loop Header: Depth=2
                                        ;       Child Loop BB267_15 Depth 3
                                        ;       Child Loop BB267_18 Depth 3
	;; [unrolled: 1-line block ×3, first 2 shown]
	v_cmp_gt_i32_e32 vcc, 4, v56
	s_nop 1
	v_cndmask_b32_e64 v54, -4, 0, vcc
	v_add_u32_e32 v90, v54, v56
	v_lshlrev_b32_e32 v91, 4, v90
	ds_read_b32 v54, v91 offset:40960
	s_waitcnt lgkmcnt(0)
	v_cmp_ne_u32_e32 vcc, v54, v63
	s_and_saveexec_b64 s[4:5], vcc
	s_cbranch_execz .LBB267_16
; %bb.14:                               ;   in Loop: Header=BB267_13 Depth=2
	s_mov_b64 s[6:7], 0
.LBB267_15:                             ;   Parent Loop BB267_7 Depth=1
                                        ;     Parent Loop BB267_13 Depth=2
                                        ; =>    This Inner Loop Header: Depth=3
	;;#ASMSTART
	s_sleep 0
	;;#ASMEND
	ds_read_b32 v54, v91 offset:40960
	s_waitcnt lgkmcnt(0)
	v_cmp_eq_u32_e32 vcc, v54, v63
	s_or_b64 s[6:7], vcc, s[6:7]
	s_andn2_b64 exec, exec, s[6:7]
	s_cbranch_execnz .LBB267_15
.LBB267_16:                             ;   in Loop: Header=BB267_13 Depth=2
	s_or_b64 exec, exec, s[4:5]
	v_lshl_or_b32 v54, v90, 11, v65
	ds_read2_b32 v[60:61], v54 offset1:32
	ds_read2_b32 v[58:59], v54 offset0:128 offset1:160
	v_add_u32_e32 v54, 0x400, v54
	ds_read2_b32 v[56:57], v54 offset1:32
	ds_read_b32 v93, v91 offset:40964
	ds_read2_b32 v[54:55], v54 offset0:128 offset1:160
	v_add_u32_e32 v92, 1, v63
	ds_write_b32 v91, v92 offset:40960
	s_waitcnt lgkmcnt(2)
	v_cmp_ne_u32_e32 vcc, v93, v63
	s_and_saveexec_b64 s[4:5], vcc
	s_cbranch_execz .LBB267_19
; %bb.17:                               ;   in Loop: Header=BB267_13 Depth=2
	s_mov_b64 s[6:7], 0
.LBB267_18:                             ;   Parent Loop BB267_7 Depth=1
                                        ;     Parent Loop BB267_13 Depth=2
                                        ; =>    This Inner Loop Header: Depth=3
	;;#ASMSTART
	s_sleep 0
	;;#ASMEND
	ds_read_b32 v93, v91 offset:40964
	s_waitcnt lgkmcnt(0)
	v_cmp_eq_u32_e32 vcc, v93, v63
	s_or_b64 s[6:7], vcc, s[6:7]
	s_andn2_b64 exec, exec, s[6:7]
	s_cbranch_execnz .LBB267_18
.LBB267_19:                             ;   in Loop: Header=BB267_13 Depth=2
	s_or_b64 exec, exec, s[4:5]
	v_lshlrev_b32_e32 v93, 12, v90
	v_add_u32_e32 v93, v66, v93
	ds_read2_b32 v[94:95], v93 offset1:32
	v_add_u32_e32 v96, 0x400, v93
	ds_write_b32 v91, v92 offset:40964
	s_waitcnt lgkmcnt(1)
	v_mfma_f32_32x32x16_fp8_fp8 v[16:31], v[60:61], v[94:95], v[16:31]
	ds_read2_b32 v[94:95], v93 offset0:128 offset1:160
	s_waitcnt lgkmcnt(0)
	v_mfma_f32_32x32x16_fp8_fp8 v[16:31], v[58:59], v[94:95], v[16:31]
	ds_read2_b32 v[94:95], v96 offset1:32
	s_waitcnt lgkmcnt(0)
	v_mfma_f32_32x32x16_fp8_fp8 v[16:31], v[56:57], v[94:95], v[16:31]
	ds_read2_b32 v[94:95], v96 offset0:128 offset1:160
	ds_read_b32 v96, v91 offset:40972
	s_waitcnt lgkmcnt(0)
	v_cmp_ne_u32_e32 vcc, v96, v63
	v_mfma_f32_32x32x16_fp8_fp8 v[16:31], v[54:55], v[94:95], v[16:31]
	s_and_saveexec_b64 s[4:5], vcc
	s_cbranch_execz .LBB267_12
; %bb.20:                               ;   in Loop: Header=BB267_13 Depth=2
	s_mov_b64 s[6:7], 0
.LBB267_21:                             ;   Parent Loop BB267_7 Depth=1
                                        ;     Parent Loop BB267_13 Depth=2
                                        ; =>    This Inner Loop Header: Depth=3
	;;#ASMSTART
	s_sleep 0
	;;#ASMEND
	ds_read_b32 v94, v91 offset:40972
	s_waitcnt lgkmcnt(0)
	v_cmp_eq_u32_e32 vcc, v94, v63
	s_or_b64 s[6:7], vcc, s[6:7]
	s_andn2_b64 exec, exec, s[6:7]
	s_cbranch_execnz .LBB267_21
	s_branch .LBB267_12
.LBB267_22:                             ;   in Loop: Header=BB267_7 Depth=1
	s_or_b64 exec, exec, s[2:3]
.LBB267_23:                             ;   in Loop: Header=BB267_7 Depth=1
	v_writelane_b32 v99, s54, 28
	s_nop 1
	v_writelane_b32 v99, s55, 29
	v_writelane_b32 v99, s38, 30
	s_nop 1
	v_writelane_b32 v99, s39, 31
	v_writelane_b32 v99, s53, 32
	;; [unrolled: 1-line block ×4, first 2 shown]
	s_or_b64 exec, exec, s[0:1]
	v_cmp_le_i32_e32 vcc, s90, v64
	v_cmp_eq_u32_e64 s[86:87], 1, v67
	v_cmp_eq_u32_e64 s[50:51], 2, v67
	s_waitcnt vmcnt(0)
	v_cndmask_b32_e32 v54, 0, v89, vcc
	v_pk_mul_f32 v[16:17], v[54:55], v[16:17] op_sel_hi:[0,1]
	v_pk_mul_f32 v[30:31], v[54:55], v[30:31] op_sel_hi:[0,1]
	;; [unrolled: 1-line block ×8, first 2 shown]
	v_cndmask_b32_e64 v54, v16, v17, s[86:87]
	v_cndmask_b32_e64 v54, v54, v18, s[50:51]
	v_cmp_eq_u32_e64 s[54:55], 3, v67
	v_cmp_eq_u32_e64 s[56:57], 4, v67
	v_cmp_eq_u32_e64 s[60:61], 5, v67
	v_cndmask_b32_e64 v54, v54, v19, s[54:55]
	v_cndmask_b32_e64 v54, v54, v20, s[56:57]
	v_cndmask_b32_e64 v54, v54, v21, s[60:61]
	v_cmp_eq_u32_e64 s[64:65], 6, v67
	v_cmp_eq_u32_e64 s[68:69], 7, v67
	v_cmp_eq_u32_e64 s[72:73], 8, v67
	v_cndmask_b32_e64 v54, v54, v22, s[64:65]
	;; [unrolled: 6-line block ×5, first 2 shown]
	ds_bpermute_b32 v54, v87, v54
	v_cmp_eq_u32_e64 s[26:27], 2, v68
	v_cmp_eq_u32_e64 s[28:29], 3, v68
	;; [unrolled: 1-line block ×4, first 2 shown]
	s_waitcnt lgkmcnt(0)
	v_cndmask_b32_e64 v17, v17, v54, s[86:87]
	v_cndmask_b32_e64 v16, v16, v54, s[70:71]
	;; [unrolled: 1-line block ×12, first 2 shown]
	v_cmp_eq_u32_e64 s[36:37], 6, v68
	v_cndmask_b32_e64 v57, v23, v54, s[68:69]
	v_cmp_eq_u32_e64 s[38:39], 7, v68
	v_cndmask_b32_e64 v18, v18, v58, s[36:37]
	v_cndmask_b32_e64 v55, v24, v54, s[72:73]
	v_cndmask_b32_e64 v18, v18, v57, s[38:39]
	v_cmp_eq_u32_e64 s[42:43], 8, v68
	v_cndmask_b32_e64 v25, v25, v54, s[76:77]
	v_cmp_eq_u32_e64 s[44:45], 9, v68
	v_cndmask_b32_e64 v18, v18, v55, s[42:43]
	v_cndmask_b32_e64 v26, v26, v54, s[78:79]
	v_cndmask_b32_e64 v18, v18, v25, s[44:45]
	v_cmp_eq_u32_e64 s[46:47], 10, v68
	v_cndmask_b32_e64 v27, v27, v54, s[74:75]
	v_cmp_eq_u32_e64 s[48:49], 11, v68
	v_cndmask_b32_e64 v18, v18, v26, s[46:47]
	v_cndmask_b32_e64 v28, v28, v54, s[80:81]
	v_cndmask_b32_e64 v18, v18, v27, s[48:49]
	v_cmp_eq_u32_e64 s[52:53], 12, v68
	v_cndmask_b32_e64 v29, v29, v54, s[82:83]
	v_cmp_eq_u32_e64 s[58:59], 13, v68
	v_cndmask_b32_e64 v18, v18, v28, s[52:53]
	v_cndmask_b32_e64 v30, v30, v54, s[84:85]
	v_cndmask_b32_e64 v18, v18, v29, s[58:59]
	v_cmp_eq_u32_e64 s[62:63], 14, v68
	v_cndmask_b32_e64 v31, v31, v54, s[88:89]
	v_cmp_eq_u32_e64 s[66:67], 15, v68
	v_cndmask_b32_e64 v18, v18, v30, s[62:63]
	v_cmp_le_i32_e64 s[90:91], s90, v75
	v_cndmask_b32_e64 v18, v18, v31, s[66:67]
	ds_bpermute_b32 v54, v87, v18
	v_cmp_eq_u32_e64 s[40:41], 0, v68
	v_cmp_eq_u32_e64 s[2:3], 1, v69
	v_cmp_eq_u32_e64 s[6:7], 2, v69
	v_cmp_eq_u32_e64 s[8:9], 3, v69
	s_waitcnt lgkmcnt(0)
	v_cndmask_b32_e64 v22, v27, v54, s[48:49]
	v_cndmask_b32_e64 v27, v58, v54, s[36:37]
	;; [unrolled: 1-line block ×3, first 2 shown]
	v_pk_mul_f32 v[0:1], v[58:59], v[0:1] op_sel_hi:[0,1]
	v_cndmask_b32_e64 v24, v25, v54, s[44:45]
	v_cndmask_b32_e64 v25, v55, v54, s[42:43]
	v_pk_mul_f32 v[2:3], v[58:59], v[2:3] op_sel_hi:[0,1]
	v_cndmask_b32_e64 v55, v0, v1, s[86:87]
	v_cndmask_b32_e64 v55, v55, v2, s[50:51]
	;; [unrolled: 3-line block ×6, first 2 shown]
	v_cndmask_b32_e64 v17, v17, v54, s[24:25]
	v_cndmask_b32_e64 v16, v16, v54, s[40:41]
	v_pk_mul_f32 v[12:13], v[58:59], v[12:13] op_sel_hi:[0,1]
	v_cndmask_b32_e64 v55, v55, v11, s[74:75]
	v_cndmask_b32_e64 v18, v31, v54, s[66:67]
	;; [unrolled: 1-line block ×14, first 2 shown]
	v_pk_mul_f32 v[14:15], v[58:59], v[14:15] op_sel_hi:[0,1]
	v_cndmask_b32_e64 v55, v55, v13, s[82:83]
	v_cndmask_b32_e64 v54, v54, v30, s[8:9]
	v_cmp_eq_u32_e64 s[10:11], 4, v69
	v_cndmask_b32_e64 v55, v55, v14, s[84:85]
	v_cmp_eq_u32_e64 s[12:13], 5, v69
	v_cndmask_b32_e64 v54, v54, v29, s[10:11]
	v_cndmask_b32_e64 v55, v55, v15, s[88:89]
	;; [unrolled: 1-line block ×3, first 2 shown]
	v_cmp_eq_u32_e64 s[14:15], 6, v69
	ds_bpermute_b32 v55, v87, v55
	v_cmp_eq_u32_e64 s[96:97], 7, v69
	v_cndmask_b32_e64 v54, v54, v27, s[14:15]
	v_cmp_eq_u32_e64 s[4:5], 8, v69
	v_cndmask_b32_e64 v54, v54, v26, s[96:97]
	v_cmp_eq_u32_e32 vcc, 9, v69
	v_cndmask_b32_e64 v54, v54, v25, s[4:5]
	v_cmp_eq_u32_e64 s[0:1], 10, v69
	v_cndmask_b32_e32 v54, v54, v24, vcc
	v_cmp_eq_u32_e64 s[86:87], 11, v69
	v_cndmask_b32_e64 v54, v54, v23, s[0:1]
	s_waitcnt lgkmcnt(0)
	v_cndmask_b32_e64 v2, v2, v55, s[50:51]
	v_cmp_ne_u32_e64 s[50:51], 0, v67
	v_cndmask_b32_e64 v54, v54, v22, s[86:87]
	v_cmp_eq_u32_e64 s[90:91], 12, v69
	v_cndmask_b32_e64 v1, v1, v55, s[50:51]
	v_cndmask_b32_e64 v0, v0, v55, s[70:71]
	;; [unrolled: 1-line block ×4, first 2 shown]
	v_cmp_eq_u32_e64 s[88:89], 13, v69
	v_cndmask_b32_e64 v14, v14, v55, s[84:85]
	v_cndmask_b32_e64 v13, v13, v55, s[82:83]
	;; [unrolled: 1-line block ×14, first 2 shown]
	v_cmp_eq_u32_e64 s[84:85], 14, v69
	v_cndmask_b32_e64 v55, v55, v2, s[26:27]
	v_cmp_eq_u32_e64 s[82:83], 15, v69
	v_cndmask_b32_e64 v54, v54, v19, s[84:85]
	v_cndmask_b32_e64 v55, v55, v3, s[28:29]
	;; [unrolled: 1-line block ×4, first 2 shown]
	ds_bpermute_b32 v54, v87, v54
	v_cndmask_b32_e64 v55, v55, v5, s[34:35]
	v_cndmask_b32_e64 v55, v55, v6, s[36:37]
	v_cndmask_b32_e64 v55, v55, v7, s[38:39]
	v_cndmask_b32_e64 v55, v55, v8, s[42:43]
	v_cmp_eq_u32_e64 s[80:81], 0, v69
	v_cndmask_b32_e64 v55, v55, v9, s[44:45]
	s_waitcnt lgkmcnt(0)
	v_cndmask_b32_e64 v17, v17, v54, s[2:3]
	v_cndmask_b32_e64 v16, v16, v54, s[80:81]
	v_cmp_eq_u32_e64 s[74:75], 1, v70
	v_cndmask_b32_e64 v55, v55, v10, s[46:47]
	v_cndmask_b32_e64 v18, v18, v54, s[82:83]
	;; [unrolled: 1-line block ×7, first 2 shown]
	v_cndmask_b32_e32 v24, v24, v54, vcc
	v_cndmask_b32_e64 v25, v25, v54, s[4:5]
	v_cndmask_b32_e64 v26, v26, v54, s[96:97]
	;; [unrolled: 1-line block ×8, first 2 shown]
	v_cmp_eq_u32_e64 s[78:79], 2, v70
	v_cndmask_b32_e64 v55, v55, v11, s[48:49]
	v_cmp_eq_u32_e64 s[76:77], 3, v70
	v_cndmask_b32_e64 v54, v54, v31, s[78:79]
	v_cndmask_b32_e64 v55, v55, v12, s[52:53]
	;; [unrolled: 1-line block ×3, first 2 shown]
	v_cmp_eq_u32_e64 s[72:73], 4, v70
	v_cndmask_b32_e64 v55, v55, v13, s[58:59]
	v_cmp_eq_u32_e64 s[68:69], 5, v70
	v_cndmask_b32_e64 v54, v54, v29, s[72:73]
	v_cndmask_b32_e64 v55, v55, v14, s[62:63]
	;; [unrolled: 1-line block ×3, first 2 shown]
	v_cmp_eq_u32_e64 s[64:65], 6, v70
	v_cndmask_b32_e64 v55, v55, v15, s[66:67]
	v_cmp_eq_u32_e64 s[60:61], 7, v70
	v_cndmask_b32_e64 v54, v54, v27, s[64:65]
	ds_bpermute_b32 v55, v87, v55
	v_cndmask_b32_e64 v54, v54, v26, s[60:61]
	v_cmp_eq_u32_e64 s[56:57], 8, v70
	v_cmp_eq_u32_e64 s[54:55], 9, v70
	;; [unrolled: 1-line block ×3, first 2 shown]
	v_cndmask_b32_e64 v54, v54, v25, s[56:57]
	v_cndmask_b32_e64 v54, v54, v24, s[54:55]
	;; [unrolled: 1-line block ×3, first 2 shown]
	v_cmp_eq_u32_e64 s[70:71], 11, v70
	s_waitcnt lgkmcnt(0)
	v_cndmask_b32_e64 v15, v15, v55, s[66:67]
	v_cmp_eq_u32_e64 s[66:67], 12, v70
	v_cndmask_b32_e64 v54, v54, v22, s[70:71]
	v_cndmask_b32_e64 v14, v14, v55, s[62:63]
	;; [unrolled: 1-line block ×3, first 2 shown]
	v_cmp_eq_u32_e64 s[62:63], 13, v70
	v_cndmask_b32_e64 v1, v1, v55, s[24:25]
	v_cndmask_b32_e64 v0, v0, v55, s[40:41]
	;; [unrolled: 1-line block ×4, first 2 shown]
	v_cmp_eq_u32_e64 s[92:93], 14, v70
	v_cndmask_b32_e64 v12, v12, v55, s[52:53]
	v_cndmask_b32_e64 v11, v11, v55, s[48:49]
	;; [unrolled: 1-line block ×13, first 2 shown]
	v_cmp_eq_u32_e64 s[94:95], 15, v70
	v_cndmask_b32_e64 v55, v55, v2, s[6:7]
	v_cndmask_b32_e64 v55, v55, v3, s[8:9]
	v_cndmask_b32_e64 v54, v54, v18, s[94:95]
	ds_bpermute_b32 v54, v87, v54
	v_cndmask_b32_e64 v55, v55, v4, s[10:11]
	v_cndmask_b32_e64 v55, v55, v5, s[12:13]
	;; [unrolled: 1-line block ×4, first 2 shown]
	v_cmp_eq_u32_e64 s[48:49], 0, v70
	v_cndmask_b32_e64 v55, v55, v8, s[4:5]
	s_waitcnt lgkmcnt(0)
	v_cndmask_b32_e64 v17, v17, v54, s[74:75]
	v_cndmask_b32_e64 v16, v16, v54, s[48:49]
	v_cmp_eq_u32_e64 s[46:47], 1, v71
	v_cndmask_b32_e32 v55, v55, v9, vcc
	v_cndmask_b32_e64 v18, v18, v54, s[94:95]
	v_cndmask_b32_e64 v19, v19, v54, s[92:93]
	;; [unrolled: 1-line block ×15, first 2 shown]
	v_cmp_eq_u32_e64 s[44:45], 2, v71
	v_cndmask_b32_e64 v55, v55, v10, s[0:1]
	v_cmp_eq_u32_e64 s[42:43], 3, v71
	v_cndmask_b32_e64 v54, v54, v31, s[44:45]
	v_cndmask_b32_e64 v55, v55, v11, s[86:87]
	v_cndmask_b32_e64 v54, v54, v30, s[42:43]
	v_cmp_eq_u32_e64 s[38:39], 4, v71
	v_cndmask_b32_e64 v55, v55, v12, s[90:91]
	v_cmp_eq_u32_e64 s[36:37], 5, v71
	v_cndmask_b32_e64 v54, v54, v29, s[38:39]
	v_cndmask_b32_e64 v55, v55, v13, s[88:89]
	v_cndmask_b32_e64 v54, v54, v28, s[36:37]
	;; [unrolled: 6-line block ×3, first 2 shown]
	v_cmp_eq_u32_e64 s[28:29], 8, v71
	ds_bpermute_b32 v55, v87, v55
	v_cmp_eq_u32_e64 s[26:27], 9, v71
	v_cndmask_b32_e64 v54, v54, v25, s[28:29]
	v_cmp_eq_u32_e64 s[24:25], 10, v71
	v_cndmask_b32_e64 v54, v54, v24, s[26:27]
	v_cmp_eq_u32_e64 s[40:41], 11, v71
	v_cndmask_b32_e64 v54, v54, v23, s[24:25]
	v_cmp_eq_u32_e64 s[58:59], 12, v71
	v_cndmask_b32_e64 v54, v54, v22, s[40:41]
	s_waitcnt lgkmcnt(0)
	v_cndmask_b32_e64 v15, v15, v55, s[82:83]
	v_cndmask_b32_e64 v54, v54, v21, s[58:59]
	v_cmp_eq_u32_e64 s[82:83], 13, v71
	v_cndmask_b32_e64 v14, v14, v55, s[84:85]
	v_cmp_eq_u32_e64 s[84:85], 14, v71
	v_cndmask_b32_e64 v54, v54, v20, s[82:83]
	v_cndmask_b32_e64 v1, v1, v55, s[2:3]
	;; [unrolled: 1-line block ×6, first 2 shown]
	v_cmp_eq_u32_e64 s[90:91], 15, v71
	v_cndmask_b32_e64 v11, v11, v55, s[86:87]
	v_cndmask_b32_e64 v10, v10, v55, s[0:1]
	v_cndmask_b32_e32 v9, v9, v55, vcc
	v_cndmask_b32_e64 v8, v8, v55, s[4:5]
	v_cndmask_b32_e64 v7, v7, v55, s[96:97]
	;; [unrolled: 1-line block ×10, first 2 shown]
	ds_bpermute_b32 v54, v87, v54
	v_cndmask_b32_e64 v55, v55, v3, s[76:77]
	v_cndmask_b32_e64 v55, v55, v4, s[72:73]
	;; [unrolled: 1-line block ×3, first 2 shown]
	v_cmp_eq_u32_e64 s[52:53], 0, v71
	v_cndmask_b32_e64 v55, v55, v6, s[64:65]
	v_cndmask_b32_e64 v55, v55, v7, s[60:61]
	v_writelane_b32 v99, s52, 35
	s_waitcnt lgkmcnt(0)
	v_cndmask_b32_e64 v17, v17, v54, s[46:47]
	v_cndmask_b32_e64 v55, v55, v8, s[56:57]
	v_writelane_b32 v99, s53, 36
	v_cndmask_b32_e64 v16, v16, v54, s[52:53]
	v_cmp_eq_u32_e64 s[52:53], 1, v72
	v_cndmask_b32_e64 v18, v18, v54, s[90:91]
	v_cndmask_b32_e64 v19, v19, v54, s[84:85]
	;; [unrolled: 1-line block ×15, first 2 shown]
	v_cmp_eq_u32_e64 s[0:1], 2, v72
	v_cndmask_b32_e64 v55, v55, v9, s[54:55]
	v_cmp_eq_u32_e64 s[4:5], 3, v72
	v_cndmask_b32_e64 v54, v54, v31, s[0:1]
	v_cndmask_b32_e64 v55, v55, v10, s[50:51]
	v_cndmask_b32_e64 v54, v54, v30, s[4:5]
	v_cmp_eq_u32_e64 s[96:97], 4, v72
	v_cndmask_b32_e64 v55, v55, v11, s[70:71]
	v_cmp_eq_u32_e64 s[14:15], 5, v72
	v_cndmask_b32_e64 v54, v54, v29, s[96:97]
	v_cndmask_b32_e64 v55, v55, v12, s[66:67]
	v_cndmask_b32_e64 v54, v54, v28, s[14:15]
	;; [unrolled: 6-line block ×3, first 2 shown]
	v_cmp_eq_u32_e64 s[8:9], 8, v72
	v_cndmask_b32_e64 v55, v55, v15, s[94:95]
	v_cmp_eq_u32_e64 s[6:7], 9, v72
	v_cndmask_b32_e64 v54, v54, v25, s[8:9]
	ds_bpermute_b32 v55, v87, v55
	v_cndmask_b32_e64 v54, v54, v24, s[6:7]
	v_cmp_eq_u32_e32 vcc, 10, v72
	v_cmp_eq_u32_e64 s[80:81], 11, v72
	v_cmp_eq_u32_e64 s[86:87], 12, v72
	v_cndmask_b32_e32 v54, v54, v23, vcc
	v_cndmask_b32_e64 v54, v54, v22, s[80:81]
	v_cndmask_b32_e64 v54, v54, v21, s[86:87]
	v_cmp_eq_u32_e64 s[88:89], 13, v72
	s_waitcnt lgkmcnt(0)
	v_cndmask_b32_e64 v13, v13, v55, s[62:63]
	v_cmp_eq_u32_e64 s[62:63], 14, v72
	v_cndmask_b32_e64 v54, v54, v20, s[88:89]
	v_cndmask_b32_e64 v12, v12, v55, s[66:67]
	;; [unrolled: 1-line block ×3, first 2 shown]
	v_cmp_eq_u32_e64 s[66:67], 15, v72
	v_cndmask_b32_e64 v57, v11, v55, s[70:71]
	v_cmp_eq_u32_e64 s[70:71], 0, v72
	v_cndmask_b32_e64 v54, v54, v18, s[66:67]
	ds_bpermute_b32 v54, v87, v54
	v_cndmask_b32_e64 v15, v15, v55, s[94:95]
	v_cndmask_b32_e64 v14, v14, v55, s[92:93]
	;; [unrolled: 1-line block ×4, first 2 shown]
	s_waitcnt lgkmcnt(0)
	v_cndmask_b32_e64 v18, v18, v54, s[66:67]
	v_cndmask_b32_e64 v19, v19, v54, s[62:63]
	;; [unrolled: 1-line block ×5, first 2 shown]
	v_cndmask_b32_e32 v23, v23, v54, vcc
	v_cndmask_b32_e64 v24, v24, v54, s[6:7]
	v_cndmask_b32_e64 v25, v25, v54, s[8:9]
	;; [unrolled: 1-line block ×28, first 2 shown]
	v_cmp_eq_u32_e64 s[50:51], 1, v73
	v_cndmask_b32_e64 v0, v0, v54, s[24:25]
	v_cmp_eq_u32_e64 s[54:55], 2, v73
	v_cndmask_b32_e64 v10, v16, v17, s[50:51]
	v_cndmask_b32_e64 v0, v0, v57, s[40:41]
	v_cndmask_b32_e64 v9, v10, v31, s[54:55]
	v_cmp_eq_u32_e64 s[56:57], 3, v73
	v_cndmask_b32_e64 v0, v0, v12, s[58:59]
	v_cmp_eq_u32_e64 s[60:61], 4, v73
	v_cndmask_b32_e64 v8, v9, v30, s[56:57]
	v_cndmask_b32_e64 v0, v0, v13, s[82:83]
	v_cndmask_b32_e64 v7, v8, v29, s[60:61]
	;; [unrolled: 6-line block ×3, first 2 shown]
	v_cmp_eq_u32_e64 s[72:73], 7, v73
	ds_bpermute_b32 v94, v87, v0
	v_cmp_eq_u32_e64 s[76:77], 8, v73
	v_cndmask_b32_e64 v4, v5, v26, s[72:73]
	v_cmp_eq_u32_e64 s[78:79], 9, v73
	v_cndmask_b32_e64 v3, v4, v25, s[76:77]
	;; [unrolled: 2-line block ×4, first 2 shown]
	s_waitcnt lgkmcnt(0)
	v_cndmask_b32_e64 v95, v15, v94, s[90:91]
	v_cndmask_b32_e64 v0, v0, v22, s[74:75]
	v_cmp_eq_u32_e64 s[90:91], 12, v73
	v_cndmask_b32_e64 v96, v14, v94, s[84:85]
	v_cmp_eq_u32_e64 s[84:85], 13, v73
	v_cndmask_b32_e64 v0, v0, v21, s[90:91]
	v_cndmask_b32_e64 v97, v13, v94, s[82:83]
	;; [unrolled: 1-line block ×3, first 2 shown]
	v_cmp_eq_u32_e64 s[82:83], 14, v73
	v_cndmask_b32_e64 v98, v12, v94, s[58:59]
	v_cmp_eq_u32_e64 s[58:59], 15, v73
	v_cndmask_b32_e64 v0, v0, v19, s[82:83]
	v_readlane_b32 s2, v99, 35
	v_cndmask_b32_e64 v0, v0, v18, s[58:59]
	ds_bpermute_b32 v1, v87, v0
	v_readlane_b32 s3, v99, 36
	s_waitcnt lgkmcnt(0)
	v_cndmask_b32_e64 v11, v27, v1, s[68:69]
	v_cndmask_b32_e64 v12, v28, v1, s[64:65]
	;; [unrolled: 1-line block ×4, first 2 shown]
	s_mov_b64 s[2:3], s[52:53]
	v_cndmask_b32_e64 v10, v26, v1, s[72:73]
	v_cndmask_b32_e64 v13, v29, v1, s[60:61]
	;; [unrolled: 1-line block ×25, first 2 shown]
	v_cmp_eq_u32_e64 s[40:41], 0, v73
	v_cndmask_b32_e64 v19, v58, v94, s[26:27]
	v_cndmask_b32_e64 v29, v29, v20, s[8:9]
	;; [unrolled: 1-line block ×8, first 2 shown]
	v_cndmask_b32_e32 v29, v29, v16, vcc
	v_cndmask_b32_e64 v29, v29, v17, s[80:81]
	v_cndmask_b32_e64 v29, v29, v98, s[86:87]
	;; [unrolled: 1-line block ×5, first 2 shown]
	ds_bpermute_b32 v29, v87, v29
	v_cmp_eq_u32_e64 s[24:25], 1, v74
	v_cmp_eq_u32_e64 s[26:27], 2, v74
	;; [unrolled: 1-line block ×3, first 2 shown]
	v_cndmask_b32_e64 v18, v1, v0, s[24:25]
	s_waitcnt lgkmcnt(0)
	v_cndmask_b32_e64 v92, v27, v29, s[2:3]
	v_cndmask_b32_e64 v93, v28, v29, s[70:71]
	;; [unrolled: 1-line block ×18, first 2 shown]
	v_cndmask_b32_e32 v16, v16, v29, vcc
	v_cndmask_b32_e64 v19, v19, v57, s[78:79]
	v_cndmask_b32_e64 v17, v17, v29, s[80:81]
	;; [unrolled: 1-line block ×12, first 2 shown]
	ds_bpermute_b32 v94, v87, v19
	v_cndmask_b32_e64 v18, v18, v15, s[26:27]
	v_cndmask_b32_e64 v18, v18, v14, s[28:29]
	v_cmp_eq_u32_e64 s[30:31], 4, v74
	v_cmp_eq_u32_e64 s[34:35], 5, v74
	s_waitcnt lgkmcnt(0)
	v_cndmask_b32_e64 v23, v17, v94, s[74:75]
	v_cndmask_b32_e64 v24, v16, v94, s[48:49]
	;; [unrolled: 1-line block ×18, first 2 shown]
	v_cmp_eq_u32_e64 s[36:37], 6, v74
	v_cndmask_b32_e64 v28, v60, v94, s[68:69]
	v_cndmask_b32_e64 v55, v55, v29, s[34:35]
	v_cndmask_b32_e64 v18, v18, v11, s[36:37]
	v_cmp_eq_u32_e64 s[38:39], 7, v74
	v_cndmask_b32_e64 v27, v59, v94, s[72:73]
	v_cndmask_b32_e64 v55, v55, v28, s[36:37]
	v_cndmask_b32_e64 v18, v18, v10, s[38:39]
	;; [unrolled: 4-line block ×4, first 2 shown]
	v_cmp_eq_u32_e64 s[46:47], 10, v74
	v_cndmask_b32_e64 v55, v55, v25, s[44:45]
	v_cmp_eq_u32_e64 s[52:53], 11, v74
	v_cndmask_b32_e64 v18, v18, v7, s[46:47]
	v_cndmask_b32_e64 v55, v55, v24, s[46:47]
	;; [unrolled: 1-line block ×3, first 2 shown]
	v_cmp_eq_u32_e64 s[66:67], 12, v74
	v_cndmask_b32_e64 v55, v55, v23, s[52:53]
	v_cmp_eq_u32_e64 s[62:63], 13, v74
	v_cndmask_b32_e64 v18, v18, v5, s[66:67]
	v_cndmask_b32_e64 v55, v55, v22, s[66:67]
	;; [unrolled: 1-line block ×3, first 2 shown]
	v_cmp_eq_u32_e32 vcc, 14, v74
	v_cndmask_b32_e64 v55, v55, v21, s[62:63]
	v_cmp_eq_u32_e64 s[6:7], 15, v74
	v_cndmask_b32_e32 v18, v18, v3, vcc
	v_cndmask_b32_e32 v55, v55, v20, vcc
	v_cndmask_b32_e64 v18, v18, v2, s[6:7]
	v_cndmask_b32_e64 v55, v55, v19, s[6:7]
	ds_bpermute_b32 v18, v87, v18
	ds_bpermute_b32 v58, v87, v55
	v_readlane_b32 s53, v99, 32
	s_nop 1
	v_cmp_lt_i32_e32 vcc, s53, v76
	s_and_saveexec_b64 s[40:41], vcc
	v_readlane_b32 s44, v99, 2
	v_readlane_b32 s45, v99, 3
	;; [unrolled: 1-line block ×11, first 2 shown]
	s_cbranch_execz .LBB267_32
; %bb.24:                               ;   in Loop: Header=BB267_7 Depth=1
	s_mul_i32 s0, s52, s17
	s_ashr_i32 s1, s0, 31
	s_lshl_b64 s[0:1], s[0:1], 1
	s_add_u32 s2, s48, s0
	v_cmp_eq_u32_e64 s[34:35], 1, v74
	v_cmp_eq_u32_e64 s[36:37], 0, v74
	s_addc_u32 s3, s49, s1
	s_ashr_i32 s55, s54, 31
	s_waitcnt lgkmcnt(1)
	v_cndmask_b32_e64 v55, v0, v18, s[34:35]
	v_cndmask_b32_e64 v57, v1, v18, s[36:37]
	s_lshl_b64 s[0:1], s[54:55], 1
	s_waitcnt lgkmcnt(0)
	v_cndmask_b32_e64 v59, v16, v58, s[34:35]
	v_cndmask_b32_e64 v60, v17, v58, s[36:37]
	v_cvt_f16_f32_e32 v57, v57
	v_cvt_f16_f32_sdwa v55, v55 dst_sel:WORD_1 dst_unused:UNUSED_PAD src0_sel:DWORD
	s_add_u32 s42, s2, s0
	v_cvt_f16_f32_e32 v60, v60
	v_cvt_f16_f32_sdwa v59, v59 dst_sel:WORD_1 dst_unused:UNUSED_PAD src0_sel:DWORD
	s_addc_u32 s43, s3, s1
	v_lshl_add_u64 v[0:1], s[42:43], 0, v[32:33]
	v_cmp_eq_u32_e32 vcc, 15, v74
	v_cmp_eq_u32_e64 s[6:7], 14, v74
	v_cmp_eq_u32_e64 s[8:9], 13, v74
	;; [unrolled: 1-line block ×13, first 2 shown]
	v_lshl_add_u64 v[16:17], v[34:35], 1, v[0:1]
	v_or_b32_e32 v55, v55, v57
	v_cmp_lt_i32_e64 s[34:35], s53, v77
	;;#ASMSTART
	global_atomic_pk_add_f16 v[16:17], v55, off
	
	;;#ASMEND
	v_lshl_add_u64 v[16:17], v[16:17], 0, 64
	v_or_b32_e32 v55, v59, v60
	;;#ASMSTART
	global_atomic_pk_add_f16 v[16:17], v55, off
	
	;;#ASMEND
	s_and_b64 exec, exec, s[34:35]
	s_cbranch_execz .LBB267_32
; %bb.25:                               ;   in Loop: Header=BB267_7 Depth=1
	v_cndmask_b32_e32 v2, v2, v18, vcc
	v_cndmask_b32_e64 v3, v3, v18, s[6:7]
	v_cndmask_b32_e64 v16, v4, v18, s[8:9]
	;; [unrolled: 1-line block ×19, first 2 shown]
	v_cvt_f16_f32_e32 v22, v18
	v_cvt_f16_f32_sdwa v23, v92 dst_sel:WORD_1 dst_unused:UNUSED_PAD src0_sel:DWORD
	v_cvt_f16_f32_e32 v21, v21
	v_cvt_f16_f32_sdwa v20, v20 dst_sel:WORD_1 dst_unused:UNUSED_PAD src0_sel:DWORD
	v_cndmask_b32_e32 v4, v19, v58, vcc
	v_cndmask_b32_e64 v9, v24, v58, s[14:15]
	v_cndmask_b32_e64 v10, v25, v58, s[0:1]
	;; [unrolled: 1-line block ×7, first 2 shown]
	v_lshl_add_u64 v[18:19], v[36:37], 1, v[0:1]
	v_cmp_lt_i32_e32 vcc, s53, v78
	v_or_b32_e32 v22, v23, v22
	;;#ASMSTART
	global_atomic_pk_add_f16 v[18:19], v22, off
	
	;;#ASMEND
	v_lshl_add_u64 v[18:19], v[18:19], 0, 64
	v_or_b32_e32 v20, v20, v21
	;;#ASMSTART
	global_atomic_pk_add_f16 v[18:19], v20, off
	
	;;#ASMEND
	s_and_b64 exec, exec, vcc
	s_cbranch_execz .LBB267_32
; %bb.26:                               ;   in Loop: Header=BB267_7 Depth=1
	v_cvt_f16_f32_e32 v20, v91
	v_cvt_f16_f32_sdwa v21, v90 dst_sel:WORD_1 dst_unused:UNUSED_PAD src0_sel:DWORD
	v_cvt_f16_f32_e32 v22, v15
	v_cvt_f16_f32_sdwa v23, v14 dst_sel:WORD_1 dst_unused:UNUSED_PAD src0_sel:DWORD
	v_lshl_add_u64 v[18:19], v[38:39], 1, v[0:1]
	v_or_b32_e32 v14, v21, v20
	v_cmp_lt_i32_e32 vcc, s53, v79
	;;#ASMSTART
	global_atomic_pk_add_f16 v[18:19], v14, off
	
	;;#ASMEND
	v_lshl_add_u64 v[14:15], v[18:19], 0, 64
	v_or_b32_e32 v18, v23, v22
	;;#ASMSTART
	global_atomic_pk_add_f16 v[14:15], v18, off
	
	;;#ASMEND
	s_and_b64 exec, exec, vcc
	s_cbranch_execz .LBB267_32
; %bb.27:                               ;   in Loop: Header=BB267_7 Depth=1
	v_cvt_f16_f32_e32 v18, v89
	v_cvt_f16_f32_sdwa v19, v61 dst_sel:WORD_1 dst_unused:UNUSED_PAD src0_sel:DWORD
	v_cvt_f16_f32_e32 v20, v13
	v_cvt_f16_f32_sdwa v21, v12 dst_sel:WORD_1 dst_unused:UNUSED_PAD src0_sel:DWORD
	v_lshl_add_u64 v[14:15], v[40:41], 1, v[0:1]
	v_or_b32_e32 v12, v19, v18
	v_cmp_lt_i32_e32 vcc, s53, v80
	;; [unrolled: 20-line block ×5, first 2 shown]
	;;#ASMSTART
	global_atomic_pk_add_f16 v[8:9], v6, off
	
	;;#ASMEND
	v_lshl_add_u64 v[6:7], v[8:9], 0, 64
	v_or_b32_e32 v8, v13, v12
	;;#ASMSTART
	global_atomic_pk_add_f16 v[6:7], v8, off
	
	;;#ASMEND
	s_and_b64 exec, exec, vcc
	s_cbranch_execz .LBB267_32
; %bb.31:                               ;   in Loop: Header=BB267_7 Depth=1
	v_cvt_f16_f32_e32 v3, v3
	v_cvt_f16_f32_sdwa v2, v2 dst_sel:WORD_1 dst_unused:UNUSED_PAD src0_sel:DWORD
	v_cvt_f16_f32_e32 v5, v5
	v_cvt_f16_f32_sdwa v4, v4 dst_sel:WORD_1 dst_unused:UNUSED_PAD src0_sel:DWORD
	v_lshl_add_u64 v[0:1], v[48:49], 1, v[0:1]
	v_or_b32_e32 v2, v2, v3
	;;#ASMSTART
	global_atomic_pk_add_f16 v[0:1], v2, off
	
	;;#ASMEND
	v_lshl_add_u64 v[0:1], v[0:1], 0, 64
	v_or_b32_e32 v2, v4, v5
	;;#ASMSTART
	global_atomic_pk_add_f16 v[0:1], v2, off
	
	;;#ASMEND
.LBB267_32:                             ;   in Loop: Header=BB267_7 Depth=1
	s_or_b64 exec, exec, s[40:41]
	v_readlane_b32 s14, v99, 10
	v_readlane_b32 s24, v99, 12
	;; [unrolled: 1-line block ×6, first 2 shown]
	v_subrev_u32_e32 v88, s98, v88
	v_readlane_b32 s11, v99, 0
	v_readlane_b32 s12, v99, 1
	;; [unrolled: 1-line block ×17, first 2 shown]
.LBB267_33:                             ;   in Loop: Header=BB267_7 Depth=1
	s_or_b64 exec, exec, s[2:3]
.LBB267_34:                             ;   in Loop: Header=BB267_7 Depth=1
	s_andn2_saveexec_b64 s[0:1], s[4:5]
	s_cbranch_execz .LBB267_43
; %bb.35:                               ;   in Loop: Header=BB267_7 Depth=1
	s_lshl_b32 s10, s98, 1
	v_cmp_gt_i32_e32 vcc, s10, v88
	s_and_saveexec_b64 s[2:3], vcc
	s_cbranch_execz .LBB267_42
; %bb.36:                               ;   in Loop: Header=BB267_7 Depth=1
	s_mul_i32 s4, s54, s19
	s_ashr_i32 s5, s4, 31
	s_add_u32 s4, s46, s4
	s_addc_u32 s5, s47, s5
	s_ashr_i32 s6, s37, 31
	s_add_u32 s4, s4, s37
	s_addc_u32 s5, s5, s6
	v_lshl_add_u64 v[0:1], s[4:5], 0, v[52:53]
	v_lshl_add_u64 v[8:9], v[0:1], 0, v[50:51]
	s_mov_b64 s[4:5], 0
	s_branch .LBB267_38
.LBB267_37:                             ;   in Loop: Header=BB267_38 Depth=2
	s_or_b64 exec, exec, s[6:7]
	v_lshl_add_u32 v12, v10, 11, v84
	;;#ASMSTART
	s_waitcnt vmcnt(1)
	;;#ASMEND
	ds_write2_b32 v12, v4, v5 offset1:32
	ds_write2_b32 v12, v6, v7 offset0:64 offset1:96
	v_add_u32_e32 v4, 0x400, v12
	v_add_u32_e32 v88, s22, v88
	;;#ASMSTART
	s_waitcnt vmcnt(0)
	;;#ASMEND
	ds_write2_b32 v4, v0, v1 offset1:32
	ds_write2_b32 v4, v2, v3 offset0:64 offset1:96
	v_add_u32_e32 v0, 1, v63
	v_add_u32_e32 v56, s22, v10
	v_cmp_le_i32_e32 vcc, s10, v88
	ds_write_b32 v11, v0 offset:48
	v_add_u32_e32 v0, 2, v63
	s_or_b64 s[4:5], vcc, s[4:5]
	v_cmp_lt_i32_e32 vcc, 7, v56
	s_nop 1
	v_cndmask_b32_e32 v63, v63, v0, vcc
	s_andn2_b64 exec, exec, s[4:5]
	s_cbranch_execz .LBB267_41
.LBB267_38:                             ;   Parent Loop BB267_7 Depth=1
                                        ; =>  This Loop Header: Depth=2
                                        ;       Child Loop BB267_40 Depth 3
	v_cmp_gt_i32_e32 vcc, 8, v56
	s_nop 1
	v_cndmask_b32_e64 v0, -8, 0, vcc
	v_add_u32_e32 v10, v0, v56
	v_lshrrev_b32_e32 v0, 31, v88
	v_add_u32_e32 v0, v88, v0
	v_and_b32_e32 v1, -2, v0
	v_lshlrev_b32_e32 v0, 5, v0
	v_sub_u32_e32 v2, v88, v1
	v_and_b32_e32 v0, 0xffffffc0, v0
	v_ashrrev_i32_e32 v1, 31, v0
	v_mul_lo_u32 v2, s30, v2
	v_lshl_add_u64 v[0:1], v[8:9], 0, v[0:1]
	v_ashrrev_i32_e32 v3, 31, v2
	v_lshl_add_u64 v[0:1], v[0:1], 0, v[2:3]
	v_lshlrev_b32_e32 v11, 2, v10
	;;#ASMSTART
	global_load_dwordx4 v[4:7], v[0:1], off offset:0   sc0 sc1 nt  
	global_load_dwordx4 v[0:3], v[0:1], off offset:32  sc0 sc1 nt  
	
	;;#ASMEND
	ds_read_b32 v12, v11 offset:41008
	v_add_u32_e32 v11, 0xa000, v11
	s_waitcnt lgkmcnt(0)
	v_cmp_ne_u32_e32 vcc, v12, v63
	s_and_saveexec_b64 s[6:7], vcc
	s_cbranch_execz .LBB267_37
; %bb.39:                               ;   in Loop: Header=BB267_38 Depth=2
	s_mov_b64 s[8:9], 0
.LBB267_40:                             ;   Parent Loop BB267_7 Depth=1
                                        ;     Parent Loop BB267_38 Depth=2
                                        ; =>    This Inner Loop Header: Depth=3
	;;#ASMSTART
	s_sleep 0
	;;#ASMEND
	ds_read_b32 v12, v11 offset:48
	s_waitcnt lgkmcnt(0)
	v_cmp_eq_u32_e32 vcc, v12, v63
	s_or_b64 s[8:9], vcc, s[8:9]
	s_andn2_b64 exec, exec, s[8:9]
	s_cbranch_execnz .LBB267_40
	s_branch .LBB267_37
.LBB267_41:                             ;   in Loop: Header=BB267_7 Depth=1
	s_or_b64 exec, exec, s[4:5]
.LBB267_42:                             ;   in Loop: Header=BB267_7 Depth=1
	s_or_b64 exec, exec, s[2:3]
	v_subrev_u32_e32 v88, s10, v88
.LBB267_43:                             ;   in Loop: Header=BB267_7 Depth=1
	s_or_b64 exec, exec, s[0:1]
.LBB267_44:                             ;   in Loop: Header=BB267_7 Depth=1
	s_andn2_saveexec_b64 s[0:1], s[38:39]
	s_cbranch_execz .LBB267_6
; %bb.45:                               ;   in Loop: Header=BB267_7 Depth=1
	s_mul_i32 s98, s98, 3
	v_cmp_gt_i32_e32 vcc, s98, v88
	s_and_saveexec_b64 s[2:3], vcc
	s_cbranch_execz .LBB267_5
; %bb.46:                               ;   in Loop: Header=BB267_7 Depth=1
	s_mul_i32 s4, s52, s18
	s_max_i32 s6, s53, 0
	s_ashr_i32 s5, s4, 31
	s_add_u32 s4, s44, s4
	v_add_u32_e32 v2, s6, v64
	s_movk_i32 s6, 0x60
	s_addc_u32 s5, s45, s5
	s_ashr_i32 s7, s37, 31
	v_cmp_gt_u32_e32 vcc, s6, v2
	s_add_u32 s4, s4, s37
	s_addc_u32 s5, s5, s7
	v_cndmask_b32_e32 v0, 0, v85, vcc
	v_ashrrev_i32_e32 v1, 31, v0
	v_lshl_add_u64 v[0:1], s[4:5], 0, v[0:1]
	v_lshl_add_u64 v[8:9], v[0:1], 0, v[50:51]
	v_sub_u32_e32 v10, 0x5f, v2
	s_mov_b64 s[4:5], 0
	s_branch .LBB267_48
.LBB267_47:                             ;   in Loop: Header=BB267_48 Depth=2
	s_or_b64 exec, exec, s[6:7]
	v_lshl_or_b32 v13, v11, 11, v86
	;;#ASMSTART
	s_waitcnt vmcnt(1)
	;;#ASMEND
	ds_write2_b32 v13, v4, v5 offset1:32
	ds_write2_b32 v13, v6, v7 offset0:64 offset1:96
	v_add_u32_e32 v4, 0x400, v13
	v_add_u32_e32 v88, s21, v88
	;;#ASMSTART
	s_waitcnt vmcnt(0)
	;;#ASMEND
	ds_write2_b32 v4, v0, v1 offset1:32
	ds_write2_b32 v4, v2, v3 offset0:64 offset1:96
	v_add_u32_e32 v0, 1, v63
	v_add_u32_e32 v56, s21, v11
	v_cmp_le_i32_e32 vcc, s98, v88
	ds_write_b32 v12, v0
	v_add_u32_e32 v0, 2, v63
	s_or_b64 s[4:5], vcc, s[4:5]
	v_cmp_lt_i32_e32 vcc, 11, v56
	s_nop 1
	v_cndmask_b32_e32 v63, v63, v0, vcc
	s_andn2_b64 exec, exec, s[4:5]
	s_cbranch_execz .LBB267_4
.LBB267_48:                             ;   Parent Loop BB267_7 Depth=1
                                        ; =>  This Loop Header: Depth=2
                                        ;       Child Loop BB267_50 Depth 3
	v_cmp_gt_i32_e32 vcc, 12, v56
	s_mov_b32 s6, 0x55555556
	s_nop 0
	v_cndmask_b32_e64 v0, -12, 0, vcc
	v_add_u32_e32 v11, v0, v56
	v_mul_hi_i32 v0, v88, s6
	v_lshrrev_b32_e32 v1, 31, v0
	v_add_u32_e32 v0, v0, v1
	v_lshl_add_u32 v1, v0, 1, v0
	v_sub_u32_e32 v1, v88, v1
	v_lshlrev_b32_e32 v1, 5, v1
	v_cmp_le_i32_e32 vcc, v1, v10
	v_lshlrev_b32_e32 v0, 6, v0
	v_lshlrev_b32_e32 v12, 2, v11
	v_cndmask_b32_e32 v2, 0, v1, vcc
	v_ashrrev_i32_e32 v1, 31, v0
	v_mul_lo_u32 v2, v2, s18
	v_lshl_add_u64 v[0:1], v[8:9], 0, v[0:1]
	v_ashrrev_i32_e32 v3, 31, v2
	v_lshl_add_u64 v[0:1], v[0:1], 0, v[2:3]
	;;#ASMSTART
	global_load_dwordx4 v[4:7], v[0:1], off offset:0   
	global_load_dwordx4 v[0:3], v[0:1], off offset:32  
	
	;;#ASMEND
	ds_read_b32 v13, v12 offset:40960
	v_add_u32_e32 v12, 0xa000, v12
	s_waitcnt lgkmcnt(0)
	v_cmp_ne_u32_e32 vcc, v13, v63
	s_and_saveexec_b64 s[6:7], vcc
	s_cbranch_execz .LBB267_47
; %bb.49:                               ;   in Loop: Header=BB267_48 Depth=2
	s_mov_b64 s[8:9], 0
.LBB267_50:                             ;   Parent Loop BB267_7 Depth=1
                                        ;     Parent Loop BB267_48 Depth=2
                                        ; =>    This Inner Loop Header: Depth=3
	;;#ASMSTART
	s_sleep 0
	;;#ASMEND
	ds_read_b32 v13, v12
	s_waitcnt lgkmcnt(0)
	v_cmp_eq_u32_e32 vcc, v13, v63
	s_or_b64 s[8:9], vcc, s[8:9]
	s_andn2_b64 exec, exec, s[8:9]
	s_cbranch_execnz .LBB267_50
	s_branch .LBB267_47
.LBB267_51:
	s_endpgm
	.section	.rodata,"a",@progbits
	.p2align	6, 0x0
	.amdhsa_kernel _Z19_skinny_gemm_kernelILi3ELi2ELi4ELi32ELi4EEvPKhS1_P6__halfPKfiiiiiiii
		.amdhsa_group_segment_fixed_size 41040
		.amdhsa_private_segment_fixed_size 0
		.amdhsa_kernarg_size 64
		.amdhsa_user_sgpr_count 2
		.amdhsa_user_sgpr_dispatch_ptr 0
		.amdhsa_user_sgpr_queue_ptr 0
		.amdhsa_user_sgpr_kernarg_segment_ptr 1
		.amdhsa_user_sgpr_dispatch_id 0
		.amdhsa_user_sgpr_kernarg_preload_length 0
		.amdhsa_user_sgpr_kernarg_preload_offset 0
		.amdhsa_user_sgpr_private_segment_size 0
		.amdhsa_uses_dynamic_stack 0
		.amdhsa_enable_private_segment 0
		.amdhsa_system_sgpr_workgroup_id_x 1
		.amdhsa_system_sgpr_workgroup_id_y 0
		.amdhsa_system_sgpr_workgroup_id_z 0
		.amdhsa_system_sgpr_workgroup_info 0
		.amdhsa_system_vgpr_workitem_id 0
		.amdhsa_next_free_vgpr 100
		.amdhsa_next_free_sgpr 100
		.amdhsa_accum_offset 100
		.amdhsa_reserve_vcc 1
		.amdhsa_float_round_mode_32 0
		.amdhsa_float_round_mode_16_64 0
		.amdhsa_float_denorm_mode_32 3
		.amdhsa_float_denorm_mode_16_64 3
		.amdhsa_dx10_clamp 1
		.amdhsa_ieee_mode 1
		.amdhsa_fp16_overflow 0
		.amdhsa_tg_split 0
		.amdhsa_exception_fp_ieee_invalid_op 0
		.amdhsa_exception_fp_denorm_src 0
		.amdhsa_exception_fp_ieee_div_zero 0
		.amdhsa_exception_fp_ieee_overflow 0
		.amdhsa_exception_fp_ieee_underflow 0
		.amdhsa_exception_fp_ieee_inexact 0
		.amdhsa_exception_int_div_zero 0
	.end_amdhsa_kernel
	.section	.text._Z19_skinny_gemm_kernelILi3ELi2ELi4ELi32ELi4EEvPKhS1_P6__halfPKfiiiiiiii,"axG",@progbits,_Z19_skinny_gemm_kernelILi3ELi2ELi4ELi32ELi4EEvPKhS1_P6__halfPKfiiiiiiii,comdat
.Lfunc_end267:
	.size	_Z19_skinny_gemm_kernelILi3ELi2ELi4ELi32ELi4EEvPKhS1_P6__halfPKfiiiiiiii, .Lfunc_end267-_Z19_skinny_gemm_kernelILi3ELi2ELi4ELi32ELi4EEvPKhS1_P6__halfPKfiiiiiiii
                                        ; -- End function
	.set _Z19_skinny_gemm_kernelILi3ELi2ELi4ELi32ELi4EEvPKhS1_P6__halfPKfiiiiiiii.num_vgpr, 100
	.set _Z19_skinny_gemm_kernelILi3ELi2ELi4ELi32ELi4EEvPKhS1_P6__halfPKfiiiiiiii.num_agpr, 0
	.set _Z19_skinny_gemm_kernelILi3ELi2ELi4ELi32ELi4EEvPKhS1_P6__halfPKfiiiiiiii.numbered_sgpr, 100
	.set _Z19_skinny_gemm_kernelILi3ELi2ELi4ELi32ELi4EEvPKhS1_P6__halfPKfiiiiiiii.num_named_barrier, 0
	.set _Z19_skinny_gemm_kernelILi3ELi2ELi4ELi32ELi4EEvPKhS1_P6__halfPKfiiiiiiii.private_seg_size, 0
	.set _Z19_skinny_gemm_kernelILi3ELi2ELi4ELi32ELi4EEvPKhS1_P6__halfPKfiiiiiiii.uses_vcc, 1
	.set _Z19_skinny_gemm_kernelILi3ELi2ELi4ELi32ELi4EEvPKhS1_P6__halfPKfiiiiiiii.uses_flat_scratch, 0
	.set _Z19_skinny_gemm_kernelILi3ELi2ELi4ELi32ELi4EEvPKhS1_P6__halfPKfiiiiiiii.has_dyn_sized_stack, 0
	.set _Z19_skinny_gemm_kernelILi3ELi2ELi4ELi32ELi4EEvPKhS1_P6__halfPKfiiiiiiii.has_recursion, 0
	.set _Z19_skinny_gemm_kernelILi3ELi2ELi4ELi32ELi4EEvPKhS1_P6__halfPKfiiiiiiii.has_indirect_call, 0
	.section	.AMDGPU.csdata,"",@progbits
; Kernel info:
; codeLenInByte = 9680
; TotalNumSgprs: 106
; NumVgprs: 100
; NumAgprs: 0
; TotalNumVgprs: 100
; ScratchSize: 0
; MemoryBound: 0
; FloatMode: 240
; IeeeMode: 1
; LDSByteSize: 41040 bytes/workgroup (compile time only)
; SGPRBlocks: 13
; VGPRBlocks: 12
; NumSGPRsForWavesPerEU: 106
; NumVGPRsForWavesPerEU: 100
; AccumOffset: 100
; Occupancy: 4
; WaveLimiterHint : 0
; COMPUTE_PGM_RSRC2:SCRATCH_EN: 0
; COMPUTE_PGM_RSRC2:USER_SGPR: 2
; COMPUTE_PGM_RSRC2:TRAP_HANDLER: 0
; COMPUTE_PGM_RSRC2:TGID_X_EN: 1
; COMPUTE_PGM_RSRC2:TGID_Y_EN: 0
; COMPUTE_PGM_RSRC2:TGID_Z_EN: 0
; COMPUTE_PGM_RSRC2:TIDIG_COMP_CNT: 0
; COMPUTE_PGM_RSRC3_GFX90A:ACCUM_OFFSET: 24
; COMPUTE_PGM_RSRC3_GFX90A:TG_SPLIT: 0
	.section	.text._Z19_skinny_gemm_kernelILi3ELi2ELi5ELi16ELi4EEvPKhS1_P6__halfPKfiiiiiiii,"axG",@progbits,_Z19_skinny_gemm_kernelILi3ELi2ELi5ELi16ELi4EEvPKhS1_P6__halfPKfiiiiiiii,comdat
	.protected	_Z19_skinny_gemm_kernelILi3ELi2ELi5ELi16ELi4EEvPKhS1_P6__halfPKfiiiiiiii ; -- Begin function _Z19_skinny_gemm_kernelILi3ELi2ELi5ELi16ELi4EEvPKhS1_P6__halfPKfiiiiiiii
	.globl	_Z19_skinny_gemm_kernelILi3ELi2ELi5ELi16ELi4EEvPKhS1_P6__halfPKfiiiiiiii
	.p2align	8
	.type	_Z19_skinny_gemm_kernelILi3ELi2ELi5ELi16ELi4EEvPKhS1_P6__halfPKfiiiiiiii,@function
_Z19_skinny_gemm_kernelILi3ELi2ELi5ELi16ELi4EEvPKhS1_P6__halfPKfiiiiiiii: ; @_Z19_skinny_gemm_kernelILi3ELi2ELi5ELi16ELi4EEvPKhS1_P6__halfPKfiiiiiiii
; %bb.0:
	v_cmp_gt_u32_e32 vcc, 25, v0
	v_lshlrev_b32_e32 v1, 2, v0
	s_and_saveexec_b64 s[4:5], vcc
; %bb.1:
	v_mov_b32_e32 v2, 0
	ds_write_b32 v1, v2 offset:51200
; %bb.2:
	s_or_b64 exec, exec, s[4:5]
	s_load_dwordx8 s[16:23], s[0:1], 0x20
	s_waitcnt lgkmcnt(0)
	s_barrier
	s_add_i32 s3, s16, 47
	s_add_i32 s4, s17, 31
	s_mul_hi_i32 s3, s3, 0x2aaaaaab
	s_lshr_b32 s5, s3, 31
	s_ashr_i32 s33, s3, 3
	s_ashr_i32 s3, s4, 31
	s_lshr_b32 s3, s3, 27
	s_add_i32 s4, s4, s3
	s_add_i32 s33, s33, s5
	s_ashr_i32 s48, s4, 5
	s_mul_i32 s3, s48, s33
	s_mul_i32 s3, s3, s20
	s_add_i32 s4, s3, 0x12f
	s_mul_hi_i32 s4, s4, 0x6bca1af3
	s_lshr_b32 s5, s4, 31
	s_ashr_i32 s4, s4, 7
	s_add_i32 s4, s4, s5
	s_add_i32 s5, s2, 1
	s_mul_i32 s5, s4, s5
	v_cvt_f64_i32_e32 v[2:3], s3
	v_cvt_f64_u32_e32 v[4:5], s5
	v_min_f64 v[2:3], v[2:3], v[4:5]
	v_cvt_i32_f64_e32 v25, v[2:3]
	s_mul_i32 s49, s4, s2
	v_cmp_ge_i32_e32 vcc, s49, v25
	s_cbranch_vccnz .LBB268_55
; %bb.3:
	v_lshrrev_b32_e32 v2, 6, v0
	s_add_i32 s4, s22, s21
	s_load_dwordx8 s[24:31], s[0:1], 0x0
	v_cmp_le_i32_e64 s[0:1], s4, v2
	v_mov_b32_e32 v3, s21
	v_cmp_le_i32_e64 s[2:3], s21, v2
	v_mov_b32_e32 v4, s22
	v_cndmask_b32_e64 v4, 0, v4, s[0:1]
	v_cndmask_b32_e64 v3, 0, v3, s[2:3]
	s_abs_i32 s5, s20
	v_add_u32_e32 v3, v3, v4
	v_cvt_f32_u32_e32 v4, s5
	v_sub_u32_e32 v40, v2, v3
	s_ashr_i32 s6, s18, 31
	s_lshr_b32 s6, s6, 25
	v_rcp_iflag_f32_e32 v3, v4
	s_sub_i32 s9, 0, s5
	s_add_i32 s6, s18, s6
	s_ashr_i32 s6, s6, 7
	v_mul_f32_e32 v3, 0x4f7ffffe, v3
	v_cvt_u32_f32_e32 v3, v3
	s_abs_i32 s8, s6
	s_xor_b32 s7, s6, s20
	s_ashr_i32 s7, s7, 31
	v_readfirstlane_b32 s10, v3
	s_mul_i32 s9, s9, s10
	s_mul_hi_u32 s9, s10, s9
	s_add_i32 s10, s10, s9
	s_mul_hi_u32 s9, s8, s10
	s_mul_i32 s10, s9, s5
	s_sub_i32 s8, s8, s10
	s_add_i32 s10, s9, 1
	s_sub_i32 s11, s8, s5
	s_cmp_ge_u32 s8, s5
	s_cselect_b32 s9, s10, s9
	s_cselect_b32 s8, s11, s8
	s_add_i32 s10, s9, 1
	s_cmp_ge_u32 s8, s5
	s_cselect_b32 s5, s10, s9
	s_xor_b32 s5, s5, s7
	s_sub_i32 s50, s5, s7
	s_add_i32 s20, s20, -1
	s_mul_i32 s5, s50, s20
	s_add_i32 s4, s4, s23
	s_sub_i32 s51, s6, s5
	v_cmp_gt_i32_e64 s[4:5], s4, v2
	v_lshlrev_b32_e32 v2, 1, v0
	v_lshlrev_b32_e32 v3, 4, v0
	v_and_b32_e32 v1, 60, v1
	v_and_b32_e32 v2, 64, v2
	;; [unrolled: 1-line block ×3, first 2 shown]
	v_or3_b32 v67, v1, v2, v4
	v_and_b32_e32 v1, 1, v0
	v_lshrrev_b32_e32 v4, 2, v0
	s_abs_i32 s52, s33
	v_and_or_b32 v72, v4, 12, v1
	v_cvt_f32_u32_e32 v4, s52
	v_lshlrev_b32_e32 v2, 1, v1
	v_and_b32_e32 v24, 14, v0
	v_sub_u32_e32 v2, v0, v2
	v_bitop3_b32 v69, v0, 1, v0 bitop3:0xc
	v_bitop3_b32 v70, v0, 3, 1 bitop3:0x6c
	v_and_b32_e32 v32, 48, v3
	v_bfe_u32 v75, v0, 2, 4
	v_and_b32_e32 v1, 60, v0
	v_lshlrev_b32_e32 v3, 8, v0
	v_lshlrev_b32_e32 v0, 6, v0
	v_and_b32_e32 v3, 0x200, v3
	v_and_b32_e32 v0, 64, v0
	v_or3_b32 v76, v1, v3, v0
	v_rcp_iflag_f32_e32 v0, v4
	s_abs_i32 s54, s48
	v_cvt_f32_u32_e32 v1, s54
	v_mad_u64_u32 v[26:27], s[6:7], s17, v72, v[24:25]
	v_mul_f32_e32 v0, 0x4f7ffffe, v0
	v_cvt_u32_f32_e32 v0, v0
	v_rcp_iflag_f32_e32 v1, v1
	s_lshl_b32 s6, s17, 4
	v_add_u32_e32 v28, s6, v26
	v_readfirstlane_b32 s7, v0
	v_mul_f32_e32 v0, 0x4f7ffffe, v1
	v_cvt_u32_f32_e32 v0, v0
	v_add_u32_e32 v30, s6, v28
	s_sub_i32 s6, 0, s52
	s_mul_i32 s6, s6, s7
	s_mul_hi_u32 s6, s7, s6
	v_add_u32_e32 v2, 1, v2
	s_add_i32 s56, s7, s6
	s_sub_i32 s6, 0, s54
	v_readfirstlane_b32 s7, v0
	v_mbcnt_lo_u32_b32 v0, -1, 0
	v_and_b32_e32 v2, 63, v2
	s_mul_i32 s6, s6, s7
	v_mbcnt_hi_u32_b32 v0, -1, v0
	v_mul_lo_u32 v34, s19, v75
	s_mul_hi_u32 s6, s7, s6
	v_and_or_b32 v0, v0, 64, v2
	v_cndmask_b32_e64 v66, 0, 1, s[0:1]
	v_or_b32_e32 v68, 0x7800, v67
	s_ashr_i32 s35, s17, 31
	s_mov_b32 s34, s17
	v_or_b32_e32 v71, 16, v24
	v_ashrrev_i32_e32 v27, 31, v26
	v_or_b32_e32 v73, 16, v72
	v_ashrrev_i32_e32 v29, 31, v28
	;; [unrolled: 2-line block ×3, first 2 shown]
	v_ashrrev_i32_e32 v35, 31, v34
	v_mov_b32_e32 v33, 0
	v_or_b32_e32 v77, 0x7800, v76
	s_lshl_b32 s53, s19, 4
	v_mul_lo_u32 v78, s18, v75
	s_ashr_i32 s55, s33, 31
	s_ashr_i32 s57, s48, 31
	s_add_i32 s58, s7, s6
	s_movk_i32 s59, 0x1800
	s_mov_b32 s60, 0x55555556
	v_lshlrev_b32_e32 v79, 2, v0
	v_mov_b32_e32 v80, v40
	s_branch .LBB268_7
.LBB268_4:                              ;   in Loop: Header=BB268_7 Depth=1
	s_or_b64 exec, exec, s[10:11]
.LBB268_5:                              ;   in Loop: Header=BB268_7 Depth=1
	s_or_b64 exec, exec, s[8:9]
	v_subrev_u32_e32 v80, s64, v80
.LBB268_6:                              ;   in Loop: Header=BB268_7 Depth=1
	s_or_b64 exec, exec, s[6:7]
	s_add_i32 s49, s49, 1
	v_cmp_ge_i32_e32 vcc, s49, v25
	s_cbranch_vccnz .LBB268_55
.LBB268_7:                              ; =>This Loop Header: Depth=1
                                        ;     Child Loop BB268_13 Depth 2
                                        ;       Child Loop BB268_15 Depth 3
                                        ;       Child Loop BB268_18 Depth 3
	;; [unrolled: 1-line block ×5, first 2 shown]
                                        ;     Child Loop BB268_42 Depth 2
                                        ;       Child Loop BB268_44 Depth 3
                                        ;     Child Loop BB268_52 Depth 2
                                        ;       Child Loop BB268_54 Depth 3
	s_abs_i32 s7, s49
	s_mul_hi_u32 s8, s7, s56
	s_mul_i32 s9, s8, s52
	s_ashr_i32 s6, s49, 31
	s_sub_i32 s7, s7, s9
	s_xor_b32 s6, s6, s55
	s_add_i32 s9, s8, 1
	s_sub_i32 s10, s7, s52
	s_cmp_ge_u32 s7, s52
	s_cselect_b32 s8, s9, s8
	s_cselect_b32 s7, s10, s7
	s_add_i32 s9, s8, 1
	s_cmp_ge_u32 s7, s52
	s_cselect_b32 s7, s9, s8
	s_xor_b32 s7, s7, s6
	s_sub_i32 s6, s7, s6
	s_abs_i32 s8, s6
	s_mul_hi_u32 s9, s8, s58
	s_mul_i32 s7, s6, s33
	s_mul_i32 s10, s9, s54
	s_sub_i32 s61, s49, s7
	s_ashr_i32 s7, s6, 31
	s_sub_i32 s8, s8, s10
	s_xor_b32 s7, s7, s57
	s_add_i32 s10, s9, 1
	s_sub_i32 s11, s8, s54
	s_cmp_ge_u32 s8, s54
	s_cselect_b32 s9, s10, s9
	s_cselect_b32 s8, s11, s8
	s_add_i32 s10, s9, 1
	s_cmp_ge_u32 s8, s54
	s_cselect_b32 s8, s10, s9
	s_xor_b32 s8, s8, s7
	s_sub_i32 s7, s8, s7
	s_mul_i32 s8, s7, s50
	s_lshl_b32 s62, s8, 7
	s_mul_i32 s61, s61, 48
	s_cmp_eq_u32 s7, s20
	s_cselect_b32 s64, s51, s50
	s_sub_i32 s8, s61, s16
	s_add_i32 s8, s8, 48
	s_max_i32 s63, s8, 0
	s_and_saveexec_b64 s[8:9], s[2:3]
	s_xor_b64 s[36:37], exec, s[8:9]
	s_cbranch_execz .LBB268_48
; %bb.8:                                ;   in Loop: Header=BB268_7 Depth=1
	s_mul_i32 s7, s7, s48
	s_sub_i32 s6, s6, s7
	s_lshl_b32 s6, s6, 5
	s_sub_i32 s14, s6, s17
	s_add_i32 s14, s14, 32
	s_max_i32 s7, s14, 0
	s_sub_i32 s38, s6, s7
	s_and_saveexec_b64 s[6:7], s[0:1]
	s_xor_b64 s[40:41], exec, s[6:7]
	s_cbranch_execz .LBB268_38
; %bb.9:                                ;   in Loop: Header=BB268_7 Depth=1
	s_and_saveexec_b64 s[42:43], s[4:5]
	s_cbranch_execz .LBB268_37
; %bb.10:                               ;   in Loop: Header=BB268_7 Depth=1
	s_waitcnt lgkmcnt(0)
	global_load_dword v81, v33, s[30:31]
	v_mov_b32_e32 v23, 0
	v_cmp_gt_i32_e32 vcc, s64, v80
	v_mov_b32_e32 v22, v23
	v_mov_b32_e32 v21, v23
	v_mov_b32_e32 v20, v23
	v_mov_b32_e32 v19, v23
	v_mov_b32_e32 v18, v23
	v_mov_b32_e32 v17, v23
	v_mov_b32_e32 v16, v23
	v_mov_b32_e32 v15, v23
	v_mov_b32_e32 v14, v23
	v_mov_b32_e32 v13, v23
	v_mov_b32_e32 v12, v23
	v_mov_b32_e32 v11, v23
	v_mov_b32_e32 v10, v23
	v_mov_b32_e32 v9, v23
	v_mov_b32_e32 v8, v23
	v_mov_b32_e32 v7, v23
	v_mov_b32_e32 v6, v23
	v_mov_b32_e32 v5, v23
	v_mov_b32_e32 v4, v23
	v_mov_b32_e32 v3, v23
	v_mov_b32_e32 v2, v23
	v_mov_b32_e32 v1, v23
	v_mov_b32_e32 v0, v23
	s_and_saveexec_b64 s[6:7], vcc
	s_cbranch_execz .LBB268_29
; %bb.11:                               ;   in Loop: Header=BB268_7 Depth=1
	v_mov_b32_e32 v0, 0
	s_mov_b64 s[8:9], 0
	v_mov_b32_e32 v1, v0
	v_mov_b32_e32 v2, v0
	;; [unrolled: 1-line block ×23, first 2 shown]
	s_branch .LBB268_13
.LBB268_12:                             ;   in Loop: Header=BB268_13 Depth=2
	s_or_b64 exec, exec, s[10:11]
	v_add_u32_e32 v42, 0x800, v84
	ds_read2_b32 v[40:41], v42 offset1:32
	v_add_u32_e32 v44, 0xc00, v84
	v_add_u32_e32 v80, s23, v80
	s_waitcnt lgkmcnt(0)
	v_mfma_f32_16x16x32_fp8_fp8 v[16:19], v[36:37], v[40:41], v[16:19]
	ds_read2_b32 v[36:37], v42 offset0:128 offset1:160
	ds_read2_b32 v[42:43], v44 offset1:32
	ds_read2_b32 v[44:45], v44 offset0:128 offset1:160
	v_mfma_f32_16x16x32_fp8_fp8 v[8:11], v[52:53], v[40:41], v[8:11]
	;;#ASMSTART
	s_waitcnt lgkmcnt(0)
	;;#ASMEND
	ds_write_b32 v83, v85 offset:51264
	v_mfma_f32_16x16x32_fp8_fp8 v[0:3], v[60:61], v[40:41], v[0:3]
	v_add_u32_e32 v40, s23, v82
	v_cmp_lt_i32_e32 vcc, 4, v40
	s_waitcnt lgkmcnt(3)
	v_mfma_f32_16x16x32_fp8_fp8 v[16:19], v[46:47], v[36:37], v[16:19]
	v_mfma_f32_16x16x32_fp8_fp8 v[8:11], v[54:55], v[36:37], v[8:11]
	;; [unrolled: 1-line block ×3, first 2 shown]
	v_add_u32_e32 v36, 2, v66
	v_cndmask_b32_e32 v66, v66, v36, vcc
	v_cmp_le_i32_e32 vcc, s64, v80
	s_waitcnt lgkmcnt(2)
	v_mfma_f32_16x16x32_fp8_fp8 v[16:19], v[48:49], v[42:43], v[16:19]
	s_or_b64 s[8:9], vcc, s[8:9]
	v_mfma_f32_16x16x32_fp8_fp8 v[8:11], v[56:57], v[42:43], v[8:11]
	v_mfma_f32_16x16x32_fp8_fp8 v[0:3], v[64:65], v[42:43], v[0:3]
	s_waitcnt lgkmcnt(1)
	v_mfma_f32_16x16x32_fp8_fp8 v[16:19], v[50:51], v[44:45], v[16:19]
	v_mfma_f32_16x16x32_fp8_fp8 v[8:11], v[58:59], v[44:45], v[8:11]
	;; [unrolled: 1-line block ×3, first 2 shown]
	s_andn2_b64 exec, exec, s[8:9]
	s_cbranch_execz .LBB268_28
.LBB268_13:                             ;   Parent Loop BB268_7 Depth=1
                                        ; =>  This Loop Header: Depth=2
                                        ;       Child Loop BB268_15 Depth 3
                                        ;       Child Loop BB268_18 Depth 3
	;; [unrolled: 1-line block ×5, first 2 shown]
	v_cmp_gt_i32_e32 vcc, 5, v40
	s_nop 1
	v_cndmask_b32_e64 v36, -5, 0, vcc
	v_add_u32_e32 v82, v36, v40
	v_lshlrev_b32_e32 v83, 3, v82
	ds_read_b32 v36, v83 offset:51260
	s_waitcnt lgkmcnt(0)
	v_cmp_ne_u32_e32 vcc, v36, v66
	s_and_saveexec_b64 s[10:11], vcc
	s_cbranch_execz .LBB268_16
; %bb.14:                               ;   in Loop: Header=BB268_13 Depth=2
	s_mov_b64 s[12:13], 0
.LBB268_15:                             ;   Parent Loop BB268_7 Depth=1
                                        ;     Parent Loop BB268_13 Depth=2
                                        ; =>    This Inner Loop Header: Depth=3
	;;#ASMSTART
	s_sleep 0
	;;#ASMEND
	ds_read_b32 v36, v83 offset:51260
	s_waitcnt lgkmcnt(0)
	v_cmp_eq_u32_e32 vcc, v36, v66
	s_or_b64 s[12:13], vcc, s[12:13]
	s_andn2_b64 exec, exec, s[12:13]
	s_cbranch_execnz .LBB268_15
.LBB268_16:                             ;   in Loop: Header=BB268_13 Depth=2
	s_or_b64 exec, exec, s[10:11]
	v_lshlrev_b32_e32 v36, 12, v82
	v_add_u32_e32 v84, v68, v36
	v_add_u32_e32 v36, 0x400, v84
	;; [unrolled: 1-line block ×3, first 2 shown]
	ds_read2_b32 v[38:39], v84 offset1:32
	ds_read2_b32 v[40:41], v84 offset0:128 offset1:160
	ds_read2_b32 v[44:45], v36 offset1:32
	ds_read2_b32 v[42:43], v36 offset0:128 offset1:160
	;;#ASMSTART
	s_waitcnt lgkmcnt(0)
	;;#ASMEND
	ds_write_b32 v83, v85 offset:51260
	v_mul_lo_u32 v86, v82, 12
	ds_read_b32 v36, v86 offset:51200
	s_waitcnt lgkmcnt(0)
	v_cmp_ne_u32_e32 vcc, v36, v66
	s_and_saveexec_b64 s[10:11], vcc
	s_cbranch_execz .LBB268_19
; %bb.17:                               ;   in Loop: Header=BB268_13 Depth=2
	s_mov_b64 s[12:13], 0
.LBB268_18:                             ;   Parent Loop BB268_7 Depth=1
                                        ;     Parent Loop BB268_13 Depth=2
                                        ; =>    This Inner Loop Header: Depth=3
	;;#ASMSTART
	s_sleep 0
	;;#ASMEND
	ds_read_b32 v36, v86 offset:51200
	s_waitcnt lgkmcnt(0)
	v_cmp_eq_u32_e32 vcc, v36, v66
	s_or_b64 s[12:13], vcc, s[12:13]
	s_andn2_b64 exec, exec, s[12:13]
	s_cbranch_execnz .LBB268_18
.LBB268_19:                             ;   in Loop: Header=BB268_13 Depth=2
	s_or_b64 exec, exec, s[10:11]
	v_mul_lo_u32 v52, v82, s59
	v_or_b32_e32 v48, v67, v52
	ds_read2_b32 v[36:37], v48 offset1:32
	ds_read2_b32 v[46:47], v48 offset0:128 offset1:160
	v_add_u32_e32 v50, 0x400, v48
	ds_read2_b32 v[48:49], v50 offset1:32
	ds_read2_b32 v[50:51], v50 offset0:128 offset1:160
	ds_read_b32 v53, v86 offset:51204
	ds_write_b32 v86, v85 offset:51200
	s_waitcnt lgkmcnt(5)
	v_mfma_f32_16x16x32_fp8_fp8 v[20:23], v[36:37], v[38:39], v[20:23]
	s_waitcnt lgkmcnt(1)
	v_cmp_ne_u32_e32 vcc, v53, v66
	v_mfma_f32_16x16x32_fp8_fp8 v[20:23], v[46:47], v[40:41], v[20:23]
	v_mfma_f32_16x16x32_fp8_fp8 v[20:23], v[48:49], v[44:45], v[20:23]
	;; [unrolled: 1-line block ×3, first 2 shown]
	s_and_saveexec_b64 s[10:11], vcc
	s_cbranch_execz .LBB268_22
; %bb.20:                               ;   in Loop: Header=BB268_13 Depth=2
	s_mov_b64 s[12:13], 0
.LBB268_21:                             ;   Parent Loop BB268_7 Depth=1
                                        ;     Parent Loop BB268_13 Depth=2
                                        ; =>    This Inner Loop Header: Depth=3
	;;#ASMSTART
	s_sleep 0
	;;#ASMEND
	ds_read_b32 v53, v86 offset:51204
	s_waitcnt lgkmcnt(0)
	v_cmp_eq_u32_e32 vcc, v53, v66
	s_or_b64 s[12:13], vcc, s[12:13]
	s_andn2_b64 exec, exec, s[12:13]
	s_cbranch_execnz .LBB268_21
.LBB268_22:                             ;   in Loop: Header=BB268_13 Depth=2
	s_or_b64 exec, exec, s[10:11]
	v_add_u32_e32 v64, v67, v52
	v_add_u32_e32 v54, 0x800, v64
	ds_read2_b32 v[52:53], v54 offset1:32
	ds_read2_b32 v[54:55], v54 offset0:128 offset1:160
	v_add_u32_e32 v58, 0xc00, v64
	ds_read2_b32 v[56:57], v58 offset1:32
	ds_read2_b32 v[58:59], v58 offset0:128 offset1:160
	ds_read_b32 v60, v86 offset:51208
	ds_write_b32 v86, v85 offset:51204
	s_waitcnt lgkmcnt(5)
	v_mfma_f32_16x16x32_fp8_fp8 v[12:15], v[52:53], v[38:39], v[12:15]
	s_waitcnt lgkmcnt(1)
	v_cmp_ne_u32_e32 vcc, v60, v66
	v_mfma_f32_16x16x32_fp8_fp8 v[12:15], v[54:55], v[40:41], v[12:15]
	v_mfma_f32_16x16x32_fp8_fp8 v[12:15], v[56:57], v[44:45], v[12:15]
	;; [unrolled: 1-line block ×3, first 2 shown]
	s_and_saveexec_b64 s[10:11], vcc
	s_cbranch_execz .LBB268_25
; %bb.23:                               ;   in Loop: Header=BB268_13 Depth=2
	s_mov_b64 s[12:13], 0
.LBB268_24:                             ;   Parent Loop BB268_7 Depth=1
                                        ;     Parent Loop BB268_13 Depth=2
                                        ; =>    This Inner Loop Header: Depth=3
	;;#ASMSTART
	s_sleep 0
	;;#ASMEND
	ds_read_b32 v60, v86 offset:51208
	s_waitcnt lgkmcnt(0)
	v_cmp_eq_u32_e32 vcc, v60, v66
	s_or_b64 s[12:13], vcc, s[12:13]
	s_andn2_b64 exec, exec, s[12:13]
	s_cbranch_execnz .LBB268_24
.LBB268_25:                             ;   in Loop: Header=BB268_13 Depth=2
	s_or_b64 exec, exec, s[10:11]
	v_add_u32_e32 v62, 0x1000, v64
	ds_read2_b32 v[60:61], v62 offset1:32
	ds_read2_b32 v[62:63], v62 offset0:128 offset1:160
	v_add_u32_e32 v87, 0x1400, v64
	ds_read2_b32 v[64:65], v87 offset1:32
	ds_write_b32 v86, v85 offset:51208
	s_waitcnt lgkmcnt(3)
	v_mfma_f32_16x16x32_fp8_fp8 v[4:7], v[60:61], v[38:39], v[4:7]
	ds_read2_b32 v[38:39], v87 offset0:128 offset1:160
	s_waitcnt lgkmcnt(3)
	v_mfma_f32_16x16x32_fp8_fp8 v[4:7], v[62:63], v[40:41], v[4:7]
	ds_read_b32 v40, v83 offset:51264
	s_waitcnt lgkmcnt(0)
	v_cmp_ne_u32_e32 vcc, v40, v66
	v_mfma_f32_16x16x32_fp8_fp8 v[4:7], v[64:65], v[44:45], v[4:7]
	v_mfma_f32_16x16x32_fp8_fp8 v[4:7], v[38:39], v[42:43], v[4:7]
	s_and_saveexec_b64 s[10:11], vcc
	s_cbranch_execz .LBB268_12
; %bb.26:                               ;   in Loop: Header=BB268_13 Depth=2
	s_mov_b64 s[12:13], 0
.LBB268_27:                             ;   Parent Loop BB268_7 Depth=1
                                        ;     Parent Loop BB268_13 Depth=2
                                        ; =>    This Inner Loop Header: Depth=3
	;;#ASMSTART
	s_sleep 0
	;;#ASMEND
	ds_read_b32 v40, v83 offset:51264
	s_waitcnt lgkmcnt(0)
	v_cmp_eq_u32_e32 vcc, v40, v66
	s_or_b64 s[12:13], vcc, s[12:13]
	s_andn2_b64 exec, exec, s[12:13]
	s_cbranch_execnz .LBB268_27
	s_branch .LBB268_12
.LBB268_28:                             ;   in Loop: Header=BB268_7 Depth=1
	s_or_b64 exec, exec, s[8:9]
.LBB268_29:                             ;   in Loop: Header=BB268_7 Depth=1
	s_or_b64 exec, exec, s[6:7]
	v_cmp_le_i32_e32 vcc, s14, v24
	v_cmp_eq_u32_e64 s[6:7], 2, v69
	v_cmp_eq_u32_e64 s[8:9], 3, v69
	s_waitcnt vmcnt(0)
	v_cndmask_b32_e32 v36, 0, v81, vcc
	v_pk_mul_f32 v[20:21], v[36:37], v[20:21] op_sel_hi:[0,1]
	v_cmp_eq_u32_e32 vcc, 1, v69
	v_pk_mul_f32 v[38:39], v[36:37], v[22:23] op_sel_hi:[0,1]
	v_cmp_eq_u32_e64 s[10:11], 0, v69
	v_cndmask_b32_e32 v22, v20, v21, vcc
	v_cndmask_b32_e64 v22, v22, v38, s[6:7]
	v_cndmask_b32_e64 v22, v22, v39, s[8:9]
	ds_bpermute_b32 v37, v79, v22
	v_cmp_le_i32_e64 s[14:15], s14, v71
	v_cmp_eq_u32_e64 s[12:13], 1, v70
	v_add_u32_e32 v41, s63, v72
	s_waitcnt lgkmcnt(0)
	v_cndmask_b32_e64 v22, v39, v37, s[8:9]
	v_cndmask_b32_e64 v23, v38, v37, s[6:7]
	v_cndmask_b32_e32 v21, v21, v37, vcc
	v_cndmask_b32_e64 v37, v20, v37, s[10:11]
	v_cndmask_b32_e64 v20, 0, v81, s[14:15]
	v_pk_mul_f32 v[44:45], v[20:21], v[16:17] op_sel_hi:[0,1]
	v_pk_mul_f32 v[42:43], v[20:21], v[18:19] op_sel_hi:[0,1]
	v_cndmask_b32_e32 v16, v44, v45, vcc
	v_cndmask_b32_e64 v16, v16, v42, s[6:7]
	v_cndmask_b32_e64 v16, v16, v43, s[8:9]
	ds_bpermute_b32 v17, v79, v16
	v_cndmask_b32_e64 v38, v37, v21, s[12:13]
	v_cmp_eq_u32_e32 vcc, 2, v70
	v_cmp_eq_u32_e64 s[14:15], 3, v70
	s_waitcnt lgkmcnt(0)
	v_cndmask_b32_e64 v19, v42, v17, s[6:7]
	v_cndmask_b32_e32 v16, v38, v23, vcc
	v_cndmask_b32_e64 v16, v16, v22, s[14:15]
	v_cmp_ne_u32_e64 s[6:7], 0, v69
	ds_bpermute_b32 v38, v79, v16
	v_cndmask_b32_e64 v18, v43, v17, s[8:9]
	v_cndmask_b32_e64 v16, v45, v17, s[6:7]
	;; [unrolled: 1-line block ×4, first 2 shown]
	v_cndmask_b32_e32 v39, v39, v19, vcc
	v_cndmask_b32_e64 v39, v39, v18, s[14:15]
	ds_bpermute_b32 v39, v79, v39
	v_cmp_gt_u32_e32 vcc, 48, v41
	s_and_saveexec_b64 s[44:45], vcc
	s_cbranch_execz .LBB268_36
; %bb.30:                               ;   in Loop: Header=BB268_7 Depth=1
	v_cmp_eq_u32_e64 s[8:9], 1, v70
	v_cmp_eq_u32_e64 s[10:11], 0, v70
	v_cmp_eq_u32_e32 vcc, 3, v70
	s_waitcnt lgkmcnt(1)
	v_cndmask_b32_e64 v21, v21, v38, s[8:9]
	s_waitcnt lgkmcnt(0)
	v_cndmask_b32_e64 v42, v16, v39, s[8:9]
	s_mul_i32 s8, s61, s17
	s_ashr_i32 s9, s8, 31
	s_lshl_b64 s[8:9], s[8:9], 1
	v_cndmask_b32_e64 v37, v37, v38, s[10:11]
	v_cndmask_b32_e64 v43, v17, v39, s[10:11]
	s_add_u32 s10, s28, s8
	s_addc_u32 s11, s29, s9
	s_ashr_i32 s39, s38, 31
	v_cvt_f16_f32_e32 v37, v37
	v_cvt_f16_f32_sdwa v21, v21 dst_sel:WORD_1 dst_unused:UNUSED_PAD src0_sel:DWORD
	s_lshl_b64 s[8:9], s[38:39], 1
	v_cvt_f16_f32_e32 v44, v43
	v_cvt_f16_f32_sdwa v45, v42 dst_sel:WORD_1 dst_unused:UNUSED_PAD src0_sel:DWORD
	s_add_u32 s46, s10, s8
	s_addc_u32 s47, s11, s9
	v_cmp_eq_u32_e64 s[6:7], 2, v70
	v_lshl_add_u64 v[16:17], v[26:27], 1, s[46:47]
	v_or_b32_e32 v21, v21, v37
	v_cmp_gt_u32_e64 s[8:9], 46, v41
	;;#ASMSTART
	global_atomic_pk_add_f16 v[16:17], v21, off
	
	;;#ASMEND
	v_lshl_add_u64 v[42:43], v[16:17], 0, 32
	v_or_b32_e32 v21, v45, v44
	;;#ASMSTART
	global_atomic_pk_add_f16 v[42:43], v21, off
	
	;;#ASMEND
	s_and_b64 exec, exec, s[8:9]
	s_cbranch_execz .LBB268_36
; %bb.31:                               ;   in Loop: Header=BB268_7 Depth=1
	v_mov_b32_e32 v37, v36
	v_cndmask_b32_e32 v22, v22, v38, vcc
	v_cndmask_b32_e64 v23, v23, v38, s[6:7]
	v_cndmask_b32_e32 v38, v18, v39, vcc
	v_cndmask_b32_e64 v39, v19, v39, s[6:7]
	v_mov_b32_e32 v18, v36
	v_mov_b32_e32 v19, v36
	v_pk_mul_f32 v[14:15], v[18:19], v[14:15]
	v_pk_mul_f32 v[18:19], v[36:37], v[12:13]
	v_cmp_eq_u32_e32 vcc, 1, v69
	v_cmp_eq_u32_e64 s[6:7], 2, v69
	v_cmp_eq_u32_e64 s[8:9], 3, v69
	v_cndmask_b32_e32 v12, v18, v19, vcc
	v_cndmask_b32_e64 v12, v12, v14, s[6:7]
	v_cndmask_b32_e64 v12, v12, v15, s[8:9]
	v_cvt_f16_f32_e32 v23, v23
	v_cvt_f16_f32_sdwa v22, v22 dst_sel:WORD_1 dst_unused:UNUSED_PAD src0_sel:DWORD
	ds_bpermute_b32 v41, v79, v12
	v_mov_b32_e32 v21, v20
	v_lshl_add_u64 v[16:17], s[34:35], 2, v[16:17]
	v_or_b32_e32 v22, v22, v23
	v_cmp_eq_u32_e64 s[10:11], 0, v69
	;;#ASMSTART
	global_atomic_pk_add_f16 v[16:17], v22, off
	
	;;#ASMEND
	v_cvt_f16_f32_e32 v42, v39
	v_cvt_f16_f32_sdwa v43, v38 dst_sel:WORD_1 dst_unused:UNUSED_PAD src0_sel:DWORD
	v_lshl_add_u64 v[22:23], v[16:17], 0, 32
	s_waitcnt lgkmcnt(0)
	v_cndmask_b32_e64 v12, v15, v41, s[8:9]
	v_cndmask_b32_e32 v15, v19, v41, vcc
	v_cndmask_b32_e64 v16, v18, v41, s[10:11]
	v_mov_b32_e32 v18, v20
	v_mov_b32_e32 v19, v20
	v_pk_mul_f32 v[38:39], v[20:21], v[8:9]
	v_pk_mul_f32 v[18:19], v[18:19], v[10:11]
	v_cndmask_b32_e32 v8, v38, v39, vcc
	v_cndmask_b32_e64 v8, v8, v18, s[6:7]
	v_cndmask_b32_e64 v8, v8, v19, s[8:9]
	ds_bpermute_b32 v9, v79, v8
	v_cmp_eq_u32_e64 s[12:13], 1, v70
	v_cndmask_b32_e64 v13, v14, v41, s[6:7]
	v_cmp_eq_u32_e32 vcc, 2, v70
	v_cndmask_b32_e64 v14, v16, v15, s[12:13]
	v_cmp_eq_u32_e64 s[14:15], 3, v70
	v_cndmask_b32_e32 v8, v14, v13, vcc
	s_waitcnt lgkmcnt(0)
	v_cndmask_b32_e64 v11, v18, v9, s[6:7]
	v_cndmask_b32_e64 v8, v8, v12, s[14:15]
	v_cmp_ne_u32_e64 s[6:7], 0, v69
	ds_bpermute_b32 v14, v79, v8
	v_cndmask_b32_e64 v10, v19, v9, s[8:9]
	v_cndmask_b32_e64 v8, v39, v9, s[6:7]
	;; [unrolled: 1-line block ×4, first 2 shown]
	v_cndmask_b32_e32 v17, v17, v11, vcc
	v_cndmask_b32_e64 v17, v17, v10, s[14:15]
	ds_bpermute_b32 v17, v79, v17
	v_or_b32_e32 v18, v43, v42
	;;#ASMSTART
	global_atomic_pk_add_f16 v[22:23], v18, off
	
	;;#ASMEND
	v_add_u32_e32 v18, s63, v73
	v_cmp_gt_u32_e32 vcc, 48, v18
	s_and_b64 exec, exec, vcc
	s_cbranch_execz .LBB268_36
; %bb.32:                               ;   in Loop: Header=BB268_7 Depth=1
	v_cmp_eq_u32_e64 s[8:9], 1, v70
	v_cmp_eq_u32_e64 s[10:11], 0, v70
	v_cmp_eq_u32_e32 vcc, 3, v70
	s_waitcnt lgkmcnt(1)
	v_cndmask_b32_e64 v15, v15, v14, s[8:9]
	v_cndmask_b32_e64 v16, v16, v14, s[10:11]
	s_waitcnt lgkmcnt(0)
	v_cndmask_b32_e64 v19, v8, v17, s[8:9]
	v_cndmask_b32_e64 v22, v9, v17, s[10:11]
	v_cvt_f16_f32_e32 v16, v16
	v_cvt_f16_f32_sdwa v15, v15 dst_sel:WORD_1 dst_unused:UNUSED_PAD src0_sel:DWORD
	v_cvt_f16_f32_e32 v38, v22
	v_cvt_f16_f32_sdwa v19, v19 dst_sel:WORD_1 dst_unused:UNUSED_PAD src0_sel:DWORD
	v_cmp_eq_u32_e64 s[6:7], 2, v70
	v_lshl_add_u64 v[8:9], v[28:29], 1, s[46:47]
	v_or_b32_e32 v15, v15, v16
	v_cmp_gt_u32_e64 s[8:9], 46, v18
	;;#ASMSTART
	global_atomic_pk_add_f16 v[8:9], v15, off
	
	;;#ASMEND
	v_lshl_add_u64 v[22:23], v[8:9], 0, 32
	v_or_b32_e32 v15, v19, v38
	;;#ASMSTART
	global_atomic_pk_add_f16 v[22:23], v15, off
	
	;;#ASMEND
	s_and_b64 exec, exec, s[8:9]
	s_cbranch_execz .LBB268_36
; %bb.33:                               ;   in Loop: Header=BB268_7 Depth=1
	v_cndmask_b32_e32 v12, v12, v14, vcc
	v_cndmask_b32_e64 v13, v13, v14, s[6:7]
	v_cndmask_b32_e32 v14, v10, v17, vcc
	v_cndmask_b32_e64 v15, v11, v17, s[6:7]
	v_mov_b32_e32 v10, v36
	v_mov_b32_e32 v11, v36
	v_pk_mul_f32 v[6:7], v[10:11], v[6:7]
	v_pk_mul_f32 v[10:11], v[36:37], v[4:5]
	v_cmp_eq_u32_e32 vcc, 1, v69
	v_cmp_eq_u32_e64 s[6:7], 2, v69
	v_cmp_eq_u32_e64 s[8:9], 3, v69
	v_cndmask_b32_e32 v4, v10, v11, vcc
	v_cndmask_b32_e64 v4, v4, v6, s[6:7]
	v_cndmask_b32_e64 v4, v4, v7, s[8:9]
	v_cvt_f16_f32_e32 v13, v13
	v_cvt_f16_f32_sdwa v12, v12 dst_sel:WORD_1 dst_unused:UNUSED_PAD src0_sel:DWORD
	ds_bpermute_b32 v16, v79, v4
	v_lshl_add_u64 v[8:9], s[34:35], 2, v[8:9]
	v_cmp_eq_u32_e64 s[10:11], 0, v69
	v_or_b32_e32 v12, v12, v13
	;;#ASMSTART
	global_atomic_pk_add_f16 v[8:9], v12, off
	
	;;#ASMEND
	v_lshl_add_u64 v[12:13], v[8:9], 0, 32
	s_waitcnt lgkmcnt(0)
	v_cndmask_b32_e64 v4, v7, v16, s[8:9]
	v_cndmask_b32_e64 v5, v6, v16, s[6:7]
	v_cndmask_b32_e32 v6, v11, v16, vcc
	v_cndmask_b32_e64 v7, v10, v16, s[10:11]
	v_mov_b32_e32 v8, v20
	v_mov_b32_e32 v9, v20
	v_pk_mul_f32 v[10:11], v[20:21], v[0:1]
	v_pk_mul_f32 v[8:9], v[8:9], v[2:3]
	v_cndmask_b32_e32 v0, v10, v11, vcc
	v_cndmask_b32_e64 v0, v0, v8, s[6:7]
	v_cndmask_b32_e64 v0, v0, v9, s[8:9]
	ds_bpermute_b32 v1, v79, v0
	v_cmp_eq_u32_e64 s[12:13], 1, v70
	v_cmp_eq_u32_e32 vcc, 2, v70
	v_cmp_eq_u32_e64 s[14:15], 3, v70
	v_cndmask_b32_e64 v16, v7, v6, s[12:13]
	v_cndmask_b32_e32 v0, v16, v5, vcc
	v_cndmask_b32_e64 v0, v0, v4, s[14:15]
	s_waitcnt lgkmcnt(0)
	v_cndmask_b32_e64 v8, v8, v1, s[6:7]
	v_cmp_ne_u32_e64 s[6:7], 0, v69
	ds_bpermute_b32 v2, v79, v0
	v_cndmask_b32_e64 v3, v9, v1, s[8:9]
	v_cndmask_b32_e64 v0, v11, v1, s[6:7]
	;; [unrolled: 1-line block ×4, first 2 shown]
	v_cvt_f16_f32_e32 v15, v15
	v_cvt_f16_f32_sdwa v14, v14 dst_sel:WORD_1 dst_unused:UNUSED_PAD src0_sel:DWORD
	v_cndmask_b32_e32 v9, v9, v8, vcc
	v_cndmask_b32_e64 v9, v9, v3, s[14:15]
	ds_bpermute_b32 v9, v79, v9
	v_or_b32_e32 v10, v14, v15
	;;#ASMSTART
	global_atomic_pk_add_f16 v[12:13], v10, off
	
	;;#ASMEND
	v_add_u32_e32 v10, s63, v74
	v_cmp_gt_u32_e32 vcc, 48, v10
	s_and_b64 exec, exec, vcc
	s_cbranch_execz .LBB268_36
; %bb.34:                               ;   in Loop: Header=BB268_7 Depth=1
	v_cmp_eq_u32_e64 s[8:9], 1, v70
	v_cmp_eq_u32_e64 s[10:11], 0, v70
	v_cmp_eq_u32_e32 vcc, 3, v70
	s_waitcnt lgkmcnt(1)
	v_cndmask_b32_e64 v6, v6, v2, s[8:9]
	v_cndmask_b32_e64 v7, v7, v2, s[10:11]
	s_waitcnt lgkmcnt(0)
	v_cndmask_b32_e64 v11, v0, v9, s[8:9]
	v_cndmask_b32_e64 v12, v1, v9, s[10:11]
	v_cvt_f16_f32_e32 v7, v7
	v_cvt_f16_f32_sdwa v6, v6 dst_sel:WORD_1 dst_unused:UNUSED_PAD src0_sel:DWORD
	v_cvt_f16_f32_e32 v12, v12
	v_cvt_f16_f32_sdwa v11, v11 dst_sel:WORD_1 dst_unused:UNUSED_PAD src0_sel:DWORD
	v_cmp_eq_u32_e64 s[6:7], 2, v70
	v_lshl_add_u64 v[0:1], v[30:31], 1, s[46:47]
	v_or_b32_e32 v6, v6, v7
	v_cmp_gt_u32_e64 s[8:9], 46, v10
	;;#ASMSTART
	global_atomic_pk_add_f16 v[0:1], v6, off
	
	;;#ASMEND
	v_lshl_add_u64 v[6:7], v[0:1], 0, 32
	v_or_b32_e32 v11, v11, v12
	;;#ASMSTART
	global_atomic_pk_add_f16 v[6:7], v11, off
	
	;;#ASMEND
	s_and_b64 exec, exec, s[8:9]
	s_cbranch_execz .LBB268_36
; %bb.35:                               ;   in Loop: Header=BB268_7 Depth=1
	v_cndmask_b32_e32 v4, v4, v2, vcc
	v_cndmask_b32_e64 v2, v5, v2, s[6:7]
	v_cndmask_b32_e32 v3, v3, v9, vcc
	v_cndmask_b32_e64 v5, v8, v9, s[6:7]
	v_cvt_f16_f32_e32 v2, v2
	v_cvt_f16_f32_sdwa v4, v4 dst_sel:WORD_1 dst_unused:UNUSED_PAD src0_sel:DWORD
	v_cvt_f16_f32_e32 v5, v5
	v_cvt_f16_f32_sdwa v3, v3 dst_sel:WORD_1 dst_unused:UNUSED_PAD src0_sel:DWORD
	v_lshl_add_u64 v[0:1], s[34:35], 2, v[0:1]
	v_or_b32_e32 v2, v4, v2
	;;#ASMSTART
	global_atomic_pk_add_f16 v[0:1], v2, off
	
	;;#ASMEND
	v_lshl_add_u64 v[0:1], v[0:1], 0, 32
	v_or_b32_e32 v2, v3, v5
	;;#ASMSTART
	global_atomic_pk_add_f16 v[0:1], v2, off
	
	;;#ASMEND
.LBB268_36:                             ;   in Loop: Header=BB268_7 Depth=1
	s_or_b64 exec, exec, s[44:45]
	v_subrev_u32_e32 v80, s64, v80
.LBB268_37:                             ;   in Loop: Header=BB268_7 Depth=1
	s_or_b64 exec, exec, s[42:43]
.LBB268_38:                             ;   in Loop: Header=BB268_7 Depth=1
	s_andn2_saveexec_b64 s[6:7], s[40:41]
	s_cbranch_execz .LBB268_47
; %bb.39:                               ;   in Loop: Header=BB268_7 Depth=1
	s_lshl_b32 s39, s64, 1
	v_cmp_gt_i32_e32 vcc, s39, v80
	s_and_saveexec_b64 s[8:9], vcc
	s_cbranch_execz .LBB268_46
; %bb.40:                               ;   in Loop: Header=BB268_7 Depth=1
	s_mul_i32 s10, s38, s19
	s_ashr_i32 s11, s10, 31
	s_waitcnt lgkmcnt(0)
	s_add_u32 s10, s26, s10
	s_addc_u32 s11, s27, s11
	s_ashr_i32 s12, s62, 31
	s_add_u32 s10, s10, s62
	s_addc_u32 s11, s11, s12
	v_lshl_add_u64 v[0:1], s[10:11], 0, v[34:35]
	v_lshl_add_u64 v[8:9], v[0:1], 0, v[32:33]
	s_mov_b64 s[10:11], 0
	s_branch .LBB268_42
.LBB268_41:                             ;   in Loop: Header=BB268_42 Depth=2
	s_or_b64 exec, exec, s[12:13]
	v_lshl_add_u32 v12, v10, 11, v77
	;;#ASMSTART
	s_waitcnt vmcnt(1)
	;;#ASMEND
	ds_write2_b32 v12, v4, v5 offset1:32
	ds_write2_b32 v12, v6, v7 offset0:64 offset1:96
	v_add_u32_e32 v4, 0x400, v12
	v_add_u32_e32 v80, s22, v80
	;;#ASMSTART
	s_waitcnt vmcnt(0)
	;;#ASMEND
	ds_write2_b32 v4, v0, v1 offset1:32
	ds_write2_b32 v4, v2, v3 offset0:64 offset1:96
	v_add_u32_e32 v0, 1, v66
	v_add_u32_e32 v40, s22, v10
	v_cmp_le_i32_e32 vcc, s39, v80
	ds_write_b32 v11, v0 offset:60
	v_add_u32_e32 v0, 2, v66
	s_or_b64 s[10:11], vcc, s[10:11]
	v_cmp_lt_i32_e32 vcc, 9, v40
	s_nop 1
	v_cndmask_b32_e32 v66, v66, v0, vcc
	s_andn2_b64 exec, exec, s[10:11]
	s_cbranch_execz .LBB268_45
.LBB268_42:                             ;   Parent Loop BB268_7 Depth=1
                                        ; =>  This Loop Header: Depth=2
                                        ;       Child Loop BB268_44 Depth 3
	v_cmp_gt_i32_e32 vcc, 10, v40
	s_nop 1
	v_cndmask_b32_e64 v0, -10, 0, vcc
	v_add_u32_e32 v10, v0, v40
	v_lshrrev_b32_e32 v0, 31, v80
	v_add_u32_e32 v0, v80, v0
	v_and_b32_e32 v1, -2, v0
	v_lshlrev_b32_e32 v0, 6, v0
	v_sub_u32_e32 v2, v80, v1
	v_and_b32_e32 v0, 0xffffff80, v0
	v_ashrrev_i32_e32 v1, 31, v0
	v_mul_lo_u32 v2, s53, v2
	v_lshl_add_u64 v[0:1], v[8:9], 0, v[0:1]
	v_ashrrev_i32_e32 v3, 31, v2
	v_lshl_add_u64 v[0:1], v[0:1], 0, v[2:3]
	v_lshlrev_b32_e32 v11, 2, v10
	;;#ASMSTART
	global_load_dwordx4 v[4:7], v[0:1], off offset:0   sc0 sc1 nt  
	global_load_dwordx4 v[0:3], v[0:1], off offset:64  sc0 sc1 nt  
	
	;;#ASMEND
	ds_read_b32 v12, v11 offset:51260
	v_add_u32_e32 v11, 0xc800, v11
	s_waitcnt lgkmcnt(0)
	v_cmp_ne_u32_e32 vcc, v12, v66
	s_and_saveexec_b64 s[12:13], vcc
	s_cbranch_execz .LBB268_41
; %bb.43:                               ;   in Loop: Header=BB268_42 Depth=2
	s_mov_b64 s[14:15], 0
.LBB268_44:                             ;   Parent Loop BB268_7 Depth=1
                                        ;     Parent Loop BB268_42 Depth=2
                                        ; =>    This Inner Loop Header: Depth=3
	;;#ASMSTART
	s_sleep 0
	;;#ASMEND
	ds_read_b32 v12, v11 offset:60
	s_waitcnt lgkmcnt(0)
	v_cmp_eq_u32_e32 vcc, v12, v66
	s_or_b64 s[14:15], vcc, s[14:15]
	s_andn2_b64 exec, exec, s[14:15]
	s_cbranch_execnz .LBB268_44
	s_branch .LBB268_41
.LBB268_45:                             ;   in Loop: Header=BB268_7 Depth=1
	s_or_b64 exec, exec, s[10:11]
.LBB268_46:                             ;   in Loop: Header=BB268_7 Depth=1
	s_or_b64 exec, exec, s[8:9]
	v_subrev_u32_e32 v80, s39, v80
.LBB268_47:                             ;   in Loop: Header=BB268_7 Depth=1
	s_or_b64 exec, exec, s[6:7]
.LBB268_48:                             ;   in Loop: Header=BB268_7 Depth=1
	s_andn2_saveexec_b64 s[6:7], s[36:37]
	s_cbranch_execz .LBB268_6
; %bb.49:                               ;   in Loop: Header=BB268_7 Depth=1
	s_mul_i32 s64, s64, 3
	v_cmp_gt_i32_e32 vcc, s64, v80
	s_and_saveexec_b64 s[8:9], vcc
	s_cbranch_execz .LBB268_5
; %bb.50:                               ;   in Loop: Header=BB268_7 Depth=1
	s_mul_i32 s61, s61, s18
	s_ashr_i32 s10, s61, 31
	s_waitcnt lgkmcnt(0)
	s_add_u32 s11, s24, s61
	v_add_u32_e32 v2, s63, v75
	s_addc_u32 s12, s25, s10
	s_ashr_i32 s13, s62, 31
	v_cmp_gt_u32_e32 vcc, 48, v2
	s_add_u32 s10, s11, s62
	s_addc_u32 s11, s12, s13
	v_cndmask_b32_e32 v0, 0, v78, vcc
	v_ashrrev_i32_e32 v1, 31, v0
	v_lshl_add_u64 v[0:1], s[10:11], 0, v[0:1]
	v_lshl_add_u64 v[8:9], v[0:1], 0, v[32:33]
	v_sub_u32_e32 v10, 47, v2
	s_mov_b64 s[10:11], 0
	s_branch .LBB268_52
.LBB268_51:                             ;   in Loop: Header=BB268_52 Depth=2
	s_or_b64 exec, exec, s[12:13]
	v_lshl_or_b32 v13, v11, 11, v76
	;;#ASMSTART
	s_waitcnt vmcnt(1)
	;;#ASMEND
	ds_write2_b32 v13, v4, v5 offset1:32
	ds_write2_b32 v13, v6, v7 offset0:64 offset1:96
	v_add_u32_e32 v4, 0x400, v13
	v_add_u32_e32 v80, s21, v80
	;;#ASMSTART
	s_waitcnt vmcnt(0)
	;;#ASMEND
	ds_write2_b32 v4, v0, v1 offset1:32
	ds_write2_b32 v4, v2, v3 offset0:64 offset1:96
	v_add_u32_e32 v0, 1, v66
	v_add_u32_e32 v40, s21, v11
	v_cmp_le_i32_e32 vcc, s64, v80
	ds_write_b32 v12, v0
	v_add_u32_e32 v0, 2, v66
	s_or_b64 s[10:11], vcc, s[10:11]
	v_cmp_lt_i32_e32 vcc, 14, v40
	s_nop 1
	v_cndmask_b32_e32 v66, v66, v0, vcc
	s_andn2_b64 exec, exec, s[10:11]
	s_cbranch_execz .LBB268_4
.LBB268_52:                             ;   Parent Loop BB268_7 Depth=1
                                        ; =>  This Loop Header: Depth=2
                                        ;       Child Loop BB268_54 Depth 3
	v_cmp_gt_i32_e32 vcc, 15, v40
	s_nop 1
	v_cndmask_b32_e64 v0, -15, 0, vcc
	v_add_u32_e32 v11, v0, v40
	v_mul_hi_i32 v0, v80, s60
	v_lshrrev_b32_e32 v1, 31, v0
	v_add_u32_e32 v0, v0, v1
	v_lshl_add_u32 v1, v0, 1, v0
	v_sub_u32_e32 v1, v80, v1
	v_lshlrev_b32_e32 v1, 4, v1
	v_cmp_le_i32_e32 vcc, v1, v10
	v_lshlrev_b32_e32 v0, 7, v0
	v_lshlrev_b32_e32 v12, 2, v11
	v_cndmask_b32_e32 v2, 0, v1, vcc
	v_ashrrev_i32_e32 v1, 31, v0
	v_mul_lo_u32 v2, v2, s18
	v_lshl_add_u64 v[0:1], v[8:9], 0, v[0:1]
	v_ashrrev_i32_e32 v3, 31, v2
	v_lshl_add_u64 v[0:1], v[0:1], 0, v[2:3]
	;;#ASMSTART
	global_load_dwordx4 v[4:7], v[0:1], off offset:0   
	global_load_dwordx4 v[0:3], v[0:1], off offset:64  
	
	;;#ASMEND
	ds_read_b32 v13, v12 offset:51200
	v_add_u32_e32 v12, 0xc800, v12
	s_waitcnt lgkmcnt(0)
	v_cmp_ne_u32_e32 vcc, v13, v66
	s_and_saveexec_b64 s[12:13], vcc
	s_cbranch_execz .LBB268_51
; %bb.53:                               ;   in Loop: Header=BB268_52 Depth=2
	s_mov_b64 s[14:15], 0
.LBB268_54:                             ;   Parent Loop BB268_7 Depth=1
                                        ;     Parent Loop BB268_52 Depth=2
                                        ; =>    This Inner Loop Header: Depth=3
	;;#ASMSTART
	s_sleep 0
	;;#ASMEND
	ds_read_b32 v13, v12
	s_waitcnt lgkmcnt(0)
	v_cmp_eq_u32_e32 vcc, v13, v66
	s_or_b64 s[14:15], vcc, s[14:15]
	s_andn2_b64 exec, exec, s[14:15]
	s_cbranch_execnz .LBB268_54
	s_branch .LBB268_51
.LBB268_55:
	s_endpgm
	.section	.rodata,"a",@progbits
	.p2align	6, 0x0
	.amdhsa_kernel _Z19_skinny_gemm_kernelILi3ELi2ELi5ELi16ELi4EEvPKhS1_P6__halfPKfiiiiiiii
		.amdhsa_group_segment_fixed_size 51300
		.amdhsa_private_segment_fixed_size 0
		.amdhsa_kernarg_size 64
		.amdhsa_user_sgpr_count 2
		.amdhsa_user_sgpr_dispatch_ptr 0
		.amdhsa_user_sgpr_queue_ptr 0
		.amdhsa_user_sgpr_kernarg_segment_ptr 1
		.amdhsa_user_sgpr_dispatch_id 0
		.amdhsa_user_sgpr_kernarg_preload_length 0
		.amdhsa_user_sgpr_kernarg_preload_offset 0
		.amdhsa_user_sgpr_private_segment_size 0
		.amdhsa_uses_dynamic_stack 0
		.amdhsa_enable_private_segment 0
		.amdhsa_system_sgpr_workgroup_id_x 1
		.amdhsa_system_sgpr_workgroup_id_y 0
		.amdhsa_system_sgpr_workgroup_id_z 0
		.amdhsa_system_sgpr_workgroup_info 0
		.amdhsa_system_vgpr_workitem_id 0
		.amdhsa_next_free_vgpr 88
		.amdhsa_next_free_sgpr 65
		.amdhsa_accum_offset 88
		.amdhsa_reserve_vcc 1
		.amdhsa_float_round_mode_32 0
		.amdhsa_float_round_mode_16_64 0
		.amdhsa_float_denorm_mode_32 3
		.amdhsa_float_denorm_mode_16_64 3
		.amdhsa_dx10_clamp 1
		.amdhsa_ieee_mode 1
		.amdhsa_fp16_overflow 0
		.amdhsa_tg_split 0
		.amdhsa_exception_fp_ieee_invalid_op 0
		.amdhsa_exception_fp_denorm_src 0
		.amdhsa_exception_fp_ieee_div_zero 0
		.amdhsa_exception_fp_ieee_overflow 0
		.amdhsa_exception_fp_ieee_underflow 0
		.amdhsa_exception_fp_ieee_inexact 0
		.amdhsa_exception_int_div_zero 0
	.end_amdhsa_kernel
	.section	.text._Z19_skinny_gemm_kernelILi3ELi2ELi5ELi16ELi4EEvPKhS1_P6__halfPKfiiiiiiii,"axG",@progbits,_Z19_skinny_gemm_kernelILi3ELi2ELi5ELi16ELi4EEvPKhS1_P6__halfPKfiiiiiiii,comdat
.Lfunc_end268:
	.size	_Z19_skinny_gemm_kernelILi3ELi2ELi5ELi16ELi4EEvPKhS1_P6__halfPKfiiiiiiii, .Lfunc_end268-_Z19_skinny_gemm_kernelILi3ELi2ELi5ELi16ELi4EEvPKhS1_P6__halfPKfiiiiiiii
                                        ; -- End function
	.set _Z19_skinny_gemm_kernelILi3ELi2ELi5ELi16ELi4EEvPKhS1_P6__halfPKfiiiiiiii.num_vgpr, 88
	.set _Z19_skinny_gemm_kernelILi3ELi2ELi5ELi16ELi4EEvPKhS1_P6__halfPKfiiiiiiii.num_agpr, 0
	.set _Z19_skinny_gemm_kernelILi3ELi2ELi5ELi16ELi4EEvPKhS1_P6__halfPKfiiiiiiii.numbered_sgpr, 65
	.set _Z19_skinny_gemm_kernelILi3ELi2ELi5ELi16ELi4EEvPKhS1_P6__halfPKfiiiiiiii.num_named_barrier, 0
	.set _Z19_skinny_gemm_kernelILi3ELi2ELi5ELi16ELi4EEvPKhS1_P6__halfPKfiiiiiiii.private_seg_size, 0
	.set _Z19_skinny_gemm_kernelILi3ELi2ELi5ELi16ELi4EEvPKhS1_P6__halfPKfiiiiiiii.uses_vcc, 1
	.set _Z19_skinny_gemm_kernelILi3ELi2ELi5ELi16ELi4EEvPKhS1_P6__halfPKfiiiiiiii.uses_flat_scratch, 0
	.set _Z19_skinny_gemm_kernelILi3ELi2ELi5ELi16ELi4EEvPKhS1_P6__halfPKfiiiiiiii.has_dyn_sized_stack, 0
	.set _Z19_skinny_gemm_kernelILi3ELi2ELi5ELi16ELi4EEvPKhS1_P6__halfPKfiiiiiiii.has_recursion, 0
	.set _Z19_skinny_gemm_kernelILi3ELi2ELi5ELi16ELi4EEvPKhS1_P6__halfPKfiiiiiiii.has_indirect_call, 0
	.section	.AMDGPU.csdata,"",@progbits
; Kernel info:
; codeLenInByte = 4900
; TotalNumSgprs: 71
; NumVgprs: 88
; NumAgprs: 0
; TotalNumVgprs: 88
; ScratchSize: 0
; MemoryBound: 0
; FloatMode: 240
; IeeeMode: 1
; LDSByteSize: 51300 bytes/workgroup (compile time only)
; SGPRBlocks: 8
; VGPRBlocks: 10
; NumSGPRsForWavesPerEU: 71
; NumVGPRsForWavesPerEU: 88
; AccumOffset: 88
; Occupancy: 5
; WaveLimiterHint : 0
; COMPUTE_PGM_RSRC2:SCRATCH_EN: 0
; COMPUTE_PGM_RSRC2:USER_SGPR: 2
; COMPUTE_PGM_RSRC2:TRAP_HANDLER: 0
; COMPUTE_PGM_RSRC2:TGID_X_EN: 1
; COMPUTE_PGM_RSRC2:TGID_Y_EN: 0
; COMPUTE_PGM_RSRC2:TGID_Z_EN: 0
; COMPUTE_PGM_RSRC2:TIDIG_COMP_CNT: 0
; COMPUTE_PGM_RSRC3_GFX90A:ACCUM_OFFSET: 21
; COMPUTE_PGM_RSRC3_GFX90A:TG_SPLIT: 0
	.section	.text._Z19_skinny_gemm_kernelILi3ELi2ELi5ELi32ELi4EEvPKhS1_P6__halfPKfiiiiiiii,"axG",@progbits,_Z19_skinny_gemm_kernelILi3ELi2ELi5ELi32ELi4EEvPKhS1_P6__halfPKfiiiiiiii,comdat
	.protected	_Z19_skinny_gemm_kernelILi3ELi2ELi5ELi32ELi4EEvPKhS1_P6__halfPKfiiiiiiii ; -- Begin function _Z19_skinny_gemm_kernelILi3ELi2ELi5ELi32ELi4EEvPKhS1_P6__halfPKfiiiiiiii
	.globl	_Z19_skinny_gemm_kernelILi3ELi2ELi5ELi32ELi4EEvPKhS1_P6__halfPKfiiiiiiii
	.p2align	8
	.type	_Z19_skinny_gemm_kernelILi3ELi2ELi5ELi32ELi4EEvPKhS1_P6__halfPKfiiiiiiii,@function
_Z19_skinny_gemm_kernelILi3ELi2ELi5ELi32ELi4EEvPKhS1_P6__halfPKfiiiiiiii: ; @_Z19_skinny_gemm_kernelILi3ELi2ELi5ELi32ELi4EEvPKhS1_P6__halfPKfiiiiiiii
; %bb.0:
	v_cmp_gt_u32_e32 vcc, 25, v0
	s_and_saveexec_b64 s[4:5], vcc
; %bb.1:
	v_lshlrev_b32_e32 v1, 2, v0
	v_mov_b32_e32 v2, 0
	ds_write_b32 v1, v2 offset:51200
; %bb.2:
	s_or_b64 exec, exec, s[4:5]
	s_load_dwordx8 s[16:23], s[0:1], 0x20
	s_waitcnt lgkmcnt(0)
	s_barrier
	s_add_i32 s3, s16, 0x5f
	s_mul_hi_i32 s3, s3, 0x2aaaaaab
	s_add_i32 s4, s17, 63
	s_lshr_b32 s5, s3, 31
	s_ashr_i32 s3, s3, 4
	s_add_i32 s11, s3, s5
	s_ashr_i32 s3, s4, 31
	s_lshr_b32 s3, s3, 26
	s_add_i32 s4, s4, s3
	s_ashr_i32 s12, s4, 6
	s_mul_i32 s3, s12, s11
	s_mul_i32 s3, s3, s20
	s_add_i32 s4, s3, 0x12f
	s_mul_hi_i32 s4, s4, 0x6bca1af3
	s_lshr_b32 s5, s4, 31
	s_ashr_i32 s4, s4, 7
	s_add_i32 s4, s4, s5
	s_add_i32 s5, s2, 1
	s_mul_i32 s5, s4, s5
	v_cvt_f64_i32_e32 v[2:3], s3
	v_cvt_f64_u32_e32 v[4:5], s5
	v_min_f64 v[2:3], v[2:3], v[4:5]
	v_cvt_i32_f64_e32 v62, v[2:3]
	s_mul_i32 s33, s4, s2
	v_cmp_ge_i32_e32 vcc, s33, v62
	s_cbranch_vccnz .LBB269_51
; %bb.3:
	s_load_dwordx8 s[44:51], s[0:1], 0x0
	v_lshrrev_b32_e32 v1, 6, v0
	s_add_i32 s0, s22, s21
	v_cmp_le_i32_e64 s[14:15], s0, v1
	v_mov_b32_e32 v2, s21
	v_cmp_le_i32_e64 s[24:25], s21, v1
	v_mov_b32_e32 v3, s22
	v_cndmask_b32_e64 v3, 0, v3, s[14:15]
	v_cndmask_b32_e64 v2, 0, v2, s[24:25]
	s_abs_i32 s1, s20
	v_add_u32_e32 v2, v2, v3
	v_cvt_f32_u32_e32 v3, s1
	v_sub_u32_e32 v56, v1, v2
	s_ashr_i32 s2, s18, 31
	s_lshr_b32 s2, s2, 26
	v_rcp_iflag_f32_e32 v2, v3
	s_sub_i32 s5, 0, s1
	s_add_i32 s2, s18, s2
	s_ashr_i32 s2, s2, 6
	v_mul_f32_e32 v2, 0x4f7ffffe, v2
	v_cvt_u32_f32_e32 v2, v2
	s_abs_i32 s4, s2
	s_xor_b32 s3, s2, s20
	s_ashr_i32 s3, s3, 31
	v_readfirstlane_b32 s6, v2
	s_mul_i32 s5, s5, s6
	s_mul_hi_u32 s5, s6, s5
	s_add_i32 s6, s6, s5
	s_mul_hi_u32 s5, s4, s6
	s_mul_i32 s6, s5, s1
	s_sub_i32 s4, s4, s6
	s_add_i32 s6, s5, 1
	s_sub_i32 s7, s4, s1
	s_cmp_ge_u32 s4, s1
	s_cselect_b32 s5, s6, s5
	s_cselect_b32 s4, s7, s4
	s_add_i32 s6, s5, 1
	s_cmp_ge_u32 s4, s1
	s_cselect_b32 s1, s6, s5
	s_add_i32 s0, s0, s23
	v_and_b32_e32 v64, 31, v0
	v_lshrrev_b32_e32 v2, 3, v0
	v_cmp_gt_i32_e64 s[28:29], s0, v1
	v_lshlrev_b32_e32 v1, 2, v64
	v_and_b32_e32 v3, 4, v2
	v_and_b32_e32 v5, 1, v0
	v_lshlrev_b32_e32 v2, 6, v3
	v_or_b32_e32 v4, 0x7800, v1
	v_or_b32_e32 v3, v3, v5
	;; [unrolled: 1-line block ×4, first 2 shown]
	v_lshlrev_b32_e32 v2, 1, v5
	v_or_b32_e32 v5, 2, v3
	v_sub_u32_e32 v77, 32, v5
	v_or_b32_e32 v5, 8, v3
	v_sub_u32_e32 v78, 32, v5
	;; [unrolled: 2-line block ×5, first 2 shown]
	v_mul_lo_u32 v34, s17, v3
	v_sub_u32_e32 v81, 32, v5
	v_or_b32_e32 v5, 24, v3
	v_or_b32_e32 v3, 26, v3
                                        ; implicit-def: $vgpr99 : SGPR spill to VGPR lane
	s_add_i32 s26, s20, -1
	v_sub_u32_e32 v83, 32, v3
	v_lshrrev_b32_e32 v3, 1, v0
	s_abs_i32 s20, s11
	v_writelane_b32 v99, s11, 0
	v_and_b32_e32 v50, 16, v3
	v_cvt_f32_u32_e32 v3, s20
	v_writelane_b32 v99, s12, 1
	v_sub_u32_e32 v2, v0, v2
	s_waitcnt lgkmcnt(0)
	v_writelane_b32 v99, s44, 2
	v_add_u32_e32 v2, 1, v2
	v_and_b32_e32 v6, 63, v2
	v_writelane_b32 v99, s45, 3
	v_bitop3_b32 v67, v0, 1, v0 bitop3:0xc
	v_bitop3_b32 v68, v0, 3, 1 bitop3:0x6c
	;; [unrolled: 1-line block ×8, first 2 shown]
	v_and_b32_e32 v2, 30, v0
	v_lshlrev_b32_e32 v0, 4, v0
	v_writelane_b32 v99, s46, 4
	v_and_b32_e32 v0, 0x200, v0
	v_rcp_iflag_f32_e32 v3, v3
	s_abs_i32 s99, s12
	v_writelane_b32 v99, s47, 5
	s_xor_b32 s1, s1, s3
	v_or_b32_e32 v86, v1, v0
	v_cvt_f32_u32_e32 v1, s99
	v_writelane_b32 v99, s48, 6
	s_sub_i32 s13, s1, s3
	v_writelane_b32 v99, s49, 7
	s_mul_i32 s1, s13, s26
	s_lshl_b32 s0, s17, 1
	v_writelane_b32 v99, s50, 8
	s_sub_i32 s27, s2, s1
	v_add_u32_e32 v36, s0, v34
	s_mul_i32 s1, s17, 6
	v_or_b32_e32 v84, v4, v0
	v_mul_f32_e32 v0, 0x4f7ffffe, v3
	v_writelane_b32 v99, s51, 9
	v_cndmask_b32_e64 v63, 0, 1, s[14:15]
	v_add_u32_e32 v38, s1, v36
	v_cvt_u32_f32_e32 v0, v0
	v_rcp_iflag_f32_e32 v1, v1
	v_writelane_b32 v99, s14, 10
	v_add_u32_e32 v40, s0, v38
	v_add_u32_e32 v42, s1, v40
	v_writelane_b32 v99, s15, 11
	v_writelane_b32 v99, s24, 12
	v_add_u32_e32 v44, s0, v42
	v_add_u32_e32 v46, s1, v44
	v_writelane_b32 v99, s25, 13
	v_readfirstlane_b32 s1, v0
	v_mul_f32_e32 v0, 0x4f7ffffe, v1
	v_writelane_b32 v99, s13, 14
	v_cvt_u32_f32_e32 v0, v0
	v_writelane_b32 v99, s26, 15
	v_add_u32_e32 v48, s0, v46
	s_sub_i32 s0, 0, s20
	v_writelane_b32 v99, s27, 16
	s_mul_i32 s0, s0, s1
	v_writelane_b32 v99, s28, 17
	s_lshl_b32 s30, s19, 5
	s_mul_hi_u32 s0, s1, s0
	v_writelane_b32 v99, s29, 18
	s_ashr_i32 s31, s11, 31
	s_add_i32 s34, s1, s0
	s_sub_i32 s0, 0, s99
	v_readfirstlane_b32 s1, v0
	v_mbcnt_lo_u32_b32 v0, -1, 0
	v_writelane_b32 v99, s30, 19
	s_mul_i32 s0, s0, s1
	v_mbcnt_hi_u32_b32 v0, -1, v0
	v_writelane_b32 v99, s31, 20
	v_mov_b32_e32 v33, 0
	v_mul_lo_u32 v52, s19, v64
	s_ashr_i32 s35, s12, 31
	s_mul_hi_u32 s0, s1, s0
	v_and_or_b32 v0, v0, 64, v6
	v_writelane_b32 v99, s34, 21
	v_or_b32_e32 v75, 32, v64
	v_ashrrev_i32_e32 v35, 31, v34
	v_ashrrev_i32_e32 v37, 31, v36
	;; [unrolled: 1-line block ×6, first 2 shown]
	v_sub_u32_e32 v82, 32, v5
	v_ashrrev_i32_e32 v47, 31, v46
	v_ashrrev_i32_e32 v49, 31, v48
	;; [unrolled: 1-line block ×3, first 2 shown]
	v_mov_b32_e32 v51, v33
	v_mul_lo_u32 v85, s18, v64
	s_add_i32 s36, s1, s0
	v_lshlrev_b32_e32 v32, 1, v2
	v_lshlrev_b32_e32 v87, 2, v0
	v_mov_b32_e32 v88, v56
	v_writelane_b32 v99, s35, 22
	v_writelane_b32 v99, s36, 23
	s_branch .LBB269_7
.LBB269_4:                              ;   in Loop: Header=BB269_7 Depth=1
	s_or_b64 exec, exec, s[4:5]
.LBB269_5:                              ;   in Loop: Header=BB269_7 Depth=1
	s_or_b64 exec, exec, s[2:3]
	v_subrev_u32_e32 v88, s98, v88
.LBB269_6:                              ;   in Loop: Header=BB269_7 Depth=1
	s_or_b64 exec, exec, s[0:1]
	s_add_i32 s33, s33, 1
	v_cmp_ge_i32_e32 vcc, s33, v62
	s_cbranch_vccnz .LBB269_51
.LBB269_7:                              ; =>This Loop Header: Depth=1
                                        ;     Child Loop BB269_13 Depth 2
                                        ;       Child Loop BB269_15 Depth 3
                                        ;       Child Loop BB269_18 Depth 3
                                        ;       Child Loop BB269_21 Depth 3
                                        ;     Child Loop BB269_38 Depth 2
                                        ;       Child Loop BB269_40 Depth 3
                                        ;     Child Loop BB269_48 Depth 2
                                        ;       Child Loop BB269_50 Depth 3
	s_abs_i32 s1, s33
	s_mul_hi_u32 s2, s1, s34
	s_mul_i32 s3, s2, s20
	s_ashr_i32 s0, s33, 31
	s_sub_i32 s1, s1, s3
	s_xor_b32 s0, s0, s31
	s_add_i32 s3, s2, 1
	s_sub_i32 s4, s1, s20
	s_cmp_ge_u32 s1, s20
	s_cselect_b32 s2, s3, s2
	s_cselect_b32 s1, s4, s1
	s_add_i32 s3, s2, 1
	s_cmp_ge_u32 s1, s20
	s_cselect_b32 s1, s3, s2
	s_xor_b32 s1, s1, s0
	s_sub_i32 s0, s1, s0
	s_abs_i32 s2, s0
	s_mul_i32 s1, s0, s11
	s_mul_hi_u32 s3, s2, s36
	s_sub_i32 s1, s33, s1
	s_mul_i32 s4, s3, s99
	s_mul_i32 s52, s1, 0x60
	s_ashr_i32 s1, s0, 31
	s_sub_i32 s2, s2, s4
	s_xor_b32 s1, s1, s35
	s_add_i32 s4, s3, 1
	s_sub_i32 s5, s2, s99
	s_cmp_ge_u32 s2, s99
	s_cselect_b32 s3, s4, s3
	s_cselect_b32 s2, s5, s2
	s_add_i32 s4, s3, 1
	s_cmp_ge_u32 s2, s99
	s_cselect_b32 s2, s4, s3
	s_xor_b32 s2, s2, s1
	s_sub_i32 s1, s2, s1
	s_mul_i32 s2, s1, s13
	s_lshl_b32 s37, s2, 6
	s_cmp_eq_u32 s1, s26
	s_cselect_b32 s98, s27, s13
	s_sub_i32 s2, s52, s16
	s_add_i32 s53, s2, 0x60
	s_and_saveexec_b64 s[2:3], s[24:25]
	s_xor_b64 s[38:39], exec, s[2:3]
	s_cbranch_execz .LBB269_44
; %bb.8:                                ;   in Loop: Header=BB269_7 Depth=1
	s_mul_i32 s1, s1, s12
	s_sub_i32 s0, s0, s1
	s_lshl_b32 s0, s0, 6
	s_sub_i32 s90, s0, s17
	s_add_i32 s90, s90, 64
	s_max_i32 s1, s90, 0
	s_sub_i32 s54, s0, s1
	s_and_saveexec_b64 s[0:1], s[14:15]
	s_xor_b64 s[4:5], exec, s[0:1]
	s_cbranch_execz .LBB269_34
; %bb.9:                                ;   in Loop: Header=BB269_7 Depth=1
	s_and_saveexec_b64 s[2:3], s[28:29]
	s_cbranch_execz .LBB269_33
; %bb.10:                               ;   in Loop: Header=BB269_7 Depth=1
	global_load_dword v89, v33, s[50:51]
	v_writelane_b32 v99, s2, 24
	v_mov_b32_e32 v31, 0
	v_cmp_gt_i32_e32 vcc, s98, v88
	v_writelane_b32 v99, s3, 25
	v_writelane_b32 v99, s4, 26
	v_mov_b32_e32 v30, v31
	v_mov_b32_e32 v29, v31
	;; [unrolled: 1-line block ×12, first 2 shown]
	s_waitcnt lgkmcnt(1)
	v_mov_b32_e32 v18, v31
	v_mov_b32_e32 v17, v31
	;; [unrolled: 1-line block ×19, first 2 shown]
	v_writelane_b32 v99, s5, 27
	s_and_saveexec_b64 s[0:1], vcc
	s_cbranch_execz .LBB269_23
; %bb.11:                               ;   in Loop: Header=BB269_7 Depth=1
	v_mov_b32_e32 v0, 0
	s_mov_b64 s[2:3], 0
	v_mov_b32_e32 v1, v0
	v_mov_b32_e32 v2, v0
	;; [unrolled: 1-line block ×31, first 2 shown]
	s_branch .LBB269_13
.LBB269_12:                             ;   in Loop: Header=BB269_13 Depth=2
	s_or_b64 exec, exec, s[4:5]
	v_add_u32_e32 v96, 0x800, v93
	ds_read2_b32 v[94:95], v96 offset1:32
	v_add_u32_e32 v88, s23, v88
	s_waitcnt lgkmcnt(0)
	v_mfma_f32_32x32x16_fp8_fp8 v[0:15], v[60:61], v[94:95], v[0:15]
	ds_read2_b32 v[60:61], v96 offset0:128 offset1:160
	s_waitcnt lgkmcnt(0)
	v_mfma_f32_32x32x16_fp8_fp8 v[0:15], v[58:59], v[60:61], v[0:15]
	v_add_u32_e32 v60, 0xc00, v93
	ds_read2_b32 v[58:59], v60 offset1:32
	ds_read2_b32 v[60:61], v60 offset0:128 offset1:160
	ds_write_b32 v91, v92 offset:51212
	s_waitcnt lgkmcnt(2)
	v_mfma_f32_32x32x16_fp8_fp8 v[0:15], v[56:57], v[58:59], v[0:15]
	v_add_u32_e32 v56, s23, v90
	v_add_u32_e32 v57, 2, v63
	v_cmp_lt_i32_e32 vcc, 4, v56
	s_nop 1
	v_cndmask_b32_e32 v63, v63, v57, vcc
	v_cmp_le_i32_e32 vcc, s98, v88
	s_waitcnt lgkmcnt(1)
	v_mfma_f32_32x32x16_fp8_fp8 v[0:15], v[54:55], v[60:61], v[0:15]
	s_or_b64 s[2:3], vcc, s[2:3]
	s_andn2_b64 exec, exec, s[2:3]
	s_cbranch_execz .LBB269_22
.LBB269_13:                             ;   Parent Loop BB269_7 Depth=1
                                        ; =>  This Loop Header: Depth=2
                                        ;       Child Loop BB269_15 Depth 3
                                        ;       Child Loop BB269_18 Depth 3
	;; [unrolled: 1-line block ×3, first 2 shown]
	v_cmp_gt_i32_e32 vcc, 5, v56
	s_nop 1
	v_cndmask_b32_e64 v54, -5, 0, vcc
	v_add_u32_e32 v90, v54, v56
	v_lshlrev_b32_e32 v91, 4, v90
	ds_read_b32 v54, v91 offset:51200
	s_waitcnt lgkmcnt(0)
	v_cmp_ne_u32_e32 vcc, v54, v63
	s_and_saveexec_b64 s[4:5], vcc
	s_cbranch_execz .LBB269_16
; %bb.14:                               ;   in Loop: Header=BB269_13 Depth=2
	s_mov_b64 s[6:7], 0
.LBB269_15:                             ;   Parent Loop BB269_7 Depth=1
                                        ;     Parent Loop BB269_13 Depth=2
                                        ; =>    This Inner Loop Header: Depth=3
	;;#ASMSTART
	s_sleep 0
	;;#ASMEND
	ds_read_b32 v54, v91 offset:51200
	s_waitcnt lgkmcnt(0)
	v_cmp_eq_u32_e32 vcc, v54, v63
	s_or_b64 s[6:7], vcc, s[6:7]
	s_andn2_b64 exec, exec, s[6:7]
	s_cbranch_execnz .LBB269_15
.LBB269_16:                             ;   in Loop: Header=BB269_13 Depth=2
	s_or_b64 exec, exec, s[4:5]
	v_lshl_or_b32 v54, v90, 11, v65
	ds_read2_b32 v[60:61], v54 offset1:32
	ds_read2_b32 v[58:59], v54 offset0:128 offset1:160
	v_add_u32_e32 v54, 0x400, v54
	ds_read2_b32 v[56:57], v54 offset1:32
	ds_read_b32 v93, v91 offset:51204
	ds_read2_b32 v[54:55], v54 offset0:128 offset1:160
	v_add_u32_e32 v92, 1, v63
	ds_write_b32 v91, v92 offset:51200
	s_waitcnt lgkmcnt(2)
	v_cmp_ne_u32_e32 vcc, v93, v63
	s_and_saveexec_b64 s[4:5], vcc
	s_cbranch_execz .LBB269_19
; %bb.17:                               ;   in Loop: Header=BB269_13 Depth=2
	s_mov_b64 s[6:7], 0
.LBB269_18:                             ;   Parent Loop BB269_7 Depth=1
                                        ;     Parent Loop BB269_13 Depth=2
                                        ; =>    This Inner Loop Header: Depth=3
	;;#ASMSTART
	s_sleep 0
	;;#ASMEND
	ds_read_b32 v93, v91 offset:51204
	s_waitcnt lgkmcnt(0)
	v_cmp_eq_u32_e32 vcc, v93, v63
	s_or_b64 s[6:7], vcc, s[6:7]
	s_andn2_b64 exec, exec, s[6:7]
	s_cbranch_execnz .LBB269_18
.LBB269_19:                             ;   in Loop: Header=BB269_13 Depth=2
	s_or_b64 exec, exec, s[4:5]
	v_lshlrev_b32_e32 v93, 12, v90
	v_add_u32_e32 v93, v66, v93
	ds_read2_b32 v[94:95], v93 offset1:32
	v_add_u32_e32 v96, 0x400, v93
	ds_write_b32 v91, v92 offset:51204
	s_waitcnt lgkmcnt(1)
	v_mfma_f32_32x32x16_fp8_fp8 v[16:31], v[60:61], v[94:95], v[16:31]
	ds_read2_b32 v[94:95], v93 offset0:128 offset1:160
	s_waitcnt lgkmcnt(0)
	v_mfma_f32_32x32x16_fp8_fp8 v[16:31], v[58:59], v[94:95], v[16:31]
	ds_read2_b32 v[94:95], v96 offset1:32
	s_waitcnt lgkmcnt(0)
	v_mfma_f32_32x32x16_fp8_fp8 v[16:31], v[56:57], v[94:95], v[16:31]
	ds_read2_b32 v[94:95], v96 offset0:128 offset1:160
	ds_read_b32 v96, v91 offset:51212
	s_waitcnt lgkmcnt(0)
	v_cmp_ne_u32_e32 vcc, v96, v63
	v_mfma_f32_32x32x16_fp8_fp8 v[16:31], v[54:55], v[94:95], v[16:31]
	s_and_saveexec_b64 s[4:5], vcc
	s_cbranch_execz .LBB269_12
; %bb.20:                               ;   in Loop: Header=BB269_13 Depth=2
	s_mov_b64 s[6:7], 0
.LBB269_21:                             ;   Parent Loop BB269_7 Depth=1
                                        ;     Parent Loop BB269_13 Depth=2
                                        ; =>    This Inner Loop Header: Depth=3
	;;#ASMSTART
	s_sleep 0
	;;#ASMEND
	ds_read_b32 v94, v91 offset:51212
	s_waitcnt lgkmcnt(0)
	v_cmp_eq_u32_e32 vcc, v94, v63
	s_or_b64 s[6:7], vcc, s[6:7]
	s_andn2_b64 exec, exec, s[6:7]
	s_cbranch_execnz .LBB269_21
	s_branch .LBB269_12
.LBB269_22:                             ;   in Loop: Header=BB269_7 Depth=1
	s_or_b64 exec, exec, s[2:3]
.LBB269_23:                             ;   in Loop: Header=BB269_7 Depth=1
	v_writelane_b32 v99, s54, 28
	s_nop 1
	v_writelane_b32 v99, s55, 29
	v_writelane_b32 v99, s38, 30
	s_nop 1
	v_writelane_b32 v99, s39, 31
	v_writelane_b32 v99, s53, 32
	;; [unrolled: 1-line block ×4, first 2 shown]
	s_or_b64 exec, exec, s[0:1]
	v_cmp_le_i32_e32 vcc, s90, v64
	v_cmp_eq_u32_e64 s[86:87], 1, v67
	v_cmp_eq_u32_e64 s[50:51], 2, v67
	s_waitcnt vmcnt(0)
	v_cndmask_b32_e32 v54, 0, v89, vcc
	v_pk_mul_f32 v[16:17], v[54:55], v[16:17] op_sel_hi:[0,1]
	v_pk_mul_f32 v[30:31], v[54:55], v[30:31] op_sel_hi:[0,1]
	;; [unrolled: 1-line block ×8, first 2 shown]
	v_cndmask_b32_e64 v54, v16, v17, s[86:87]
	v_cndmask_b32_e64 v54, v54, v18, s[50:51]
	v_cmp_eq_u32_e64 s[54:55], 3, v67
	v_cmp_eq_u32_e64 s[56:57], 4, v67
	v_cmp_eq_u32_e64 s[60:61], 5, v67
	v_cndmask_b32_e64 v54, v54, v19, s[54:55]
	v_cndmask_b32_e64 v54, v54, v20, s[56:57]
	v_cndmask_b32_e64 v54, v54, v21, s[60:61]
	v_cmp_eq_u32_e64 s[64:65], 6, v67
	v_cmp_eq_u32_e64 s[68:69], 7, v67
	v_cmp_eq_u32_e64 s[72:73], 8, v67
	v_cndmask_b32_e64 v54, v54, v22, s[64:65]
	;; [unrolled: 6-line block ×5, first 2 shown]
	ds_bpermute_b32 v54, v87, v54
	v_cmp_eq_u32_e64 s[26:27], 2, v68
	v_cmp_eq_u32_e64 s[28:29], 3, v68
	;; [unrolled: 1-line block ×4, first 2 shown]
	s_waitcnt lgkmcnt(0)
	v_cndmask_b32_e64 v17, v17, v54, s[86:87]
	v_cndmask_b32_e64 v16, v16, v54, s[70:71]
	;; [unrolled: 1-line block ×12, first 2 shown]
	v_cmp_eq_u32_e64 s[36:37], 6, v68
	v_cndmask_b32_e64 v57, v23, v54, s[68:69]
	v_cmp_eq_u32_e64 s[38:39], 7, v68
	v_cndmask_b32_e64 v18, v18, v58, s[36:37]
	v_cndmask_b32_e64 v55, v24, v54, s[72:73]
	v_cndmask_b32_e64 v18, v18, v57, s[38:39]
	v_cmp_eq_u32_e64 s[42:43], 8, v68
	v_cndmask_b32_e64 v25, v25, v54, s[76:77]
	v_cmp_eq_u32_e64 s[44:45], 9, v68
	v_cndmask_b32_e64 v18, v18, v55, s[42:43]
	v_cndmask_b32_e64 v26, v26, v54, s[78:79]
	v_cndmask_b32_e64 v18, v18, v25, s[44:45]
	;; [unrolled: 6-line block ×4, first 2 shown]
	v_cmp_eq_u32_e64 s[62:63], 14, v68
	v_cndmask_b32_e64 v31, v31, v54, s[88:89]
	v_cmp_eq_u32_e64 s[66:67], 15, v68
	v_cndmask_b32_e64 v18, v18, v30, s[62:63]
	v_cmp_le_i32_e64 s[90:91], s90, v75
	v_cndmask_b32_e64 v18, v18, v31, s[66:67]
	ds_bpermute_b32 v54, v87, v18
	v_cmp_eq_u32_e64 s[40:41], 0, v68
	v_cmp_eq_u32_e64 s[2:3], 1, v69
	;; [unrolled: 1-line block ×4, first 2 shown]
	s_waitcnt lgkmcnt(0)
	v_cndmask_b32_e64 v22, v27, v54, s[48:49]
	v_cndmask_b32_e64 v27, v58, v54, s[36:37]
	;; [unrolled: 1-line block ×3, first 2 shown]
	v_pk_mul_f32 v[0:1], v[58:59], v[0:1] op_sel_hi:[0,1]
	v_cndmask_b32_e64 v24, v25, v54, s[44:45]
	v_cndmask_b32_e64 v25, v55, v54, s[42:43]
	v_pk_mul_f32 v[2:3], v[58:59], v[2:3] op_sel_hi:[0,1]
	v_cndmask_b32_e64 v55, v0, v1, s[86:87]
	v_cndmask_b32_e64 v55, v55, v2, s[50:51]
	;; [unrolled: 3-line block ×6, first 2 shown]
	v_cndmask_b32_e64 v17, v17, v54, s[24:25]
	v_cndmask_b32_e64 v16, v16, v54, s[40:41]
	v_pk_mul_f32 v[12:13], v[58:59], v[12:13] op_sel_hi:[0,1]
	v_cndmask_b32_e64 v55, v55, v11, s[74:75]
	v_cndmask_b32_e64 v18, v31, v54, s[66:67]
	;; [unrolled: 1-line block ×14, first 2 shown]
	v_pk_mul_f32 v[14:15], v[58:59], v[14:15] op_sel_hi:[0,1]
	v_cndmask_b32_e64 v55, v55, v13, s[82:83]
	v_cndmask_b32_e64 v54, v54, v30, s[8:9]
	v_cmp_eq_u32_e64 s[10:11], 4, v69
	v_cndmask_b32_e64 v55, v55, v14, s[84:85]
	v_cmp_eq_u32_e64 s[12:13], 5, v69
	v_cndmask_b32_e64 v54, v54, v29, s[10:11]
	v_cndmask_b32_e64 v55, v55, v15, s[88:89]
	v_cndmask_b32_e64 v54, v54, v28, s[12:13]
	v_cmp_eq_u32_e64 s[14:15], 6, v69
	ds_bpermute_b32 v55, v87, v55
	v_cmp_eq_u32_e64 s[96:97], 7, v69
	v_cndmask_b32_e64 v54, v54, v27, s[14:15]
	v_cmp_eq_u32_e64 s[4:5], 8, v69
	v_cndmask_b32_e64 v54, v54, v26, s[96:97]
	v_cmp_eq_u32_e32 vcc, 9, v69
	v_cndmask_b32_e64 v54, v54, v25, s[4:5]
	v_cmp_eq_u32_e64 s[0:1], 10, v69
	v_cndmask_b32_e32 v54, v54, v24, vcc
	v_cmp_eq_u32_e64 s[86:87], 11, v69
	v_cndmask_b32_e64 v54, v54, v23, s[0:1]
	s_waitcnt lgkmcnt(0)
	v_cndmask_b32_e64 v2, v2, v55, s[50:51]
	v_cmp_ne_u32_e64 s[50:51], 0, v67
	v_cndmask_b32_e64 v54, v54, v22, s[86:87]
	v_cmp_eq_u32_e64 s[90:91], 12, v69
	v_cndmask_b32_e64 v1, v1, v55, s[50:51]
	v_cndmask_b32_e64 v0, v0, v55, s[70:71]
	v_cndmask_b32_e64 v54, v54, v21, s[90:91]
	v_cndmask_b32_e64 v15, v15, v55, s[88:89]
	v_cmp_eq_u32_e64 s[88:89], 13, v69
	v_cndmask_b32_e64 v14, v14, v55, s[84:85]
	v_cndmask_b32_e64 v13, v13, v55, s[82:83]
	;; [unrolled: 1-line block ×14, first 2 shown]
	v_cmp_eq_u32_e64 s[84:85], 14, v69
	v_cndmask_b32_e64 v55, v55, v2, s[26:27]
	v_cmp_eq_u32_e64 s[82:83], 15, v69
	v_cndmask_b32_e64 v54, v54, v19, s[84:85]
	v_cndmask_b32_e64 v55, v55, v3, s[28:29]
	;; [unrolled: 1-line block ×4, first 2 shown]
	ds_bpermute_b32 v54, v87, v54
	v_cndmask_b32_e64 v55, v55, v5, s[34:35]
	v_cndmask_b32_e64 v55, v55, v6, s[36:37]
	;; [unrolled: 1-line block ×4, first 2 shown]
	v_cmp_eq_u32_e64 s[80:81], 0, v69
	v_cndmask_b32_e64 v55, v55, v9, s[44:45]
	s_waitcnt lgkmcnt(0)
	v_cndmask_b32_e64 v17, v17, v54, s[2:3]
	v_cndmask_b32_e64 v16, v16, v54, s[80:81]
	v_cmp_eq_u32_e64 s[74:75], 1, v70
	v_cndmask_b32_e64 v55, v55, v10, s[46:47]
	v_cndmask_b32_e64 v18, v18, v54, s[82:83]
	;; [unrolled: 1-line block ×7, first 2 shown]
	v_cndmask_b32_e32 v24, v24, v54, vcc
	v_cndmask_b32_e64 v25, v25, v54, s[4:5]
	v_cndmask_b32_e64 v26, v26, v54, s[96:97]
	v_cndmask_b32_e64 v27, v27, v54, s[14:15]
	v_cndmask_b32_e64 v28, v28, v54, s[12:13]
	v_cndmask_b32_e64 v29, v29, v54, s[10:11]
	v_cndmask_b32_e64 v30, v30, v54, s[8:9]
	v_cndmask_b32_e64 v31, v31, v54, s[6:7]
	v_cndmask_b32_e64 v54, v16, v17, s[74:75]
	v_cmp_eq_u32_e64 s[78:79], 2, v70
	v_cndmask_b32_e64 v55, v55, v11, s[48:49]
	v_cmp_eq_u32_e64 s[76:77], 3, v70
	v_cndmask_b32_e64 v54, v54, v31, s[78:79]
	v_cndmask_b32_e64 v55, v55, v12, s[52:53]
	;; [unrolled: 1-line block ×3, first 2 shown]
	v_cmp_eq_u32_e64 s[72:73], 4, v70
	v_cndmask_b32_e64 v55, v55, v13, s[58:59]
	v_cmp_eq_u32_e64 s[68:69], 5, v70
	v_cndmask_b32_e64 v54, v54, v29, s[72:73]
	v_cndmask_b32_e64 v55, v55, v14, s[62:63]
	;; [unrolled: 1-line block ×3, first 2 shown]
	v_cmp_eq_u32_e64 s[64:65], 6, v70
	v_cndmask_b32_e64 v55, v55, v15, s[66:67]
	v_cmp_eq_u32_e64 s[60:61], 7, v70
	v_cndmask_b32_e64 v54, v54, v27, s[64:65]
	ds_bpermute_b32 v55, v87, v55
	v_cndmask_b32_e64 v54, v54, v26, s[60:61]
	v_cmp_eq_u32_e64 s[56:57], 8, v70
	v_cmp_eq_u32_e64 s[54:55], 9, v70
	;; [unrolled: 1-line block ×3, first 2 shown]
	v_cndmask_b32_e64 v54, v54, v25, s[56:57]
	v_cndmask_b32_e64 v54, v54, v24, s[54:55]
	;; [unrolled: 1-line block ×3, first 2 shown]
	v_cmp_eq_u32_e64 s[70:71], 11, v70
	s_waitcnt lgkmcnt(0)
	v_cndmask_b32_e64 v15, v15, v55, s[66:67]
	v_cmp_eq_u32_e64 s[66:67], 12, v70
	v_cndmask_b32_e64 v54, v54, v22, s[70:71]
	v_cndmask_b32_e64 v14, v14, v55, s[62:63]
	;; [unrolled: 1-line block ×3, first 2 shown]
	v_cmp_eq_u32_e64 s[62:63], 13, v70
	v_cndmask_b32_e64 v1, v1, v55, s[24:25]
	v_cndmask_b32_e64 v0, v0, v55, s[40:41]
	;; [unrolled: 1-line block ×4, first 2 shown]
	v_cmp_eq_u32_e64 s[92:93], 14, v70
	v_cndmask_b32_e64 v12, v12, v55, s[52:53]
	v_cndmask_b32_e64 v11, v11, v55, s[48:49]
	;; [unrolled: 1-line block ×13, first 2 shown]
	v_cmp_eq_u32_e64 s[94:95], 15, v70
	v_cndmask_b32_e64 v55, v55, v2, s[6:7]
	v_cndmask_b32_e64 v55, v55, v3, s[8:9]
	v_cndmask_b32_e64 v54, v54, v18, s[94:95]
	ds_bpermute_b32 v54, v87, v54
	v_cndmask_b32_e64 v55, v55, v4, s[10:11]
	v_cndmask_b32_e64 v55, v55, v5, s[12:13]
	v_cndmask_b32_e64 v55, v55, v6, s[14:15]
	v_cndmask_b32_e64 v55, v55, v7, s[96:97]
	v_cmp_eq_u32_e64 s[48:49], 0, v70
	v_cndmask_b32_e64 v55, v55, v8, s[4:5]
	s_waitcnt lgkmcnt(0)
	v_cndmask_b32_e64 v17, v17, v54, s[74:75]
	v_cndmask_b32_e64 v16, v16, v54, s[48:49]
	v_cmp_eq_u32_e64 s[46:47], 1, v71
	v_cndmask_b32_e32 v55, v55, v9, vcc
	v_cndmask_b32_e64 v18, v18, v54, s[94:95]
	v_cndmask_b32_e64 v19, v19, v54, s[92:93]
	;; [unrolled: 1-line block ×15, first 2 shown]
	v_cmp_eq_u32_e64 s[44:45], 2, v71
	v_cndmask_b32_e64 v55, v55, v10, s[0:1]
	v_cmp_eq_u32_e64 s[42:43], 3, v71
	v_cndmask_b32_e64 v54, v54, v31, s[44:45]
	v_cndmask_b32_e64 v55, v55, v11, s[86:87]
	v_cndmask_b32_e64 v54, v54, v30, s[42:43]
	v_cmp_eq_u32_e64 s[38:39], 4, v71
	v_cndmask_b32_e64 v55, v55, v12, s[90:91]
	v_cmp_eq_u32_e64 s[36:37], 5, v71
	v_cndmask_b32_e64 v54, v54, v29, s[38:39]
	v_cndmask_b32_e64 v55, v55, v13, s[88:89]
	v_cndmask_b32_e64 v54, v54, v28, s[36:37]
	;; [unrolled: 6-line block ×3, first 2 shown]
	v_cmp_eq_u32_e64 s[28:29], 8, v71
	ds_bpermute_b32 v55, v87, v55
	v_cmp_eq_u32_e64 s[26:27], 9, v71
	v_cndmask_b32_e64 v54, v54, v25, s[28:29]
	v_cmp_eq_u32_e64 s[24:25], 10, v71
	v_cndmask_b32_e64 v54, v54, v24, s[26:27]
	;; [unrolled: 2-line block ×4, first 2 shown]
	s_waitcnt lgkmcnt(0)
	v_cndmask_b32_e64 v15, v15, v55, s[82:83]
	v_cndmask_b32_e64 v54, v54, v21, s[58:59]
	v_cmp_eq_u32_e64 s[82:83], 13, v71
	v_cndmask_b32_e64 v14, v14, v55, s[84:85]
	v_cmp_eq_u32_e64 s[84:85], 14, v71
	v_cndmask_b32_e64 v54, v54, v20, s[82:83]
	v_cndmask_b32_e64 v1, v1, v55, s[2:3]
	v_cndmask_b32_e64 v0, v0, v55, s[80:81]
	v_cndmask_b32_e64 v13, v13, v55, s[88:89]
	v_cndmask_b32_e64 v54, v54, v19, s[84:85]
	v_cndmask_b32_e64 v12, v12, v55, s[90:91]
	v_cmp_eq_u32_e64 s[90:91], 15, v71
	v_cndmask_b32_e64 v11, v11, v55, s[86:87]
	v_cndmask_b32_e64 v10, v10, v55, s[0:1]
	v_cndmask_b32_e32 v9, v9, v55, vcc
	v_cndmask_b32_e64 v8, v8, v55, s[4:5]
	v_cndmask_b32_e64 v7, v7, v55, s[96:97]
	;; [unrolled: 1-line block ×10, first 2 shown]
	ds_bpermute_b32 v54, v87, v54
	v_cndmask_b32_e64 v55, v55, v3, s[76:77]
	v_cndmask_b32_e64 v55, v55, v4, s[72:73]
	;; [unrolled: 1-line block ×3, first 2 shown]
	v_cmp_eq_u32_e64 s[52:53], 0, v71
	v_cndmask_b32_e64 v55, v55, v6, s[64:65]
	v_cndmask_b32_e64 v55, v55, v7, s[60:61]
	v_writelane_b32 v99, s52, 35
	s_waitcnt lgkmcnt(0)
	v_cndmask_b32_e64 v17, v17, v54, s[46:47]
	v_cndmask_b32_e64 v55, v55, v8, s[56:57]
	v_writelane_b32 v99, s53, 36
	v_cndmask_b32_e64 v16, v16, v54, s[52:53]
	v_cmp_eq_u32_e64 s[52:53], 1, v72
	v_cndmask_b32_e64 v18, v18, v54, s[90:91]
	v_cndmask_b32_e64 v19, v19, v54, s[84:85]
	;; [unrolled: 1-line block ×15, first 2 shown]
	v_cmp_eq_u32_e64 s[0:1], 2, v72
	v_cndmask_b32_e64 v55, v55, v9, s[54:55]
	v_cmp_eq_u32_e64 s[4:5], 3, v72
	v_cndmask_b32_e64 v54, v54, v31, s[0:1]
	v_cndmask_b32_e64 v55, v55, v10, s[50:51]
	v_cndmask_b32_e64 v54, v54, v30, s[4:5]
	v_cmp_eq_u32_e64 s[96:97], 4, v72
	v_cndmask_b32_e64 v55, v55, v11, s[70:71]
	v_cmp_eq_u32_e64 s[14:15], 5, v72
	v_cndmask_b32_e64 v54, v54, v29, s[96:97]
	v_cndmask_b32_e64 v55, v55, v12, s[66:67]
	v_cndmask_b32_e64 v54, v54, v28, s[14:15]
	;; [unrolled: 6-line block ×3, first 2 shown]
	v_cmp_eq_u32_e64 s[8:9], 8, v72
	v_cndmask_b32_e64 v55, v55, v15, s[94:95]
	v_cmp_eq_u32_e64 s[6:7], 9, v72
	v_cndmask_b32_e64 v54, v54, v25, s[8:9]
	ds_bpermute_b32 v55, v87, v55
	v_cndmask_b32_e64 v54, v54, v24, s[6:7]
	v_cmp_eq_u32_e32 vcc, 10, v72
	v_cmp_eq_u32_e64 s[80:81], 11, v72
	v_cmp_eq_u32_e64 s[86:87], 12, v72
	v_cndmask_b32_e32 v54, v54, v23, vcc
	v_cndmask_b32_e64 v54, v54, v22, s[80:81]
	v_cndmask_b32_e64 v54, v54, v21, s[86:87]
	v_cmp_eq_u32_e64 s[88:89], 13, v72
	s_waitcnt lgkmcnt(0)
	v_cndmask_b32_e64 v13, v13, v55, s[62:63]
	v_cmp_eq_u32_e64 s[62:63], 14, v72
	v_cndmask_b32_e64 v54, v54, v20, s[88:89]
	v_cndmask_b32_e64 v12, v12, v55, s[66:67]
	;; [unrolled: 1-line block ×3, first 2 shown]
	v_cmp_eq_u32_e64 s[66:67], 15, v72
	v_cndmask_b32_e64 v57, v11, v55, s[70:71]
	v_cmp_eq_u32_e64 s[70:71], 0, v72
	v_cndmask_b32_e64 v54, v54, v18, s[66:67]
	ds_bpermute_b32 v54, v87, v54
	v_cndmask_b32_e64 v15, v15, v55, s[94:95]
	v_cndmask_b32_e64 v14, v14, v55, s[92:93]
	;; [unrolled: 1-line block ×4, first 2 shown]
	s_waitcnt lgkmcnt(0)
	v_cndmask_b32_e64 v18, v18, v54, s[66:67]
	v_cndmask_b32_e64 v19, v19, v54, s[62:63]
	;; [unrolled: 1-line block ×5, first 2 shown]
	v_cndmask_b32_e32 v23, v23, v54, vcc
	v_cndmask_b32_e64 v24, v24, v54, s[6:7]
	v_cndmask_b32_e64 v25, v25, v54, s[8:9]
	;; [unrolled: 1-line block ×28, first 2 shown]
	v_cmp_eq_u32_e64 s[50:51], 1, v73
	v_cndmask_b32_e64 v0, v0, v54, s[24:25]
	v_cmp_eq_u32_e64 s[54:55], 2, v73
	v_cndmask_b32_e64 v10, v16, v17, s[50:51]
	v_cndmask_b32_e64 v0, v0, v57, s[40:41]
	v_cndmask_b32_e64 v9, v10, v31, s[54:55]
	v_cmp_eq_u32_e64 s[56:57], 3, v73
	v_cndmask_b32_e64 v0, v0, v12, s[58:59]
	v_cmp_eq_u32_e64 s[60:61], 4, v73
	v_cndmask_b32_e64 v8, v9, v30, s[56:57]
	v_cndmask_b32_e64 v0, v0, v13, s[82:83]
	v_cndmask_b32_e64 v7, v8, v29, s[60:61]
	;; [unrolled: 6-line block ×3, first 2 shown]
	v_cmp_eq_u32_e64 s[72:73], 7, v73
	ds_bpermute_b32 v94, v87, v0
	v_cmp_eq_u32_e64 s[76:77], 8, v73
	v_cndmask_b32_e64 v4, v5, v26, s[72:73]
	v_cmp_eq_u32_e64 s[78:79], 9, v73
	v_cndmask_b32_e64 v3, v4, v25, s[76:77]
	v_cmp_eq_u32_e64 s[48:49], 10, v73
	v_cndmask_b32_e64 v2, v3, v24, s[78:79]
	v_cmp_eq_u32_e64 s[74:75], 11, v73
	v_cndmask_b32_e64 v0, v2, v23, s[48:49]
	s_waitcnt lgkmcnt(0)
	v_cndmask_b32_e64 v95, v15, v94, s[90:91]
	v_cndmask_b32_e64 v0, v0, v22, s[74:75]
	v_cmp_eq_u32_e64 s[90:91], 12, v73
	v_cndmask_b32_e64 v96, v14, v94, s[84:85]
	v_cmp_eq_u32_e64 s[84:85], 13, v73
	v_cndmask_b32_e64 v0, v0, v21, s[90:91]
	v_cndmask_b32_e64 v97, v13, v94, s[82:83]
	;; [unrolled: 1-line block ×3, first 2 shown]
	v_cmp_eq_u32_e64 s[82:83], 14, v73
	v_cndmask_b32_e64 v98, v12, v94, s[58:59]
	v_cmp_eq_u32_e64 s[58:59], 15, v73
	v_cndmask_b32_e64 v0, v0, v19, s[82:83]
	v_readlane_b32 s2, v99, 35
	v_cndmask_b32_e64 v0, v0, v18, s[58:59]
	ds_bpermute_b32 v1, v87, v0
	v_readlane_b32 s3, v99, 36
	s_waitcnt lgkmcnt(0)
	v_cndmask_b32_e64 v11, v27, v1, s[68:69]
	v_cndmask_b32_e64 v12, v28, v1, s[64:65]
	;; [unrolled: 1-line block ×4, first 2 shown]
	s_mov_b64 s[2:3], s[52:53]
	v_cndmask_b32_e64 v10, v26, v1, s[72:73]
	v_cndmask_b32_e64 v13, v29, v1, s[60:61]
	;; [unrolled: 1-line block ×25, first 2 shown]
	v_cmp_eq_u32_e64 s[40:41], 0, v73
	v_cndmask_b32_e64 v19, v58, v94, s[26:27]
	v_cndmask_b32_e64 v29, v29, v20, s[8:9]
	;; [unrolled: 1-line block ×8, first 2 shown]
	v_cndmask_b32_e32 v29, v29, v16, vcc
	v_cndmask_b32_e64 v29, v29, v17, s[80:81]
	v_cndmask_b32_e64 v29, v29, v98, s[86:87]
	;; [unrolled: 1-line block ×5, first 2 shown]
	ds_bpermute_b32 v29, v87, v29
	v_cmp_eq_u32_e64 s[24:25], 1, v74
	v_cmp_eq_u32_e64 s[26:27], 2, v74
	;; [unrolled: 1-line block ×3, first 2 shown]
	v_cndmask_b32_e64 v18, v1, v0, s[24:25]
	s_waitcnt lgkmcnt(0)
	v_cndmask_b32_e64 v92, v27, v29, s[2:3]
	v_cndmask_b32_e64 v93, v28, v29, s[70:71]
	;; [unrolled: 1-line block ×18, first 2 shown]
	v_cndmask_b32_e32 v16, v16, v29, vcc
	v_cndmask_b32_e64 v19, v19, v57, s[78:79]
	v_cndmask_b32_e64 v17, v17, v29, s[80:81]
	;; [unrolled: 1-line block ×12, first 2 shown]
	ds_bpermute_b32 v94, v87, v19
	v_cndmask_b32_e64 v18, v18, v15, s[26:27]
	v_cndmask_b32_e64 v18, v18, v14, s[28:29]
	v_cmp_eq_u32_e64 s[30:31], 4, v74
	v_cmp_eq_u32_e64 s[34:35], 5, v74
	s_waitcnt lgkmcnt(0)
	v_cndmask_b32_e64 v23, v17, v94, s[74:75]
	v_cndmask_b32_e64 v24, v16, v94, s[48:49]
	;; [unrolled: 1-line block ×18, first 2 shown]
	v_cmp_eq_u32_e64 s[36:37], 6, v74
	v_cndmask_b32_e64 v28, v60, v94, s[68:69]
	v_cndmask_b32_e64 v55, v55, v29, s[34:35]
	v_cndmask_b32_e64 v18, v18, v11, s[36:37]
	v_cmp_eq_u32_e64 s[38:39], 7, v74
	v_cndmask_b32_e64 v27, v59, v94, s[72:73]
	v_cndmask_b32_e64 v55, v55, v28, s[36:37]
	v_cndmask_b32_e64 v18, v18, v10, s[38:39]
	;; [unrolled: 4-line block ×4, first 2 shown]
	v_cmp_eq_u32_e64 s[46:47], 10, v74
	v_cndmask_b32_e64 v55, v55, v25, s[44:45]
	v_cmp_eq_u32_e64 s[52:53], 11, v74
	v_cndmask_b32_e64 v18, v18, v7, s[46:47]
	v_cndmask_b32_e64 v55, v55, v24, s[46:47]
	;; [unrolled: 1-line block ×3, first 2 shown]
	v_cmp_eq_u32_e64 s[66:67], 12, v74
	v_cndmask_b32_e64 v55, v55, v23, s[52:53]
	v_cmp_eq_u32_e64 s[62:63], 13, v74
	v_cndmask_b32_e64 v18, v18, v5, s[66:67]
	v_cndmask_b32_e64 v55, v55, v22, s[66:67]
	;; [unrolled: 1-line block ×3, first 2 shown]
	v_cmp_eq_u32_e32 vcc, 14, v74
	v_cndmask_b32_e64 v55, v55, v21, s[62:63]
	v_cmp_eq_u32_e64 s[6:7], 15, v74
	v_cndmask_b32_e32 v18, v18, v3, vcc
	v_cndmask_b32_e32 v55, v55, v20, vcc
	v_cndmask_b32_e64 v18, v18, v2, s[6:7]
	v_cndmask_b32_e64 v55, v55, v19, s[6:7]
	ds_bpermute_b32 v18, v87, v18
	ds_bpermute_b32 v58, v87, v55
	v_readlane_b32 s53, v99, 32
	s_nop 1
	v_cmp_lt_i32_e32 vcc, s53, v76
	s_and_saveexec_b64 s[40:41], vcc
	v_readlane_b32 s44, v99, 2
	v_readlane_b32 s45, v99, 3
	v_readlane_b32 s46, v99, 4
	v_readlane_b32 s47, v99, 5
	v_readlane_b32 s48, v99, 6
	v_readlane_b32 s49, v99, 7
	v_readlane_b32 s50, v99, 8
	v_readlane_b32 s51, v99, 9
	v_readlane_b32 s52, v99, 34
	v_readlane_b32 s54, v99, 28
	v_readlane_b32 s55, v99, 29
	s_cbranch_execz .LBB269_32
; %bb.24:                               ;   in Loop: Header=BB269_7 Depth=1
	s_mul_i32 s0, s52, s17
	s_ashr_i32 s1, s0, 31
	s_lshl_b64 s[0:1], s[0:1], 1
	s_add_u32 s2, s48, s0
	v_cmp_eq_u32_e64 s[34:35], 1, v74
	v_cmp_eq_u32_e64 s[36:37], 0, v74
	s_addc_u32 s3, s49, s1
	s_ashr_i32 s55, s54, 31
	s_waitcnt lgkmcnt(1)
	v_cndmask_b32_e64 v55, v0, v18, s[34:35]
	v_cndmask_b32_e64 v57, v1, v18, s[36:37]
	s_lshl_b64 s[0:1], s[54:55], 1
	s_waitcnt lgkmcnt(0)
	v_cndmask_b32_e64 v59, v16, v58, s[34:35]
	v_cndmask_b32_e64 v60, v17, v58, s[36:37]
	v_cvt_f16_f32_e32 v57, v57
	v_cvt_f16_f32_sdwa v55, v55 dst_sel:WORD_1 dst_unused:UNUSED_PAD src0_sel:DWORD
	s_add_u32 s42, s2, s0
	v_cvt_f16_f32_e32 v60, v60
	v_cvt_f16_f32_sdwa v59, v59 dst_sel:WORD_1 dst_unused:UNUSED_PAD src0_sel:DWORD
	s_addc_u32 s43, s3, s1
	v_lshl_add_u64 v[0:1], s[42:43], 0, v[32:33]
	v_cmp_eq_u32_e32 vcc, 15, v74
	v_cmp_eq_u32_e64 s[6:7], 14, v74
	v_cmp_eq_u32_e64 s[8:9], 13, v74
	;; [unrolled: 1-line block ×13, first 2 shown]
	v_lshl_add_u64 v[16:17], v[34:35], 1, v[0:1]
	v_or_b32_e32 v55, v55, v57
	v_cmp_lt_i32_e64 s[34:35], s53, v77
	;;#ASMSTART
	global_atomic_pk_add_f16 v[16:17], v55, off
	
	;;#ASMEND
	v_lshl_add_u64 v[16:17], v[16:17], 0, 64
	v_or_b32_e32 v55, v59, v60
	;;#ASMSTART
	global_atomic_pk_add_f16 v[16:17], v55, off
	
	;;#ASMEND
	s_and_b64 exec, exec, s[34:35]
	s_cbranch_execz .LBB269_32
; %bb.25:                               ;   in Loop: Header=BB269_7 Depth=1
	v_cndmask_b32_e32 v2, v2, v18, vcc
	v_cndmask_b32_e64 v3, v3, v18, s[6:7]
	v_cndmask_b32_e64 v16, v4, v18, s[8:9]
	;; [unrolled: 1-line block ×19, first 2 shown]
	v_cvt_f16_f32_e32 v22, v18
	v_cvt_f16_f32_sdwa v23, v92 dst_sel:WORD_1 dst_unused:UNUSED_PAD src0_sel:DWORD
	v_cvt_f16_f32_e32 v21, v21
	v_cvt_f16_f32_sdwa v20, v20 dst_sel:WORD_1 dst_unused:UNUSED_PAD src0_sel:DWORD
	v_cndmask_b32_e32 v4, v19, v58, vcc
	v_cndmask_b32_e64 v9, v24, v58, s[14:15]
	v_cndmask_b32_e64 v10, v25, v58, s[0:1]
	;; [unrolled: 1-line block ×7, first 2 shown]
	v_lshl_add_u64 v[18:19], v[36:37], 1, v[0:1]
	v_cmp_lt_i32_e32 vcc, s53, v78
	v_or_b32_e32 v22, v23, v22
	;;#ASMSTART
	global_atomic_pk_add_f16 v[18:19], v22, off
	
	;;#ASMEND
	v_lshl_add_u64 v[18:19], v[18:19], 0, 64
	v_or_b32_e32 v20, v20, v21
	;;#ASMSTART
	global_atomic_pk_add_f16 v[18:19], v20, off
	
	;;#ASMEND
	s_and_b64 exec, exec, vcc
	s_cbranch_execz .LBB269_32
; %bb.26:                               ;   in Loop: Header=BB269_7 Depth=1
	v_cvt_f16_f32_e32 v20, v91
	v_cvt_f16_f32_sdwa v21, v90 dst_sel:WORD_1 dst_unused:UNUSED_PAD src0_sel:DWORD
	v_cvt_f16_f32_e32 v22, v15
	v_cvt_f16_f32_sdwa v23, v14 dst_sel:WORD_1 dst_unused:UNUSED_PAD src0_sel:DWORD
	v_lshl_add_u64 v[18:19], v[38:39], 1, v[0:1]
	v_or_b32_e32 v14, v21, v20
	v_cmp_lt_i32_e32 vcc, s53, v79
	;;#ASMSTART
	global_atomic_pk_add_f16 v[18:19], v14, off
	
	;;#ASMEND
	v_lshl_add_u64 v[14:15], v[18:19], 0, 64
	v_or_b32_e32 v18, v23, v22
	;;#ASMSTART
	global_atomic_pk_add_f16 v[14:15], v18, off
	
	;;#ASMEND
	s_and_b64 exec, exec, vcc
	s_cbranch_execz .LBB269_32
; %bb.27:                               ;   in Loop: Header=BB269_7 Depth=1
	v_cvt_f16_f32_e32 v18, v89
	v_cvt_f16_f32_sdwa v19, v61 dst_sel:WORD_1 dst_unused:UNUSED_PAD src0_sel:DWORD
	v_cvt_f16_f32_e32 v20, v13
	v_cvt_f16_f32_sdwa v21, v12 dst_sel:WORD_1 dst_unused:UNUSED_PAD src0_sel:DWORD
	v_lshl_add_u64 v[14:15], v[40:41], 1, v[0:1]
	v_or_b32_e32 v12, v19, v18
	v_cmp_lt_i32_e32 vcc, s53, v80
	;;#ASMSTART
	global_atomic_pk_add_f16 v[14:15], v12, off
	
	;;#ASMEND
	v_lshl_add_u64 v[12:13], v[14:15], 0, 64
	v_or_b32_e32 v14, v21, v20
	;;#ASMSTART
	global_atomic_pk_add_f16 v[12:13], v14, off
	
	;;#ASMEND
	s_and_b64 exec, exec, vcc
	s_cbranch_execz .LBB269_32
; %bb.28:                               ;   in Loop: Header=BB269_7 Depth=1
	v_cvt_f16_f32_e32 v14, v60
	v_cvt_f16_f32_sdwa v15, v59 dst_sel:WORD_1 dst_unused:UNUSED_PAD src0_sel:DWORD
	v_cvt_f16_f32_e32 v18, v11
	v_cvt_f16_f32_sdwa v19, v10 dst_sel:WORD_1 dst_unused:UNUSED_PAD src0_sel:DWORD
	v_lshl_add_u64 v[12:13], v[42:43], 1, v[0:1]
	v_or_b32_e32 v10, v15, v14
	v_cmp_lt_i32_e32 vcc, s53, v81
	;;#ASMSTART
	global_atomic_pk_add_f16 v[12:13], v10, off
	
	;;#ASMEND
	v_lshl_add_u64 v[10:11], v[12:13], 0, 64
	v_or_b32_e32 v12, v19, v18
	;;#ASMSTART
	global_atomic_pk_add_f16 v[10:11], v12, off
	
	;;#ASMEND
	s_and_b64 exec, exec, vcc
	s_cbranch_execz .LBB269_32
; %bb.29:                               ;   in Loop: Header=BB269_7 Depth=1
	v_cvt_f16_f32_e32 v12, v57
	v_cvt_f16_f32_sdwa v13, v55 dst_sel:WORD_1 dst_unused:UNUSED_PAD src0_sel:DWORD
	v_cvt_f16_f32_e32 v14, v9
	v_cvt_f16_f32_sdwa v15, v8 dst_sel:WORD_1 dst_unused:UNUSED_PAD src0_sel:DWORD
	v_lshl_add_u64 v[10:11], v[44:45], 1, v[0:1]
	v_or_b32_e32 v8, v13, v12
	v_cmp_lt_i32_e32 vcc, s53, v82
	;;#ASMSTART
	global_atomic_pk_add_f16 v[10:11], v8, off
	
	;;#ASMEND
	v_lshl_add_u64 v[8:9], v[10:11], 0, 64
	v_or_b32_e32 v10, v15, v14
	;;#ASMSTART
	global_atomic_pk_add_f16 v[8:9], v10, off
	
	;;#ASMEND
	s_and_b64 exec, exec, vcc
	s_cbranch_execz .LBB269_32
; %bb.30:                               ;   in Loop: Header=BB269_7 Depth=1
	v_cvt_f16_f32_e32 v10, v17
	v_cvt_f16_f32_sdwa v11, v16 dst_sel:WORD_1 dst_unused:UNUSED_PAD src0_sel:DWORD
	v_cvt_f16_f32_e32 v12, v7
	v_cvt_f16_f32_sdwa v13, v6 dst_sel:WORD_1 dst_unused:UNUSED_PAD src0_sel:DWORD
	v_lshl_add_u64 v[8:9], v[46:47], 1, v[0:1]
	v_or_b32_e32 v6, v11, v10
	v_cmp_lt_i32_e32 vcc, s53, v83
	;;#ASMSTART
	global_atomic_pk_add_f16 v[8:9], v6, off
	
	;;#ASMEND
	v_lshl_add_u64 v[6:7], v[8:9], 0, 64
	v_or_b32_e32 v8, v13, v12
	;;#ASMSTART
	global_atomic_pk_add_f16 v[6:7], v8, off
	
	;;#ASMEND
	s_and_b64 exec, exec, vcc
	s_cbranch_execz .LBB269_32
; %bb.31:                               ;   in Loop: Header=BB269_7 Depth=1
	v_cvt_f16_f32_e32 v3, v3
	v_cvt_f16_f32_sdwa v2, v2 dst_sel:WORD_1 dst_unused:UNUSED_PAD src0_sel:DWORD
	v_cvt_f16_f32_e32 v5, v5
	v_cvt_f16_f32_sdwa v4, v4 dst_sel:WORD_1 dst_unused:UNUSED_PAD src0_sel:DWORD
	v_lshl_add_u64 v[0:1], v[48:49], 1, v[0:1]
	v_or_b32_e32 v2, v2, v3
	;;#ASMSTART
	global_atomic_pk_add_f16 v[0:1], v2, off
	
	;;#ASMEND
	v_lshl_add_u64 v[0:1], v[0:1], 0, 64
	v_or_b32_e32 v2, v4, v5
	;;#ASMSTART
	global_atomic_pk_add_f16 v[0:1], v2, off
	
	;;#ASMEND
.LBB269_32:                             ;   in Loop: Header=BB269_7 Depth=1
	s_or_b64 exec, exec, s[40:41]
	v_readlane_b32 s14, v99, 10
	v_readlane_b32 s24, v99, 12
	;; [unrolled: 1-line block ×6, first 2 shown]
	v_subrev_u32_e32 v88, s98, v88
	v_readlane_b32 s11, v99, 0
	v_readlane_b32 s12, v99, 1
	v_readlane_b32 s15, v99, 11
	v_readlane_b32 s25, v99, 13
	v_readlane_b32 s13, v99, 14
	v_readlane_b32 s26, v99, 15
	v_readlane_b32 s27, v99, 16
	v_readlane_b32 s29, v99, 18
	v_readlane_b32 s30, v99, 19
	v_readlane_b32 s31, v99, 20
	v_readlane_b32 s34, v99, 21
	v_readlane_b32 s35, v99, 22
	v_readlane_b32 s36, v99, 23
	v_readlane_b32 s37, v99, 33
	v_readlane_b32 s39, v99, 31
	v_readlane_b32 s5, v99, 27
	v_readlane_b32 s3, v99, 25
.LBB269_33:                             ;   in Loop: Header=BB269_7 Depth=1
	s_or_b64 exec, exec, s[2:3]
.LBB269_34:                             ;   in Loop: Header=BB269_7 Depth=1
	s_andn2_saveexec_b64 s[0:1], s[4:5]
	s_cbranch_execz .LBB269_43
; %bb.35:                               ;   in Loop: Header=BB269_7 Depth=1
	s_lshl_b32 s10, s98, 1
	v_cmp_gt_i32_e32 vcc, s10, v88
	s_and_saveexec_b64 s[2:3], vcc
	s_cbranch_execz .LBB269_42
; %bb.36:                               ;   in Loop: Header=BB269_7 Depth=1
	s_mul_i32 s4, s54, s19
	s_ashr_i32 s5, s4, 31
	s_add_u32 s4, s46, s4
	s_addc_u32 s5, s47, s5
	s_ashr_i32 s6, s37, 31
	s_add_u32 s4, s4, s37
	s_addc_u32 s5, s5, s6
	v_lshl_add_u64 v[0:1], s[4:5], 0, v[52:53]
	v_lshl_add_u64 v[8:9], v[0:1], 0, v[50:51]
	s_mov_b64 s[4:5], 0
	s_branch .LBB269_38
.LBB269_37:                             ;   in Loop: Header=BB269_38 Depth=2
	s_or_b64 exec, exec, s[6:7]
	v_lshl_add_u32 v12, v10, 11, v84
	;;#ASMSTART
	s_waitcnt vmcnt(1)
	;;#ASMEND
	ds_write2_b32 v12, v4, v5 offset1:32
	ds_write2_b32 v12, v6, v7 offset0:64 offset1:96
	v_add_u32_e32 v4, 0x400, v12
	v_add_u32_e32 v88, s22, v88
	;;#ASMSTART
	s_waitcnt vmcnt(0)
	;;#ASMEND
	ds_write2_b32 v4, v0, v1 offset1:32
	ds_write2_b32 v4, v2, v3 offset0:64 offset1:96
	v_add_u32_e32 v0, 1, v63
	v_add_u32_e32 v56, s22, v10
	v_cmp_le_i32_e32 vcc, s10, v88
	ds_write_b32 v11, v0 offset:60
	v_add_u32_e32 v0, 2, v63
	s_or_b64 s[4:5], vcc, s[4:5]
	v_cmp_lt_i32_e32 vcc, 9, v56
	s_nop 1
	v_cndmask_b32_e32 v63, v63, v0, vcc
	s_andn2_b64 exec, exec, s[4:5]
	s_cbranch_execz .LBB269_41
.LBB269_38:                             ;   Parent Loop BB269_7 Depth=1
                                        ; =>  This Loop Header: Depth=2
                                        ;       Child Loop BB269_40 Depth 3
	v_cmp_gt_i32_e32 vcc, 10, v56
	s_nop 1
	v_cndmask_b32_e64 v0, -10, 0, vcc
	v_add_u32_e32 v10, v0, v56
	v_lshrrev_b32_e32 v0, 31, v88
	v_add_u32_e32 v0, v88, v0
	v_and_b32_e32 v1, -2, v0
	v_lshlrev_b32_e32 v0, 5, v0
	v_sub_u32_e32 v2, v88, v1
	v_and_b32_e32 v0, 0xffffffc0, v0
	v_ashrrev_i32_e32 v1, 31, v0
	v_mul_lo_u32 v2, s30, v2
	v_lshl_add_u64 v[0:1], v[8:9], 0, v[0:1]
	v_ashrrev_i32_e32 v3, 31, v2
	v_lshl_add_u64 v[0:1], v[0:1], 0, v[2:3]
	v_lshlrev_b32_e32 v11, 2, v10
	;;#ASMSTART
	global_load_dwordx4 v[4:7], v[0:1], off offset:0   sc0 sc1 nt  
	global_load_dwordx4 v[0:3], v[0:1], off offset:32  sc0 sc1 nt  
	
	;;#ASMEND
	ds_read_b32 v12, v11 offset:51260
	v_add_u32_e32 v11, 0xc800, v11
	s_waitcnt lgkmcnt(0)
	v_cmp_ne_u32_e32 vcc, v12, v63
	s_and_saveexec_b64 s[6:7], vcc
	s_cbranch_execz .LBB269_37
; %bb.39:                               ;   in Loop: Header=BB269_38 Depth=2
	s_mov_b64 s[8:9], 0
.LBB269_40:                             ;   Parent Loop BB269_7 Depth=1
                                        ;     Parent Loop BB269_38 Depth=2
                                        ; =>    This Inner Loop Header: Depth=3
	;;#ASMSTART
	s_sleep 0
	;;#ASMEND
	ds_read_b32 v12, v11 offset:60
	s_waitcnt lgkmcnt(0)
	v_cmp_eq_u32_e32 vcc, v12, v63
	s_or_b64 s[8:9], vcc, s[8:9]
	s_andn2_b64 exec, exec, s[8:9]
	s_cbranch_execnz .LBB269_40
	s_branch .LBB269_37
.LBB269_41:                             ;   in Loop: Header=BB269_7 Depth=1
	s_or_b64 exec, exec, s[4:5]
.LBB269_42:                             ;   in Loop: Header=BB269_7 Depth=1
	s_or_b64 exec, exec, s[2:3]
	v_subrev_u32_e32 v88, s10, v88
.LBB269_43:                             ;   in Loop: Header=BB269_7 Depth=1
	s_or_b64 exec, exec, s[0:1]
.LBB269_44:                             ;   in Loop: Header=BB269_7 Depth=1
	s_andn2_saveexec_b64 s[0:1], s[38:39]
	s_cbranch_execz .LBB269_6
; %bb.45:                               ;   in Loop: Header=BB269_7 Depth=1
	s_mul_i32 s98, s98, 3
	v_cmp_gt_i32_e32 vcc, s98, v88
	s_and_saveexec_b64 s[2:3], vcc
	s_cbranch_execz .LBB269_5
; %bb.46:                               ;   in Loop: Header=BB269_7 Depth=1
	s_mul_i32 s4, s52, s18
	s_max_i32 s6, s53, 0
	s_ashr_i32 s5, s4, 31
	s_add_u32 s4, s44, s4
	v_add_u32_e32 v2, s6, v64
	s_movk_i32 s6, 0x60
	s_addc_u32 s5, s45, s5
	s_ashr_i32 s7, s37, 31
	v_cmp_gt_u32_e32 vcc, s6, v2
	s_add_u32 s4, s4, s37
	s_addc_u32 s5, s5, s7
	v_cndmask_b32_e32 v0, 0, v85, vcc
	v_ashrrev_i32_e32 v1, 31, v0
	v_lshl_add_u64 v[0:1], s[4:5], 0, v[0:1]
	v_lshl_add_u64 v[8:9], v[0:1], 0, v[50:51]
	v_sub_u32_e32 v10, 0x5f, v2
	s_mov_b64 s[4:5], 0
	s_branch .LBB269_48
.LBB269_47:                             ;   in Loop: Header=BB269_48 Depth=2
	s_or_b64 exec, exec, s[6:7]
	v_lshl_or_b32 v13, v11, 11, v86
	;;#ASMSTART
	s_waitcnt vmcnt(1)
	;;#ASMEND
	ds_write2_b32 v13, v4, v5 offset1:32
	ds_write2_b32 v13, v6, v7 offset0:64 offset1:96
	v_add_u32_e32 v4, 0x400, v13
	v_add_u32_e32 v88, s21, v88
	;;#ASMSTART
	s_waitcnt vmcnt(0)
	;;#ASMEND
	ds_write2_b32 v4, v0, v1 offset1:32
	ds_write2_b32 v4, v2, v3 offset0:64 offset1:96
	v_add_u32_e32 v0, 1, v63
	v_add_u32_e32 v56, s21, v11
	v_cmp_le_i32_e32 vcc, s98, v88
	ds_write_b32 v12, v0
	v_add_u32_e32 v0, 2, v63
	s_or_b64 s[4:5], vcc, s[4:5]
	v_cmp_lt_i32_e32 vcc, 14, v56
	s_nop 1
	v_cndmask_b32_e32 v63, v63, v0, vcc
	s_andn2_b64 exec, exec, s[4:5]
	s_cbranch_execz .LBB269_4
.LBB269_48:                             ;   Parent Loop BB269_7 Depth=1
                                        ; =>  This Loop Header: Depth=2
                                        ;       Child Loop BB269_50 Depth 3
	v_cmp_gt_i32_e32 vcc, 15, v56
	s_mov_b32 s6, 0x55555556
	s_nop 0
	v_cndmask_b32_e64 v0, -15, 0, vcc
	v_add_u32_e32 v11, v0, v56
	v_mul_hi_i32 v0, v88, s6
	v_lshrrev_b32_e32 v1, 31, v0
	v_add_u32_e32 v0, v0, v1
	v_lshl_add_u32 v1, v0, 1, v0
	v_sub_u32_e32 v1, v88, v1
	v_lshlrev_b32_e32 v1, 5, v1
	v_cmp_le_i32_e32 vcc, v1, v10
	v_lshlrev_b32_e32 v0, 6, v0
	v_lshlrev_b32_e32 v12, 2, v11
	v_cndmask_b32_e32 v2, 0, v1, vcc
	v_ashrrev_i32_e32 v1, 31, v0
	v_mul_lo_u32 v2, v2, s18
	v_lshl_add_u64 v[0:1], v[8:9], 0, v[0:1]
	v_ashrrev_i32_e32 v3, 31, v2
	v_lshl_add_u64 v[0:1], v[0:1], 0, v[2:3]
	;;#ASMSTART
	global_load_dwordx4 v[4:7], v[0:1], off offset:0   
	global_load_dwordx4 v[0:3], v[0:1], off offset:32  
	
	;;#ASMEND
	ds_read_b32 v13, v12 offset:51200
	v_add_u32_e32 v12, 0xc800, v12
	s_waitcnt lgkmcnt(0)
	v_cmp_ne_u32_e32 vcc, v13, v63
	s_and_saveexec_b64 s[6:7], vcc
	s_cbranch_execz .LBB269_47
; %bb.49:                               ;   in Loop: Header=BB269_48 Depth=2
	s_mov_b64 s[8:9], 0
.LBB269_50:                             ;   Parent Loop BB269_7 Depth=1
                                        ;     Parent Loop BB269_48 Depth=2
                                        ; =>    This Inner Loop Header: Depth=3
	;;#ASMSTART
	s_sleep 0
	;;#ASMEND
	ds_read_b32 v13, v12
	s_waitcnt lgkmcnt(0)
	v_cmp_eq_u32_e32 vcc, v13, v63
	s_or_b64 s[8:9], vcc, s[8:9]
	s_andn2_b64 exec, exec, s[8:9]
	s_cbranch_execnz .LBB269_50
	s_branch .LBB269_47
.LBB269_51:
	s_endpgm
	.section	.rodata,"a",@progbits
	.p2align	6, 0x0
	.amdhsa_kernel _Z19_skinny_gemm_kernelILi3ELi2ELi5ELi32ELi4EEvPKhS1_P6__halfPKfiiiiiiii
		.amdhsa_group_segment_fixed_size 51300
		.amdhsa_private_segment_fixed_size 0
		.amdhsa_kernarg_size 64
		.amdhsa_user_sgpr_count 2
		.amdhsa_user_sgpr_dispatch_ptr 0
		.amdhsa_user_sgpr_queue_ptr 0
		.amdhsa_user_sgpr_kernarg_segment_ptr 1
		.amdhsa_user_sgpr_dispatch_id 0
		.amdhsa_user_sgpr_kernarg_preload_length 0
		.amdhsa_user_sgpr_kernarg_preload_offset 0
		.amdhsa_user_sgpr_private_segment_size 0
		.amdhsa_uses_dynamic_stack 0
		.amdhsa_enable_private_segment 0
		.amdhsa_system_sgpr_workgroup_id_x 1
		.amdhsa_system_sgpr_workgroup_id_y 0
		.amdhsa_system_sgpr_workgroup_id_z 0
		.amdhsa_system_sgpr_workgroup_info 0
		.amdhsa_system_vgpr_workitem_id 0
		.amdhsa_next_free_vgpr 100
		.amdhsa_next_free_sgpr 100
		.amdhsa_accum_offset 100
		.amdhsa_reserve_vcc 1
		.amdhsa_float_round_mode_32 0
		.amdhsa_float_round_mode_16_64 0
		.amdhsa_float_denorm_mode_32 3
		.amdhsa_float_denorm_mode_16_64 3
		.amdhsa_dx10_clamp 1
		.amdhsa_ieee_mode 1
		.amdhsa_fp16_overflow 0
		.amdhsa_tg_split 0
		.amdhsa_exception_fp_ieee_invalid_op 0
		.amdhsa_exception_fp_denorm_src 0
		.amdhsa_exception_fp_ieee_div_zero 0
		.amdhsa_exception_fp_ieee_overflow 0
		.amdhsa_exception_fp_ieee_underflow 0
		.amdhsa_exception_fp_ieee_inexact 0
		.amdhsa_exception_int_div_zero 0
	.end_amdhsa_kernel
	.section	.text._Z19_skinny_gemm_kernelILi3ELi2ELi5ELi32ELi4EEvPKhS1_P6__halfPKfiiiiiiii,"axG",@progbits,_Z19_skinny_gemm_kernelILi3ELi2ELi5ELi32ELi4EEvPKhS1_P6__halfPKfiiiiiiii,comdat
.Lfunc_end269:
	.size	_Z19_skinny_gemm_kernelILi3ELi2ELi5ELi32ELi4EEvPKhS1_P6__halfPKfiiiiiiii, .Lfunc_end269-_Z19_skinny_gemm_kernelILi3ELi2ELi5ELi32ELi4EEvPKhS1_P6__halfPKfiiiiiiii
                                        ; -- End function
	.set _Z19_skinny_gemm_kernelILi3ELi2ELi5ELi32ELi4EEvPKhS1_P6__halfPKfiiiiiiii.num_vgpr, 100
	.set _Z19_skinny_gemm_kernelILi3ELi2ELi5ELi32ELi4EEvPKhS1_P6__halfPKfiiiiiiii.num_agpr, 0
	.set _Z19_skinny_gemm_kernelILi3ELi2ELi5ELi32ELi4EEvPKhS1_P6__halfPKfiiiiiiii.numbered_sgpr, 100
	.set _Z19_skinny_gemm_kernelILi3ELi2ELi5ELi32ELi4EEvPKhS1_P6__halfPKfiiiiiiii.num_named_barrier, 0
	.set _Z19_skinny_gemm_kernelILi3ELi2ELi5ELi32ELi4EEvPKhS1_P6__halfPKfiiiiiiii.private_seg_size, 0
	.set _Z19_skinny_gemm_kernelILi3ELi2ELi5ELi32ELi4EEvPKhS1_P6__halfPKfiiiiiiii.uses_vcc, 1
	.set _Z19_skinny_gemm_kernelILi3ELi2ELi5ELi32ELi4EEvPKhS1_P6__halfPKfiiiiiiii.uses_flat_scratch, 0
	.set _Z19_skinny_gemm_kernelILi3ELi2ELi5ELi32ELi4EEvPKhS1_P6__halfPKfiiiiiiii.has_dyn_sized_stack, 0
	.set _Z19_skinny_gemm_kernelILi3ELi2ELi5ELi32ELi4EEvPKhS1_P6__halfPKfiiiiiiii.has_recursion, 0
	.set _Z19_skinny_gemm_kernelILi3ELi2ELi5ELi32ELi4EEvPKhS1_P6__halfPKfiiiiiiii.has_indirect_call, 0
	.section	.AMDGPU.csdata,"",@progbits
; Kernel info:
; codeLenInByte = 9680
; TotalNumSgprs: 106
; NumVgprs: 100
; NumAgprs: 0
; TotalNumVgprs: 100
; ScratchSize: 0
; MemoryBound: 0
; FloatMode: 240
; IeeeMode: 1
; LDSByteSize: 51300 bytes/workgroup (compile time only)
; SGPRBlocks: 13
; VGPRBlocks: 12
; NumSGPRsForWavesPerEU: 106
; NumVGPRsForWavesPerEU: 100
; AccumOffset: 100
; Occupancy: 4
; WaveLimiterHint : 0
; COMPUTE_PGM_RSRC2:SCRATCH_EN: 0
; COMPUTE_PGM_RSRC2:USER_SGPR: 2
; COMPUTE_PGM_RSRC2:TRAP_HANDLER: 0
; COMPUTE_PGM_RSRC2:TGID_X_EN: 1
; COMPUTE_PGM_RSRC2:TGID_Y_EN: 0
; COMPUTE_PGM_RSRC2:TGID_Z_EN: 0
; COMPUTE_PGM_RSRC2:TIDIG_COMP_CNT: 0
; COMPUTE_PGM_RSRC3_GFX90A:ACCUM_OFFSET: 24
; COMPUTE_PGM_RSRC3_GFX90A:TG_SPLIT: 0
	.section	.text._Z19_skinny_gemm_kernelILi3ELi2ELi6ELi16ELi4EEvPKhS1_P6__halfPKfiiiiiiii,"axG",@progbits,_Z19_skinny_gemm_kernelILi3ELi2ELi6ELi16ELi4EEvPKhS1_P6__halfPKfiiiiiiii,comdat
	.protected	_Z19_skinny_gemm_kernelILi3ELi2ELi6ELi16ELi4EEvPKhS1_P6__halfPKfiiiiiiii ; -- Begin function _Z19_skinny_gemm_kernelILi3ELi2ELi6ELi16ELi4EEvPKhS1_P6__halfPKfiiiiiiii
	.globl	_Z19_skinny_gemm_kernelILi3ELi2ELi6ELi16ELi4EEvPKhS1_P6__halfPKfiiiiiiii
	.p2align	8
	.type	_Z19_skinny_gemm_kernelILi3ELi2ELi6ELi16ELi4EEvPKhS1_P6__halfPKfiiiiiiii,@function
_Z19_skinny_gemm_kernelILi3ELi2ELi6ELi16ELi4EEvPKhS1_P6__halfPKfiiiiiiii: ; @_Z19_skinny_gemm_kernelILi3ELi2ELi6ELi16ELi4EEvPKhS1_P6__halfPKfiiiiiiii
; %bb.0:
	v_cmp_gt_u32_e32 vcc, 30, v0
	v_lshlrev_b32_e32 v1, 2, v0
	s_and_saveexec_b64 s[4:5], vcc
; %bb.1:
	v_mov_b32_e32 v2, 0
	ds_write_b32 v1, v2 offset:61440
; %bb.2:
	s_or_b64 exec, exec, s[4:5]
	s_load_dwordx8 s[16:23], s[0:1], 0x20
	s_waitcnt lgkmcnt(0)
	s_barrier
	s_add_i32 s3, s16, 47
	s_add_i32 s4, s17, 31
	s_mul_hi_i32 s3, s3, 0x2aaaaaab
	s_lshr_b32 s5, s3, 31
	s_ashr_i32 s33, s3, 3
	s_ashr_i32 s3, s4, 31
	s_lshr_b32 s3, s3, 27
	s_add_i32 s4, s4, s3
	s_add_i32 s33, s33, s5
	s_ashr_i32 s48, s4, 5
	s_mul_i32 s3, s48, s33
	s_mul_i32 s3, s3, s20
	s_add_i32 s4, s3, 0x12f
	s_mul_hi_i32 s4, s4, 0x6bca1af3
	s_lshr_b32 s5, s4, 31
	s_ashr_i32 s4, s4, 7
	s_add_i32 s4, s4, s5
	s_add_i32 s5, s2, 1
	s_mul_i32 s5, s4, s5
	v_cvt_f64_i32_e32 v[2:3], s3
	v_cvt_f64_u32_e32 v[4:5], s5
	v_min_f64 v[2:3], v[2:3], v[4:5]
	v_cvt_i32_f64_e32 v25, v[2:3]
	s_mul_i32 s49, s4, s2
	v_cmp_ge_i32_e32 vcc, s49, v25
	s_cbranch_vccnz .LBB270_55
; %bb.3:
	v_lshrrev_b32_e32 v2, 6, v0
	s_add_i32 s4, s22, s21
	s_load_dwordx8 s[24:31], s[0:1], 0x0
	v_cmp_le_i32_e64 s[0:1], s4, v2
	v_mov_b32_e32 v3, s21
	v_cmp_le_i32_e64 s[2:3], s21, v2
	v_mov_b32_e32 v4, s22
	v_cndmask_b32_e64 v4, 0, v4, s[0:1]
	v_cndmask_b32_e64 v3, 0, v3, s[2:3]
	s_abs_i32 s5, s20
	v_add_u32_e32 v3, v3, v4
	v_cvt_f32_u32_e32 v4, s5
	v_sub_u32_e32 v40, v2, v3
	s_ashr_i32 s6, s18, 31
	s_lshr_b32 s6, s6, 25
	v_rcp_iflag_f32_e32 v3, v4
	s_sub_i32 s9, 0, s5
	s_add_i32 s6, s18, s6
	s_ashr_i32 s6, s6, 7
	v_mul_f32_e32 v3, 0x4f7ffffe, v3
	v_cvt_u32_f32_e32 v3, v3
	s_abs_i32 s8, s6
	s_xor_b32 s7, s6, s20
	s_ashr_i32 s7, s7, 31
	v_readfirstlane_b32 s10, v3
	s_mul_i32 s9, s9, s10
	s_mul_hi_u32 s9, s10, s9
	s_add_i32 s10, s10, s9
	s_mul_hi_u32 s9, s8, s10
	s_mul_i32 s10, s9, s5
	s_sub_i32 s8, s8, s10
	s_add_i32 s10, s9, 1
	s_sub_i32 s11, s8, s5
	s_cmp_ge_u32 s8, s5
	s_cselect_b32 s9, s10, s9
	s_cselect_b32 s8, s11, s8
	s_add_i32 s10, s9, 1
	s_cmp_ge_u32 s8, s5
	s_cselect_b32 s5, s10, s9
	s_xor_b32 s5, s5, s7
	s_sub_i32 s50, s5, s7
	s_add_i32 s20, s20, -1
	s_mul_i32 s5, s50, s20
	s_add_i32 s4, s4, s23
	s_sub_i32 s51, s6, s5
	v_cmp_gt_i32_e64 s[4:5], s4, v2
	v_lshlrev_b32_e32 v2, 1, v0
	v_lshlrev_b32_e32 v3, 4, v0
	v_and_b32_e32 v1, 60, v1
	v_and_b32_e32 v2, 64, v2
	;; [unrolled: 1-line block ×3, first 2 shown]
	v_or3_b32 v67, v1, v2, v4
	v_and_b32_e32 v1, 1, v0
	v_lshrrev_b32_e32 v4, 2, v0
	s_abs_i32 s52, s33
	v_and_or_b32 v72, v4, 12, v1
	v_cvt_f32_u32_e32 v4, s52
	v_lshlrev_b32_e32 v2, 1, v1
	v_and_b32_e32 v24, 14, v0
	v_sub_u32_e32 v2, v0, v2
	v_bitop3_b32 v69, v0, 1, v0 bitop3:0xc
	v_bitop3_b32 v70, v0, 3, 1 bitop3:0x6c
	v_and_b32_e32 v32, 48, v3
	v_bfe_u32 v75, v0, 2, 4
	v_and_b32_e32 v1, 60, v0
	v_lshlrev_b32_e32 v3, 8, v0
	v_lshlrev_b32_e32 v0, 6, v0
	v_and_b32_e32 v3, 0x200, v3
	v_and_b32_e32 v0, 64, v0
	v_or3_b32 v76, v1, v3, v0
	v_rcp_iflag_f32_e32 v0, v4
	s_abs_i32 s54, s48
	v_cvt_f32_u32_e32 v1, s54
	v_mad_u64_u32 v[26:27], s[6:7], s17, v72, v[24:25]
	v_mul_f32_e32 v0, 0x4f7ffffe, v0
	v_cvt_u32_f32_e32 v0, v0
	v_rcp_iflag_f32_e32 v1, v1
	s_lshl_b32 s6, s17, 4
	v_add_u32_e32 v28, s6, v26
	v_readfirstlane_b32 s7, v0
	v_mul_f32_e32 v0, 0x4f7ffffe, v1
	v_cvt_u32_f32_e32 v0, v0
	v_add_u32_e32 v30, s6, v28
	s_sub_i32 s6, 0, s52
	s_mul_i32 s6, s6, s7
	s_mul_hi_u32 s6, s7, s6
	v_add_u32_e32 v2, 1, v2
	s_add_i32 s56, s7, s6
	s_sub_i32 s6, 0, s54
	v_readfirstlane_b32 s7, v0
	v_mbcnt_lo_u32_b32 v0, -1, 0
	v_and_b32_e32 v2, 63, v2
	s_mul_i32 s6, s6, s7
	v_mbcnt_hi_u32_b32 v0, -1, v0
	v_mul_lo_u32 v34, s19, v75
	s_mul_hi_u32 s6, s7, s6
	v_and_or_b32 v0, v0, 64, v2
	v_cndmask_b32_e64 v66, 0, 1, s[0:1]
	v_or_b32_e32 v68, 0x9000, v67
	s_ashr_i32 s35, s17, 31
	s_mov_b32 s34, s17
	v_or_b32_e32 v71, 16, v24
	v_ashrrev_i32_e32 v27, 31, v26
	v_or_b32_e32 v73, 16, v72
	v_ashrrev_i32_e32 v29, 31, v28
	;; [unrolled: 2-line block ×3, first 2 shown]
	v_ashrrev_i32_e32 v35, 31, v34
	v_mov_b32_e32 v33, 0
	v_or_b32_e32 v77, 0x9000, v76
	s_lshl_b32 s53, s19, 4
	v_mul_lo_u32 v78, s18, v75
	s_ashr_i32 s55, s33, 31
	s_ashr_i32 s57, s48, 31
	s_add_i32 s58, s7, s6
	s_movk_i32 s59, 0x1800
	s_mov_b32 s60, 0x55555556
	v_lshlrev_b32_e32 v79, 2, v0
	v_not_b32_e32 v80, 17
	v_mov_b32_e32 v81, v40
	s_branch .LBB270_7
.LBB270_4:                              ;   in Loop: Header=BB270_7 Depth=1
	s_or_b64 exec, exec, s[10:11]
.LBB270_5:                              ;   in Loop: Header=BB270_7 Depth=1
	s_or_b64 exec, exec, s[8:9]
	v_subrev_u32_e32 v81, s64, v81
.LBB270_6:                              ;   in Loop: Header=BB270_7 Depth=1
	s_or_b64 exec, exec, s[6:7]
	s_add_i32 s49, s49, 1
	v_cmp_ge_i32_e32 vcc, s49, v25
	s_cbranch_vccnz .LBB270_55
.LBB270_7:                              ; =>This Loop Header: Depth=1
                                        ;     Child Loop BB270_13 Depth 2
                                        ;       Child Loop BB270_15 Depth 3
                                        ;       Child Loop BB270_18 Depth 3
	;; [unrolled: 1-line block ×5, first 2 shown]
                                        ;     Child Loop BB270_42 Depth 2
                                        ;       Child Loop BB270_44 Depth 3
                                        ;     Child Loop BB270_52 Depth 2
                                        ;       Child Loop BB270_54 Depth 3
	s_abs_i32 s7, s49
	s_mul_hi_u32 s8, s7, s56
	s_mul_i32 s9, s8, s52
	s_ashr_i32 s6, s49, 31
	s_sub_i32 s7, s7, s9
	s_xor_b32 s6, s6, s55
	s_add_i32 s9, s8, 1
	s_sub_i32 s10, s7, s52
	s_cmp_ge_u32 s7, s52
	s_cselect_b32 s8, s9, s8
	s_cselect_b32 s7, s10, s7
	s_add_i32 s9, s8, 1
	s_cmp_ge_u32 s7, s52
	s_cselect_b32 s7, s9, s8
	s_xor_b32 s7, s7, s6
	s_sub_i32 s6, s7, s6
	s_abs_i32 s8, s6
	s_mul_hi_u32 s9, s8, s58
	s_mul_i32 s7, s6, s33
	s_mul_i32 s10, s9, s54
	s_sub_i32 s61, s49, s7
	s_ashr_i32 s7, s6, 31
	s_sub_i32 s8, s8, s10
	s_xor_b32 s7, s7, s57
	s_add_i32 s10, s9, 1
	s_sub_i32 s11, s8, s54
	s_cmp_ge_u32 s8, s54
	s_cselect_b32 s9, s10, s9
	s_cselect_b32 s8, s11, s8
	s_add_i32 s10, s9, 1
	s_cmp_ge_u32 s8, s54
	s_cselect_b32 s8, s10, s9
	s_xor_b32 s8, s8, s7
	s_sub_i32 s7, s8, s7
	s_mul_i32 s8, s7, s50
	s_lshl_b32 s62, s8, 7
	s_mul_i32 s61, s61, 48
	s_cmp_eq_u32 s7, s20
	s_cselect_b32 s64, s51, s50
	s_sub_i32 s8, s61, s16
	s_add_i32 s8, s8, 48
	s_max_i32 s63, s8, 0
	s_and_saveexec_b64 s[8:9], s[2:3]
	s_xor_b64 s[36:37], exec, s[8:9]
	s_cbranch_execz .LBB270_48
; %bb.8:                                ;   in Loop: Header=BB270_7 Depth=1
	s_mul_i32 s7, s7, s48
	s_sub_i32 s6, s6, s7
	s_lshl_b32 s6, s6, 5
	s_sub_i32 s14, s6, s17
	s_add_i32 s14, s14, 32
	s_max_i32 s7, s14, 0
	s_sub_i32 s38, s6, s7
	s_and_saveexec_b64 s[6:7], s[0:1]
	s_xor_b64 s[40:41], exec, s[6:7]
	s_cbranch_execz .LBB270_38
; %bb.9:                                ;   in Loop: Header=BB270_7 Depth=1
	s_and_saveexec_b64 s[42:43], s[4:5]
	s_cbranch_execz .LBB270_37
; %bb.10:                               ;   in Loop: Header=BB270_7 Depth=1
	s_waitcnt lgkmcnt(0)
	global_load_dword v82, v33, s[30:31]
	v_mov_b32_e32 v23, 0
	v_cmp_gt_i32_e32 vcc, s64, v81
	v_mov_b32_e32 v22, v23
	v_mov_b32_e32 v21, v23
	;; [unrolled: 1-line block ×23, first 2 shown]
	s_and_saveexec_b64 s[6:7], vcc
	s_cbranch_execz .LBB270_29
; %bb.11:                               ;   in Loop: Header=BB270_7 Depth=1
	v_mov_b32_e32 v0, 0
	s_mov_b64 s[8:9], 0
	v_mov_b32_e32 v1, v0
	v_mov_b32_e32 v2, v0
	;; [unrolled: 1-line block ×23, first 2 shown]
	s_branch .LBB270_13
.LBB270_12:                             ;   in Loop: Header=BB270_13 Depth=2
	s_or_b64 exec, exec, s[10:11]
	v_add_u32_e32 v42, 0x800, v85
	ds_read2_b32 v[40:41], v42 offset1:32
	v_add_u32_e32 v44, 0xc00, v85
	v_add_u32_e32 v81, s23, v81
	s_waitcnt lgkmcnt(0)
	v_mfma_f32_16x16x32_fp8_fp8 v[16:19], v[36:37], v[40:41], v[16:19]
	ds_read2_b32 v[36:37], v42 offset0:128 offset1:160
	ds_read2_b32 v[42:43], v44 offset1:32
	ds_read2_b32 v[44:45], v44 offset0:128 offset1:160
	v_mfma_f32_16x16x32_fp8_fp8 v[8:11], v[52:53], v[40:41], v[8:11]
	;;#ASMSTART
	s_waitcnt lgkmcnt(0)
	;;#ASMEND
	ds_write_b32 v84, v86 offset:61516
	v_mfma_f32_16x16x32_fp8_fp8 v[0:3], v[60:61], v[40:41], v[0:3]
	v_add_u32_e32 v40, s23, v83
	v_cmp_lt_i32_e32 vcc, 5, v40
	s_waitcnt lgkmcnt(3)
	v_mfma_f32_16x16x32_fp8_fp8 v[16:19], v[46:47], v[36:37], v[16:19]
	v_mfma_f32_16x16x32_fp8_fp8 v[8:11], v[54:55], v[36:37], v[8:11]
	;; [unrolled: 1-line block ×3, first 2 shown]
	v_add_u32_e32 v36, 2, v66
	v_cndmask_b32_e32 v66, v66, v36, vcc
	v_cmp_le_i32_e32 vcc, s64, v81
	s_waitcnt lgkmcnt(2)
	v_mfma_f32_16x16x32_fp8_fp8 v[16:19], v[48:49], v[42:43], v[16:19]
	s_or_b64 s[8:9], vcc, s[8:9]
	v_mfma_f32_16x16x32_fp8_fp8 v[8:11], v[56:57], v[42:43], v[8:11]
	v_mfma_f32_16x16x32_fp8_fp8 v[0:3], v[64:65], v[42:43], v[0:3]
	s_waitcnt lgkmcnt(1)
	v_mfma_f32_16x16x32_fp8_fp8 v[16:19], v[50:51], v[44:45], v[16:19]
	v_mfma_f32_16x16x32_fp8_fp8 v[8:11], v[58:59], v[44:45], v[8:11]
	;; [unrolled: 1-line block ×3, first 2 shown]
	s_andn2_b64 exec, exec, s[8:9]
	s_cbranch_execz .LBB270_28
.LBB270_13:                             ;   Parent Loop BB270_7 Depth=1
                                        ; =>  This Loop Header: Depth=2
                                        ;       Child Loop BB270_15 Depth 3
                                        ;       Child Loop BB270_18 Depth 3
	;; [unrolled: 1-line block ×5, first 2 shown]
	v_cmp_gt_i32_e32 vcc, 6, v40
	s_nop 1
	v_cndmask_b32_e64 v36, -6, 0, vcc
	v_add_u32_e32 v83, v36, v40
	v_lshlrev_b32_e32 v84, 3, v83
	ds_read_b32 v36, v84 offset:61512
	s_waitcnt lgkmcnt(0)
	v_cmp_ne_u32_e32 vcc, v36, v66
	s_and_saveexec_b64 s[10:11], vcc
	s_cbranch_execz .LBB270_16
; %bb.14:                               ;   in Loop: Header=BB270_13 Depth=2
	s_mov_b64 s[12:13], 0
.LBB270_15:                             ;   Parent Loop BB270_7 Depth=1
                                        ;     Parent Loop BB270_13 Depth=2
                                        ; =>    This Inner Loop Header: Depth=3
	;;#ASMSTART
	s_sleep 0
	;;#ASMEND
	ds_read_b32 v36, v84 offset:61512
	s_waitcnt lgkmcnt(0)
	v_cmp_eq_u32_e32 vcc, v36, v66
	s_or_b64 s[12:13], vcc, s[12:13]
	s_andn2_b64 exec, exec, s[12:13]
	s_cbranch_execnz .LBB270_15
.LBB270_16:                             ;   in Loop: Header=BB270_13 Depth=2
	s_or_b64 exec, exec, s[10:11]
	v_lshlrev_b32_e32 v36, 12, v83
	v_add_u32_e32 v85, v68, v36
	v_add_u32_e32 v36, 0x400, v85
	;; [unrolled: 1-line block ×3, first 2 shown]
	ds_read2_b32 v[38:39], v85 offset1:32
	ds_read2_b32 v[40:41], v85 offset0:128 offset1:160
	ds_read2_b32 v[44:45], v36 offset1:32
	ds_read2_b32 v[42:43], v36 offset0:128 offset1:160
	;;#ASMSTART
	s_waitcnt lgkmcnt(0)
	;;#ASMEND
	ds_write_b32 v84, v86 offset:61512
	v_mul_lo_u32 v87, v83, 12
	ds_read_b32 v36, v87 offset:61440
	s_waitcnt lgkmcnt(0)
	v_cmp_ne_u32_e32 vcc, v36, v66
	s_and_saveexec_b64 s[10:11], vcc
	s_cbranch_execz .LBB270_19
; %bb.17:                               ;   in Loop: Header=BB270_13 Depth=2
	s_mov_b64 s[12:13], 0
.LBB270_18:                             ;   Parent Loop BB270_7 Depth=1
                                        ;     Parent Loop BB270_13 Depth=2
                                        ; =>    This Inner Loop Header: Depth=3
	;;#ASMSTART
	s_sleep 0
	;;#ASMEND
	ds_read_b32 v36, v87 offset:61440
	s_waitcnt lgkmcnt(0)
	v_cmp_eq_u32_e32 vcc, v36, v66
	s_or_b64 s[12:13], vcc, s[12:13]
	s_andn2_b64 exec, exec, s[12:13]
	s_cbranch_execnz .LBB270_18
.LBB270_19:                             ;   in Loop: Header=BB270_13 Depth=2
	s_or_b64 exec, exec, s[10:11]
	v_mul_lo_u32 v52, v83, s59
	v_or_b32_e32 v48, v67, v52
	ds_read2_b32 v[36:37], v48 offset1:32
	ds_read2_b32 v[46:47], v48 offset0:128 offset1:160
	v_add_u32_e32 v50, 0x400, v48
	ds_read2_b32 v[48:49], v50 offset1:32
	ds_read2_b32 v[50:51], v50 offset0:128 offset1:160
	ds_read_b32 v53, v87 offset:61444
	ds_write_b32 v87, v86 offset:61440
	s_waitcnt lgkmcnt(5)
	v_mfma_f32_16x16x32_fp8_fp8 v[20:23], v[36:37], v[38:39], v[20:23]
	s_waitcnt lgkmcnt(1)
	v_cmp_ne_u32_e32 vcc, v53, v66
	v_mfma_f32_16x16x32_fp8_fp8 v[20:23], v[46:47], v[40:41], v[20:23]
	v_mfma_f32_16x16x32_fp8_fp8 v[20:23], v[48:49], v[44:45], v[20:23]
	;; [unrolled: 1-line block ×3, first 2 shown]
	s_and_saveexec_b64 s[10:11], vcc
	s_cbranch_execz .LBB270_22
; %bb.20:                               ;   in Loop: Header=BB270_13 Depth=2
	s_mov_b64 s[12:13], 0
.LBB270_21:                             ;   Parent Loop BB270_7 Depth=1
                                        ;     Parent Loop BB270_13 Depth=2
                                        ; =>    This Inner Loop Header: Depth=3
	;;#ASMSTART
	s_sleep 0
	;;#ASMEND
	ds_read_b32 v53, v87 offset:61444
	s_waitcnt lgkmcnt(0)
	v_cmp_eq_u32_e32 vcc, v53, v66
	s_or_b64 s[12:13], vcc, s[12:13]
	s_andn2_b64 exec, exec, s[12:13]
	s_cbranch_execnz .LBB270_21
.LBB270_22:                             ;   in Loop: Header=BB270_13 Depth=2
	s_or_b64 exec, exec, s[10:11]
	v_add_u32_e32 v64, v67, v52
	v_add_u32_e32 v54, 0x800, v64
	ds_read2_b32 v[52:53], v54 offset1:32
	ds_read2_b32 v[54:55], v54 offset0:128 offset1:160
	v_add_u32_e32 v58, 0xc00, v64
	ds_read2_b32 v[56:57], v58 offset1:32
	ds_read2_b32 v[58:59], v58 offset0:128 offset1:160
	ds_read_b32 v60, v87 offset:61448
	ds_write_b32 v87, v86 offset:61444
	s_waitcnt lgkmcnt(5)
	v_mfma_f32_16x16x32_fp8_fp8 v[12:15], v[52:53], v[38:39], v[12:15]
	s_waitcnt lgkmcnt(1)
	v_cmp_ne_u32_e32 vcc, v60, v66
	v_mfma_f32_16x16x32_fp8_fp8 v[12:15], v[54:55], v[40:41], v[12:15]
	v_mfma_f32_16x16x32_fp8_fp8 v[12:15], v[56:57], v[44:45], v[12:15]
	;; [unrolled: 1-line block ×3, first 2 shown]
	s_and_saveexec_b64 s[10:11], vcc
	s_cbranch_execz .LBB270_25
; %bb.23:                               ;   in Loop: Header=BB270_13 Depth=2
	s_mov_b64 s[12:13], 0
.LBB270_24:                             ;   Parent Loop BB270_7 Depth=1
                                        ;     Parent Loop BB270_13 Depth=2
                                        ; =>    This Inner Loop Header: Depth=3
	;;#ASMSTART
	s_sleep 0
	;;#ASMEND
	ds_read_b32 v60, v87 offset:61448
	s_waitcnt lgkmcnt(0)
	v_cmp_eq_u32_e32 vcc, v60, v66
	s_or_b64 s[12:13], vcc, s[12:13]
	s_andn2_b64 exec, exec, s[12:13]
	s_cbranch_execnz .LBB270_24
.LBB270_25:                             ;   in Loop: Header=BB270_13 Depth=2
	s_or_b64 exec, exec, s[10:11]
	v_add_u32_e32 v62, 0x1000, v64
	ds_read2_b32 v[60:61], v62 offset1:32
	ds_read2_b32 v[62:63], v62 offset0:128 offset1:160
	v_add_u32_e32 v88, 0x1400, v64
	ds_read2_b32 v[64:65], v88 offset1:32
	ds_write_b32 v87, v86 offset:61448
	s_waitcnt lgkmcnt(3)
	v_mfma_f32_16x16x32_fp8_fp8 v[4:7], v[60:61], v[38:39], v[4:7]
	ds_read2_b32 v[38:39], v88 offset0:128 offset1:160
	s_waitcnt lgkmcnt(3)
	v_mfma_f32_16x16x32_fp8_fp8 v[4:7], v[62:63], v[40:41], v[4:7]
	ds_read_b32 v40, v84 offset:61516
	s_waitcnt lgkmcnt(0)
	v_cmp_ne_u32_e32 vcc, v40, v66
	v_mfma_f32_16x16x32_fp8_fp8 v[4:7], v[64:65], v[44:45], v[4:7]
	v_mfma_f32_16x16x32_fp8_fp8 v[4:7], v[38:39], v[42:43], v[4:7]
	s_and_saveexec_b64 s[10:11], vcc
	s_cbranch_execz .LBB270_12
; %bb.26:                               ;   in Loop: Header=BB270_13 Depth=2
	s_mov_b64 s[12:13], 0
.LBB270_27:                             ;   Parent Loop BB270_7 Depth=1
                                        ;     Parent Loop BB270_13 Depth=2
                                        ; =>    This Inner Loop Header: Depth=3
	;;#ASMSTART
	s_sleep 0
	;;#ASMEND
	ds_read_b32 v40, v84 offset:61516
	s_waitcnt lgkmcnt(0)
	v_cmp_eq_u32_e32 vcc, v40, v66
	s_or_b64 s[12:13], vcc, s[12:13]
	s_andn2_b64 exec, exec, s[12:13]
	s_cbranch_execnz .LBB270_27
	s_branch .LBB270_12
.LBB270_28:                             ;   in Loop: Header=BB270_7 Depth=1
	s_or_b64 exec, exec, s[8:9]
.LBB270_29:                             ;   in Loop: Header=BB270_7 Depth=1
	s_or_b64 exec, exec, s[6:7]
	v_cmp_le_i32_e32 vcc, s14, v24
	v_cmp_eq_u32_e64 s[6:7], 2, v69
	v_cmp_eq_u32_e64 s[8:9], 3, v69
	s_waitcnt vmcnt(0)
	v_cndmask_b32_e32 v36, 0, v82, vcc
	v_pk_mul_f32 v[20:21], v[36:37], v[20:21] op_sel_hi:[0,1]
	v_cmp_eq_u32_e32 vcc, 1, v69
	v_pk_mul_f32 v[38:39], v[36:37], v[22:23] op_sel_hi:[0,1]
	v_cmp_eq_u32_e64 s[10:11], 0, v69
	v_cndmask_b32_e32 v22, v20, v21, vcc
	v_cndmask_b32_e64 v22, v22, v38, s[6:7]
	v_cndmask_b32_e64 v22, v22, v39, s[8:9]
	ds_bpermute_b32 v37, v79, v22
	v_cmp_le_i32_e64 s[14:15], s14, v71
	v_cmp_eq_u32_e64 s[12:13], 1, v70
	v_add_u32_e32 v41, s63, v72
	s_waitcnt lgkmcnt(0)
	v_cndmask_b32_e64 v22, v39, v37, s[8:9]
	v_cndmask_b32_e64 v23, v38, v37, s[6:7]
	v_cndmask_b32_e32 v21, v21, v37, vcc
	v_cndmask_b32_e64 v37, v20, v37, s[10:11]
	v_cndmask_b32_e64 v20, 0, v82, s[14:15]
	v_pk_mul_f32 v[44:45], v[20:21], v[16:17] op_sel_hi:[0,1]
	v_pk_mul_f32 v[42:43], v[20:21], v[18:19] op_sel_hi:[0,1]
	v_cndmask_b32_e32 v16, v44, v45, vcc
	v_cndmask_b32_e64 v16, v16, v42, s[6:7]
	v_cndmask_b32_e64 v16, v16, v43, s[8:9]
	ds_bpermute_b32 v17, v79, v16
	v_cndmask_b32_e64 v38, v37, v21, s[12:13]
	v_cmp_eq_u32_e32 vcc, 2, v70
	v_cmp_eq_u32_e64 s[14:15], 3, v70
	s_waitcnt lgkmcnt(0)
	v_cndmask_b32_e64 v19, v42, v17, s[6:7]
	v_cndmask_b32_e32 v16, v38, v23, vcc
	v_cndmask_b32_e64 v16, v16, v22, s[14:15]
	v_cmp_ne_u32_e64 s[6:7], 0, v69
	ds_bpermute_b32 v38, v79, v16
	v_cndmask_b32_e64 v18, v43, v17, s[8:9]
	v_cndmask_b32_e64 v16, v45, v17, s[6:7]
	;; [unrolled: 1-line block ×4, first 2 shown]
	v_cndmask_b32_e32 v39, v39, v19, vcc
	v_cndmask_b32_e64 v39, v39, v18, s[14:15]
	ds_bpermute_b32 v39, v79, v39
	v_cmp_gt_u32_e32 vcc, 48, v41
	s_and_saveexec_b64 s[44:45], vcc
	s_cbranch_execz .LBB270_36
; %bb.30:                               ;   in Loop: Header=BB270_7 Depth=1
	v_cmp_eq_u32_e64 s[8:9], 1, v70
	v_cmp_eq_u32_e64 s[10:11], 0, v70
	v_cmp_eq_u32_e32 vcc, 3, v70
	s_waitcnt lgkmcnt(1)
	v_cndmask_b32_e64 v21, v21, v38, s[8:9]
	s_waitcnt lgkmcnt(0)
	v_cndmask_b32_e64 v42, v16, v39, s[8:9]
	s_mul_i32 s8, s61, s17
	s_ashr_i32 s9, s8, 31
	s_lshl_b64 s[8:9], s[8:9], 1
	v_cndmask_b32_e64 v37, v37, v38, s[10:11]
	v_cndmask_b32_e64 v43, v17, v39, s[10:11]
	s_add_u32 s10, s28, s8
	s_addc_u32 s11, s29, s9
	s_ashr_i32 s39, s38, 31
	v_cvt_f16_f32_e32 v37, v37
	v_cvt_f16_f32_sdwa v21, v21 dst_sel:WORD_1 dst_unused:UNUSED_PAD src0_sel:DWORD
	s_lshl_b64 s[8:9], s[38:39], 1
	v_cvt_f16_f32_e32 v44, v43
	v_cvt_f16_f32_sdwa v45, v42 dst_sel:WORD_1 dst_unused:UNUSED_PAD src0_sel:DWORD
	s_add_u32 s46, s10, s8
	s_addc_u32 s47, s11, s9
	v_cmp_eq_u32_e64 s[6:7], 2, v70
	v_lshl_add_u64 v[16:17], v[26:27], 1, s[46:47]
	v_or_b32_e32 v21, v21, v37
	v_cmp_gt_u32_e64 s[8:9], 46, v41
	;;#ASMSTART
	global_atomic_pk_add_f16 v[16:17], v21, off
	
	;;#ASMEND
	v_lshl_add_u64 v[42:43], v[16:17], 0, 32
	v_or_b32_e32 v21, v45, v44
	;;#ASMSTART
	global_atomic_pk_add_f16 v[42:43], v21, off
	
	;;#ASMEND
	s_and_b64 exec, exec, s[8:9]
	s_cbranch_execz .LBB270_36
; %bb.31:                               ;   in Loop: Header=BB270_7 Depth=1
	v_mov_b32_e32 v37, v36
	v_cndmask_b32_e32 v22, v22, v38, vcc
	v_cndmask_b32_e64 v23, v23, v38, s[6:7]
	v_cndmask_b32_e32 v38, v18, v39, vcc
	v_cndmask_b32_e64 v39, v19, v39, s[6:7]
	v_mov_b32_e32 v18, v36
	v_mov_b32_e32 v19, v36
	v_pk_mul_f32 v[14:15], v[18:19], v[14:15]
	v_pk_mul_f32 v[18:19], v[36:37], v[12:13]
	v_cmp_eq_u32_e32 vcc, 1, v69
	v_cmp_eq_u32_e64 s[6:7], 2, v69
	v_cmp_eq_u32_e64 s[8:9], 3, v69
	v_cndmask_b32_e32 v12, v18, v19, vcc
	v_cndmask_b32_e64 v12, v12, v14, s[6:7]
	v_cndmask_b32_e64 v12, v12, v15, s[8:9]
	v_cvt_f16_f32_e32 v23, v23
	v_cvt_f16_f32_sdwa v22, v22 dst_sel:WORD_1 dst_unused:UNUSED_PAD src0_sel:DWORD
	ds_bpermute_b32 v41, v79, v12
	v_mov_b32_e32 v21, v20
	v_lshl_add_u64 v[16:17], s[34:35], 2, v[16:17]
	v_or_b32_e32 v22, v22, v23
	v_cmp_eq_u32_e64 s[10:11], 0, v69
	;;#ASMSTART
	global_atomic_pk_add_f16 v[16:17], v22, off
	
	;;#ASMEND
	v_cvt_f16_f32_e32 v42, v39
	v_cvt_f16_f32_sdwa v43, v38 dst_sel:WORD_1 dst_unused:UNUSED_PAD src0_sel:DWORD
	v_lshl_add_u64 v[22:23], v[16:17], 0, 32
	s_waitcnt lgkmcnt(0)
	v_cndmask_b32_e64 v12, v15, v41, s[8:9]
	v_cndmask_b32_e32 v15, v19, v41, vcc
	v_cndmask_b32_e64 v16, v18, v41, s[10:11]
	v_mov_b32_e32 v18, v20
	v_mov_b32_e32 v19, v20
	v_pk_mul_f32 v[38:39], v[20:21], v[8:9]
	v_pk_mul_f32 v[18:19], v[18:19], v[10:11]
	v_cndmask_b32_e32 v8, v38, v39, vcc
	v_cndmask_b32_e64 v8, v8, v18, s[6:7]
	v_cndmask_b32_e64 v8, v8, v19, s[8:9]
	ds_bpermute_b32 v9, v79, v8
	v_cmp_eq_u32_e64 s[12:13], 1, v70
	v_cndmask_b32_e64 v13, v14, v41, s[6:7]
	v_cmp_eq_u32_e32 vcc, 2, v70
	v_cndmask_b32_e64 v14, v16, v15, s[12:13]
	v_cmp_eq_u32_e64 s[14:15], 3, v70
	v_cndmask_b32_e32 v8, v14, v13, vcc
	s_waitcnt lgkmcnt(0)
	v_cndmask_b32_e64 v11, v18, v9, s[6:7]
	v_cndmask_b32_e64 v8, v8, v12, s[14:15]
	v_cmp_ne_u32_e64 s[6:7], 0, v69
	ds_bpermute_b32 v14, v79, v8
	v_cndmask_b32_e64 v10, v19, v9, s[8:9]
	v_cndmask_b32_e64 v8, v39, v9, s[6:7]
	;; [unrolled: 1-line block ×4, first 2 shown]
	v_cndmask_b32_e32 v17, v17, v11, vcc
	v_cndmask_b32_e64 v17, v17, v10, s[14:15]
	ds_bpermute_b32 v17, v79, v17
	v_or_b32_e32 v18, v43, v42
	;;#ASMSTART
	global_atomic_pk_add_f16 v[22:23], v18, off
	
	;;#ASMEND
	v_add_u32_e32 v18, s63, v73
	v_cmp_gt_u32_e32 vcc, 48, v18
	s_and_b64 exec, exec, vcc
	s_cbranch_execz .LBB270_36
; %bb.32:                               ;   in Loop: Header=BB270_7 Depth=1
	v_cmp_eq_u32_e64 s[8:9], 1, v70
	v_cmp_eq_u32_e64 s[10:11], 0, v70
	v_cmp_eq_u32_e32 vcc, 3, v70
	s_waitcnt lgkmcnt(1)
	v_cndmask_b32_e64 v15, v15, v14, s[8:9]
	v_cndmask_b32_e64 v16, v16, v14, s[10:11]
	s_waitcnt lgkmcnt(0)
	v_cndmask_b32_e64 v19, v8, v17, s[8:9]
	v_cndmask_b32_e64 v22, v9, v17, s[10:11]
	v_cvt_f16_f32_e32 v16, v16
	v_cvt_f16_f32_sdwa v15, v15 dst_sel:WORD_1 dst_unused:UNUSED_PAD src0_sel:DWORD
	v_cvt_f16_f32_e32 v38, v22
	v_cvt_f16_f32_sdwa v19, v19 dst_sel:WORD_1 dst_unused:UNUSED_PAD src0_sel:DWORD
	v_cmp_eq_u32_e64 s[6:7], 2, v70
	v_lshl_add_u64 v[8:9], v[28:29], 1, s[46:47]
	v_or_b32_e32 v15, v15, v16
	v_cmp_gt_u32_e64 s[8:9], 46, v18
	;;#ASMSTART
	global_atomic_pk_add_f16 v[8:9], v15, off
	
	;;#ASMEND
	v_lshl_add_u64 v[22:23], v[8:9], 0, 32
	v_or_b32_e32 v15, v19, v38
	;;#ASMSTART
	global_atomic_pk_add_f16 v[22:23], v15, off
	
	;;#ASMEND
	s_and_b64 exec, exec, s[8:9]
	s_cbranch_execz .LBB270_36
; %bb.33:                               ;   in Loop: Header=BB270_7 Depth=1
	v_cndmask_b32_e32 v12, v12, v14, vcc
	v_cndmask_b32_e64 v13, v13, v14, s[6:7]
	v_cndmask_b32_e32 v14, v10, v17, vcc
	v_cndmask_b32_e64 v15, v11, v17, s[6:7]
	v_mov_b32_e32 v10, v36
	v_mov_b32_e32 v11, v36
	v_pk_mul_f32 v[6:7], v[10:11], v[6:7]
	v_pk_mul_f32 v[10:11], v[36:37], v[4:5]
	v_cmp_eq_u32_e32 vcc, 1, v69
	v_cmp_eq_u32_e64 s[6:7], 2, v69
	v_cmp_eq_u32_e64 s[8:9], 3, v69
	v_cndmask_b32_e32 v4, v10, v11, vcc
	v_cndmask_b32_e64 v4, v4, v6, s[6:7]
	v_cndmask_b32_e64 v4, v4, v7, s[8:9]
	v_cvt_f16_f32_e32 v13, v13
	v_cvt_f16_f32_sdwa v12, v12 dst_sel:WORD_1 dst_unused:UNUSED_PAD src0_sel:DWORD
	ds_bpermute_b32 v16, v79, v4
	v_lshl_add_u64 v[8:9], s[34:35], 2, v[8:9]
	v_cmp_eq_u32_e64 s[10:11], 0, v69
	v_or_b32_e32 v12, v12, v13
	;;#ASMSTART
	global_atomic_pk_add_f16 v[8:9], v12, off
	
	;;#ASMEND
	v_lshl_add_u64 v[12:13], v[8:9], 0, 32
	s_waitcnt lgkmcnt(0)
	v_cndmask_b32_e64 v4, v7, v16, s[8:9]
	v_cndmask_b32_e64 v5, v6, v16, s[6:7]
	v_cndmask_b32_e32 v6, v11, v16, vcc
	v_cndmask_b32_e64 v7, v10, v16, s[10:11]
	v_mov_b32_e32 v8, v20
	v_mov_b32_e32 v9, v20
	v_pk_mul_f32 v[10:11], v[20:21], v[0:1]
	v_pk_mul_f32 v[8:9], v[8:9], v[2:3]
	v_cndmask_b32_e32 v0, v10, v11, vcc
	v_cndmask_b32_e64 v0, v0, v8, s[6:7]
	v_cndmask_b32_e64 v0, v0, v9, s[8:9]
	ds_bpermute_b32 v1, v79, v0
	v_cmp_eq_u32_e64 s[12:13], 1, v70
	v_cmp_eq_u32_e32 vcc, 2, v70
	v_cmp_eq_u32_e64 s[14:15], 3, v70
	v_cndmask_b32_e64 v16, v7, v6, s[12:13]
	v_cndmask_b32_e32 v0, v16, v5, vcc
	v_cndmask_b32_e64 v0, v0, v4, s[14:15]
	s_waitcnt lgkmcnt(0)
	v_cndmask_b32_e64 v8, v8, v1, s[6:7]
	v_cmp_ne_u32_e64 s[6:7], 0, v69
	ds_bpermute_b32 v2, v79, v0
	v_cndmask_b32_e64 v3, v9, v1, s[8:9]
	v_cndmask_b32_e64 v0, v11, v1, s[6:7]
	;; [unrolled: 1-line block ×4, first 2 shown]
	v_cvt_f16_f32_e32 v15, v15
	v_cvt_f16_f32_sdwa v14, v14 dst_sel:WORD_1 dst_unused:UNUSED_PAD src0_sel:DWORD
	v_cndmask_b32_e32 v9, v9, v8, vcc
	v_cndmask_b32_e64 v9, v9, v3, s[14:15]
	ds_bpermute_b32 v9, v79, v9
	v_or_b32_e32 v10, v14, v15
	;;#ASMSTART
	global_atomic_pk_add_f16 v[12:13], v10, off
	
	;;#ASMEND
	v_add_u32_e32 v10, s63, v74
	v_cmp_gt_u32_e32 vcc, 48, v10
	s_and_b64 exec, exec, vcc
	s_cbranch_execz .LBB270_36
; %bb.34:                               ;   in Loop: Header=BB270_7 Depth=1
	v_cmp_eq_u32_e64 s[8:9], 1, v70
	v_cmp_eq_u32_e64 s[10:11], 0, v70
	v_cmp_eq_u32_e32 vcc, 3, v70
	s_waitcnt lgkmcnt(1)
	v_cndmask_b32_e64 v6, v6, v2, s[8:9]
	v_cndmask_b32_e64 v7, v7, v2, s[10:11]
	s_waitcnt lgkmcnt(0)
	v_cndmask_b32_e64 v11, v0, v9, s[8:9]
	v_cndmask_b32_e64 v12, v1, v9, s[10:11]
	v_cvt_f16_f32_e32 v7, v7
	v_cvt_f16_f32_sdwa v6, v6 dst_sel:WORD_1 dst_unused:UNUSED_PAD src0_sel:DWORD
	v_cvt_f16_f32_e32 v12, v12
	v_cvt_f16_f32_sdwa v11, v11 dst_sel:WORD_1 dst_unused:UNUSED_PAD src0_sel:DWORD
	v_cmp_eq_u32_e64 s[6:7], 2, v70
	v_lshl_add_u64 v[0:1], v[30:31], 1, s[46:47]
	v_or_b32_e32 v6, v6, v7
	v_cmp_gt_u32_e64 s[8:9], 46, v10
	;;#ASMSTART
	global_atomic_pk_add_f16 v[0:1], v6, off
	
	;;#ASMEND
	v_lshl_add_u64 v[6:7], v[0:1], 0, 32
	v_or_b32_e32 v11, v11, v12
	;;#ASMSTART
	global_atomic_pk_add_f16 v[6:7], v11, off
	
	;;#ASMEND
	s_and_b64 exec, exec, s[8:9]
	s_cbranch_execz .LBB270_36
; %bb.35:                               ;   in Loop: Header=BB270_7 Depth=1
	v_cndmask_b32_e32 v4, v4, v2, vcc
	v_cndmask_b32_e64 v2, v5, v2, s[6:7]
	v_cndmask_b32_e32 v3, v3, v9, vcc
	v_cndmask_b32_e64 v5, v8, v9, s[6:7]
	v_cvt_f16_f32_e32 v2, v2
	v_cvt_f16_f32_sdwa v4, v4 dst_sel:WORD_1 dst_unused:UNUSED_PAD src0_sel:DWORD
	v_cvt_f16_f32_e32 v5, v5
	v_cvt_f16_f32_sdwa v3, v3 dst_sel:WORD_1 dst_unused:UNUSED_PAD src0_sel:DWORD
	v_lshl_add_u64 v[0:1], s[34:35], 2, v[0:1]
	v_or_b32_e32 v2, v4, v2
	;;#ASMSTART
	global_atomic_pk_add_f16 v[0:1], v2, off
	
	;;#ASMEND
	v_lshl_add_u64 v[0:1], v[0:1], 0, 32
	v_or_b32_e32 v2, v3, v5
	;;#ASMSTART
	global_atomic_pk_add_f16 v[0:1], v2, off
	
	;;#ASMEND
.LBB270_36:                             ;   in Loop: Header=BB270_7 Depth=1
	s_or_b64 exec, exec, s[44:45]
	v_subrev_u32_e32 v81, s64, v81
.LBB270_37:                             ;   in Loop: Header=BB270_7 Depth=1
	s_or_b64 exec, exec, s[42:43]
.LBB270_38:                             ;   in Loop: Header=BB270_7 Depth=1
	s_andn2_saveexec_b64 s[6:7], s[40:41]
	s_cbranch_execz .LBB270_47
; %bb.39:                               ;   in Loop: Header=BB270_7 Depth=1
	s_lshl_b32 s39, s64, 1
	v_cmp_gt_i32_e32 vcc, s39, v81
	s_and_saveexec_b64 s[8:9], vcc
	s_cbranch_execz .LBB270_46
; %bb.40:                               ;   in Loop: Header=BB270_7 Depth=1
	s_mul_i32 s10, s38, s19
	s_ashr_i32 s11, s10, 31
	s_waitcnt lgkmcnt(0)
	s_add_u32 s10, s26, s10
	s_addc_u32 s11, s27, s11
	s_ashr_i32 s12, s62, 31
	s_add_u32 s10, s10, s62
	s_addc_u32 s11, s11, s12
	v_lshl_add_u64 v[0:1], s[10:11], 0, v[34:35]
	v_lshl_add_u64 v[8:9], v[0:1], 0, v[32:33]
	s_mov_b64 s[10:11], 0
	s_branch .LBB270_42
.LBB270_41:                             ;   in Loop: Header=BB270_42 Depth=2
	s_or_b64 exec, exec, s[12:13]
	v_lshl_add_u32 v12, v10, 11, v77
	;;#ASMSTART
	s_waitcnt vmcnt(1)
	;;#ASMEND
	ds_write2_b32 v12, v4, v5 offset1:32
	ds_write2_b32 v12, v6, v7 offset0:64 offset1:96
	v_add_u32_e32 v4, 0x400, v12
	v_add_u32_e32 v81, s22, v81
	;;#ASMSTART
	s_waitcnt vmcnt(0)
	;;#ASMEND
	ds_write2_b32 v4, v0, v1 offset1:32
	ds_write2_b32 v4, v2, v3 offset0:64 offset1:96
	v_add_u32_e32 v0, 1, v66
	v_add_u32_e32 v40, s22, v10
	v_cmp_le_i32_e32 vcc, s39, v81
	ds_write_b32 v11, v0 offset:72
	v_add_u32_e32 v0, 2, v66
	s_or_b64 s[10:11], vcc, s[10:11]
	v_cmp_lt_i32_e32 vcc, 11, v40
	s_nop 1
	v_cndmask_b32_e32 v66, v66, v0, vcc
	s_andn2_b64 exec, exec, s[10:11]
	s_cbranch_execz .LBB270_45
.LBB270_42:                             ;   Parent Loop BB270_7 Depth=1
                                        ; =>  This Loop Header: Depth=2
                                        ;       Child Loop BB270_44 Depth 3
	v_cmp_gt_i32_e32 vcc, 12, v40
	s_nop 1
	v_cndmask_b32_e64 v0, -12, 0, vcc
	v_add_u32_e32 v10, v0, v40
	v_lshrrev_b32_e32 v0, 31, v81
	v_add_u32_e32 v0, v81, v0
	v_and_b32_e32 v1, -2, v0
	v_lshlrev_b32_e32 v0, 6, v0
	v_sub_u32_e32 v2, v81, v1
	v_and_b32_e32 v0, 0xffffff80, v0
	v_ashrrev_i32_e32 v1, 31, v0
	v_mul_lo_u32 v2, s53, v2
	v_lshl_add_u64 v[0:1], v[8:9], 0, v[0:1]
	v_ashrrev_i32_e32 v3, 31, v2
	v_lshl_add_u64 v[0:1], v[0:1], 0, v[2:3]
	v_lshlrev_b32_e32 v11, 2, v10
	;;#ASMSTART
	global_load_dwordx4 v[4:7], v[0:1], off offset:0   sc0 sc1 nt  
	global_load_dwordx4 v[0:3], v[0:1], off offset:64  sc0 sc1 nt  
	
	;;#ASMEND
	ds_read_b32 v12, v11 offset:61512
	v_add_u32_e32 v11, 0xf000, v11
	s_waitcnt lgkmcnt(0)
	v_cmp_ne_u32_e32 vcc, v12, v66
	s_and_saveexec_b64 s[12:13], vcc
	s_cbranch_execz .LBB270_41
; %bb.43:                               ;   in Loop: Header=BB270_42 Depth=2
	s_mov_b64 s[14:15], 0
.LBB270_44:                             ;   Parent Loop BB270_7 Depth=1
                                        ;     Parent Loop BB270_42 Depth=2
                                        ; =>    This Inner Loop Header: Depth=3
	;;#ASMSTART
	s_sleep 0
	;;#ASMEND
	ds_read_b32 v12, v11 offset:72
	s_waitcnt lgkmcnt(0)
	v_cmp_eq_u32_e32 vcc, v12, v66
	s_or_b64 s[14:15], vcc, s[14:15]
	s_andn2_b64 exec, exec, s[14:15]
	s_cbranch_execnz .LBB270_44
	s_branch .LBB270_41
.LBB270_45:                             ;   in Loop: Header=BB270_7 Depth=1
	s_or_b64 exec, exec, s[10:11]
.LBB270_46:                             ;   in Loop: Header=BB270_7 Depth=1
	s_or_b64 exec, exec, s[8:9]
	v_subrev_u32_e32 v81, s39, v81
.LBB270_47:                             ;   in Loop: Header=BB270_7 Depth=1
	s_or_b64 exec, exec, s[6:7]
.LBB270_48:                             ;   in Loop: Header=BB270_7 Depth=1
	s_andn2_saveexec_b64 s[6:7], s[36:37]
	s_cbranch_execz .LBB270_6
; %bb.49:                               ;   in Loop: Header=BB270_7 Depth=1
	s_mul_i32 s64, s64, 3
	v_cmp_gt_i32_e32 vcc, s64, v81
	s_and_saveexec_b64 s[8:9], vcc
	s_cbranch_execz .LBB270_5
; %bb.50:                               ;   in Loop: Header=BB270_7 Depth=1
	s_mul_i32 s61, s61, s18
	s_ashr_i32 s10, s61, 31
	s_waitcnt lgkmcnt(0)
	s_add_u32 s11, s24, s61
	v_add_u32_e32 v2, s63, v75
	s_addc_u32 s12, s25, s10
	s_ashr_i32 s13, s62, 31
	v_cmp_gt_u32_e32 vcc, 48, v2
	s_add_u32 s10, s11, s62
	s_addc_u32 s11, s12, s13
	v_cndmask_b32_e32 v0, 0, v78, vcc
	v_ashrrev_i32_e32 v1, 31, v0
	v_lshl_add_u64 v[0:1], s[10:11], 0, v[0:1]
	v_lshl_add_u64 v[8:9], v[0:1], 0, v[32:33]
	v_sub_u32_e32 v10, 47, v2
	s_mov_b64 s[10:11], 0
	s_branch .LBB270_52
.LBB270_51:                             ;   in Loop: Header=BB270_52 Depth=2
	s_or_b64 exec, exec, s[12:13]
	v_lshl_or_b32 v13, v11, 11, v76
	;;#ASMSTART
	s_waitcnt vmcnt(1)
	;;#ASMEND
	ds_write2_b32 v13, v4, v5 offset1:32
	ds_write2_b32 v13, v6, v7 offset0:64 offset1:96
	v_add_u32_e32 v4, 0x400, v13
	v_add_u32_e32 v81, s21, v81
	;;#ASMSTART
	s_waitcnt vmcnt(0)
	;;#ASMEND
	ds_write2_b32 v4, v0, v1 offset1:32
	ds_write2_b32 v4, v2, v3 offset0:64 offset1:96
	v_add_u32_e32 v0, 1, v66
	v_add_u32_e32 v40, s21, v11
	v_cmp_le_i32_e32 vcc, s64, v81
	ds_write_b32 v12, v0
	v_add_u32_e32 v0, 2, v66
	s_or_b64 s[10:11], vcc, s[10:11]
	v_cmp_lt_i32_e32 vcc, 17, v40
	s_nop 1
	v_cndmask_b32_e32 v66, v66, v0, vcc
	s_andn2_b64 exec, exec, s[10:11]
	s_cbranch_execz .LBB270_4
.LBB270_52:                             ;   Parent Loop BB270_7 Depth=1
                                        ; =>  This Loop Header: Depth=2
                                        ;       Child Loop BB270_54 Depth 3
	v_cmp_gt_i32_e32 vcc, 18, v40
	s_nop 1
	v_cndmask_b32_e64 v0, v80, 0, vcc
	v_add_u32_e32 v11, v0, v40
	v_mul_hi_i32 v0, v81, s60
	v_lshrrev_b32_e32 v1, 31, v0
	v_add_u32_e32 v0, v0, v1
	v_lshl_add_u32 v1, v0, 1, v0
	v_sub_u32_e32 v1, v81, v1
	v_lshlrev_b32_e32 v1, 4, v1
	v_cmp_le_i32_e32 vcc, v1, v10
	v_lshlrev_b32_e32 v0, 7, v0
	v_lshlrev_b32_e32 v12, 2, v11
	v_cndmask_b32_e32 v2, 0, v1, vcc
	v_ashrrev_i32_e32 v1, 31, v0
	v_mul_lo_u32 v2, v2, s18
	v_lshl_add_u64 v[0:1], v[8:9], 0, v[0:1]
	v_ashrrev_i32_e32 v3, 31, v2
	v_lshl_add_u64 v[0:1], v[0:1], 0, v[2:3]
	;;#ASMSTART
	global_load_dwordx4 v[4:7], v[0:1], off offset:0   
	global_load_dwordx4 v[0:3], v[0:1], off offset:64  
	
	;;#ASMEND
	ds_read_b32 v13, v12 offset:61440
	v_add_u32_e32 v12, 0xf000, v12
	s_waitcnt lgkmcnt(0)
	v_cmp_ne_u32_e32 vcc, v13, v66
	s_and_saveexec_b64 s[12:13], vcc
	s_cbranch_execz .LBB270_51
; %bb.53:                               ;   in Loop: Header=BB270_52 Depth=2
	s_mov_b64 s[14:15], 0
.LBB270_54:                             ;   Parent Loop BB270_7 Depth=1
                                        ;     Parent Loop BB270_52 Depth=2
                                        ; =>    This Inner Loop Header: Depth=3
	;;#ASMSTART
	s_sleep 0
	;;#ASMEND
	ds_read_b32 v13, v12
	s_waitcnt lgkmcnt(0)
	v_cmp_eq_u32_e32 vcc, v13, v66
	s_or_b64 s[14:15], vcc, s[14:15]
	s_andn2_b64 exec, exec, s[14:15]
	s_cbranch_execnz .LBB270_54
	s_branch .LBB270_51
.LBB270_55:
	s_endpgm
	.section	.rodata,"a",@progbits
	.p2align	6, 0x0
	.amdhsa_kernel _Z19_skinny_gemm_kernelILi3ELi2ELi6ELi16ELi4EEvPKhS1_P6__halfPKfiiiiiiii
		.amdhsa_group_segment_fixed_size 61560
		.amdhsa_private_segment_fixed_size 0
		.amdhsa_kernarg_size 64
		.amdhsa_user_sgpr_count 2
		.amdhsa_user_sgpr_dispatch_ptr 0
		.amdhsa_user_sgpr_queue_ptr 0
		.amdhsa_user_sgpr_kernarg_segment_ptr 1
		.amdhsa_user_sgpr_dispatch_id 0
		.amdhsa_user_sgpr_kernarg_preload_length 0
		.amdhsa_user_sgpr_kernarg_preload_offset 0
		.amdhsa_user_sgpr_private_segment_size 0
		.amdhsa_uses_dynamic_stack 0
		.amdhsa_enable_private_segment 0
		.amdhsa_system_sgpr_workgroup_id_x 1
		.amdhsa_system_sgpr_workgroup_id_y 0
		.amdhsa_system_sgpr_workgroup_id_z 0
		.amdhsa_system_sgpr_workgroup_info 0
		.amdhsa_system_vgpr_workitem_id 0
		.amdhsa_next_free_vgpr 89
		.amdhsa_next_free_sgpr 65
		.amdhsa_accum_offset 92
		.amdhsa_reserve_vcc 1
		.amdhsa_float_round_mode_32 0
		.amdhsa_float_round_mode_16_64 0
		.amdhsa_float_denorm_mode_32 3
		.amdhsa_float_denorm_mode_16_64 3
		.amdhsa_dx10_clamp 1
		.amdhsa_ieee_mode 1
		.amdhsa_fp16_overflow 0
		.amdhsa_tg_split 0
		.amdhsa_exception_fp_ieee_invalid_op 0
		.amdhsa_exception_fp_denorm_src 0
		.amdhsa_exception_fp_ieee_div_zero 0
		.amdhsa_exception_fp_ieee_overflow 0
		.amdhsa_exception_fp_ieee_underflow 0
		.amdhsa_exception_fp_ieee_inexact 0
		.amdhsa_exception_int_div_zero 0
	.end_amdhsa_kernel
	.section	.text._Z19_skinny_gemm_kernelILi3ELi2ELi6ELi16ELi4EEvPKhS1_P6__halfPKfiiiiiiii,"axG",@progbits,_Z19_skinny_gemm_kernelILi3ELi2ELi6ELi16ELi4EEvPKhS1_P6__halfPKfiiiiiiii,comdat
.Lfunc_end270:
	.size	_Z19_skinny_gemm_kernelILi3ELi2ELi6ELi16ELi4EEvPKhS1_P6__halfPKfiiiiiiii, .Lfunc_end270-_Z19_skinny_gemm_kernelILi3ELi2ELi6ELi16ELi4EEvPKhS1_P6__halfPKfiiiiiiii
                                        ; -- End function
	.set _Z19_skinny_gemm_kernelILi3ELi2ELi6ELi16ELi4EEvPKhS1_P6__halfPKfiiiiiiii.num_vgpr, 89
	.set _Z19_skinny_gemm_kernelILi3ELi2ELi6ELi16ELi4EEvPKhS1_P6__halfPKfiiiiiiii.num_agpr, 0
	.set _Z19_skinny_gemm_kernelILi3ELi2ELi6ELi16ELi4EEvPKhS1_P6__halfPKfiiiiiiii.numbered_sgpr, 65
	.set _Z19_skinny_gemm_kernelILi3ELi2ELi6ELi16ELi4EEvPKhS1_P6__halfPKfiiiiiiii.num_named_barrier, 0
	.set _Z19_skinny_gemm_kernelILi3ELi2ELi6ELi16ELi4EEvPKhS1_P6__halfPKfiiiiiiii.private_seg_size, 0
	.set _Z19_skinny_gemm_kernelILi3ELi2ELi6ELi16ELi4EEvPKhS1_P6__halfPKfiiiiiiii.uses_vcc, 1
	.set _Z19_skinny_gemm_kernelILi3ELi2ELi6ELi16ELi4EEvPKhS1_P6__halfPKfiiiiiiii.uses_flat_scratch, 0
	.set _Z19_skinny_gemm_kernelILi3ELi2ELi6ELi16ELi4EEvPKhS1_P6__halfPKfiiiiiiii.has_dyn_sized_stack, 0
	.set _Z19_skinny_gemm_kernelILi3ELi2ELi6ELi16ELi4EEvPKhS1_P6__halfPKfiiiiiiii.has_recursion, 0
	.set _Z19_skinny_gemm_kernelILi3ELi2ELi6ELi16ELi4EEvPKhS1_P6__halfPKfiiiiiiii.has_indirect_call, 0
	.section	.AMDGPU.csdata,"",@progbits
; Kernel info:
; codeLenInByte = 4904
; TotalNumSgprs: 71
; NumVgprs: 89
; NumAgprs: 0
; TotalNumVgprs: 89
; ScratchSize: 0
; MemoryBound: 0
; FloatMode: 240
; IeeeMode: 1
; LDSByteSize: 61560 bytes/workgroup (compile time only)
; SGPRBlocks: 8
; VGPRBlocks: 11
; NumSGPRsForWavesPerEU: 71
; NumVGPRsForWavesPerEU: 89
; AccumOffset: 92
; Occupancy: 5
; WaveLimiterHint : 0
; COMPUTE_PGM_RSRC2:SCRATCH_EN: 0
; COMPUTE_PGM_RSRC2:USER_SGPR: 2
; COMPUTE_PGM_RSRC2:TRAP_HANDLER: 0
; COMPUTE_PGM_RSRC2:TGID_X_EN: 1
; COMPUTE_PGM_RSRC2:TGID_Y_EN: 0
; COMPUTE_PGM_RSRC2:TGID_Z_EN: 0
; COMPUTE_PGM_RSRC2:TIDIG_COMP_CNT: 0
; COMPUTE_PGM_RSRC3_GFX90A:ACCUM_OFFSET: 22
; COMPUTE_PGM_RSRC3_GFX90A:TG_SPLIT: 0
	.section	.text._Z19_skinny_gemm_kernelILi3ELi2ELi6ELi32ELi4EEvPKhS1_P6__halfPKfiiiiiiii,"axG",@progbits,_Z19_skinny_gemm_kernelILi3ELi2ELi6ELi32ELi4EEvPKhS1_P6__halfPKfiiiiiiii,comdat
	.protected	_Z19_skinny_gemm_kernelILi3ELi2ELi6ELi32ELi4EEvPKhS1_P6__halfPKfiiiiiiii ; -- Begin function _Z19_skinny_gemm_kernelILi3ELi2ELi6ELi32ELi4EEvPKhS1_P6__halfPKfiiiiiiii
	.globl	_Z19_skinny_gemm_kernelILi3ELi2ELi6ELi32ELi4EEvPKhS1_P6__halfPKfiiiiiiii
	.p2align	8
	.type	_Z19_skinny_gemm_kernelILi3ELi2ELi6ELi32ELi4EEvPKhS1_P6__halfPKfiiiiiiii,@function
_Z19_skinny_gemm_kernelILi3ELi2ELi6ELi32ELi4EEvPKhS1_P6__halfPKfiiiiiiii: ; @_Z19_skinny_gemm_kernelILi3ELi2ELi6ELi32ELi4EEvPKhS1_P6__halfPKfiiiiiiii
; %bb.0:
	v_cmp_gt_u32_e32 vcc, 30, v0
	s_and_saveexec_b64 s[4:5], vcc
; %bb.1:
	v_lshlrev_b32_e32 v1, 2, v0
	v_mov_b32_e32 v2, 0
	ds_write_b32 v1, v2 offset:61440
; %bb.2:
	s_or_b64 exec, exec, s[4:5]
	s_load_dwordx8 s[16:23], s[0:1], 0x20
	s_waitcnt lgkmcnt(0)
	s_barrier
	s_add_i32 s3, s16, 0x5f
	s_mul_hi_i32 s3, s3, 0x2aaaaaab
	s_add_i32 s4, s17, 63
	s_lshr_b32 s5, s3, 31
	s_ashr_i32 s3, s3, 4
	s_add_i32 s11, s3, s5
	s_ashr_i32 s3, s4, 31
	s_lshr_b32 s3, s3, 26
	s_add_i32 s4, s4, s3
	s_ashr_i32 s12, s4, 6
	s_mul_i32 s3, s12, s11
	s_mul_i32 s3, s3, s20
	s_add_i32 s4, s3, 0x12f
	s_mul_hi_i32 s4, s4, 0x6bca1af3
	s_lshr_b32 s5, s4, 31
	s_ashr_i32 s4, s4, 7
	s_add_i32 s4, s4, s5
	s_add_i32 s5, s2, 1
	s_mul_i32 s5, s4, s5
	v_cvt_f64_i32_e32 v[2:3], s3
	v_cvt_f64_u32_e32 v[4:5], s5
	v_min_f64 v[2:3], v[2:3], v[4:5]
	v_cvt_i32_f64_e32 v62, v[2:3]
	s_mul_i32 s33, s4, s2
	v_cmp_ge_i32_e32 vcc, s33, v62
	s_cbranch_vccnz .LBB271_51
; %bb.3:
	s_load_dwordx8 s[44:51], s[0:1], 0x0
	v_lshrrev_b32_e32 v1, 6, v0
	s_add_i32 s0, s22, s21
	v_cmp_le_i32_e64 s[14:15], s0, v1
	v_mov_b32_e32 v2, s21
	v_cmp_le_i32_e64 s[24:25], s21, v1
	v_mov_b32_e32 v3, s22
	v_cndmask_b32_e64 v3, 0, v3, s[14:15]
	v_cndmask_b32_e64 v2, 0, v2, s[24:25]
	s_abs_i32 s1, s20
	v_add_u32_e32 v2, v2, v3
	v_cvt_f32_u32_e32 v3, s1
	v_sub_u32_e32 v56, v1, v2
	s_ashr_i32 s2, s18, 31
	s_lshr_b32 s2, s2, 26
	v_rcp_iflag_f32_e32 v2, v3
	s_sub_i32 s5, 0, s1
	s_add_i32 s2, s18, s2
	s_ashr_i32 s2, s2, 6
	v_mul_f32_e32 v2, 0x4f7ffffe, v2
	v_cvt_u32_f32_e32 v2, v2
	s_abs_i32 s4, s2
	s_xor_b32 s3, s2, s20
	s_ashr_i32 s3, s3, 31
	v_readfirstlane_b32 s6, v2
	s_mul_i32 s5, s5, s6
	s_mul_hi_u32 s5, s6, s5
	s_add_i32 s6, s6, s5
	s_mul_hi_u32 s5, s4, s6
	s_mul_i32 s6, s5, s1
	s_sub_i32 s4, s4, s6
	s_add_i32 s6, s5, 1
	s_sub_i32 s7, s4, s1
	s_cmp_ge_u32 s4, s1
	s_cselect_b32 s5, s6, s5
	s_cselect_b32 s4, s7, s4
	s_add_i32 s6, s5, 1
	s_cmp_ge_u32 s4, s1
	s_cselect_b32 s1, s6, s5
	s_add_i32 s0, s0, s23
	v_and_b32_e32 v64, 31, v0
	v_lshrrev_b32_e32 v2, 3, v0
	v_cmp_gt_i32_e64 s[28:29], s0, v1
	v_lshlrev_b32_e32 v1, 2, v64
	v_and_b32_e32 v3, 4, v2
	v_and_b32_e32 v5, 1, v0
	v_lshlrev_b32_e32 v2, 6, v3
	v_or_b32_e32 v4, 0x9000, v1
	v_or_b32_e32 v3, v3, v5
	;; [unrolled: 1-line block ×4, first 2 shown]
	v_lshlrev_b32_e32 v2, 1, v5
	v_or_b32_e32 v5, 2, v3
	v_sub_u32_e32 v77, 32, v5
	v_or_b32_e32 v5, 8, v3
	v_sub_u32_e32 v78, 32, v5
	;; [unrolled: 2-line block ×5, first 2 shown]
	v_mul_lo_u32 v34, s17, v3
	v_sub_u32_e32 v81, 32, v5
	v_or_b32_e32 v5, 24, v3
	v_or_b32_e32 v3, 26, v3
                                        ; implicit-def: $vgpr100 : SGPR spill to VGPR lane
	s_add_i32 s26, s20, -1
	v_sub_u32_e32 v83, 32, v3
	v_lshrrev_b32_e32 v3, 1, v0
	s_abs_i32 s20, s11
	v_writelane_b32 v100, s11, 0
	v_and_b32_e32 v50, 16, v3
	v_cvt_f32_u32_e32 v3, s20
	v_writelane_b32 v100, s12, 1
	v_sub_u32_e32 v2, v0, v2
	s_waitcnt lgkmcnt(0)
	v_writelane_b32 v100, s44, 2
	v_add_u32_e32 v2, 1, v2
	v_and_b32_e32 v6, 63, v2
	v_writelane_b32 v100, s45, 3
	v_bitop3_b32 v67, v0, 1, v0 bitop3:0xc
	v_bitop3_b32 v68, v0, 3, 1 bitop3:0x6c
	;; [unrolled: 1-line block ×8, first 2 shown]
	v_and_b32_e32 v2, 30, v0
	v_lshlrev_b32_e32 v0, 4, v0
	v_writelane_b32 v100, s46, 4
	v_and_b32_e32 v0, 0x200, v0
	v_rcp_iflag_f32_e32 v3, v3
	s_abs_i32 s99, s12
	v_writelane_b32 v100, s47, 5
	s_xor_b32 s1, s1, s3
	v_or_b32_e32 v86, v1, v0
	v_cvt_f32_u32_e32 v1, s99
	v_writelane_b32 v100, s48, 6
	s_sub_i32 s13, s1, s3
	v_writelane_b32 v100, s49, 7
	s_mul_i32 s1, s13, s26
	s_lshl_b32 s0, s17, 1
	v_writelane_b32 v100, s50, 8
	s_sub_i32 s27, s2, s1
	v_add_u32_e32 v36, s0, v34
	s_mul_i32 s1, s17, 6
	v_or_b32_e32 v84, v4, v0
	v_mul_f32_e32 v0, 0x4f7ffffe, v3
	v_writelane_b32 v100, s51, 9
	v_cndmask_b32_e64 v63, 0, 1, s[14:15]
	v_add_u32_e32 v38, s1, v36
	v_cvt_u32_f32_e32 v0, v0
	v_rcp_iflag_f32_e32 v1, v1
	v_writelane_b32 v100, s14, 10
	v_add_u32_e32 v40, s0, v38
	v_add_u32_e32 v42, s1, v40
	v_writelane_b32 v100, s15, 11
	v_writelane_b32 v100, s24, 12
	v_add_u32_e32 v44, s0, v42
	v_add_u32_e32 v46, s1, v44
	v_writelane_b32 v100, s25, 13
	v_readfirstlane_b32 s1, v0
	v_mul_f32_e32 v0, 0x4f7ffffe, v1
	v_writelane_b32 v100, s13, 14
	v_cvt_u32_f32_e32 v0, v0
	v_writelane_b32 v100, s26, 15
	v_add_u32_e32 v48, s0, v46
	s_sub_i32 s0, 0, s20
	v_writelane_b32 v100, s27, 16
	s_mul_i32 s0, s0, s1
	v_writelane_b32 v100, s28, 17
	s_lshl_b32 s30, s19, 5
	s_mul_hi_u32 s0, s1, s0
	v_writelane_b32 v100, s29, 18
	s_ashr_i32 s31, s11, 31
	s_add_i32 s34, s1, s0
	s_sub_i32 s0, 0, s99
	v_readfirstlane_b32 s1, v0
	v_mbcnt_lo_u32_b32 v0, -1, 0
	v_writelane_b32 v100, s30, 19
	s_mul_i32 s0, s0, s1
	v_mbcnt_hi_u32_b32 v0, -1, v0
	v_writelane_b32 v100, s31, 20
	v_mov_b32_e32 v33, 0
	v_mul_lo_u32 v52, s19, v64
	s_ashr_i32 s35, s12, 31
	s_mul_hi_u32 s0, s1, s0
	v_and_or_b32 v0, v0, 64, v6
	v_writelane_b32 v100, s34, 21
	v_or_b32_e32 v75, 32, v64
	v_ashrrev_i32_e32 v35, 31, v34
	v_ashrrev_i32_e32 v37, 31, v36
	;; [unrolled: 1-line block ×6, first 2 shown]
	v_sub_u32_e32 v82, 32, v5
	v_ashrrev_i32_e32 v47, 31, v46
	v_ashrrev_i32_e32 v49, 31, v48
	;; [unrolled: 1-line block ×3, first 2 shown]
	v_mov_b32_e32 v51, v33
	v_mul_lo_u32 v85, s18, v64
	s_add_i32 s36, s1, s0
	v_lshlrev_b32_e32 v32, 1, v2
	v_lshlrev_b32_e32 v87, 2, v0
	v_not_b32_e32 v88, 17
	v_mov_b32_e32 v89, v56
	v_writelane_b32 v100, s35, 22
	v_writelane_b32 v100, s36, 23
	s_branch .LBB271_7
.LBB271_4:                              ;   in Loop: Header=BB271_7 Depth=1
	s_or_b64 exec, exec, s[4:5]
.LBB271_5:                              ;   in Loop: Header=BB271_7 Depth=1
	s_or_b64 exec, exec, s[2:3]
	v_subrev_u32_e32 v89, s98, v89
.LBB271_6:                              ;   in Loop: Header=BB271_7 Depth=1
	s_or_b64 exec, exec, s[0:1]
	s_add_i32 s33, s33, 1
	v_cmp_ge_i32_e32 vcc, s33, v62
	s_cbranch_vccnz .LBB271_51
.LBB271_7:                              ; =>This Loop Header: Depth=1
                                        ;     Child Loop BB271_13 Depth 2
                                        ;       Child Loop BB271_15 Depth 3
                                        ;       Child Loop BB271_18 Depth 3
	;; [unrolled: 1-line block ×3, first 2 shown]
                                        ;     Child Loop BB271_38 Depth 2
                                        ;       Child Loop BB271_40 Depth 3
                                        ;     Child Loop BB271_48 Depth 2
                                        ;       Child Loop BB271_50 Depth 3
	s_abs_i32 s1, s33
	s_mul_hi_u32 s2, s1, s34
	s_mul_i32 s3, s2, s20
	s_ashr_i32 s0, s33, 31
	s_sub_i32 s1, s1, s3
	s_xor_b32 s0, s0, s31
	s_add_i32 s3, s2, 1
	s_sub_i32 s4, s1, s20
	s_cmp_ge_u32 s1, s20
	s_cselect_b32 s2, s3, s2
	s_cselect_b32 s1, s4, s1
	s_add_i32 s3, s2, 1
	s_cmp_ge_u32 s1, s20
	s_cselect_b32 s1, s3, s2
	s_xor_b32 s1, s1, s0
	s_sub_i32 s0, s1, s0
	s_abs_i32 s2, s0
	s_mul_i32 s1, s0, s11
	s_mul_hi_u32 s3, s2, s36
	s_sub_i32 s1, s33, s1
	s_mul_i32 s4, s3, s99
	s_mul_i32 s52, s1, 0x60
	s_ashr_i32 s1, s0, 31
	s_sub_i32 s2, s2, s4
	s_xor_b32 s1, s1, s35
	s_add_i32 s4, s3, 1
	s_sub_i32 s5, s2, s99
	s_cmp_ge_u32 s2, s99
	s_cselect_b32 s3, s4, s3
	s_cselect_b32 s2, s5, s2
	s_add_i32 s4, s3, 1
	s_cmp_ge_u32 s2, s99
	s_cselect_b32 s2, s4, s3
	s_xor_b32 s2, s2, s1
	s_sub_i32 s1, s2, s1
	s_mul_i32 s2, s1, s13
	s_lshl_b32 s37, s2, 6
	s_cmp_eq_u32 s1, s26
	s_cselect_b32 s98, s27, s13
	s_sub_i32 s2, s52, s16
	s_add_i32 s53, s2, 0x60
	s_and_saveexec_b64 s[2:3], s[24:25]
	s_xor_b64 s[38:39], exec, s[2:3]
	s_cbranch_execz .LBB271_44
; %bb.8:                                ;   in Loop: Header=BB271_7 Depth=1
	s_mul_i32 s1, s1, s12
	s_sub_i32 s0, s0, s1
	s_lshl_b32 s0, s0, 6
	s_sub_i32 s90, s0, s17
	s_add_i32 s90, s90, 64
	s_max_i32 s1, s90, 0
	s_sub_i32 s54, s0, s1
	s_and_saveexec_b64 s[0:1], s[14:15]
	s_xor_b64 s[4:5], exec, s[0:1]
	s_cbranch_execz .LBB271_34
; %bb.9:                                ;   in Loop: Header=BB271_7 Depth=1
	s_and_saveexec_b64 s[2:3], s[28:29]
	s_cbranch_execz .LBB271_33
; %bb.10:                               ;   in Loop: Header=BB271_7 Depth=1
	global_load_dword v90, v33, s[50:51]
	v_writelane_b32 v100, s2, 24
	v_mov_b32_e32 v31, 0
	v_cmp_gt_i32_e32 vcc, s98, v89
	v_writelane_b32 v100, s3, 25
	v_writelane_b32 v100, s4, 26
	v_mov_b32_e32 v30, v31
	v_mov_b32_e32 v29, v31
	v_mov_b32_e32 v28, v31
	v_mov_b32_e32 v27, v31
	v_mov_b32_e32 v26, v31
	v_mov_b32_e32 v25, v31
	v_mov_b32_e32 v24, v31
	v_mov_b32_e32 v23, v31
	v_mov_b32_e32 v22, v31
	v_mov_b32_e32 v21, v31
	v_mov_b32_e32 v20, v31
	v_mov_b32_e32 v19, v31
	s_waitcnt lgkmcnt(1)
	v_mov_b32_e32 v18, v31
	v_mov_b32_e32 v17, v31
	;; [unrolled: 1-line block ×19, first 2 shown]
	v_writelane_b32 v100, s5, 27
	s_and_saveexec_b64 s[0:1], vcc
	s_cbranch_execz .LBB271_23
; %bb.11:                               ;   in Loop: Header=BB271_7 Depth=1
	v_mov_b32_e32 v0, 0
	s_mov_b64 s[2:3], 0
	v_mov_b32_e32 v1, v0
	v_mov_b32_e32 v2, v0
	;; [unrolled: 1-line block ×31, first 2 shown]
	s_branch .LBB271_13
.LBB271_12:                             ;   in Loop: Header=BB271_13 Depth=2
	s_or_b64 exec, exec, s[4:5]
	v_add_u32_e32 v95, 0x800, v94
	ds_read2_b32 v[96:97], v95 offset1:32
	v_add_u32_e32 v89, s23, v89
	s_waitcnt lgkmcnt(0)
	v_mfma_f32_32x32x16_fp8_fp8 v[0:15], v[60:61], v[96:97], v[0:15]
	ds_read2_b32 v[60:61], v95 offset0:128 offset1:160
	s_waitcnt lgkmcnt(0)
	v_mfma_f32_32x32x16_fp8_fp8 v[0:15], v[58:59], v[60:61], v[0:15]
	v_add_u32_e32 v60, 0xc00, v94
	ds_read2_b32 v[58:59], v60 offset1:32
	ds_read2_b32 v[60:61], v60 offset0:128 offset1:160
	ds_write_b32 v92, v93 offset:61452
	s_waitcnt lgkmcnt(2)
	v_mfma_f32_32x32x16_fp8_fp8 v[0:15], v[56:57], v[58:59], v[0:15]
	v_add_u32_e32 v56, s23, v91
	v_add_u32_e32 v57, 2, v63
	v_cmp_lt_i32_e32 vcc, 5, v56
	s_nop 1
	v_cndmask_b32_e32 v63, v63, v57, vcc
	v_cmp_le_i32_e32 vcc, s98, v89
	s_waitcnt lgkmcnt(1)
	v_mfma_f32_32x32x16_fp8_fp8 v[0:15], v[54:55], v[60:61], v[0:15]
	s_or_b64 s[2:3], vcc, s[2:3]
	s_andn2_b64 exec, exec, s[2:3]
	s_cbranch_execz .LBB271_22
.LBB271_13:                             ;   Parent Loop BB271_7 Depth=1
                                        ; =>  This Loop Header: Depth=2
                                        ;       Child Loop BB271_15 Depth 3
                                        ;       Child Loop BB271_18 Depth 3
                                        ;       Child Loop BB271_21 Depth 3
	v_cmp_gt_i32_e32 vcc, 6, v56
	s_nop 1
	v_cndmask_b32_e64 v54, -6, 0, vcc
	v_add_u32_e32 v91, v54, v56
	v_lshlrev_b32_e32 v92, 4, v91
	ds_read_b32 v54, v92 offset:61440
	s_waitcnt lgkmcnt(0)
	v_cmp_ne_u32_e32 vcc, v54, v63
	s_and_saveexec_b64 s[4:5], vcc
	s_cbranch_execz .LBB271_16
; %bb.14:                               ;   in Loop: Header=BB271_13 Depth=2
	s_mov_b64 s[6:7], 0
.LBB271_15:                             ;   Parent Loop BB271_7 Depth=1
                                        ;     Parent Loop BB271_13 Depth=2
                                        ; =>    This Inner Loop Header: Depth=3
	;;#ASMSTART
	s_sleep 0
	;;#ASMEND
	ds_read_b32 v54, v92 offset:61440
	s_waitcnt lgkmcnt(0)
	v_cmp_eq_u32_e32 vcc, v54, v63
	s_or_b64 s[6:7], vcc, s[6:7]
	s_andn2_b64 exec, exec, s[6:7]
	s_cbranch_execnz .LBB271_15
.LBB271_16:                             ;   in Loop: Header=BB271_13 Depth=2
	s_or_b64 exec, exec, s[4:5]
	v_lshl_or_b32 v54, v91, 11, v65
	ds_read2_b32 v[60:61], v54 offset1:32
	ds_read2_b32 v[58:59], v54 offset0:128 offset1:160
	v_add_u32_e32 v54, 0x400, v54
	ds_read2_b32 v[56:57], v54 offset1:32
	ds_read_b32 v94, v92 offset:61444
	ds_read2_b32 v[54:55], v54 offset0:128 offset1:160
	v_add_u32_e32 v93, 1, v63
	ds_write_b32 v92, v93 offset:61440
	s_waitcnt lgkmcnt(2)
	v_cmp_ne_u32_e32 vcc, v94, v63
	s_and_saveexec_b64 s[4:5], vcc
	s_cbranch_execz .LBB271_19
; %bb.17:                               ;   in Loop: Header=BB271_13 Depth=2
	s_mov_b64 s[6:7], 0
.LBB271_18:                             ;   Parent Loop BB271_7 Depth=1
                                        ;     Parent Loop BB271_13 Depth=2
                                        ; =>    This Inner Loop Header: Depth=3
	;;#ASMSTART
	s_sleep 0
	;;#ASMEND
	ds_read_b32 v94, v92 offset:61444
	s_waitcnt lgkmcnt(0)
	v_cmp_eq_u32_e32 vcc, v94, v63
	s_or_b64 s[6:7], vcc, s[6:7]
	s_andn2_b64 exec, exec, s[6:7]
	s_cbranch_execnz .LBB271_18
.LBB271_19:                             ;   in Loop: Header=BB271_13 Depth=2
	s_or_b64 exec, exec, s[4:5]
	v_lshlrev_b32_e32 v94, 12, v91
	v_add_u32_e32 v94, v66, v94
	ds_read2_b32 v[96:97], v94 offset1:32
	v_add_u32_e32 v95, 0x400, v94
	ds_write_b32 v92, v93 offset:61444
	s_waitcnt lgkmcnt(1)
	v_mfma_f32_32x32x16_fp8_fp8 v[16:31], v[60:61], v[96:97], v[16:31]
	ds_read2_b32 v[96:97], v94 offset0:128 offset1:160
	s_waitcnt lgkmcnt(0)
	v_mfma_f32_32x32x16_fp8_fp8 v[16:31], v[58:59], v[96:97], v[16:31]
	ds_read2_b32 v[96:97], v95 offset1:32
	s_waitcnt lgkmcnt(0)
	v_mfma_f32_32x32x16_fp8_fp8 v[16:31], v[56:57], v[96:97], v[16:31]
	ds_read2_b32 v[96:97], v95 offset0:128 offset1:160
	ds_read_b32 v95, v92 offset:61452
	s_waitcnt lgkmcnt(0)
	v_cmp_ne_u32_e32 vcc, v95, v63
	v_mfma_f32_32x32x16_fp8_fp8 v[16:31], v[54:55], v[96:97], v[16:31]
	s_and_saveexec_b64 s[4:5], vcc
	s_cbranch_execz .LBB271_12
; %bb.20:                               ;   in Loop: Header=BB271_13 Depth=2
	s_mov_b64 s[6:7], 0
.LBB271_21:                             ;   Parent Loop BB271_7 Depth=1
                                        ;     Parent Loop BB271_13 Depth=2
                                        ; =>    This Inner Loop Header: Depth=3
	;;#ASMSTART
	s_sleep 0
	;;#ASMEND
	ds_read_b32 v95, v92 offset:61452
	s_waitcnt lgkmcnt(0)
	v_cmp_eq_u32_e32 vcc, v95, v63
	s_or_b64 s[6:7], vcc, s[6:7]
	s_andn2_b64 exec, exec, s[6:7]
	s_cbranch_execnz .LBB271_21
	s_branch .LBB271_12
.LBB271_22:                             ;   in Loop: Header=BB271_7 Depth=1
	s_or_b64 exec, exec, s[2:3]
.LBB271_23:                             ;   in Loop: Header=BB271_7 Depth=1
	v_writelane_b32 v100, s54, 28
	s_nop 1
	v_writelane_b32 v100, s55, 29
	v_writelane_b32 v100, s38, 30
	s_nop 1
	v_writelane_b32 v100, s39, 31
	v_writelane_b32 v100, s53, 32
	v_writelane_b32 v100, s37, 33
	v_writelane_b32 v100, s52, 34
	s_or_b64 exec, exec, s[0:1]
	v_cmp_le_i32_e32 vcc, s90, v64
	v_cmp_eq_u32_e64 s[86:87], 1, v67
	v_cmp_eq_u32_e64 s[50:51], 2, v67
	s_waitcnt vmcnt(0)
	v_cndmask_b32_e32 v54, 0, v90, vcc
	v_pk_mul_f32 v[16:17], v[54:55], v[16:17] op_sel_hi:[0,1]
	v_pk_mul_f32 v[30:31], v[54:55], v[30:31] op_sel_hi:[0,1]
	;; [unrolled: 1-line block ×8, first 2 shown]
	v_cndmask_b32_e64 v54, v16, v17, s[86:87]
	v_cndmask_b32_e64 v54, v54, v18, s[50:51]
	v_cmp_eq_u32_e64 s[54:55], 3, v67
	v_cmp_eq_u32_e64 s[56:57], 4, v67
	v_cmp_eq_u32_e64 s[60:61], 5, v67
	v_cndmask_b32_e64 v54, v54, v19, s[54:55]
	v_cndmask_b32_e64 v54, v54, v20, s[56:57]
	v_cndmask_b32_e64 v54, v54, v21, s[60:61]
	v_cmp_eq_u32_e64 s[64:65], 6, v67
	v_cmp_eq_u32_e64 s[68:69], 7, v67
	v_cmp_eq_u32_e64 s[72:73], 8, v67
	v_cndmask_b32_e64 v54, v54, v22, s[64:65]
	;; [unrolled: 6-line block ×5, first 2 shown]
	ds_bpermute_b32 v54, v87, v54
	v_cmp_eq_u32_e64 s[26:27], 2, v68
	v_cmp_eq_u32_e64 s[28:29], 3, v68
	;; [unrolled: 1-line block ×4, first 2 shown]
	s_waitcnt lgkmcnt(0)
	v_cndmask_b32_e64 v17, v17, v54, s[86:87]
	v_cndmask_b32_e64 v16, v16, v54, s[70:71]
	;; [unrolled: 1-line block ×12, first 2 shown]
	v_cmp_eq_u32_e64 s[36:37], 6, v68
	v_cndmask_b32_e64 v57, v23, v54, s[68:69]
	v_cmp_eq_u32_e64 s[38:39], 7, v68
	v_cndmask_b32_e64 v18, v18, v58, s[36:37]
	v_cndmask_b32_e64 v55, v24, v54, s[72:73]
	v_cndmask_b32_e64 v18, v18, v57, s[38:39]
	v_cmp_eq_u32_e64 s[42:43], 8, v68
	v_cndmask_b32_e64 v25, v25, v54, s[76:77]
	v_cmp_eq_u32_e64 s[44:45], 9, v68
	v_cndmask_b32_e64 v18, v18, v55, s[42:43]
	v_cndmask_b32_e64 v26, v26, v54, s[78:79]
	v_cndmask_b32_e64 v18, v18, v25, s[44:45]
	;; [unrolled: 6-line block ×4, first 2 shown]
	v_cmp_eq_u32_e64 s[62:63], 14, v68
	v_cndmask_b32_e64 v31, v31, v54, s[88:89]
	v_cmp_eq_u32_e64 s[66:67], 15, v68
	v_cndmask_b32_e64 v18, v18, v30, s[62:63]
	v_cmp_le_i32_e64 s[90:91], s90, v75
	v_cndmask_b32_e64 v18, v18, v31, s[66:67]
	ds_bpermute_b32 v54, v87, v18
	v_cmp_eq_u32_e64 s[40:41], 0, v68
	v_cmp_eq_u32_e64 s[2:3], 1, v69
	;; [unrolled: 1-line block ×4, first 2 shown]
	s_waitcnt lgkmcnt(0)
	v_cndmask_b32_e64 v22, v27, v54, s[48:49]
	v_cndmask_b32_e64 v27, v58, v54, s[36:37]
	;; [unrolled: 1-line block ×3, first 2 shown]
	v_pk_mul_f32 v[0:1], v[58:59], v[0:1] op_sel_hi:[0,1]
	v_cndmask_b32_e64 v24, v25, v54, s[44:45]
	v_cndmask_b32_e64 v25, v55, v54, s[42:43]
	v_pk_mul_f32 v[2:3], v[58:59], v[2:3] op_sel_hi:[0,1]
	v_cndmask_b32_e64 v55, v0, v1, s[86:87]
	v_cndmask_b32_e64 v55, v55, v2, s[50:51]
	v_pk_mul_f32 v[4:5], v[58:59], v[4:5] op_sel_hi:[0,1]
	v_cndmask_b32_e64 v55, v55, v3, s[54:55]
	v_cndmask_b32_e64 v55, v55, v4, s[56:57]
	v_pk_mul_f32 v[6:7], v[58:59], v[6:7] op_sel_hi:[0,1]
	v_cndmask_b32_e64 v55, v55, v5, s[60:61]
	v_cndmask_b32_e64 v55, v55, v6, s[64:65]
	v_pk_mul_f32 v[8:9], v[58:59], v[8:9] op_sel_hi:[0,1]
	v_cndmask_b32_e64 v55, v55, v7, s[68:69]
	v_cndmask_b32_e64 v55, v55, v8, s[72:73]
	v_pk_mul_f32 v[10:11], v[58:59], v[10:11] op_sel_hi:[0,1]
	v_cndmask_b32_e64 v55, v55, v9, s[76:77]
	v_cndmask_b32_e64 v55, v55, v10, s[78:79]
	v_cndmask_b32_e64 v17, v17, v54, s[24:25]
	v_cndmask_b32_e64 v16, v16, v54, s[40:41]
	v_pk_mul_f32 v[12:13], v[58:59], v[12:13] op_sel_hi:[0,1]
	v_cndmask_b32_e64 v55, v55, v11, s[74:75]
	v_cndmask_b32_e64 v18, v31, v54, s[66:67]
	;; [unrolled: 1-line block ×14, first 2 shown]
	v_pk_mul_f32 v[14:15], v[58:59], v[14:15] op_sel_hi:[0,1]
	v_cndmask_b32_e64 v55, v55, v13, s[82:83]
	v_cndmask_b32_e64 v54, v54, v30, s[8:9]
	v_cmp_eq_u32_e64 s[10:11], 4, v69
	v_cndmask_b32_e64 v55, v55, v14, s[84:85]
	v_cmp_eq_u32_e64 s[12:13], 5, v69
	v_cndmask_b32_e64 v54, v54, v29, s[10:11]
	v_cndmask_b32_e64 v55, v55, v15, s[88:89]
	;; [unrolled: 1-line block ×3, first 2 shown]
	v_cmp_eq_u32_e64 s[14:15], 6, v69
	ds_bpermute_b32 v55, v87, v55
	v_cmp_eq_u32_e64 s[96:97], 7, v69
	v_cndmask_b32_e64 v54, v54, v27, s[14:15]
	v_cmp_eq_u32_e64 s[4:5], 8, v69
	v_cndmask_b32_e64 v54, v54, v26, s[96:97]
	v_cmp_eq_u32_e32 vcc, 9, v69
	v_cndmask_b32_e64 v54, v54, v25, s[4:5]
	v_cmp_eq_u32_e64 s[0:1], 10, v69
	v_cndmask_b32_e32 v54, v54, v24, vcc
	v_cmp_eq_u32_e64 s[86:87], 11, v69
	v_cndmask_b32_e64 v54, v54, v23, s[0:1]
	s_waitcnt lgkmcnt(0)
	v_cndmask_b32_e64 v2, v2, v55, s[50:51]
	v_cmp_ne_u32_e64 s[50:51], 0, v67
	v_cndmask_b32_e64 v54, v54, v22, s[86:87]
	v_cmp_eq_u32_e64 s[90:91], 12, v69
	v_cndmask_b32_e64 v1, v1, v55, s[50:51]
	v_cndmask_b32_e64 v0, v0, v55, s[70:71]
	;; [unrolled: 1-line block ×4, first 2 shown]
	v_cmp_eq_u32_e64 s[88:89], 13, v69
	v_cndmask_b32_e64 v14, v14, v55, s[84:85]
	v_cndmask_b32_e64 v13, v13, v55, s[82:83]
	v_cndmask_b32_e64 v12, v12, v55, s[80:81]
	v_cndmask_b32_e64 v11, v11, v55, s[74:75]
	v_cndmask_b32_e64 v10, v10, v55, s[78:79]
	v_cndmask_b32_e64 v9, v9, v55, s[76:77]
	v_cndmask_b32_e64 v8, v8, v55, s[72:73]
	v_cndmask_b32_e64 v7, v7, v55, s[68:69]
	v_cndmask_b32_e64 v6, v6, v55, s[64:65]
	v_cndmask_b32_e64 v5, v5, v55, s[60:61]
	v_cndmask_b32_e64 v4, v4, v55, s[56:57]
	v_cndmask_b32_e64 v3, v3, v55, s[54:55]
	v_cndmask_b32_e64 v55, v0, v1, s[24:25]
	v_cndmask_b32_e64 v54, v54, v20, s[88:89]
	v_cmp_eq_u32_e64 s[84:85], 14, v69
	v_cndmask_b32_e64 v55, v55, v2, s[26:27]
	v_cmp_eq_u32_e64 s[82:83], 15, v69
	v_cndmask_b32_e64 v54, v54, v19, s[84:85]
	v_cndmask_b32_e64 v55, v55, v3, s[28:29]
	;; [unrolled: 1-line block ×4, first 2 shown]
	ds_bpermute_b32 v54, v87, v54
	v_cndmask_b32_e64 v55, v55, v5, s[34:35]
	v_cndmask_b32_e64 v55, v55, v6, s[36:37]
	;; [unrolled: 1-line block ×4, first 2 shown]
	v_cmp_eq_u32_e64 s[80:81], 0, v69
	v_cndmask_b32_e64 v55, v55, v9, s[44:45]
	s_waitcnt lgkmcnt(0)
	v_cndmask_b32_e64 v17, v17, v54, s[2:3]
	v_cndmask_b32_e64 v16, v16, v54, s[80:81]
	v_cmp_eq_u32_e64 s[74:75], 1, v70
	v_cndmask_b32_e64 v55, v55, v10, s[46:47]
	v_cndmask_b32_e64 v18, v18, v54, s[82:83]
	;; [unrolled: 1-line block ×7, first 2 shown]
	v_cndmask_b32_e32 v24, v24, v54, vcc
	v_cndmask_b32_e64 v25, v25, v54, s[4:5]
	v_cndmask_b32_e64 v26, v26, v54, s[96:97]
	;; [unrolled: 1-line block ×8, first 2 shown]
	v_cmp_eq_u32_e64 s[78:79], 2, v70
	v_cndmask_b32_e64 v55, v55, v11, s[48:49]
	v_cmp_eq_u32_e64 s[76:77], 3, v70
	v_cndmask_b32_e64 v54, v54, v31, s[78:79]
	v_cndmask_b32_e64 v55, v55, v12, s[52:53]
	;; [unrolled: 1-line block ×3, first 2 shown]
	v_cmp_eq_u32_e64 s[72:73], 4, v70
	v_cndmask_b32_e64 v55, v55, v13, s[58:59]
	v_cmp_eq_u32_e64 s[68:69], 5, v70
	v_cndmask_b32_e64 v54, v54, v29, s[72:73]
	v_cndmask_b32_e64 v55, v55, v14, s[62:63]
	;; [unrolled: 1-line block ×3, first 2 shown]
	v_cmp_eq_u32_e64 s[64:65], 6, v70
	v_cndmask_b32_e64 v55, v55, v15, s[66:67]
	v_cmp_eq_u32_e64 s[60:61], 7, v70
	v_cndmask_b32_e64 v54, v54, v27, s[64:65]
	ds_bpermute_b32 v55, v87, v55
	v_cndmask_b32_e64 v54, v54, v26, s[60:61]
	v_cmp_eq_u32_e64 s[56:57], 8, v70
	v_cmp_eq_u32_e64 s[54:55], 9, v70
	;; [unrolled: 1-line block ×3, first 2 shown]
	v_cndmask_b32_e64 v54, v54, v25, s[56:57]
	v_cndmask_b32_e64 v54, v54, v24, s[54:55]
	;; [unrolled: 1-line block ×3, first 2 shown]
	v_cmp_eq_u32_e64 s[70:71], 11, v70
	s_waitcnt lgkmcnt(0)
	v_cndmask_b32_e64 v15, v15, v55, s[66:67]
	v_cmp_eq_u32_e64 s[66:67], 12, v70
	v_cndmask_b32_e64 v54, v54, v22, s[70:71]
	v_cndmask_b32_e64 v14, v14, v55, s[62:63]
	;; [unrolled: 1-line block ×3, first 2 shown]
	v_cmp_eq_u32_e64 s[62:63], 13, v70
	v_cndmask_b32_e64 v1, v1, v55, s[24:25]
	v_cndmask_b32_e64 v0, v0, v55, s[40:41]
	;; [unrolled: 1-line block ×4, first 2 shown]
	v_cmp_eq_u32_e64 s[92:93], 14, v70
	v_cndmask_b32_e64 v12, v12, v55, s[52:53]
	v_cndmask_b32_e64 v11, v11, v55, s[48:49]
	;; [unrolled: 1-line block ×13, first 2 shown]
	v_cmp_eq_u32_e64 s[94:95], 15, v70
	v_cndmask_b32_e64 v55, v55, v2, s[6:7]
	v_cndmask_b32_e64 v55, v55, v3, s[8:9]
	;; [unrolled: 1-line block ×3, first 2 shown]
	ds_bpermute_b32 v54, v87, v54
	v_cndmask_b32_e64 v55, v55, v4, s[10:11]
	v_cndmask_b32_e64 v55, v55, v5, s[12:13]
	;; [unrolled: 1-line block ×4, first 2 shown]
	v_cmp_eq_u32_e64 s[48:49], 0, v70
	v_cndmask_b32_e64 v55, v55, v8, s[4:5]
	s_waitcnt lgkmcnt(0)
	v_cndmask_b32_e64 v17, v17, v54, s[74:75]
	v_cndmask_b32_e64 v16, v16, v54, s[48:49]
	v_cmp_eq_u32_e64 s[46:47], 1, v71
	v_cndmask_b32_e32 v55, v55, v9, vcc
	v_cndmask_b32_e64 v18, v18, v54, s[94:95]
	v_cndmask_b32_e64 v19, v19, v54, s[92:93]
	;; [unrolled: 1-line block ×15, first 2 shown]
	v_cmp_eq_u32_e64 s[44:45], 2, v71
	v_cndmask_b32_e64 v55, v55, v10, s[0:1]
	v_cmp_eq_u32_e64 s[42:43], 3, v71
	v_cndmask_b32_e64 v54, v54, v31, s[44:45]
	v_cndmask_b32_e64 v55, v55, v11, s[86:87]
	v_cndmask_b32_e64 v54, v54, v30, s[42:43]
	v_cmp_eq_u32_e64 s[38:39], 4, v71
	v_cndmask_b32_e64 v55, v55, v12, s[90:91]
	v_cmp_eq_u32_e64 s[36:37], 5, v71
	v_cndmask_b32_e64 v54, v54, v29, s[38:39]
	v_cndmask_b32_e64 v55, v55, v13, s[88:89]
	v_cndmask_b32_e64 v54, v54, v28, s[36:37]
	;; [unrolled: 6-line block ×3, first 2 shown]
	v_cmp_eq_u32_e64 s[28:29], 8, v71
	ds_bpermute_b32 v55, v87, v55
	v_cmp_eq_u32_e64 s[26:27], 9, v71
	v_cndmask_b32_e64 v54, v54, v25, s[28:29]
	v_cmp_eq_u32_e64 s[24:25], 10, v71
	v_cndmask_b32_e64 v54, v54, v24, s[26:27]
	;; [unrolled: 2-line block ×4, first 2 shown]
	s_waitcnt lgkmcnt(0)
	v_cndmask_b32_e64 v15, v15, v55, s[82:83]
	v_cndmask_b32_e64 v54, v54, v21, s[58:59]
	v_cmp_eq_u32_e64 s[82:83], 13, v71
	v_cndmask_b32_e64 v14, v14, v55, s[84:85]
	v_cmp_eq_u32_e64 s[84:85], 14, v71
	v_cndmask_b32_e64 v54, v54, v20, s[82:83]
	v_cndmask_b32_e64 v1, v1, v55, s[2:3]
	;; [unrolled: 1-line block ×6, first 2 shown]
	v_cmp_eq_u32_e64 s[90:91], 15, v71
	v_cndmask_b32_e64 v11, v11, v55, s[86:87]
	v_cndmask_b32_e64 v10, v10, v55, s[0:1]
	v_cndmask_b32_e32 v9, v9, v55, vcc
	v_cndmask_b32_e64 v8, v8, v55, s[4:5]
	v_cndmask_b32_e64 v7, v7, v55, s[96:97]
	;; [unrolled: 1-line block ×10, first 2 shown]
	ds_bpermute_b32 v54, v87, v54
	v_cndmask_b32_e64 v55, v55, v3, s[76:77]
	v_cndmask_b32_e64 v55, v55, v4, s[72:73]
	;; [unrolled: 1-line block ×3, first 2 shown]
	v_cmp_eq_u32_e64 s[52:53], 0, v71
	v_cndmask_b32_e64 v55, v55, v6, s[64:65]
	v_cndmask_b32_e64 v55, v55, v7, s[60:61]
	v_writelane_b32 v100, s52, 35
	s_waitcnt lgkmcnt(0)
	v_cndmask_b32_e64 v17, v17, v54, s[46:47]
	v_cndmask_b32_e64 v55, v55, v8, s[56:57]
	v_writelane_b32 v100, s53, 36
	v_cndmask_b32_e64 v16, v16, v54, s[52:53]
	v_cmp_eq_u32_e64 s[52:53], 1, v72
	v_cndmask_b32_e64 v18, v18, v54, s[90:91]
	v_cndmask_b32_e64 v19, v19, v54, s[84:85]
	;; [unrolled: 1-line block ×15, first 2 shown]
	v_cmp_eq_u32_e64 s[0:1], 2, v72
	v_cndmask_b32_e64 v55, v55, v9, s[54:55]
	v_cmp_eq_u32_e64 s[4:5], 3, v72
	v_cndmask_b32_e64 v54, v54, v31, s[0:1]
	v_cndmask_b32_e64 v55, v55, v10, s[50:51]
	v_cndmask_b32_e64 v54, v54, v30, s[4:5]
	v_cmp_eq_u32_e64 s[96:97], 4, v72
	v_cndmask_b32_e64 v55, v55, v11, s[70:71]
	v_cmp_eq_u32_e64 s[14:15], 5, v72
	v_cndmask_b32_e64 v54, v54, v29, s[96:97]
	v_cndmask_b32_e64 v55, v55, v12, s[66:67]
	v_cndmask_b32_e64 v54, v54, v28, s[14:15]
	;; [unrolled: 6-line block ×3, first 2 shown]
	v_cmp_eq_u32_e64 s[8:9], 8, v72
	v_cndmask_b32_e64 v55, v55, v15, s[94:95]
	v_cmp_eq_u32_e64 s[6:7], 9, v72
	v_cndmask_b32_e64 v54, v54, v25, s[8:9]
	ds_bpermute_b32 v55, v87, v55
	v_cndmask_b32_e64 v54, v54, v24, s[6:7]
	v_cmp_eq_u32_e32 vcc, 10, v72
	v_cmp_eq_u32_e64 s[80:81], 11, v72
	v_cmp_eq_u32_e64 s[86:87], 12, v72
	v_cndmask_b32_e32 v54, v54, v23, vcc
	v_cndmask_b32_e64 v54, v54, v22, s[80:81]
	v_cndmask_b32_e64 v54, v54, v21, s[86:87]
	v_cmp_eq_u32_e64 s[88:89], 13, v72
	s_waitcnt lgkmcnt(0)
	v_cndmask_b32_e64 v13, v13, v55, s[62:63]
	v_cmp_eq_u32_e64 s[62:63], 14, v72
	v_cndmask_b32_e64 v54, v54, v20, s[88:89]
	v_cndmask_b32_e64 v12, v12, v55, s[66:67]
	;; [unrolled: 1-line block ×3, first 2 shown]
	v_cmp_eq_u32_e64 s[66:67], 15, v72
	v_cndmask_b32_e64 v57, v11, v55, s[70:71]
	v_cmp_eq_u32_e64 s[70:71], 0, v72
	v_cndmask_b32_e64 v54, v54, v18, s[66:67]
	ds_bpermute_b32 v54, v87, v54
	v_cndmask_b32_e64 v15, v15, v55, s[94:95]
	v_cndmask_b32_e64 v14, v14, v55, s[92:93]
	;; [unrolled: 1-line block ×4, first 2 shown]
	s_waitcnt lgkmcnt(0)
	v_cndmask_b32_e64 v18, v18, v54, s[66:67]
	v_cndmask_b32_e64 v19, v19, v54, s[62:63]
	;; [unrolled: 1-line block ×5, first 2 shown]
	v_cndmask_b32_e32 v23, v23, v54, vcc
	v_cndmask_b32_e64 v24, v24, v54, s[6:7]
	v_cndmask_b32_e64 v25, v25, v54, s[8:9]
	;; [unrolled: 1-line block ×28, first 2 shown]
	v_cmp_eq_u32_e64 s[50:51], 1, v73
	v_cndmask_b32_e64 v0, v0, v54, s[24:25]
	v_cmp_eq_u32_e64 s[54:55], 2, v73
	v_cndmask_b32_e64 v10, v16, v17, s[50:51]
	v_cndmask_b32_e64 v0, v0, v57, s[40:41]
	v_cndmask_b32_e64 v9, v10, v31, s[54:55]
	v_cmp_eq_u32_e64 s[56:57], 3, v73
	v_cndmask_b32_e64 v0, v0, v12, s[58:59]
	v_cmp_eq_u32_e64 s[60:61], 4, v73
	v_cndmask_b32_e64 v8, v9, v30, s[56:57]
	v_cndmask_b32_e64 v0, v0, v13, s[82:83]
	v_cndmask_b32_e64 v7, v8, v29, s[60:61]
	;; [unrolled: 6-line block ×3, first 2 shown]
	v_cmp_eq_u32_e64 s[72:73], 7, v73
	ds_bpermute_b32 v95, v87, v0
	v_cmp_eq_u32_e64 s[76:77], 8, v73
	v_cndmask_b32_e64 v4, v5, v26, s[72:73]
	v_cmp_eq_u32_e64 s[78:79], 9, v73
	v_cndmask_b32_e64 v3, v4, v25, s[76:77]
	;; [unrolled: 2-line block ×4, first 2 shown]
	s_waitcnt lgkmcnt(0)
	v_cndmask_b32_e64 v96, v15, v95, s[90:91]
	v_cndmask_b32_e64 v0, v0, v22, s[74:75]
	v_cmp_eq_u32_e64 s[90:91], 12, v73
	v_cndmask_b32_e64 v97, v14, v95, s[84:85]
	v_cmp_eq_u32_e64 s[84:85], 13, v73
	v_cndmask_b32_e64 v0, v0, v21, s[90:91]
	v_cndmask_b32_e64 v98, v13, v95, s[82:83]
	;; [unrolled: 1-line block ×3, first 2 shown]
	v_cmp_eq_u32_e64 s[82:83], 14, v73
	v_cndmask_b32_e64 v99, v12, v95, s[58:59]
	v_cmp_eq_u32_e64 s[58:59], 15, v73
	v_cndmask_b32_e64 v0, v0, v19, s[82:83]
	v_readlane_b32 s2, v100, 35
	v_cndmask_b32_e64 v0, v0, v18, s[58:59]
	ds_bpermute_b32 v1, v87, v0
	v_readlane_b32 s3, v100, 36
	s_waitcnt lgkmcnt(0)
	v_cndmask_b32_e64 v11, v27, v1, s[68:69]
	v_cndmask_b32_e64 v12, v28, v1, s[64:65]
	;; [unrolled: 1-line block ×4, first 2 shown]
	s_mov_b64 s[2:3], s[52:53]
	v_cndmask_b32_e64 v10, v26, v1, s[72:73]
	v_cndmask_b32_e64 v13, v29, v1, s[60:61]
	v_cndmask_b32_e64 v26, v93, v95, s[44:45]
	v_cndmask_b32_e64 v29, v28, v27, s[2:3]
	v_cndmask_b32_e64 v9, v25, v1, s[76:77]
	v_cndmask_b32_e64 v25, v92, v95, s[42:43]
	v_cndmask_b32_e64 v29, v29, v26, s[0:1]
	v_cndmask_b32_e64 v8, v24, v1, s[78:79]
	v_cndmask_b32_e64 v24, v91, v95, s[38:39]
	v_cndmask_b32_e64 v29, v29, v25, s[4:5]
	v_cndmask_b32_e64 v7, v23, v1, s[48:49]
	v_cndmask_b32_e64 v23, v90, v95, s[36:37]
	v_cndmask_b32_e64 v29, v29, v24, s[96:97]
	v_cndmask_b32_e64 v6, v22, v1, s[74:75]
	v_cndmask_b32_e64 v22, v61, v95, s[34:35]
	v_cndmask_b32_e64 v29, v29, v23, s[14:15]
	v_cndmask_b32_e64 v5, v21, v1, s[90:91]
	v_cndmask_b32_e64 v21, v60, v95, s[30:31]
	v_cndmask_b32_e64 v29, v29, v22, s[12:13]
	v_cndmask_b32_e64 v4, v20, v1, s[84:85]
	v_cndmask_b32_e64 v20, v59, v95, s[28:29]
	v_cndmask_b32_e64 v29, v29, v21, s[10:11]
	v_cndmask_b32_e64 v3, v19, v1, s[82:83]
	v_cndmask_b32_e64 v0, v17, v1, s[50:51]
	v_cndmask_b32_e64 v17, v57, v95, s[40:41]
	v_cmp_eq_u32_e64 s[40:41], 0, v73
	v_cndmask_b32_e64 v19, v58, v95, s[26:27]
	v_cndmask_b32_e64 v29, v29, v20, s[8:9]
	;; [unrolled: 1-line block ×8, first 2 shown]
	v_cndmask_b32_e32 v29, v29, v16, vcc
	v_cndmask_b32_e64 v29, v29, v17, s[80:81]
	v_cndmask_b32_e64 v29, v29, v99, s[86:87]
	;; [unrolled: 1-line block ×5, first 2 shown]
	ds_bpermute_b32 v29, v87, v29
	v_cmp_eq_u32_e64 s[24:25], 1, v74
	v_cmp_eq_u32_e64 s[26:27], 2, v74
	;; [unrolled: 1-line block ×3, first 2 shown]
	v_cndmask_b32_e64 v18, v1, v0, s[24:25]
	s_waitcnt lgkmcnt(0)
	v_cndmask_b32_e64 v93, v27, v29, s[2:3]
	v_cndmask_b32_e64 v94, v28, v29, s[70:71]
	;; [unrolled: 1-line block ×18, first 2 shown]
	v_cndmask_b32_e32 v16, v16, v29, vcc
	v_cndmask_b32_e64 v19, v19, v57, s[78:79]
	v_cndmask_b32_e64 v17, v17, v29, s[80:81]
	;; [unrolled: 1-line block ×12, first 2 shown]
	ds_bpermute_b32 v95, v87, v19
	v_cndmask_b32_e64 v18, v18, v15, s[26:27]
	v_cndmask_b32_e64 v18, v18, v14, s[28:29]
	v_cmp_eq_u32_e64 s[30:31], 4, v74
	v_cmp_eq_u32_e64 s[34:35], 5, v74
	s_waitcnt lgkmcnt(0)
	v_cndmask_b32_e64 v23, v17, v95, s[74:75]
	v_cndmask_b32_e64 v24, v16, v95, s[48:49]
	;; [unrolled: 1-line block ×18, first 2 shown]
	v_cmp_eq_u32_e64 s[36:37], 6, v74
	v_cndmask_b32_e64 v28, v60, v95, s[68:69]
	v_cndmask_b32_e64 v55, v55, v29, s[34:35]
	v_cndmask_b32_e64 v18, v18, v11, s[36:37]
	v_cmp_eq_u32_e64 s[38:39], 7, v74
	v_cndmask_b32_e64 v27, v59, v95, s[72:73]
	v_cndmask_b32_e64 v55, v55, v28, s[36:37]
	v_cndmask_b32_e64 v18, v18, v10, s[38:39]
	;; [unrolled: 4-line block ×4, first 2 shown]
	v_cmp_eq_u32_e64 s[46:47], 10, v74
	v_cndmask_b32_e64 v55, v55, v25, s[44:45]
	v_cmp_eq_u32_e64 s[52:53], 11, v74
	v_cndmask_b32_e64 v18, v18, v7, s[46:47]
	v_cndmask_b32_e64 v55, v55, v24, s[46:47]
	;; [unrolled: 1-line block ×3, first 2 shown]
	v_cmp_eq_u32_e64 s[66:67], 12, v74
	v_cndmask_b32_e64 v55, v55, v23, s[52:53]
	v_cmp_eq_u32_e64 s[62:63], 13, v74
	v_cndmask_b32_e64 v18, v18, v5, s[66:67]
	v_cndmask_b32_e64 v55, v55, v22, s[66:67]
	;; [unrolled: 1-line block ×3, first 2 shown]
	v_cmp_eq_u32_e32 vcc, 14, v74
	v_cndmask_b32_e64 v55, v55, v21, s[62:63]
	v_cmp_eq_u32_e64 s[6:7], 15, v74
	v_cndmask_b32_e32 v18, v18, v3, vcc
	v_cndmask_b32_e32 v55, v55, v20, vcc
	v_cndmask_b32_e64 v18, v18, v2, s[6:7]
	v_cndmask_b32_e64 v55, v55, v19, s[6:7]
	ds_bpermute_b32 v18, v87, v18
	ds_bpermute_b32 v58, v87, v55
	v_readlane_b32 s53, v100, 32
	s_nop 1
	v_cmp_lt_i32_e32 vcc, s53, v76
	s_and_saveexec_b64 s[40:41], vcc
	v_readlane_b32 s44, v100, 2
	v_readlane_b32 s45, v100, 3
	;; [unrolled: 1-line block ×11, first 2 shown]
	s_cbranch_execz .LBB271_32
; %bb.24:                               ;   in Loop: Header=BB271_7 Depth=1
	s_mul_i32 s0, s52, s17
	s_ashr_i32 s1, s0, 31
	s_lshl_b64 s[0:1], s[0:1], 1
	s_add_u32 s2, s48, s0
	v_cmp_eq_u32_e64 s[34:35], 1, v74
	v_cmp_eq_u32_e64 s[36:37], 0, v74
	s_addc_u32 s3, s49, s1
	s_ashr_i32 s55, s54, 31
	s_waitcnt lgkmcnt(1)
	v_cndmask_b32_e64 v55, v0, v18, s[34:35]
	v_cndmask_b32_e64 v57, v1, v18, s[36:37]
	s_lshl_b64 s[0:1], s[54:55], 1
	s_waitcnt lgkmcnt(0)
	v_cndmask_b32_e64 v59, v16, v58, s[34:35]
	v_cndmask_b32_e64 v60, v17, v58, s[36:37]
	v_cvt_f16_f32_e32 v57, v57
	v_cvt_f16_f32_sdwa v55, v55 dst_sel:WORD_1 dst_unused:UNUSED_PAD src0_sel:DWORD
	s_add_u32 s42, s2, s0
	v_cvt_f16_f32_e32 v60, v60
	v_cvt_f16_f32_sdwa v59, v59 dst_sel:WORD_1 dst_unused:UNUSED_PAD src0_sel:DWORD
	s_addc_u32 s43, s3, s1
	v_lshl_add_u64 v[0:1], s[42:43], 0, v[32:33]
	v_cmp_eq_u32_e32 vcc, 15, v74
	v_cmp_eq_u32_e64 s[6:7], 14, v74
	v_cmp_eq_u32_e64 s[8:9], 13, v74
	;; [unrolled: 1-line block ×13, first 2 shown]
	v_lshl_add_u64 v[16:17], v[34:35], 1, v[0:1]
	v_or_b32_e32 v55, v55, v57
	v_cmp_lt_i32_e64 s[34:35], s53, v77
	;;#ASMSTART
	global_atomic_pk_add_f16 v[16:17], v55, off
	
	;;#ASMEND
	v_lshl_add_u64 v[16:17], v[16:17], 0, 64
	v_or_b32_e32 v55, v59, v60
	;;#ASMSTART
	global_atomic_pk_add_f16 v[16:17], v55, off
	
	;;#ASMEND
	s_and_b64 exec, exec, s[34:35]
	s_cbranch_execz .LBB271_32
; %bb.25:                               ;   in Loop: Header=BB271_7 Depth=1
	v_cndmask_b32_e32 v2, v2, v18, vcc
	v_cndmask_b32_e64 v3, v3, v18, s[6:7]
	v_cndmask_b32_e64 v16, v4, v18, s[8:9]
	;; [unrolled: 1-line block ×19, first 2 shown]
	v_cvt_f16_f32_e32 v22, v18
	v_cvt_f16_f32_sdwa v23, v93 dst_sel:WORD_1 dst_unused:UNUSED_PAD src0_sel:DWORD
	v_cvt_f16_f32_e32 v21, v21
	v_cvt_f16_f32_sdwa v20, v20 dst_sel:WORD_1 dst_unused:UNUSED_PAD src0_sel:DWORD
	v_cndmask_b32_e32 v4, v19, v58, vcc
	v_cndmask_b32_e64 v9, v24, v58, s[14:15]
	v_cndmask_b32_e64 v10, v25, v58, s[0:1]
	;; [unrolled: 1-line block ×7, first 2 shown]
	v_lshl_add_u64 v[18:19], v[36:37], 1, v[0:1]
	v_cmp_lt_i32_e32 vcc, s53, v78
	v_or_b32_e32 v22, v23, v22
	;;#ASMSTART
	global_atomic_pk_add_f16 v[18:19], v22, off
	
	;;#ASMEND
	v_lshl_add_u64 v[18:19], v[18:19], 0, 64
	v_or_b32_e32 v20, v20, v21
	;;#ASMSTART
	global_atomic_pk_add_f16 v[18:19], v20, off
	
	;;#ASMEND
	s_and_b64 exec, exec, vcc
	s_cbranch_execz .LBB271_32
; %bb.26:                               ;   in Loop: Header=BB271_7 Depth=1
	v_cvt_f16_f32_e32 v20, v92
	v_cvt_f16_f32_sdwa v21, v91 dst_sel:WORD_1 dst_unused:UNUSED_PAD src0_sel:DWORD
	v_cvt_f16_f32_e32 v22, v15
	v_cvt_f16_f32_sdwa v23, v14 dst_sel:WORD_1 dst_unused:UNUSED_PAD src0_sel:DWORD
	v_lshl_add_u64 v[18:19], v[38:39], 1, v[0:1]
	v_or_b32_e32 v14, v21, v20
	v_cmp_lt_i32_e32 vcc, s53, v79
	;;#ASMSTART
	global_atomic_pk_add_f16 v[18:19], v14, off
	
	;;#ASMEND
	v_lshl_add_u64 v[14:15], v[18:19], 0, 64
	v_or_b32_e32 v18, v23, v22
	;;#ASMSTART
	global_atomic_pk_add_f16 v[14:15], v18, off
	
	;;#ASMEND
	s_and_b64 exec, exec, vcc
	s_cbranch_execz .LBB271_32
; %bb.27:                               ;   in Loop: Header=BB271_7 Depth=1
	v_cvt_f16_f32_e32 v18, v90
	v_cvt_f16_f32_sdwa v19, v61 dst_sel:WORD_1 dst_unused:UNUSED_PAD src0_sel:DWORD
	v_cvt_f16_f32_e32 v20, v13
	v_cvt_f16_f32_sdwa v21, v12 dst_sel:WORD_1 dst_unused:UNUSED_PAD src0_sel:DWORD
	v_lshl_add_u64 v[14:15], v[40:41], 1, v[0:1]
	v_or_b32_e32 v12, v19, v18
	v_cmp_lt_i32_e32 vcc, s53, v80
	;; [unrolled: 20-line block ×5, first 2 shown]
	;;#ASMSTART
	global_atomic_pk_add_f16 v[8:9], v6, off
	
	;;#ASMEND
	v_lshl_add_u64 v[6:7], v[8:9], 0, 64
	v_or_b32_e32 v8, v13, v12
	;;#ASMSTART
	global_atomic_pk_add_f16 v[6:7], v8, off
	
	;;#ASMEND
	s_and_b64 exec, exec, vcc
	s_cbranch_execz .LBB271_32
; %bb.31:                               ;   in Loop: Header=BB271_7 Depth=1
	v_cvt_f16_f32_e32 v3, v3
	v_cvt_f16_f32_sdwa v2, v2 dst_sel:WORD_1 dst_unused:UNUSED_PAD src0_sel:DWORD
	v_cvt_f16_f32_e32 v5, v5
	v_cvt_f16_f32_sdwa v4, v4 dst_sel:WORD_1 dst_unused:UNUSED_PAD src0_sel:DWORD
	v_lshl_add_u64 v[0:1], v[48:49], 1, v[0:1]
	v_or_b32_e32 v2, v2, v3
	;;#ASMSTART
	global_atomic_pk_add_f16 v[0:1], v2, off
	
	;;#ASMEND
	v_lshl_add_u64 v[0:1], v[0:1], 0, 64
	v_or_b32_e32 v2, v4, v5
	;;#ASMSTART
	global_atomic_pk_add_f16 v[0:1], v2, off
	
	;;#ASMEND
.LBB271_32:                             ;   in Loop: Header=BB271_7 Depth=1
	s_or_b64 exec, exec, s[40:41]
	v_readlane_b32 s14, v100, 10
	v_readlane_b32 s24, v100, 12
	v_readlane_b32 s28, v100, 17
	v_readlane_b32 s38, v100, 30
	v_readlane_b32 s4, v100, 26
	v_readlane_b32 s2, v100, 24
	v_subrev_u32_e32 v89, s98, v89
	v_readlane_b32 s11, v100, 0
	v_readlane_b32 s12, v100, 1
	;; [unrolled: 1-line block ×17, first 2 shown]
.LBB271_33:                             ;   in Loop: Header=BB271_7 Depth=1
	s_or_b64 exec, exec, s[2:3]
.LBB271_34:                             ;   in Loop: Header=BB271_7 Depth=1
	s_andn2_saveexec_b64 s[0:1], s[4:5]
	s_cbranch_execz .LBB271_43
; %bb.35:                               ;   in Loop: Header=BB271_7 Depth=1
	s_lshl_b32 s10, s98, 1
	v_cmp_gt_i32_e32 vcc, s10, v89
	s_and_saveexec_b64 s[2:3], vcc
	s_cbranch_execz .LBB271_42
; %bb.36:                               ;   in Loop: Header=BB271_7 Depth=1
	s_mul_i32 s4, s54, s19
	s_ashr_i32 s5, s4, 31
	s_add_u32 s4, s46, s4
	s_addc_u32 s5, s47, s5
	s_ashr_i32 s6, s37, 31
	s_add_u32 s4, s4, s37
	s_addc_u32 s5, s5, s6
	v_lshl_add_u64 v[0:1], s[4:5], 0, v[52:53]
	v_lshl_add_u64 v[8:9], v[0:1], 0, v[50:51]
	s_mov_b64 s[4:5], 0
	s_branch .LBB271_38
.LBB271_37:                             ;   in Loop: Header=BB271_38 Depth=2
	s_or_b64 exec, exec, s[6:7]
	v_lshl_add_u32 v12, v10, 11, v84
	;;#ASMSTART
	s_waitcnt vmcnt(1)
	;;#ASMEND
	ds_write2_b32 v12, v4, v5 offset1:32
	ds_write2_b32 v12, v6, v7 offset0:64 offset1:96
	v_add_u32_e32 v4, 0x400, v12
	v_add_u32_e32 v89, s22, v89
	;;#ASMSTART
	s_waitcnt vmcnt(0)
	;;#ASMEND
	ds_write2_b32 v4, v0, v1 offset1:32
	ds_write2_b32 v4, v2, v3 offset0:64 offset1:96
	v_add_u32_e32 v0, 1, v63
	v_add_u32_e32 v56, s22, v10
	v_cmp_le_i32_e32 vcc, s10, v89
	ds_write_b32 v11, v0 offset:72
	v_add_u32_e32 v0, 2, v63
	s_or_b64 s[4:5], vcc, s[4:5]
	v_cmp_lt_i32_e32 vcc, 11, v56
	s_nop 1
	v_cndmask_b32_e32 v63, v63, v0, vcc
	s_andn2_b64 exec, exec, s[4:5]
	s_cbranch_execz .LBB271_41
.LBB271_38:                             ;   Parent Loop BB271_7 Depth=1
                                        ; =>  This Loop Header: Depth=2
                                        ;       Child Loop BB271_40 Depth 3
	v_cmp_gt_i32_e32 vcc, 12, v56
	s_nop 1
	v_cndmask_b32_e64 v0, -12, 0, vcc
	v_add_u32_e32 v10, v0, v56
	v_lshrrev_b32_e32 v0, 31, v89
	v_add_u32_e32 v0, v89, v0
	v_and_b32_e32 v1, -2, v0
	v_lshlrev_b32_e32 v0, 5, v0
	v_sub_u32_e32 v2, v89, v1
	v_and_b32_e32 v0, 0xffffffc0, v0
	v_ashrrev_i32_e32 v1, 31, v0
	v_mul_lo_u32 v2, s30, v2
	v_lshl_add_u64 v[0:1], v[8:9], 0, v[0:1]
	v_ashrrev_i32_e32 v3, 31, v2
	v_lshl_add_u64 v[0:1], v[0:1], 0, v[2:3]
	v_lshlrev_b32_e32 v11, 2, v10
	;;#ASMSTART
	global_load_dwordx4 v[4:7], v[0:1], off offset:0   sc0 sc1 nt  
	global_load_dwordx4 v[0:3], v[0:1], off offset:32  sc0 sc1 nt  
	
	;;#ASMEND
	ds_read_b32 v12, v11 offset:61512
	v_add_u32_e32 v11, 0xf000, v11
	s_waitcnt lgkmcnt(0)
	v_cmp_ne_u32_e32 vcc, v12, v63
	s_and_saveexec_b64 s[6:7], vcc
	s_cbranch_execz .LBB271_37
; %bb.39:                               ;   in Loop: Header=BB271_38 Depth=2
	s_mov_b64 s[8:9], 0
.LBB271_40:                             ;   Parent Loop BB271_7 Depth=1
                                        ;     Parent Loop BB271_38 Depth=2
                                        ; =>    This Inner Loop Header: Depth=3
	;;#ASMSTART
	s_sleep 0
	;;#ASMEND
	ds_read_b32 v12, v11 offset:72
	s_waitcnt lgkmcnt(0)
	v_cmp_eq_u32_e32 vcc, v12, v63
	s_or_b64 s[8:9], vcc, s[8:9]
	s_andn2_b64 exec, exec, s[8:9]
	s_cbranch_execnz .LBB271_40
	s_branch .LBB271_37
.LBB271_41:                             ;   in Loop: Header=BB271_7 Depth=1
	s_or_b64 exec, exec, s[4:5]
.LBB271_42:                             ;   in Loop: Header=BB271_7 Depth=1
	s_or_b64 exec, exec, s[2:3]
	v_subrev_u32_e32 v89, s10, v89
.LBB271_43:                             ;   in Loop: Header=BB271_7 Depth=1
	s_or_b64 exec, exec, s[0:1]
.LBB271_44:                             ;   in Loop: Header=BB271_7 Depth=1
	s_andn2_saveexec_b64 s[0:1], s[38:39]
	s_cbranch_execz .LBB271_6
; %bb.45:                               ;   in Loop: Header=BB271_7 Depth=1
	s_mul_i32 s98, s98, 3
	v_cmp_gt_i32_e32 vcc, s98, v89
	s_and_saveexec_b64 s[2:3], vcc
	s_cbranch_execz .LBB271_5
; %bb.46:                               ;   in Loop: Header=BB271_7 Depth=1
	s_mul_i32 s4, s52, s18
	s_max_i32 s6, s53, 0
	s_ashr_i32 s5, s4, 31
	s_add_u32 s4, s44, s4
	v_add_u32_e32 v2, s6, v64
	s_movk_i32 s6, 0x60
	s_addc_u32 s5, s45, s5
	s_ashr_i32 s7, s37, 31
	v_cmp_gt_u32_e32 vcc, s6, v2
	s_add_u32 s4, s4, s37
	s_addc_u32 s5, s5, s7
	v_cndmask_b32_e32 v0, 0, v85, vcc
	v_ashrrev_i32_e32 v1, 31, v0
	v_lshl_add_u64 v[0:1], s[4:5], 0, v[0:1]
	v_lshl_add_u64 v[8:9], v[0:1], 0, v[50:51]
	v_sub_u32_e32 v10, 0x5f, v2
	s_mov_b64 s[4:5], 0
	s_branch .LBB271_48
.LBB271_47:                             ;   in Loop: Header=BB271_48 Depth=2
	s_or_b64 exec, exec, s[6:7]
	v_lshl_or_b32 v13, v11, 11, v86
	;;#ASMSTART
	s_waitcnt vmcnt(1)
	;;#ASMEND
	ds_write2_b32 v13, v4, v5 offset1:32
	ds_write2_b32 v13, v6, v7 offset0:64 offset1:96
	v_add_u32_e32 v4, 0x400, v13
	v_add_u32_e32 v89, s21, v89
	;;#ASMSTART
	s_waitcnt vmcnt(0)
	;;#ASMEND
	ds_write2_b32 v4, v0, v1 offset1:32
	ds_write2_b32 v4, v2, v3 offset0:64 offset1:96
	v_add_u32_e32 v0, 1, v63
	v_add_u32_e32 v56, s21, v11
	v_cmp_le_i32_e32 vcc, s98, v89
	ds_write_b32 v12, v0
	v_add_u32_e32 v0, 2, v63
	s_or_b64 s[4:5], vcc, s[4:5]
	v_cmp_lt_i32_e32 vcc, 17, v56
	s_nop 1
	v_cndmask_b32_e32 v63, v63, v0, vcc
	s_andn2_b64 exec, exec, s[4:5]
	s_cbranch_execz .LBB271_4
.LBB271_48:                             ;   Parent Loop BB271_7 Depth=1
                                        ; =>  This Loop Header: Depth=2
                                        ;       Child Loop BB271_50 Depth 3
	v_cmp_gt_i32_e32 vcc, 18, v56
	s_mov_b32 s6, 0x55555556
	s_nop 0
	v_cndmask_b32_e64 v0, v88, 0, vcc
	v_add_u32_e32 v11, v0, v56
	v_mul_hi_i32 v0, v89, s6
	v_lshrrev_b32_e32 v1, 31, v0
	v_add_u32_e32 v0, v0, v1
	v_lshl_add_u32 v1, v0, 1, v0
	v_sub_u32_e32 v1, v89, v1
	v_lshlrev_b32_e32 v1, 5, v1
	v_cmp_le_i32_e32 vcc, v1, v10
	v_lshlrev_b32_e32 v0, 6, v0
	v_lshlrev_b32_e32 v12, 2, v11
	v_cndmask_b32_e32 v2, 0, v1, vcc
	v_ashrrev_i32_e32 v1, 31, v0
	v_mul_lo_u32 v2, v2, s18
	v_lshl_add_u64 v[0:1], v[8:9], 0, v[0:1]
	v_ashrrev_i32_e32 v3, 31, v2
	v_lshl_add_u64 v[0:1], v[0:1], 0, v[2:3]
	;;#ASMSTART
	global_load_dwordx4 v[4:7], v[0:1], off offset:0   
	global_load_dwordx4 v[0:3], v[0:1], off offset:32  
	
	;;#ASMEND
	ds_read_b32 v13, v12 offset:61440
	v_add_u32_e32 v12, 0xf000, v12
	s_waitcnt lgkmcnt(0)
	v_cmp_ne_u32_e32 vcc, v13, v63
	s_and_saveexec_b64 s[6:7], vcc
	s_cbranch_execz .LBB271_47
; %bb.49:                               ;   in Loop: Header=BB271_48 Depth=2
	s_mov_b64 s[8:9], 0
.LBB271_50:                             ;   Parent Loop BB271_7 Depth=1
                                        ;     Parent Loop BB271_48 Depth=2
                                        ; =>    This Inner Loop Header: Depth=3
	;;#ASMSTART
	s_sleep 0
	;;#ASMEND
	ds_read_b32 v13, v12
	s_waitcnt lgkmcnt(0)
	v_cmp_eq_u32_e32 vcc, v13, v63
	s_or_b64 s[8:9], vcc, s[8:9]
	s_andn2_b64 exec, exec, s[8:9]
	s_cbranch_execnz .LBB271_50
	s_branch .LBB271_47
.LBB271_51:
	s_endpgm
	.section	.rodata,"a",@progbits
	.p2align	6, 0x0
	.amdhsa_kernel _Z19_skinny_gemm_kernelILi3ELi2ELi6ELi32ELi4EEvPKhS1_P6__halfPKfiiiiiiii
		.amdhsa_group_segment_fixed_size 61560
		.amdhsa_private_segment_fixed_size 0
		.amdhsa_kernarg_size 64
		.amdhsa_user_sgpr_count 2
		.amdhsa_user_sgpr_dispatch_ptr 0
		.amdhsa_user_sgpr_queue_ptr 0
		.amdhsa_user_sgpr_kernarg_segment_ptr 1
		.amdhsa_user_sgpr_dispatch_id 0
		.amdhsa_user_sgpr_kernarg_preload_length 0
		.amdhsa_user_sgpr_kernarg_preload_offset 0
		.amdhsa_user_sgpr_private_segment_size 0
		.amdhsa_uses_dynamic_stack 0
		.amdhsa_enable_private_segment 0
		.amdhsa_system_sgpr_workgroup_id_x 1
		.amdhsa_system_sgpr_workgroup_id_y 0
		.amdhsa_system_sgpr_workgroup_id_z 0
		.amdhsa_system_sgpr_workgroup_info 0
		.amdhsa_system_vgpr_workitem_id 0
		.amdhsa_next_free_vgpr 101
		.amdhsa_next_free_sgpr 100
		.amdhsa_accum_offset 104
		.amdhsa_reserve_vcc 1
		.amdhsa_float_round_mode_32 0
		.amdhsa_float_round_mode_16_64 0
		.amdhsa_float_denorm_mode_32 3
		.amdhsa_float_denorm_mode_16_64 3
		.amdhsa_dx10_clamp 1
		.amdhsa_ieee_mode 1
		.amdhsa_fp16_overflow 0
		.amdhsa_tg_split 0
		.amdhsa_exception_fp_ieee_invalid_op 0
		.amdhsa_exception_fp_denorm_src 0
		.amdhsa_exception_fp_ieee_div_zero 0
		.amdhsa_exception_fp_ieee_overflow 0
		.amdhsa_exception_fp_ieee_underflow 0
		.amdhsa_exception_fp_ieee_inexact 0
		.amdhsa_exception_int_div_zero 0
	.end_amdhsa_kernel
	.section	.text._Z19_skinny_gemm_kernelILi3ELi2ELi6ELi32ELi4EEvPKhS1_P6__halfPKfiiiiiiii,"axG",@progbits,_Z19_skinny_gemm_kernelILi3ELi2ELi6ELi32ELi4EEvPKhS1_P6__halfPKfiiiiiiii,comdat
.Lfunc_end271:
	.size	_Z19_skinny_gemm_kernelILi3ELi2ELi6ELi32ELi4EEvPKhS1_P6__halfPKfiiiiiiii, .Lfunc_end271-_Z19_skinny_gemm_kernelILi3ELi2ELi6ELi32ELi4EEvPKhS1_P6__halfPKfiiiiiiii
                                        ; -- End function
	.set _Z19_skinny_gemm_kernelILi3ELi2ELi6ELi32ELi4EEvPKhS1_P6__halfPKfiiiiiiii.num_vgpr, 101
	.set _Z19_skinny_gemm_kernelILi3ELi2ELi6ELi32ELi4EEvPKhS1_P6__halfPKfiiiiiiii.num_agpr, 0
	.set _Z19_skinny_gemm_kernelILi3ELi2ELi6ELi32ELi4EEvPKhS1_P6__halfPKfiiiiiiii.numbered_sgpr, 100
	.set _Z19_skinny_gemm_kernelILi3ELi2ELi6ELi32ELi4EEvPKhS1_P6__halfPKfiiiiiiii.num_named_barrier, 0
	.set _Z19_skinny_gemm_kernelILi3ELi2ELi6ELi32ELi4EEvPKhS1_P6__halfPKfiiiiiiii.private_seg_size, 0
	.set _Z19_skinny_gemm_kernelILi3ELi2ELi6ELi32ELi4EEvPKhS1_P6__halfPKfiiiiiiii.uses_vcc, 1
	.set _Z19_skinny_gemm_kernelILi3ELi2ELi6ELi32ELi4EEvPKhS1_P6__halfPKfiiiiiiii.uses_flat_scratch, 0
	.set _Z19_skinny_gemm_kernelILi3ELi2ELi6ELi32ELi4EEvPKhS1_P6__halfPKfiiiiiiii.has_dyn_sized_stack, 0
	.set _Z19_skinny_gemm_kernelILi3ELi2ELi6ELi32ELi4EEvPKhS1_P6__halfPKfiiiiiiii.has_recursion, 0
	.set _Z19_skinny_gemm_kernelILi3ELi2ELi6ELi32ELi4EEvPKhS1_P6__halfPKfiiiiiiii.has_indirect_call, 0
	.section	.AMDGPU.csdata,"",@progbits
; Kernel info:
; codeLenInByte = 9684
; TotalNumSgprs: 106
; NumVgprs: 101
; NumAgprs: 0
; TotalNumVgprs: 101
; ScratchSize: 0
; MemoryBound: 0
; FloatMode: 240
; IeeeMode: 1
; LDSByteSize: 61560 bytes/workgroup (compile time only)
; SGPRBlocks: 13
; VGPRBlocks: 12
; NumSGPRsForWavesPerEU: 106
; NumVGPRsForWavesPerEU: 101
; AccumOffset: 104
; Occupancy: 4
; WaveLimiterHint : 0
; COMPUTE_PGM_RSRC2:SCRATCH_EN: 0
; COMPUTE_PGM_RSRC2:USER_SGPR: 2
; COMPUTE_PGM_RSRC2:TRAP_HANDLER: 0
; COMPUTE_PGM_RSRC2:TGID_X_EN: 1
; COMPUTE_PGM_RSRC2:TGID_Y_EN: 0
; COMPUTE_PGM_RSRC2:TGID_Z_EN: 0
; COMPUTE_PGM_RSRC2:TIDIG_COMP_CNT: 0
; COMPUTE_PGM_RSRC3_GFX90A:ACCUM_OFFSET: 25
; COMPUTE_PGM_RSRC3_GFX90A:TG_SPLIT: 0
	.section	.text._Z19_skinny_gemm_kernelILi3ELi3ELi1ELi16ELi4EEvPKhS1_P6__halfPKfiiiiiiii,"axG",@progbits,_Z19_skinny_gemm_kernelILi3ELi3ELi1ELi16ELi4EEvPKhS1_P6__halfPKfiiiiiiii,comdat
	.protected	_Z19_skinny_gemm_kernelILi3ELi3ELi1ELi16ELi4EEvPKhS1_P6__halfPKfiiiiiiii ; -- Begin function _Z19_skinny_gemm_kernelILi3ELi3ELi1ELi16ELi4EEvPKhS1_P6__halfPKfiiiiiiii
	.globl	_Z19_skinny_gemm_kernelILi3ELi3ELi1ELi16ELi4EEvPKhS1_P6__halfPKfiiiiiiii
	.p2align	8
	.type	_Z19_skinny_gemm_kernelILi3ELi3ELi1ELi16ELi4EEvPKhS1_P6__halfPKfiiiiiiii,@function
_Z19_skinny_gemm_kernelILi3ELi3ELi1ELi16ELi4EEvPKhS1_P6__halfPKfiiiiiiii: ; @_Z19_skinny_gemm_kernelILi3ELi3ELi1ELi16ELi4EEvPKhS1_P6__halfPKfiiiiiiii
; %bb.0:
	v_cmp_gt_u32_e32 vcc, 6, v0
	v_lshlrev_b32_e32 v1, 2, v0
	s_and_saveexec_b64 s[4:5], vcc
; %bb.1:
	v_mov_b32_e32 v2, 0
	ds_write_b32 v1, v2 offset:12288
; %bb.2:
	s_or_b64 exec, exec, s[4:5]
	s_load_dwordx8 s[20:27], s[0:1], 0x20
	s_waitcnt lgkmcnt(0)
	s_barrier
	s_add_i32 s3, s20, 47
	s_add_i32 s4, s21, 47
	s_mul_hi_i32 s3, s3, 0x2aaaaaab
	s_lshr_b32 s5, s3, 31
	s_ashr_i32 s33, s3, 3
	s_mul_hi_i32 s3, s4, 0x2aaaaaab
	s_lshr_b32 s4, s3, 31
	s_ashr_i32 s50, s3, 3
	s_add_i32 s33, s33, s5
	s_add_i32 s50, s50, s4
	s_mul_i32 s3, s50, s33
	s_mul_i32 s3, s3, s24
	s_add_i32 s4, s3, 0x12f
	s_mul_hi_i32 s4, s4, 0x6bca1af3
	s_lshr_b32 s5, s4, 31
	s_ashr_i32 s4, s4, 7
	s_add_i32 s4, s4, s5
	s_add_i32 s5, s2, 1
	s_mul_i32 s5, s4, s5
	v_cvt_f64_i32_e32 v[2:3], s3
	v_cvt_f64_u32_e32 v[4:5], s5
	v_min_f64 v[2:3], v[2:3], v[4:5]
	v_cvt_i32_f64_e32 v37, v[2:3]
	s_mul_i32 s51, s4, s2
	v_cmp_ge_i32_e32 vcc, s51, v37
	s_cbranch_vccnz .LBB272_58
; %bb.3:
	v_lshrrev_b32_e32 v2, 6, v0
	s_add_i32 s4, s26, s25
	s_load_dwordx8 s[36:43], s[0:1], 0x0
	v_cmp_le_i32_e64 s[0:1], s4, v2
	v_mov_b32_e32 v3, s25
	v_cmp_le_i32_e64 s[2:3], s25, v2
	v_mov_b32_e32 v4, s26
	v_cndmask_b32_e64 v4, 0, v4, s[0:1]
	v_cndmask_b32_e64 v3, 0, v3, s[2:3]
	s_abs_i32 s5, s24
	v_add_u32_e32 v3, v3, v4
	v_cvt_f32_u32_e32 v4, s5
	v_sub_u32_e32 v50, v2, v3
	s_ashr_i32 s6, s22, 31
	s_lshr_b32 s6, s6, 25
	v_rcp_iflag_f32_e32 v3, v4
	s_sub_i32 s9, 0, s5
	s_add_i32 s6, s22, s6
	s_ashr_i32 s6, s6, 7
	v_mul_f32_e32 v3, 0x4f7ffffe, v3
	v_cvt_u32_f32_e32 v3, v3
	s_abs_i32 s8, s6
	s_xor_b32 s7, s6, s24
	s_ashr_i32 s7, s7, 31
	v_readfirstlane_b32 s10, v3
	s_mul_i32 s9, s9, s10
	s_mul_hi_u32 s9, s10, s9
	s_add_i32 s10, s10, s9
	s_mul_hi_u32 s9, s8, s10
	s_mul_i32 s10, s9, s5
	s_sub_i32 s8, s8, s10
	s_add_i32 s10, s9, 1
	s_sub_i32 s11, s8, s5
	s_cmp_ge_u32 s8, s5
	s_cselect_b32 s9, s10, s9
	s_cselect_b32 s8, s11, s8
	s_add_i32 s10, s9, 1
	s_cmp_ge_u32 s8, s5
	s_cselect_b32 s5, s10, s9
	s_xor_b32 s5, s5, s7
	s_sub_i32 s52, s5, s7
	s_add_i32 s24, s24, -1
	s_mul_i32 s5, s52, s24
	s_add_i32 s4, s4, s27
	s_sub_i32 s53, s6, s5
	v_cmp_gt_i32_e64 s[4:5], s4, v2
	v_lshlrev_b32_e32 v2, 1, v0
	v_lshlrev_b32_e32 v3, 4, v0
	v_and_b32_e32 v1, 60, v1
	v_and_b32_e32 v2, 64, v2
	;; [unrolled: 1-line block ×3, first 2 shown]
	v_or3_b32 v77, v1, v2, v4
	v_and_b32_e32 v1, 1, v0
	v_lshrrev_b32_e32 v4, 2, v0
	s_abs_i32 s55, s33
	v_and_or_b32 v83, v4, 12, v1
	v_cvt_f32_u32_e32 v4, s55
	v_lshlrev_b32_e32 v2, 1, v1
	v_and_b32_e32 v36, 14, v0
	v_sub_u32_e32 v2, v0, v2
	v_bitop3_b32 v79, v0, 1, v0 bitop3:0xc
	v_bitop3_b32 v80, v0, 3, 1 bitop3:0x6c
	v_and_b32_e32 v44, 48, v3
	v_bfe_u32 v86, v0, 2, 4
	v_and_b32_e32 v1, 60, v0
	v_lshlrev_b32_e32 v3, 8, v0
	v_lshlrev_b32_e32 v0, 6, v0
	v_and_b32_e32 v3, 0x200, v3
	v_and_b32_e32 v0, 64, v0
	v_or3_b32 v87, v1, v3, v0
	v_rcp_iflag_f32_e32 v0, v4
	s_abs_i32 s57, s50
	v_cvt_f32_u32_e32 v1, s57
	v_mad_u64_u32 v[38:39], s[6:7], s21, v83, v[36:37]
	v_mul_f32_e32 v0, 0x4f7ffffe, v0
	v_cvt_u32_f32_e32 v0, v0
	v_rcp_iflag_f32_e32 v1, v1
	s_lshl_b32 s6, s21, 4
	v_add_u32_e32 v40, s6, v38
	v_readfirstlane_b32 s7, v0
	v_mul_f32_e32 v0, 0x4f7ffffe, v1
	v_cvt_u32_f32_e32 v0, v0
	v_add_u32_e32 v42, s6, v40
	s_sub_i32 s6, 0, s55
	s_mul_i32 s6, s6, s7
	s_mul_hi_u32 s6, s7, s6
	v_add_u32_e32 v2, 1, v2
	s_add_i32 s59, s7, s6
	s_sub_i32 s6, 0, s57
	v_readfirstlane_b32 s7, v0
	v_mbcnt_lo_u32_b32 v0, -1, 0
	v_and_b32_e32 v2, 63, v2
	s_mul_i32 s6, s6, s7
	v_mbcnt_hi_u32_b32 v0, -1, v0
	v_mul_lo_u32 v46, s23, v86
	s_mul_hi_u32 s6, s7, s6
	v_and_or_b32 v0, v0, 64, v2
	v_cndmask_b32_e64 v76, 0, 1, s[0:1]
	s_movk_i32 s54, 0x1800
	v_or_b32_e32 v78, 0x1800, v77
	s_ashr_i32 s29, s21, 31
	s_mov_b32 s28, s21
	v_or_b32_e32 v81, 16, v36
	v_or_b32_e32 v82, 32, v36
	v_ashrrev_i32_e32 v39, 31, v38
	v_or_b32_e32 v84, 16, v83
	v_ashrrev_i32_e32 v41, 31, v40
	;; [unrolled: 2-line block ×3, first 2 shown]
	v_ashrrev_i32_e32 v47, 31, v46
	v_mov_b32_e32 v45, 0
	v_or_b32_e32 v88, 0x1800, v87
	s_lshl_b32 s56, s23, 4
	v_mul_lo_u32 v89, s22, v86
	s_ashr_i32 s58, s33, 31
	s_ashr_i32 s60, s50, 31
	s_add_i32 s61, s7, s6
	s_mov_b32 s62, 0x55555556
	v_lshlrev_b32_e32 v90, 2, v0
	v_mov_b32_e32 v91, v50
	s_branch .LBB272_7
.LBB272_4:                              ;   in Loop: Header=BB272_7 Depth=1
	s_or_b64 exec, exec, s[10:11]
.LBB272_5:                              ;   in Loop: Header=BB272_7 Depth=1
	s_or_b64 exec, exec, s[8:9]
	v_subrev_u32_e32 v91, s66, v91
.LBB272_6:                              ;   in Loop: Header=BB272_7 Depth=1
	s_or_b64 exec, exec, s[6:7]
	s_add_i32 s51, s51, 1
	v_cmp_ge_i32_e32 vcc, s51, v37
	s_cbranch_vccnz .LBB272_58
.LBB272_7:                              ; =>This Loop Header: Depth=1
                                        ;     Child Loop BB272_13 Depth 2
                                        ;       Child Loop BB272_15 Depth 3
                                        ;       Child Loop BB272_18 Depth 3
	;; [unrolled: 1-line block ×6, first 2 shown]
                                        ;     Child Loop BB272_45 Depth 2
                                        ;       Child Loop BB272_47 Depth 3
                                        ;     Child Loop BB272_55 Depth 2
                                        ;       Child Loop BB272_57 Depth 3
	s_abs_i32 s7, s51
	s_mul_hi_u32 s8, s7, s59
	s_mul_i32 s9, s8, s55
	s_ashr_i32 s6, s51, 31
	s_sub_i32 s7, s7, s9
	s_xor_b32 s6, s6, s58
	s_add_i32 s9, s8, 1
	s_sub_i32 s10, s7, s55
	s_cmp_ge_u32 s7, s55
	s_cselect_b32 s8, s9, s8
	s_cselect_b32 s7, s10, s7
	s_add_i32 s9, s8, 1
	s_cmp_ge_u32 s7, s55
	s_cselect_b32 s7, s9, s8
	s_xor_b32 s7, s7, s6
	s_sub_i32 s6, s7, s6
	s_abs_i32 s8, s6
	s_mul_hi_u32 s9, s8, s61
	s_mul_i32 s7, s6, s33
	s_mul_i32 s10, s9, s57
	s_sub_i32 s63, s51, s7
	s_ashr_i32 s7, s6, 31
	s_sub_i32 s8, s8, s10
	s_xor_b32 s7, s7, s60
	s_add_i32 s10, s9, 1
	s_sub_i32 s11, s8, s57
	s_cmp_ge_u32 s8, s57
	s_cselect_b32 s9, s10, s9
	s_cselect_b32 s8, s11, s8
	s_add_i32 s10, s9, 1
	s_cmp_ge_u32 s8, s57
	s_cselect_b32 s8, s10, s9
	s_xor_b32 s8, s8, s7
	s_sub_i32 s7, s8, s7
	s_mul_i32 s8, s7, s52
	s_lshl_b32 s64, s8, 7
	s_mul_i32 s63, s63, 48
	s_cmp_eq_u32 s7, s24
	s_cselect_b32 s66, s53, s52
	s_sub_i32 s8, s63, s20
	s_add_i32 s8, s8, 48
	s_max_i32 s65, s8, 0
	s_and_saveexec_b64 s[8:9], s[2:3]
	s_xor_b64 s[30:31], exec, s[8:9]
	s_cbranch_execz .LBB272_51
; %bb.8:                                ;   in Loop: Header=BB272_7 Depth=1
	s_mul_i32 s7, s7, s50
	s_sub_i32 s6, s6, s7
	s_mul_i32 s6, s6, 48
	s_sub_i32 s18, s6, s21
	s_add_i32 s18, s18, 48
	s_max_i32 s7, s18, 0
	s_sub_i32 s34, s6, s7
	s_and_saveexec_b64 s[6:7], s[0:1]
	s_xor_b64 s[44:45], exec, s[6:7]
	s_cbranch_execz .LBB272_41
; %bb.9:                                ;   in Loop: Header=BB272_7 Depth=1
	s_and_saveexec_b64 s[46:47], s[4:5]
	s_cbranch_execz .LBB272_40
; %bb.10:                               ;   in Loop: Header=BB272_7 Depth=1
	s_waitcnt lgkmcnt(0)
	global_load_dword v92, v45, s[42:43]
	v_mov_b32_e32 v35, 0
	v_cmp_gt_i32_e32 vcc, s66, v91
	v_mov_b32_e32 v34, v35
	v_mov_b32_e32 v33, v35
	v_mov_b32_e32 v32, v35
	v_mov_b32_e32 v31, v35
	v_mov_b32_e32 v30, v35
	v_mov_b32_e32 v29, v35
	v_mov_b32_e32 v28, v35
	v_mov_b32_e32 v27, v35
	v_mov_b32_e32 v26, v35
	v_mov_b32_e32 v25, v35
	v_mov_b32_e32 v24, v35
	v_mov_b32_e32 v23, v35
	v_mov_b32_e32 v22, v35
	v_mov_b32_e32 v21, v35
	v_mov_b32_e32 v20, v35
	v_mov_b32_e32 v19, v35
	v_mov_b32_e32 v18, v35
	v_mov_b32_e32 v17, v35
	v_mov_b32_e32 v16, v35
	v_mov_b32_e32 v15, v35
	v_mov_b32_e32 v14, v35
	v_mov_b32_e32 v13, v35
	v_mov_b32_e32 v12, v35
	v_mov_b32_e32 v11, v35
	v_mov_b32_e32 v10, v35
	v_mov_b32_e32 v9, v35
	v_mov_b32_e32 v8, v35
	v_mov_b32_e32 v3, v35
	v_mov_b32_e32 v2, v35
	v_mov_b32_e32 v1, v35
	v_mov_b32_e32 v0, v35
	v_mov_b32_e32 v7, v35
	v_mov_b32_e32 v6, v35
	v_mov_b32_e32 v5, v35
	v_mov_b32_e32 v4, v35
	s_and_saveexec_b64 s[6:7], vcc
	s_cbranch_execz .LBB272_32
; %bb.11:                               ;   in Loop: Header=BB272_7 Depth=1
	v_mov_b32_e32 v4, 0
	s_mov_b64 s[8:9], 0
	v_mov_b32_e32 v5, v4
	v_mov_b32_e32 v6, v4
	;; [unrolled: 1-line block ×35, first 2 shown]
	s_branch .LBB272_13
.LBB272_12:                             ;   in Loop: Header=BB272_13 Depth=2
	s_or_b64 exec, exec, s[10:11]
	v_add_u32_e32 v70, 0x1000, v95
	ds_read2_b32 v[66:67], v70 offset1:32
	v_add_u32_e32 v95, 0x1400, v95
	v_add_u32_e32 v91, s27, v91
	s_waitcnt lgkmcnt(0)
	v_mfma_f32_16x16x32_fp8_fp8 v[24:27], v[48:49], v[66:67], v[24:27]
	ds_read2_b32 v[48:49], v70 offset0:128 offset1:160
	ds_read2_b32 v[70:71], v95 offset1:32
	v_mfma_f32_16x16x32_fp8_fp8 v[12:15], v[56:57], v[66:67], v[12:15]
	v_mfma_f32_16x16x32_fp8_fp8 v[4:7], v[72:73], v[66:67], v[4:7]
	s_waitcnt lgkmcnt(1)
	v_mfma_f32_16x16x32_fp8_fp8 v[24:27], v[50:51], v[48:49], v[24:27]
	v_add_u32_e32 v50, s27, v93
	v_cmp_lt_i32_e32 vcc, 0, v50
	v_mfma_f32_16x16x32_fp8_fp8 v[12:15], v[58:59], v[48:49], v[12:15]
	v_mfma_f32_16x16x32_fp8_fp8 v[4:7], v[74:75], v[48:49], v[4:7]
	v_add_u32_e32 v48, 2, v76
	v_cndmask_b32_e32 v76, v76, v48, vcc
	v_cmp_le_i32_e32 vcc, s66, v91
	s_waitcnt lgkmcnt(0)
	v_mfma_f32_16x16x32_fp8_fp8 v[24:27], v[52:53], v[70:71], v[24:27]
	ds_read2_b32 v[52:53], v95 offset0:128 offset1:160
	s_or_b64 s[8:9], vcc, s[8:9]
	;;#ASMSTART
	s_waitcnt lgkmcnt(0)
	;;#ASMEND
	v_mfma_f32_16x16x32_fp8_fp8 v[12:15], v[60:61], v[70:71], v[12:15]
	ds_write_b32 v94, v96 offset:12308
	v_mfma_f32_16x16x32_fp8_fp8 v[4:7], v[68:69], v[70:71], v[4:7]
	s_waitcnt lgkmcnt(1)
	v_mfma_f32_16x16x32_fp8_fp8 v[24:27], v[54:55], v[52:53], v[24:27]
	v_mfma_f32_16x16x32_fp8_fp8 v[12:15], v[62:63], v[52:53], v[12:15]
	v_mfma_f32_16x16x32_fp8_fp8 v[4:7], v[64:65], v[52:53], v[4:7]
	s_andn2_b64 exec, exec, s[8:9]
	s_cbranch_execz .LBB272_31
.LBB272_13:                             ;   Parent Loop BB272_7 Depth=1
                                        ; =>  This Loop Header: Depth=2
                                        ;       Child Loop BB272_15 Depth 3
                                        ;       Child Loop BB272_18 Depth 3
	;; [unrolled: 1-line block ×6, first 2 shown]
	v_cmp_lt_i32_e32 vcc, 0, v50
	s_nop 1
	v_subbrev_co_u32_e32 v93, vcc, 0, v50, vcc
	v_mul_lo_u32 v94, v93, 12
	ds_read_b32 v48, v94 offset:12300
	s_waitcnt lgkmcnt(0)
	v_cmp_ne_u32_e32 vcc, v48, v76
	s_and_saveexec_b64 s[10:11], vcc
	s_cbranch_execz .LBB272_16
; %bb.14:                               ;   in Loop: Header=BB272_13 Depth=2
	s_mov_b64 s[12:13], 0
.LBB272_15:                             ;   Parent Loop BB272_7 Depth=1
                                        ;     Parent Loop BB272_13 Depth=2
                                        ; =>    This Inner Loop Header: Depth=3
	;;#ASMSTART
	s_sleep 0
	;;#ASMEND
	ds_read_b32 v48, v94 offset:12300
	s_waitcnt lgkmcnt(0)
	v_cmp_eq_u32_e32 vcc, v48, v76
	s_or_b64 s[12:13], vcc, s[12:13]
	s_andn2_b64 exec, exec, s[12:13]
	s_cbranch_execnz .LBB272_15
.LBB272_16:                             ;   in Loop: Header=BB272_13 Depth=2
	s_or_b64 exec, exec, s[10:11]
	v_mul_lo_u32 v48, v93, s54
	v_add_u32_e32 v95, v78, v48
	v_add_u32_e32 v49, 0x400, v95
	ds_read2_b32 v[68:69], v95 offset1:32
	ds_read2_b32 v[64:65], v95 offset0:128 offset1:160
	ds_read2_b32 v[70:71], v49 offset1:32
	ds_read2_b32 v[66:67], v49 offset0:128 offset1:160
	;;#ASMSTART
	s_waitcnt lgkmcnt(0)
	;;#ASMEND
	ds_read_b32 v49, v94 offset:12288
	v_add_u32_e32 v96, 1, v76
	ds_write_b32 v94, v96 offset:12300
	s_waitcnt lgkmcnt(1)
	v_cmp_ne_u32_e32 vcc, v49, v76
	s_and_saveexec_b64 s[10:11], vcc
	s_cbranch_execz .LBB272_19
; %bb.17:                               ;   in Loop: Header=BB272_13 Depth=2
	s_mov_b64 s[12:13], 0
.LBB272_18:                             ;   Parent Loop BB272_7 Depth=1
                                        ;     Parent Loop BB272_13 Depth=2
                                        ; =>    This Inner Loop Header: Depth=3
	;;#ASMSTART
	s_sleep 0
	;;#ASMEND
	ds_read_b32 v49, v94 offset:12288
	s_waitcnt lgkmcnt(0)
	v_cmp_eq_u32_e32 vcc, v49, v76
	s_or_b64 s[12:13], vcc, s[12:13]
	s_andn2_b64 exec, exec, s[12:13]
	s_cbranch_execnz .LBB272_18
.LBB272_19:                             ;   in Loop: Header=BB272_13 Depth=2
	s_or_b64 exec, exec, s[10:11]
	v_add_u32_e32 v97, v77, v48
	ds_read2_b32 v[48:49], v97 offset1:32
	ds_read2_b32 v[50:51], v97 offset0:128 offset1:160
	v_add_u32_e32 v54, 0x400, v97
	ds_read2_b32 v[52:53], v54 offset1:32
	ds_read2_b32 v[54:55], v54 offset0:128 offset1:160
	ds_read_b32 v56, v94 offset:12292
	ds_write_b32 v94, v96 offset:12288
	s_waitcnt lgkmcnt(5)
	v_mfma_f32_16x16x32_fp8_fp8 v[32:35], v[48:49], v[68:69], v[32:35]
	s_waitcnt lgkmcnt(1)
	v_cmp_ne_u32_e32 vcc, v56, v76
	v_mfma_f32_16x16x32_fp8_fp8 v[32:35], v[50:51], v[64:65], v[32:35]
	v_mfma_f32_16x16x32_fp8_fp8 v[32:35], v[52:53], v[70:71], v[32:35]
	;; [unrolled: 1-line block ×3, first 2 shown]
	s_and_saveexec_b64 s[10:11], vcc
	s_cbranch_execz .LBB272_22
; %bb.20:                               ;   in Loop: Header=BB272_13 Depth=2
	s_mov_b64 s[12:13], 0
.LBB272_21:                             ;   Parent Loop BB272_7 Depth=1
                                        ;     Parent Loop BB272_13 Depth=2
                                        ; =>    This Inner Loop Header: Depth=3
	;;#ASMSTART
	s_sleep 0
	;;#ASMEND
	ds_read_b32 v56, v94 offset:12292
	s_waitcnt lgkmcnt(0)
	v_cmp_eq_u32_e32 vcc, v56, v76
	s_or_b64 s[12:13], vcc, s[12:13]
	s_andn2_b64 exec, exec, s[12:13]
	s_cbranch_execnz .LBB272_21
.LBB272_22:                             ;   in Loop: Header=BB272_13 Depth=2
	s_or_b64 exec, exec, s[10:11]
	v_add_u32_e32 v58, 0x800, v97
	ds_read2_b32 v[56:57], v58 offset1:32
	ds_read2_b32 v[58:59], v58 offset0:128 offset1:160
	v_add_u32_e32 v62, 0xc00, v97
	ds_read2_b32 v[60:61], v62 offset1:32
	ds_read2_b32 v[62:63], v62 offset0:128 offset1:160
	ds_read_b32 v72, v94 offset:12296
	ds_write_b32 v94, v96 offset:12292
	s_waitcnt lgkmcnt(5)
	v_mfma_f32_16x16x32_fp8_fp8 v[20:23], v[56:57], v[68:69], v[20:23]
	s_waitcnt lgkmcnt(1)
	v_cmp_ne_u32_e32 vcc, v72, v76
	v_mfma_f32_16x16x32_fp8_fp8 v[20:23], v[58:59], v[64:65], v[20:23]
	v_mfma_f32_16x16x32_fp8_fp8 v[20:23], v[60:61], v[70:71], v[20:23]
	;; [unrolled: 1-line block ×3, first 2 shown]
	s_and_saveexec_b64 s[10:11], vcc
	s_cbranch_execz .LBB272_25
; %bb.23:                               ;   in Loop: Header=BB272_13 Depth=2
	s_mov_b64 s[12:13], 0
.LBB272_24:                             ;   Parent Loop BB272_7 Depth=1
                                        ;     Parent Loop BB272_13 Depth=2
                                        ; =>    This Inner Loop Header: Depth=3
	;;#ASMSTART
	s_sleep 0
	;;#ASMEND
	ds_read_b32 v72, v94 offset:12296
	s_waitcnt lgkmcnt(0)
	v_cmp_eq_u32_e32 vcc, v72, v76
	s_or_b64 s[12:13], vcc, s[12:13]
	s_andn2_b64 exec, exec, s[12:13]
	s_cbranch_execnz .LBB272_24
.LBB272_25:                             ;   in Loop: Header=BB272_13 Depth=2
	s_or_b64 exec, exec, s[10:11]
	v_add_u32_e32 v74, 0x1000, v97
	ds_read2_b32 v[72:73], v74 offset1:32
	ds_read2_b32 v[74:75], v74 offset0:128 offset1:160
	v_add_u32_e32 v97, 0x1400, v97
	s_waitcnt lgkmcnt(1)
	v_mfma_f32_16x16x32_fp8_fp8 v[8:11], v[72:73], v[68:69], v[8:11]
	ds_read2_b32 v[68:69], v97 offset1:32
	s_waitcnt lgkmcnt(1)
	v_mfma_f32_16x16x32_fp8_fp8 v[8:11], v[74:75], v[64:65], v[8:11]
	s_waitcnt lgkmcnt(0)
	v_mfma_f32_16x16x32_fp8_fp8 v[8:11], v[68:69], v[70:71], v[8:11]
	ds_read2_b32 v[64:65], v97 offset0:128 offset1:160
	ds_read_b32 v70, v94 offset:12304
	ds_write_b32 v94, v96 offset:12296
	s_waitcnt lgkmcnt(1)
	v_cmp_ne_u32_e32 vcc, v70, v76
	v_mfma_f32_16x16x32_fp8_fp8 v[8:11], v[64:65], v[66:67], v[8:11]
	s_and_saveexec_b64 s[10:11], vcc
	s_cbranch_execz .LBB272_28
; %bb.26:                               ;   in Loop: Header=BB272_13 Depth=2
	s_mov_b64 s[12:13], 0
.LBB272_27:                             ;   Parent Loop BB272_7 Depth=1
                                        ;     Parent Loop BB272_13 Depth=2
                                        ; =>    This Inner Loop Header: Depth=3
	;;#ASMSTART
	s_sleep 0
	;;#ASMEND
	ds_read_b32 v66, v94 offset:12304
	s_waitcnt lgkmcnt(0)
	v_cmp_eq_u32_e32 vcc, v66, v76
	s_or_b64 s[12:13], vcc, s[12:13]
	s_andn2_b64 exec, exec, s[12:13]
	s_cbranch_execnz .LBB272_27
.LBB272_28:                             ;   in Loop: Header=BB272_13 Depth=2
	s_or_b64 exec, exec, s[10:11]
	v_add_u32_e32 v70, 0x800, v95
	ds_read2_b32 v[66:67], v70 offset1:32
	ds_read2_b32 v[70:71], v70 offset0:128 offset1:160
	v_add_u32_e32 v97, 0xc00, v95
	ds_read2_b32 v[98:99], v97 offset1:32
	ds_read2_b32 v[100:101], v97 offset0:128 offset1:160
	s_waitcnt lgkmcnt(3)
	v_mfma_f32_16x16x32_fp8_fp8 v[28:31], v[48:49], v[66:67], v[28:31]
	;;#ASMSTART
	s_waitcnt lgkmcnt(0)
	;;#ASMEND
	ds_write_b32 v94, v96 offset:12304
	v_mfma_f32_16x16x32_fp8_fp8 v[16:19], v[56:57], v[66:67], v[16:19]
	v_mfma_f32_16x16x32_fp8_fp8 v[0:3], v[72:73], v[66:67], v[0:3]
	ds_read_b32 v66, v94 offset:12308
	s_waitcnt lgkmcnt(0)
	v_cmp_ne_u32_e32 vcc, v66, v76
	v_mfma_f32_16x16x32_fp8_fp8 v[28:31], v[50:51], v[70:71], v[28:31]
	v_mfma_f32_16x16x32_fp8_fp8 v[16:19], v[58:59], v[70:71], v[16:19]
	v_mfma_f32_16x16x32_fp8_fp8 v[0:3], v[74:75], v[70:71], v[0:3]
	v_mfma_f32_16x16x32_fp8_fp8 v[28:31], v[52:53], v[98:99], v[28:31]
	v_mfma_f32_16x16x32_fp8_fp8 v[16:19], v[60:61], v[98:99], v[16:19]
	v_mfma_f32_16x16x32_fp8_fp8 v[0:3], v[68:69], v[98:99], v[0:3]
	v_mfma_f32_16x16x32_fp8_fp8 v[28:31], v[54:55], v[100:101], v[28:31]
	v_mfma_f32_16x16x32_fp8_fp8 v[16:19], v[62:63], v[100:101], v[16:19]
	v_mfma_f32_16x16x32_fp8_fp8 v[0:3], v[64:65], v[100:101], v[0:3]
	s_and_saveexec_b64 s[10:11], vcc
	s_cbranch_execz .LBB272_12
; %bb.29:                               ;   in Loop: Header=BB272_13 Depth=2
	s_mov_b64 s[12:13], 0
.LBB272_30:                             ;   Parent Loop BB272_7 Depth=1
                                        ;     Parent Loop BB272_13 Depth=2
                                        ; =>    This Inner Loop Header: Depth=3
	;;#ASMSTART
	s_sleep 0
	;;#ASMEND
	ds_read_b32 v66, v94 offset:12308
	s_waitcnt lgkmcnt(0)
	v_cmp_eq_u32_e32 vcc, v66, v76
	s_or_b64 s[12:13], vcc, s[12:13]
	s_andn2_b64 exec, exec, s[12:13]
	s_cbranch_execnz .LBB272_30
	s_branch .LBB272_12
.LBB272_31:                             ;   in Loop: Header=BB272_7 Depth=1
	s_or_b64 exec, exec, s[8:9]
.LBB272_32:                             ;   in Loop: Header=BB272_7 Depth=1
	s_or_b64 exec, exec, s[6:7]
	v_cmp_le_i32_e32 vcc, s18, v36
	v_cmp_eq_u32_e64 s[6:7], 2, v79
	v_cmp_eq_u32_e64 s[8:9], 3, v79
	s_waitcnt vmcnt(0)
	v_cndmask_b32_e32 v48, 0, v92, vcc
	v_pk_mul_f32 v[32:33], v[48:49], v[32:33] op_sel_hi:[0,1]
	v_cmp_eq_u32_e32 vcc, 1, v79
	v_pk_mul_f32 v[52:53], v[48:49], v[34:35] op_sel_hi:[0,1]
	v_cmp_eq_u32_e64 s[10:11], 0, v79
	v_cndmask_b32_e32 v34, v32, v33, vcc
	v_cndmask_b32_e64 v34, v34, v52, s[6:7]
	v_cndmask_b32_e64 v34, v34, v53, s[8:9]
	ds_bpermute_b32 v49, v90, v34
	v_cmp_le_i32_e64 s[14:15], s18, v81
	v_cmp_eq_u32_e64 s[12:13], 1, v80
	v_cmp_le_i32_e64 s[18:19], s18, v82
	v_cmp_eq_u32_e64 s[16:17], 3, v80
	s_waitcnt lgkmcnt(0)
	v_cndmask_b32_e64 v34, v53, v49, s[8:9]
	v_cndmask_b32_e64 v35, v52, v49, s[6:7]
	v_cndmask_b32_e32 v33, v33, v49, vcc
	v_cndmask_b32_e64 v49, v32, v49, s[10:11]
	v_cndmask_b32_e64 v32, 0, v92, s[14:15]
	v_pk_mul_f32 v[28:29], v[32:33], v[28:29] op_sel_hi:[0,1]
	v_pk_mul_f32 v[52:53], v[32:33], v[30:31] op_sel_hi:[0,1]
	v_cndmask_b32_e32 v30, v28, v29, vcc
	v_cndmask_b32_e64 v30, v30, v52, s[6:7]
	v_cndmask_b32_e64 v30, v30, v53, s[8:9]
	ds_bpermute_b32 v55, v90, v30
	v_cndmask_b32_e64 v51, v49, v33, s[12:13]
	v_cmp_eq_u32_e64 s[14:15], 2, v80
	s_waitcnt lgkmcnt(0)
	v_cndmask_b32_e64 v31, v53, v55, s[8:9]
	v_cndmask_b32_e64 v30, v51, v35, s[14:15]
	;; [unrolled: 1-line block ×3, first 2 shown]
	v_cndmask_b32_e32 v54, v29, v55, vcc
	v_cndmask_b32_e64 v55, v28, v55, s[10:11]
	v_cndmask_b32_e64 v28, 0, v92, s[18:19]
	v_pk_mul_f32 v[56:57], v[28:29], v[24:25] op_sel_hi:[0,1]
	v_pk_mul_f32 v[52:53], v[28:29], v[26:27] op_sel_hi:[0,1]
	v_cndmask_b32_e32 v24, v56, v57, vcc
	v_cndmask_b32_e64 v24, v24, v52, s[6:7]
	v_cndmask_b32_e64 v24, v24, v53, s[8:9]
	ds_bpermute_b32 v25, v90, v24
	v_cndmask_b32_e64 v24, v55, v54, s[12:13]
	v_cndmask_b32_e64 v24, v24, v51, s[14:15]
	;; [unrolled: 1-line block ×3, first 2 shown]
	v_cmp_ne_u32_e32 vcc, 0, v79
	ds_bpermute_b32 v26, v90, v24
	s_waitcnt lgkmcnt(1)
	v_cndmask_b32_e64 v27, v53, v25, s[8:9]
	v_cndmask_b32_e64 v52, v52, v25, s[6:7]
	v_cndmask_b32_e32 v24, v57, v25, vcc
	v_cndmask_b32_e64 v25, v56, v25, s[10:11]
	v_cndmask_b32_e64 v29, v25, v24, s[12:13]
	;; [unrolled: 1-line block ×5, first 2 shown]
	ds_bpermute_b32 v30, v90, v30
	ds_bpermute_b32 v53, v90, v29
	v_add_u32_e32 v29, s65, v83
	v_cmp_gt_u32_e32 vcc, 48, v29
	s_and_saveexec_b64 s[18:19], vcc
	s_cbranch_execz .LBB272_39
; %bb.33:                               ;   in Loop: Header=BB272_7 Depth=1
	v_cmp_eq_u32_e64 s[8:9], 1, v80
	v_cmp_eq_u32_e64 s[10:11], 0, v80
	v_cmp_eq_u32_e32 vcc, 3, v80
	s_waitcnt lgkmcnt(1)
	v_cndmask_b32_e64 v33, v33, v30, s[8:9]
	v_cndmask_b32_e64 v54, v54, v26, s[8:9]
	s_waitcnt lgkmcnt(0)
	v_cndmask_b32_e64 v56, v24, v53, s[8:9]
	s_mul_i32 s8, s63, s21
	s_ashr_i32 s9, s8, 31
	v_cndmask_b32_e64 v49, v49, v30, s[10:11]
	s_lshl_b64 s[8:9], s[8:9], 1
	v_cndmask_b32_e64 v55, v55, v26, s[10:11]
	v_cndmask_b32_e64 v57, v25, v53, s[10:11]
	s_add_u32 s10, s40, s8
	v_cvt_f16_f32_e32 v49, v49
	v_cvt_f16_f32_sdwa v33, v33 dst_sel:WORD_1 dst_unused:UNUSED_PAD src0_sel:DWORD
	s_addc_u32 s11, s41, s9
	s_ashr_i32 s35, s34, 31
	s_lshl_b64 s[8:9], s[34:35], 1
	s_add_u32 s48, s10, s8
	s_addc_u32 s49, s11, s9
	v_or_b32_e32 v33, v33, v49
	v_lshl_add_u64 v[24:25], v[38:39], 1, s[48:49]
	;;#ASMSTART
	global_atomic_pk_add_f16 v[24:25], v33, off
	
	;;#ASMEND
	v_cvt_f16_f32_e32 v33, v55
	v_cvt_f16_f32_sdwa v49, v54 dst_sel:WORD_1 dst_unused:UNUSED_PAD src0_sel:DWORD
	v_cvt_f16_f32_e32 v57, v57
	v_cvt_f16_f32_sdwa v56, v56 dst_sel:WORD_1 dst_unused:UNUSED_PAD src0_sel:DWORD
	v_cmp_eq_u32_e64 s[6:7], 2, v80
	v_lshl_add_u64 v[54:55], v[24:25], 0, 32
	v_or_b32_e32 v33, v49, v33
	v_cmp_gt_u32_e64 s[8:9], 46, v29
	;;#ASMSTART
	global_atomic_pk_add_f16 v[54:55], v33, off
	
	;;#ASMEND
	v_lshl_add_u64 v[54:55], v[24:25], 0, 64
	v_or_b32_e32 v33, v56, v57
	;;#ASMSTART
	global_atomic_pk_add_f16 v[54:55], v33, off
	
	;;#ASMEND
	s_and_b64 exec, exec, s[8:9]
	s_cbranch_execz .LBB272_39
; %bb.34:                               ;   in Loop: Header=BB272_7 Depth=1
	v_cndmask_b32_e32 v34, v34, v30, vcc
	v_cndmask_b32_e64 v30, v35, v30, s[6:7]
	v_cndmask_b32_e32 v31, v31, v26, vcc
	v_cndmask_b32_e64 v26, v51, v26, s[6:7]
	v_cndmask_b32_e32 v35, v27, v53, vcc
	v_cvt_f16_f32_e32 v27, v30
	v_cvt_f16_f32_sdwa v30, v34 dst_sel:WORD_1 dst_unused:UNUSED_PAD src0_sel:DWORD
	v_cvt_f16_f32_e32 v34, v26
	v_cvt_f16_f32_sdwa v31, v31 dst_sel:WORD_1 dst_unused:UNUSED_PAD src0_sel:DWORD
	v_mov_b32_e32 v49, v48
	v_or_b32_e32 v26, v30, v27
	v_mov_b32_e32 v30, v48
	v_or_b32_e32 v34, v31, v34
	v_mov_b32_e32 v31, v48
	v_pk_mul_f32 v[22:23], v[30:31], v[22:23]
	v_pk_mul_f32 v[30:31], v[48:49], v[20:21]
	v_cmp_eq_u32_e32 vcc, 1, v79
	v_cndmask_b32_e64 v51, v52, v53, s[6:7]
	v_cmp_eq_u32_e64 s[6:7], 2, v79
	v_cndmask_b32_e32 v20, v30, v31, vcc
	v_lshl_add_u64 v[24:25], s[28:29], 2, v[24:25]
	v_cndmask_b32_e64 v20, v20, v22, s[6:7]
	v_cmp_eq_u32_e64 s[8:9], 3, v79
	;;#ASMSTART
	global_atomic_pk_add_f16 v[24:25], v26, off
	
	;;#ASMEND
	v_lshl_add_u64 v[26:27], v[24:25], 0, 32
	v_mov_b32_e32 v33, v32
	v_cndmask_b32_e64 v20, v20, v23, s[8:9]
	ds_bpermute_b32 v52, v90, v20
	;;#ASMSTART
	global_atomic_pk_add_f16 v[26:27], v34, off
	
	;;#ASMEND
	v_cvt_f16_f32_e32 v27, v51
	v_cvt_f16_f32_sdwa v51, v35 dst_sel:WORD_1 dst_unused:UNUSED_PAD src0_sel:DWORD
	v_lshl_add_u64 v[34:35], v[24:25], 0, 64
	v_mov_b32_e32 v24, v32
	v_mov_b32_e32 v25, v32
	v_pk_mul_f32 v[18:19], v[24:25], v[18:19]
	v_pk_mul_f32 v[24:25], v[32:33], v[16:17]
	v_cmp_eq_u32_e64 s[10:11], 0, v79
	v_cndmask_b32_e32 v16, v24, v25, vcc
	v_cndmask_b32_e64 v16, v16, v18, s[6:7]
	v_cndmask_b32_e64 v16, v16, v19, s[8:9]
	s_waitcnt lgkmcnt(0)
	v_cndmask_b32_e64 v20, v23, v52, s[8:9]
	v_cndmask_b32_e64 v23, v30, v52, s[10:11]
	ds_bpermute_b32 v30, v90, v16
	v_cndmask_b32_e64 v21, v22, v52, s[6:7]
	v_cndmask_b32_e32 v22, v31, v52, vcc
	v_cmp_eq_u32_e64 s[12:13], 1, v80
	v_mov_b32_e32 v29, v28
	v_cmp_eq_u32_e64 s[14:15], 2, v80
	v_cndmask_b32_e64 v26, v23, v22, s[12:13]
	s_waitcnt lgkmcnt(0)
	v_cndmask_b32_e64 v17, v19, v30, s[8:9]
	v_cndmask_b32_e64 v16, v26, v21, s[14:15]
	;; [unrolled: 1-line block ×3, first 2 shown]
	v_cndmask_b32_e32 v25, v25, v30, vcc
	v_cndmask_b32_e64 v26, v24, v30, s[10:11]
	v_mov_b32_e32 v30, v28
	v_mov_b32_e32 v31, v28
	v_pk_mul_f32 v[52:53], v[28:29], v[12:13]
	v_pk_mul_f32 v[30:31], v[30:31], v[14:15]
	v_cndmask_b32_e32 v12, v52, v53, vcc
	v_cndmask_b32_e64 v12, v12, v30, s[6:7]
	v_cndmask_b32_e64 v12, v12, v31, s[8:9]
	ds_bpermute_b32 v13, v90, v12
	v_cndmask_b32_e64 v12, v26, v25, s[12:13]
	v_cmp_eq_u32_e64 s[16:17], 3, v80
	v_cndmask_b32_e64 v12, v12, v18, s[14:15]
	v_cmp_ne_u32_e32 vcc, 0, v79
	v_cndmask_b32_e64 v12, v12, v17, s[16:17]
	ds_bpermute_b32 v14, v90, v12
	s_waitcnt lgkmcnt(1)
	v_cndmask_b32_e64 v15, v31, v13, s[8:9]
	v_cndmask_b32_e64 v19, v30, v13, s[6:7]
	v_cndmask_b32_e32 v12, v53, v13, vcc
	v_cndmask_b32_e64 v13, v52, v13, s[10:11]
	v_cndmask_b32_e64 v24, v13, v12, s[12:13]
	v_cndmask_b32_e64 v24, v24, v19, s[14:15]
	v_cndmask_b32_e64 v16, v16, v20, s[16:17]
	v_cndmask_b32_e64 v24, v24, v15, s[16:17]
	ds_bpermute_b32 v16, v90, v16
	ds_bpermute_b32 v24, v90, v24
	v_or_b32_e32 v27, v51, v27
	;;#ASMSTART
	global_atomic_pk_add_f16 v[34:35], v27, off
	
	;;#ASMEND
	v_add_u32_e32 v27, s65, v84
	v_cmp_gt_u32_e32 vcc, 48, v27
	s_and_b64 exec, exec, vcc
	s_cbranch_execz .LBB272_39
; %bb.35:                               ;   in Loop: Header=BB272_7 Depth=1
	v_cmp_eq_u32_e64 s[8:9], 1, v80
	v_cmp_eq_u32_e64 s[10:11], 0, v80
	v_cmp_eq_u32_e32 vcc, 3, v80
	s_waitcnt lgkmcnt(1)
	v_cndmask_b32_e64 v22, v22, v16, s[8:9]
	v_cndmask_b32_e64 v23, v23, v16, s[10:11]
	;; [unrolled: 1-line block ×4, first 2 shown]
	v_cvt_f16_f32_e32 v23, v23
	v_cvt_f16_f32_sdwa v22, v22 dst_sel:WORD_1 dst_unused:UNUSED_PAD src0_sel:DWORD
	s_waitcnt lgkmcnt(0)
	v_cndmask_b32_e64 v30, v12, v24, s[8:9]
	v_cndmask_b32_e64 v31, v13, v24, s[10:11]
	v_cvt_f16_f32_e32 v26, v26
	v_cvt_f16_f32_sdwa v25, v25 dst_sel:WORD_1 dst_unused:UNUSED_PAD src0_sel:DWORD
	v_cvt_f16_f32_e32 v31, v31
	v_cvt_f16_f32_sdwa v30, v30 dst_sel:WORD_1 dst_unused:UNUSED_PAD src0_sel:DWORD
	v_lshl_add_u64 v[12:13], v[40:41], 1, s[48:49]
	v_or_b32_e32 v22, v22, v23
	v_cmp_eq_u32_e64 s[6:7], 2, v80
	;;#ASMSTART
	global_atomic_pk_add_f16 v[12:13], v22, off
	
	;;#ASMEND
	v_lshl_add_u64 v[22:23], v[12:13], 0, 32
	v_or_b32_e32 v25, v25, v26
	v_cmp_gt_u32_e64 s[8:9], 46, v27
	;;#ASMSTART
	global_atomic_pk_add_f16 v[22:23], v25, off
	
	;;#ASMEND
	v_lshl_add_u64 v[22:23], v[12:13], 0, 64
	v_or_b32_e32 v25, v30, v31
	;;#ASMSTART
	global_atomic_pk_add_f16 v[22:23], v25, off
	
	;;#ASMEND
	s_and_b64 exec, exec, s[8:9]
	s_cbranch_execz .LBB272_39
; %bb.36:                               ;   in Loop: Header=BB272_7 Depth=1
	v_cndmask_b32_e32 v20, v20, v16, vcc
	v_cndmask_b32_e64 v16, v21, v16, s[6:7]
	v_cndmask_b32_e32 v17, v17, v14, vcc
	v_cndmask_b32_e64 v14, v18, v14, s[6:7]
	v_cndmask_b32_e32 v18, v15, v24, vcc
	v_cvt_f16_f32_e32 v15, v16
	v_cvt_f16_f32_sdwa v16, v20 dst_sel:WORD_1 dst_unused:UNUSED_PAD src0_sel:DWORD
	v_cvt_f16_f32_e32 v20, v14
	v_cvt_f16_f32_sdwa v17, v17 dst_sel:WORD_1 dst_unused:UNUSED_PAD src0_sel:DWORD
	v_cmp_eq_u32_e32 vcc, 1, v79
	v_or_b32_e32 v14, v16, v15
	v_mov_b32_e32 v16, v48
	v_or_b32_e32 v20, v17, v20
	v_mov_b32_e32 v17, v48
	v_pk_mul_f32 v[10:11], v[16:17], v[10:11]
	v_pk_mul_f32 v[16:17], v[48:49], v[8:9]
	v_cndmask_b32_e64 v19, v19, v24, s[6:7]
	v_cndmask_b32_e32 v8, v16, v17, vcc
	v_cmp_eq_u32_e64 s[6:7], 2, v79
	v_cmp_eq_u32_e64 s[8:9], 3, v79
	v_lshl_add_u64 v[12:13], s[28:29], 2, v[12:13]
	v_cndmask_b32_e64 v8, v8, v10, s[6:7]
	v_cndmask_b32_e64 v8, v8, v11, s[8:9]
	ds_bpermute_b32 v21, v90, v8
	;;#ASMSTART
	global_atomic_pk_add_f16 v[12:13], v14, off
	
	;;#ASMEND
	v_lshl_add_u64 v[14:15], v[12:13], 0, 32
	v_cmp_eq_u32_e64 s[10:11], 0, v79
	;;#ASMSTART
	global_atomic_pk_add_f16 v[14:15], v20, off
	
	;;#ASMEND
	v_cvt_f16_f32_e32 v20, v19
	v_cvt_f16_f32_sdwa v22, v18 dst_sel:WORD_1 dst_unused:UNUSED_PAD src0_sel:DWORD
	v_lshl_add_u64 v[18:19], v[12:13], 0, 64
	s_waitcnt lgkmcnt(0)
	v_cndmask_b32_e64 v8, v11, v21, s[8:9]
	v_cndmask_b32_e32 v11, v17, v21, vcc
	v_cndmask_b32_e64 v12, v16, v21, s[10:11]
	v_mov_b32_e32 v14, v32
	v_mov_b32_e32 v15, v32
	v_pk_mul_f32 v[16:17], v[32:33], v[0:1]
	v_pk_mul_f32 v[14:15], v[14:15], v[2:3]
	v_cndmask_b32_e32 v0, v16, v17, vcc
	v_cndmask_b32_e64 v0, v0, v14, s[6:7]
	v_cndmask_b32_e64 v0, v0, v15, s[8:9]
	ds_bpermute_b32 v1, v90, v0
	v_cmp_eq_u32_e64 s[12:13], 1, v80
	v_cndmask_b32_e64 v9, v10, v21, s[6:7]
	v_cmp_eq_u32_e64 s[14:15], 2, v80
	v_cndmask_b32_e64 v10, v12, v11, s[12:13]
	;; [unrolled: 2-line block ×3, first 2 shown]
	s_waitcnt lgkmcnt(0)
	v_cndmask_b32_e64 v3, v15, v1, s[8:9]
	v_cndmask_b32_e64 v0, v0, v8, s[16:17]
	ds_bpermute_b32 v2, v90, v0
	v_cndmask_b32_e64 v10, v14, v1, s[6:7]
	v_cndmask_b32_e32 v0, v17, v1, vcc
	v_cndmask_b32_e64 v1, v16, v1, s[10:11]
	v_mov_b32_e32 v14, v28
	v_mov_b32_e32 v15, v28
	v_pk_mul_f32 v[16:17], v[28:29], v[4:5]
	v_pk_mul_f32 v[14:15], v[14:15], v[6:7]
	v_cndmask_b32_e32 v4, v16, v17, vcc
	v_cndmask_b32_e64 v4, v4, v14, s[6:7]
	v_cndmask_b32_e64 v4, v4, v15, s[8:9]
	ds_bpermute_b32 v7, v90, v4
	v_cndmask_b32_e64 v4, v1, v0, s[12:13]
	v_cndmask_b32_e64 v4, v4, v10, s[14:15]
	;; [unrolled: 1-line block ×3, first 2 shown]
	v_cmp_ne_u32_e32 vcc, 0, v79
	ds_bpermute_b32 v6, v90, v4
	s_waitcnt lgkmcnt(1)
	v_cndmask_b32_e64 v4, v15, v7, s[8:9]
	v_cndmask_b32_e64 v5, v14, v7, s[6:7]
	v_cndmask_b32_e32 v14, v17, v7, vcc
	v_cndmask_b32_e64 v15, v16, v7, s[10:11]
	v_cndmask_b32_e64 v7, v15, v14, s[12:13]
	;; [unrolled: 1-line block ×4, first 2 shown]
	ds_bpermute_b32 v7, v90, v7
	v_or_b32_e32 v13, v22, v20
	;;#ASMSTART
	global_atomic_pk_add_f16 v[18:19], v13, off
	
	;;#ASMEND
	v_add_u32_e32 v13, s65, v85
	v_cmp_gt_u32_e32 vcc, 48, v13
	s_and_b64 exec, exec, vcc
	s_cbranch_execz .LBB272_39
; %bb.37:                               ;   in Loop: Header=BB272_7 Depth=1
	v_cmp_eq_u32_e64 s[8:9], 1, v80
	v_cmp_eq_u32_e64 s[10:11], 0, v80
	v_cmp_eq_u32_e32 vcc, 3, v80
	v_cndmask_b32_e64 v11, v11, v2, s[8:9]
	v_cndmask_b32_e64 v12, v12, v2, s[10:11]
	v_cvt_f16_f32_e32 v12, v12
	v_cvt_f16_f32_sdwa v11, v11 dst_sel:WORD_1 dst_unused:UNUSED_PAD src0_sel:DWORD
	s_waitcnt lgkmcnt(1)
	v_cndmask_b32_e64 v16, v0, v6, s[8:9]
	v_cndmask_b32_e64 v17, v1, v6, s[10:11]
	s_waitcnt lgkmcnt(0)
	v_cndmask_b32_e64 v18, v14, v7, s[8:9]
	v_or_b32_e32 v11, v11, v12
	v_cndmask_b32_e64 v19, v15, v7, s[10:11]
	v_lshl_add_u64 v[0:1], v[42:43], 1, s[48:49]
	;;#ASMSTART
	global_atomic_pk_add_f16 v[0:1], v11, off
	
	;;#ASMEND
	v_cvt_f16_f32_e32 v11, v17
	v_cvt_f16_f32_sdwa v12, v16 dst_sel:WORD_1 dst_unused:UNUSED_PAD src0_sel:DWORD
	v_cvt_f16_f32_e32 v16, v19
	v_cvt_f16_f32_sdwa v17, v18 dst_sel:WORD_1 dst_unused:UNUSED_PAD src0_sel:DWORD
	v_cmp_eq_u32_e64 s[6:7], 2, v80
	v_lshl_add_u64 v[14:15], v[0:1], 0, 32
	v_or_b32_e32 v11, v12, v11
	v_cmp_gt_u32_e64 s[8:9], 46, v13
	;;#ASMSTART
	global_atomic_pk_add_f16 v[14:15], v11, off
	
	;;#ASMEND
	v_lshl_add_u64 v[14:15], v[0:1], 0, 64
	v_or_b32_e32 v11, v17, v16
	;;#ASMSTART
	global_atomic_pk_add_f16 v[14:15], v11, off
	
	;;#ASMEND
	s_and_b64 exec, exec, s[8:9]
	s_cbranch_execz .LBB272_39
; %bb.38:                               ;   in Loop: Header=BB272_7 Depth=1
	v_cndmask_b32_e32 v8, v8, v2, vcc
	v_cndmask_b32_e64 v2, v9, v2, s[6:7]
	v_cvt_f16_f32_e32 v2, v2
	v_cvt_f16_f32_sdwa v8, v8 dst_sel:WORD_1 dst_unused:UNUSED_PAD src0_sel:DWORD
	v_cndmask_b32_e32 v3, v3, v6, vcc
	v_cndmask_b32_e64 v6, v10, v6, s[6:7]
	v_cndmask_b32_e32 v4, v4, v7, vcc
	v_cndmask_b32_e64 v5, v5, v7, s[6:7]
	v_cvt_f16_f32_e32 v6, v6
	v_cvt_f16_f32_sdwa v7, v3 dst_sel:WORD_1 dst_unused:UNUSED_PAD src0_sel:DWORD
	v_cvt_f16_f32_e32 v5, v5
	v_cvt_f16_f32_sdwa v4, v4 dst_sel:WORD_1 dst_unused:UNUSED_PAD src0_sel:DWORD
	v_lshl_add_u64 v[0:1], s[28:29], 2, v[0:1]
	v_or_b32_e32 v2, v8, v2
	;;#ASMSTART
	global_atomic_pk_add_f16 v[0:1], v2, off
	
	;;#ASMEND
	v_lshl_add_u64 v[2:3], v[0:1], 0, 32
	v_or_b32_e32 v6, v7, v6
	;;#ASMSTART
	global_atomic_pk_add_f16 v[2:3], v6, off
	
	;;#ASMEND
	;; [unrolled: 6-line block ×3, first 2 shown]
.LBB272_39:                             ;   in Loop: Header=BB272_7 Depth=1
	s_or_b64 exec, exec, s[18:19]
	v_subrev_u32_e32 v91, s66, v91
.LBB272_40:                             ;   in Loop: Header=BB272_7 Depth=1
	s_or_b64 exec, exec, s[46:47]
.LBB272_41:                             ;   in Loop: Header=BB272_7 Depth=1
	s_andn2_saveexec_b64 s[6:7], s[44:45]
	s_cbranch_execz .LBB272_50
; %bb.42:                               ;   in Loop: Header=BB272_7 Depth=1
	s_mul_i32 s16, s66, 3
	v_cmp_gt_i32_e32 vcc, s16, v91
	s_and_saveexec_b64 s[8:9], vcc
	s_cbranch_execz .LBB272_49
; %bb.43:                               ;   in Loop: Header=BB272_7 Depth=1
	s_mul_i32 s10, s34, s23
	s_ashr_i32 s11, s10, 31
	s_waitcnt lgkmcnt(0)
	s_add_u32 s10, s38, s10
	s_addc_u32 s11, s39, s11
	s_ashr_i32 s12, s64, 31
	s_add_u32 s10, s10, s64
	s_addc_u32 s11, s11, s12
	v_lshl_add_u64 v[0:1], s[10:11], 0, v[46:47]
	v_lshl_add_u64 v[8:9], v[0:1], 0, v[44:45]
	s_mov_b64 s[10:11], 0
	s_branch .LBB272_45
.LBB272_44:                             ;   in Loop: Header=BB272_45 Depth=2
	s_or_b64 exec, exec, s[12:13]
	v_lshl_add_u32 v12, v10, 11, v88
	;;#ASMSTART
	s_waitcnt vmcnt(1)
	;;#ASMEND
	ds_write2_b32 v12, v4, v5 offset1:32
	ds_write2_b32 v12, v6, v7 offset0:64 offset1:96
	v_add_u32_e32 v4, 0x400, v12
	v_add_u32_e32 v91, s26, v91
	;;#ASMSTART
	s_waitcnt vmcnt(0)
	;;#ASMEND
	ds_write2_b32 v4, v0, v1 offset1:32
	ds_write2_b32 v4, v2, v3 offset0:64 offset1:96
	v_add_u32_e32 v0, 1, v76
	v_add_u32_e32 v50, s26, v10
	v_cmp_le_i32_e32 vcc, s16, v91
	ds_write_b32 v11, v0 offset:12
	v_add_u32_e32 v0, 2, v76
	s_or_b64 s[10:11], vcc, s[10:11]
	v_cmp_lt_i32_e32 vcc, 2, v50
	s_nop 1
	v_cndmask_b32_e32 v76, v76, v0, vcc
	s_andn2_b64 exec, exec, s[10:11]
	s_cbranch_execz .LBB272_48
.LBB272_45:                             ;   Parent Loop BB272_7 Depth=1
                                        ; =>  This Loop Header: Depth=2
                                        ;       Child Loop BB272_47 Depth 3
	v_cmp_gt_i32_e32 vcc, 3, v50
	s_nop 1
	v_cndmask_b32_e64 v0, -3, 0, vcc
	v_add_u32_e32 v10, v0, v50
	v_mul_hi_i32 v0, v91, s62
	v_lshrrev_b32_e32 v1, 31, v0
	v_add_u32_e32 v0, v0, v1
	v_lshl_add_u32 v1, v0, 1, v0
	v_sub_u32_e32 v2, v91, v1
	v_lshlrev_b32_e32 v0, 7, v0
	v_ashrrev_i32_e32 v1, 31, v0
	v_mul_lo_u32 v2, s56, v2
	v_lshl_add_u64 v[0:1], v[8:9], 0, v[0:1]
	v_ashrrev_i32_e32 v3, 31, v2
	v_lshl_add_u64 v[0:1], v[0:1], 0, v[2:3]
	v_lshlrev_b32_e32 v11, 2, v10
	;;#ASMSTART
	global_load_dwordx4 v[4:7], v[0:1], off offset:0   sc0 sc1 nt  
	global_load_dwordx4 v[0:3], v[0:1], off offset:64  sc0 sc1 nt  
	
	;;#ASMEND
	ds_read_b32 v12, v11 offset:12300
	v_add_u32_e32 v11, 0x3000, v11
	s_waitcnt lgkmcnt(0)
	v_cmp_ne_u32_e32 vcc, v12, v76
	s_and_saveexec_b64 s[12:13], vcc
	s_cbranch_execz .LBB272_44
; %bb.46:                               ;   in Loop: Header=BB272_45 Depth=2
	s_mov_b64 s[14:15], 0
.LBB272_47:                             ;   Parent Loop BB272_7 Depth=1
                                        ;     Parent Loop BB272_45 Depth=2
                                        ; =>    This Inner Loop Header: Depth=3
	;;#ASMSTART
	s_sleep 0
	;;#ASMEND
	ds_read_b32 v12, v11 offset:12
	s_waitcnt lgkmcnt(0)
	v_cmp_eq_u32_e32 vcc, v12, v76
	s_or_b64 s[14:15], vcc, s[14:15]
	s_andn2_b64 exec, exec, s[14:15]
	s_cbranch_execnz .LBB272_47
	s_branch .LBB272_44
.LBB272_48:                             ;   in Loop: Header=BB272_7 Depth=1
	s_or_b64 exec, exec, s[10:11]
.LBB272_49:                             ;   in Loop: Header=BB272_7 Depth=1
	s_or_b64 exec, exec, s[8:9]
	v_subrev_u32_e32 v91, s16, v91
.LBB272_50:                             ;   in Loop: Header=BB272_7 Depth=1
	s_or_b64 exec, exec, s[6:7]
.LBB272_51:                             ;   in Loop: Header=BB272_7 Depth=1
	s_andn2_saveexec_b64 s[6:7], s[30:31]
	s_cbranch_execz .LBB272_6
; %bb.52:                               ;   in Loop: Header=BB272_7 Depth=1
	s_mul_i32 s66, s66, 3
	v_cmp_gt_i32_e32 vcc, s66, v91
	s_and_saveexec_b64 s[8:9], vcc
	s_cbranch_execz .LBB272_5
; %bb.53:                               ;   in Loop: Header=BB272_7 Depth=1
	s_mul_i32 s63, s63, s22
	s_ashr_i32 s10, s63, 31
	s_waitcnt lgkmcnt(0)
	s_add_u32 s11, s36, s63
	v_add_u32_e32 v2, s65, v86
	s_addc_u32 s12, s37, s10
	s_ashr_i32 s13, s64, 31
	v_cmp_gt_u32_e32 vcc, 48, v2
	s_add_u32 s10, s11, s64
	s_addc_u32 s11, s12, s13
	v_cndmask_b32_e32 v0, 0, v89, vcc
	v_ashrrev_i32_e32 v1, 31, v0
	v_lshl_add_u64 v[0:1], s[10:11], 0, v[0:1]
	v_lshl_add_u64 v[8:9], v[0:1], 0, v[44:45]
	v_sub_u32_e32 v10, 47, v2
	s_mov_b64 s[10:11], 0
	s_branch .LBB272_55
.LBB272_54:                             ;   in Loop: Header=BB272_55 Depth=2
	s_or_b64 exec, exec, s[12:13]
	v_lshl_or_b32 v13, v11, 11, v87
	;;#ASMSTART
	s_waitcnt vmcnt(1)
	;;#ASMEND
	ds_write2_b32 v13, v4, v5 offset1:32
	ds_write2_b32 v13, v6, v7 offset0:64 offset1:96
	v_add_u32_e32 v4, 0x400, v13
	v_add_u32_e32 v91, s25, v91
	;;#ASMSTART
	s_waitcnt vmcnt(0)
	;;#ASMEND
	ds_write2_b32 v4, v0, v1 offset1:32
	ds_write2_b32 v4, v2, v3 offset0:64 offset1:96
	v_add_u32_e32 v0, 1, v76
	v_add_u32_e32 v50, s25, v11
	v_cmp_le_i32_e32 vcc, s66, v91
	ds_write_b32 v12, v0
	v_add_u32_e32 v0, 2, v76
	s_or_b64 s[10:11], vcc, s[10:11]
	v_cmp_lt_i32_e32 vcc, 2, v50
	s_nop 1
	v_cndmask_b32_e32 v76, v76, v0, vcc
	s_andn2_b64 exec, exec, s[10:11]
	s_cbranch_execz .LBB272_4
.LBB272_55:                             ;   Parent Loop BB272_7 Depth=1
                                        ; =>  This Loop Header: Depth=2
                                        ;       Child Loop BB272_57 Depth 3
	v_cmp_gt_i32_e32 vcc, 3, v50
	s_nop 1
	v_cndmask_b32_e64 v0, -3, 0, vcc
	v_add_u32_e32 v11, v0, v50
	v_mul_hi_i32 v0, v91, s62
	v_lshrrev_b32_e32 v1, 31, v0
	v_add_u32_e32 v0, v0, v1
	v_lshl_add_u32 v1, v0, 1, v0
	v_sub_u32_e32 v1, v91, v1
	v_lshlrev_b32_e32 v1, 4, v1
	v_cmp_le_i32_e32 vcc, v1, v10
	v_lshlrev_b32_e32 v0, 7, v0
	v_lshlrev_b32_e32 v12, 2, v11
	v_cndmask_b32_e32 v2, 0, v1, vcc
	v_ashrrev_i32_e32 v1, 31, v0
	v_mul_lo_u32 v2, v2, s22
	v_lshl_add_u64 v[0:1], v[8:9], 0, v[0:1]
	v_ashrrev_i32_e32 v3, 31, v2
	v_lshl_add_u64 v[0:1], v[0:1], 0, v[2:3]
	;;#ASMSTART
	global_load_dwordx4 v[4:7], v[0:1], off offset:0   
	global_load_dwordx4 v[0:3], v[0:1], off offset:64  
	
	;;#ASMEND
	ds_read_b32 v13, v12 offset:12288
	v_add_u32_e32 v12, 0x3000, v12
	s_waitcnt lgkmcnt(0)
	v_cmp_ne_u32_e32 vcc, v13, v76
	s_and_saveexec_b64 s[12:13], vcc
	s_cbranch_execz .LBB272_54
; %bb.56:                               ;   in Loop: Header=BB272_55 Depth=2
	s_mov_b64 s[14:15], 0
.LBB272_57:                             ;   Parent Loop BB272_7 Depth=1
                                        ;     Parent Loop BB272_55 Depth=2
                                        ; =>    This Inner Loop Header: Depth=3
	;;#ASMSTART
	s_sleep 0
	;;#ASMEND
	ds_read_b32 v13, v12
	s_waitcnt lgkmcnt(0)
	v_cmp_eq_u32_e32 vcc, v13, v76
	s_or_b64 s[14:15], vcc, s[14:15]
	s_andn2_b64 exec, exec, s[14:15]
	s_cbranch_execnz .LBB272_57
	s_branch .LBB272_54
.LBB272_58:
	s_endpgm
	.section	.rodata,"a",@progbits
	.p2align	6, 0x0
	.amdhsa_kernel _Z19_skinny_gemm_kernelILi3ELi3ELi1ELi16ELi4EEvPKhS1_P6__halfPKfiiiiiiii
		.amdhsa_group_segment_fixed_size 12312
		.amdhsa_private_segment_fixed_size 0
		.amdhsa_kernarg_size 64
		.amdhsa_user_sgpr_count 2
		.amdhsa_user_sgpr_dispatch_ptr 0
		.amdhsa_user_sgpr_queue_ptr 0
		.amdhsa_user_sgpr_kernarg_segment_ptr 1
		.amdhsa_user_sgpr_dispatch_id 0
		.amdhsa_user_sgpr_kernarg_preload_length 0
		.amdhsa_user_sgpr_kernarg_preload_offset 0
		.amdhsa_user_sgpr_private_segment_size 0
		.amdhsa_uses_dynamic_stack 0
		.amdhsa_enable_private_segment 0
		.amdhsa_system_sgpr_workgroup_id_x 1
		.amdhsa_system_sgpr_workgroup_id_y 0
		.amdhsa_system_sgpr_workgroup_id_z 0
		.amdhsa_system_sgpr_workgroup_info 0
		.amdhsa_system_vgpr_workitem_id 0
		.amdhsa_next_free_vgpr 102
		.amdhsa_next_free_sgpr 67
		.amdhsa_accum_offset 104
		.amdhsa_reserve_vcc 1
		.amdhsa_float_round_mode_32 0
		.amdhsa_float_round_mode_16_64 0
		.amdhsa_float_denorm_mode_32 3
		.amdhsa_float_denorm_mode_16_64 3
		.amdhsa_dx10_clamp 1
		.amdhsa_ieee_mode 1
		.amdhsa_fp16_overflow 0
		.amdhsa_tg_split 0
		.amdhsa_exception_fp_ieee_invalid_op 0
		.amdhsa_exception_fp_denorm_src 0
		.amdhsa_exception_fp_ieee_div_zero 0
		.amdhsa_exception_fp_ieee_overflow 0
		.amdhsa_exception_fp_ieee_underflow 0
		.amdhsa_exception_fp_ieee_inexact 0
		.amdhsa_exception_int_div_zero 0
	.end_amdhsa_kernel
	.section	.text._Z19_skinny_gemm_kernelILi3ELi3ELi1ELi16ELi4EEvPKhS1_P6__halfPKfiiiiiiii,"axG",@progbits,_Z19_skinny_gemm_kernelILi3ELi3ELi1ELi16ELi4EEvPKhS1_P6__halfPKfiiiiiiii,comdat
.Lfunc_end272:
	.size	_Z19_skinny_gemm_kernelILi3ELi3ELi1ELi16ELi4EEvPKhS1_P6__halfPKfiiiiiiii, .Lfunc_end272-_Z19_skinny_gemm_kernelILi3ELi3ELi1ELi16ELi4EEvPKhS1_P6__halfPKfiiiiiiii
                                        ; -- End function
	.set _Z19_skinny_gemm_kernelILi3ELi3ELi1ELi16ELi4EEvPKhS1_P6__halfPKfiiiiiiii.num_vgpr, 102
	.set _Z19_skinny_gemm_kernelILi3ELi3ELi1ELi16ELi4EEvPKhS1_P6__halfPKfiiiiiiii.num_agpr, 0
	.set _Z19_skinny_gemm_kernelILi3ELi3ELi1ELi16ELi4EEvPKhS1_P6__halfPKfiiiiiiii.numbered_sgpr, 67
	.set _Z19_skinny_gemm_kernelILi3ELi3ELi1ELi16ELi4EEvPKhS1_P6__halfPKfiiiiiiii.num_named_barrier, 0
	.set _Z19_skinny_gemm_kernelILi3ELi3ELi1ELi16ELi4EEvPKhS1_P6__halfPKfiiiiiiii.private_seg_size, 0
	.set _Z19_skinny_gemm_kernelILi3ELi3ELi1ELi16ELi4EEvPKhS1_P6__halfPKfiiiiiiii.uses_vcc, 1
	.set _Z19_skinny_gemm_kernelILi3ELi3ELi1ELi16ELi4EEvPKhS1_P6__halfPKfiiiiiiii.uses_flat_scratch, 0
	.set _Z19_skinny_gemm_kernelILi3ELi3ELi1ELi16ELi4EEvPKhS1_P6__halfPKfiiiiiiii.has_dyn_sized_stack, 0
	.set _Z19_skinny_gemm_kernelILi3ELi3ELi1ELi16ELi4EEvPKhS1_P6__halfPKfiiiiiiii.has_recursion, 0
	.set _Z19_skinny_gemm_kernelILi3ELi3ELi1ELi16ELi4EEvPKhS1_P6__halfPKfiiiiiiii.has_indirect_call, 0
	.section	.AMDGPU.csdata,"",@progbits
; Kernel info:
; codeLenInByte = 5936
; TotalNumSgprs: 73
; NumVgprs: 102
; NumAgprs: 0
; TotalNumVgprs: 102
; ScratchSize: 0
; MemoryBound: 0
; FloatMode: 240
; IeeeMode: 1
; LDSByteSize: 12312 bytes/workgroup (compile time only)
; SGPRBlocks: 9
; VGPRBlocks: 12
; NumSGPRsForWavesPerEU: 73
; NumVGPRsForWavesPerEU: 102
; AccumOffset: 104
; Occupancy: 4
; WaveLimiterHint : 0
; COMPUTE_PGM_RSRC2:SCRATCH_EN: 0
; COMPUTE_PGM_RSRC2:USER_SGPR: 2
; COMPUTE_PGM_RSRC2:TRAP_HANDLER: 0
; COMPUTE_PGM_RSRC2:TGID_X_EN: 1
; COMPUTE_PGM_RSRC2:TGID_Y_EN: 0
; COMPUTE_PGM_RSRC2:TGID_Z_EN: 0
; COMPUTE_PGM_RSRC2:TIDIG_COMP_CNT: 0
; COMPUTE_PGM_RSRC3_GFX90A:ACCUM_OFFSET: 25
; COMPUTE_PGM_RSRC3_GFX90A:TG_SPLIT: 0
	.section	.text._Z19_skinny_gemm_kernelILi3ELi3ELi1ELi16ELi8EEvPKhS1_P6__halfPKfiiiiiiii,"axG",@progbits,_Z19_skinny_gemm_kernelILi3ELi3ELi1ELi16ELi8EEvPKhS1_P6__halfPKfiiiiiiii,comdat
	.protected	_Z19_skinny_gemm_kernelILi3ELi3ELi1ELi16ELi8EEvPKhS1_P6__halfPKfiiiiiiii ; -- Begin function _Z19_skinny_gemm_kernelILi3ELi3ELi1ELi16ELi8EEvPKhS1_P6__halfPKfiiiiiiii
	.globl	_Z19_skinny_gemm_kernelILi3ELi3ELi1ELi16ELi8EEvPKhS1_P6__halfPKfiiiiiiii
	.p2align	8
	.type	_Z19_skinny_gemm_kernelILi3ELi3ELi1ELi16ELi8EEvPKhS1_P6__halfPKfiiiiiiii,@function
_Z19_skinny_gemm_kernelILi3ELi3ELi1ELi16ELi8EEvPKhS1_P6__halfPKfiiiiiiii: ; @_Z19_skinny_gemm_kernelILi3ELi3ELi1ELi16ELi8EEvPKhS1_P6__halfPKfiiiiiiii
; %bb.0:
	v_cmp_gt_u32_e32 vcc, 6, v0
	v_lshlrev_b32_e32 v1, 2, v0
	s_and_saveexec_b64 s[4:5], vcc
; %bb.1:
	v_mov_b32_e32 v2, 0
	ds_write_b32 v1, v2 offset:24576
; %bb.2:
	s_or_b64 exec, exec, s[4:5]
	s_load_dwordx8 s[20:27], s[0:1], 0x20
	s_waitcnt lgkmcnt(0)
	s_barrier
	s_add_i32 s3, s20, 47
	s_add_i32 s4, s21, 47
	s_mul_hi_i32 s3, s3, 0x2aaaaaab
	s_lshr_b32 s5, s3, 31
	s_ashr_i32 s33, s3, 3
	s_mul_hi_i32 s3, s4, 0x2aaaaaab
	s_lshr_b32 s4, s3, 31
	s_ashr_i32 s50, s3, 3
	s_add_i32 s33, s33, s5
	s_add_i32 s50, s50, s4
	s_mul_i32 s3, s50, s33
	s_mul_i32 s3, s3, s24
	s_add_i32 s4, s3, 0x12f
	s_mul_hi_i32 s4, s4, 0x6bca1af3
	s_lshr_b32 s5, s4, 31
	s_ashr_i32 s4, s4, 7
	s_add_i32 s4, s4, s5
	s_add_i32 s5, s2, 1
	s_mul_i32 s5, s4, s5
	v_cvt_f64_i32_e32 v[2:3], s3
	v_cvt_f64_u32_e32 v[4:5], s5
	v_min_f64 v[2:3], v[2:3], v[4:5]
	v_cvt_i32_f64_e32 v37, v[2:3]
	s_mul_i32 s51, s4, s2
	v_cmp_ge_i32_e32 vcc, s51, v37
	s_cbranch_vccnz .LBB273_58
; %bb.3:
	v_lshrrev_b32_e32 v2, 6, v0
	s_add_i32 s4, s26, s25
	s_load_dwordx8 s[36:43], s[0:1], 0x0
	v_cmp_le_i32_e64 s[0:1], s4, v2
	v_mov_b32_e32 v3, s25
	v_cmp_le_i32_e64 s[2:3], s25, v2
	v_mov_b32_e32 v4, s26
	v_cndmask_b32_e64 v4, 0, v4, s[0:1]
	v_cndmask_b32_e64 v3, 0, v3, s[2:3]
	s_abs_i32 s5, s24
	v_add_u32_e32 v3, v3, v4
	v_cvt_f32_u32_e32 v4, s5
	v_sub_u32_e32 v50, v2, v3
	s_ashr_i32 s6, s22, 31
	s_lshr_b32 s6, s6, 24
	v_rcp_iflag_f32_e32 v3, v4
	s_sub_i32 s9, 0, s5
	s_add_i32 s6, s22, s6
	s_ashr_i32 s6, s6, 8
	v_mul_f32_e32 v3, 0x4f7ffffe, v3
	v_cvt_u32_f32_e32 v3, v3
	s_abs_i32 s8, s6
	s_xor_b32 s7, s6, s24
	s_ashr_i32 s7, s7, 31
	v_readfirstlane_b32 s10, v3
	s_mul_i32 s9, s9, s10
	s_mul_hi_u32 s9, s10, s9
	s_add_i32 s10, s10, s9
	s_mul_hi_u32 s9, s8, s10
	s_mul_i32 s10, s9, s5
	s_sub_i32 s8, s8, s10
	s_add_i32 s10, s9, 1
	s_sub_i32 s11, s8, s5
	s_cmp_ge_u32 s8, s5
	s_cselect_b32 s9, s10, s9
	s_cselect_b32 s8, s11, s8
	s_add_i32 s10, s9, 1
	s_cmp_ge_u32 s8, s5
	s_cselect_b32 s5, s10, s9
	s_xor_b32 s5, s5, s7
	s_sub_i32 s52, s5, s7
	s_add_i32 s24, s24, -1
	s_mul_i32 s5, s52, s24
	s_add_i32 s4, s4, s27
	s_sub_i32 s53, s6, s5
	v_cmp_gt_i32_e64 s[4:5], s4, v2
	v_lshlrev_b32_e32 v2, 1, v0
	v_lshlrev_b32_e32 v3, 4, v0
	s_abs_i32 s55, s33
	v_and_b32_e32 v1, 60, v1
	v_and_b32_e32 v2, 64, v2
	;; [unrolled: 1-line block ×4, first 2 shown]
	v_cvt_f32_u32_e32 v3, s55
	v_or3_b32 v103, v1, v2, v4
	v_and_b32_e32 v1, 1, v0
	v_lshlrev_b32_e32 v2, 1, v1
	v_lshrrev_b32_e32 v4, 2, v0
	v_and_b32_e32 v36, 14, v0
	v_sub_u32_e32 v2, v0, v2
	v_bitop3_b32 v104, v0, 1, v0 bitop3:0xc
	v_bitop3_b32 v105, v0, 3, 1 bitop3:0x6c
	v_and_or_b32 v106, v4, 12, v1
	v_bfe_u32 v107, v0, 2, 4
	v_and_b32_e32 v1, 60, v0
	v_lshlrev_b32_e32 v4, 8, v0
	v_lshlrev_b32_e32 v0, 6, v0
	v_and_b32_e32 v4, 0x200, v4
	v_rcp_iflag_f32_e32 v3, v3
	v_and_b32_e32 v0, 64, v0
	s_abs_i32 s57, s50
	v_or3_b32 v108, v1, v4, v0
	v_cvt_f32_u32_e32 v1, s57
	v_mul_f32_e32 v0, 0x4f7ffffe, v3
	v_cvt_u32_f32_e32 v0, v0
	v_mad_u64_u32 v[38:39], s[6:7], s21, v106, v[36:37]
	v_rcp_iflag_f32_e32 v1, v1
	s_lshl_b32 s6, s21, 4
	v_readfirstlane_b32 s7, v0
	v_add_u32_e32 v40, s6, v38
	v_mul_f32_e32 v0, 0x4f7ffffe, v1
	v_cvt_u32_f32_e32 v0, v0
	v_add_u32_e32 v42, s6, v40
	s_sub_i32 s6, 0, s55
	s_mul_i32 s6, s6, s7
	s_mul_hi_u32 s6, s7, s6
	v_add_u32_e32 v2, 1, v2
	s_add_i32 s59, s7, s6
	s_sub_i32 s6, 0, s57
	v_readfirstlane_b32 s7, v0
	v_mbcnt_lo_u32_b32 v0, -1, 0
	v_and_b32_e32 v2, 63, v2
	s_mul_i32 s6, s6, s7
	v_mbcnt_hi_u32_b32 v0, -1, v0
	v_mul_lo_u32 v46, s23, v107
	s_mul_hi_u32 s6, s7, s6
	v_and_or_b32 v0, v0, 64, v2
	v_cndmask_b32_e64 v102, 0, 1, s[0:1]
	s_movk_i32 s54, 0x3000
	s_ashr_i32 s29, s21, 31
	s_mov_b32 s28, s21
	v_ashrrev_i32_e32 v39, 31, v38
	v_ashrrev_i32_e32 v41, 31, v40
	;; [unrolled: 1-line block ×4, first 2 shown]
	v_mov_b32_e32 v45, 0
	s_lshl_b32 s56, s23, 4
	s_ashr_i32 s58, s33, 31
	s_ashr_i32 s60, s50, 31
	s_add_i32 s61, s7, s6
	s_mov_b32 s62, 0x55555556
	v_lshlrev_b32_e32 v109, 2, v0
	v_mov_b32_e32 v110, v50
	s_branch .LBB273_7
.LBB273_4:                              ;   in Loop: Header=BB273_7 Depth=1
	s_or_b64 exec, exec, s[10:11]
.LBB273_5:                              ;   in Loop: Header=BB273_7 Depth=1
	s_or_b64 exec, exec, s[8:9]
	v_subrev_u32_e32 v110, s66, v110
.LBB273_6:                              ;   in Loop: Header=BB273_7 Depth=1
	s_or_b64 exec, exec, s[6:7]
	s_add_i32 s51, s51, 1
	v_cmp_ge_i32_e32 vcc, s51, v37
	s_cbranch_vccnz .LBB273_58
.LBB273_7:                              ; =>This Loop Header: Depth=1
                                        ;     Child Loop BB273_13 Depth 2
                                        ;       Child Loop BB273_15 Depth 3
                                        ;       Child Loop BB273_18 Depth 3
	;; [unrolled: 1-line block ×6, first 2 shown]
                                        ;     Child Loop BB273_45 Depth 2
                                        ;       Child Loop BB273_47 Depth 3
                                        ;     Child Loop BB273_55 Depth 2
                                        ;       Child Loop BB273_57 Depth 3
	s_abs_i32 s7, s51
	s_mul_hi_u32 s8, s7, s59
	s_mul_i32 s9, s8, s55
	s_ashr_i32 s6, s51, 31
	s_sub_i32 s7, s7, s9
	s_xor_b32 s6, s6, s58
	s_add_i32 s9, s8, 1
	s_sub_i32 s10, s7, s55
	s_cmp_ge_u32 s7, s55
	s_cselect_b32 s8, s9, s8
	s_cselect_b32 s7, s10, s7
	s_add_i32 s9, s8, 1
	s_cmp_ge_u32 s7, s55
	s_cselect_b32 s7, s9, s8
	s_xor_b32 s7, s7, s6
	s_sub_i32 s6, s7, s6
	s_abs_i32 s8, s6
	s_mul_hi_u32 s9, s8, s61
	s_mul_i32 s7, s6, s33
	s_mul_i32 s10, s9, s57
	s_sub_i32 s63, s51, s7
	s_ashr_i32 s7, s6, 31
	s_sub_i32 s8, s8, s10
	s_xor_b32 s7, s7, s60
	s_add_i32 s10, s9, 1
	s_sub_i32 s11, s8, s57
	s_cmp_ge_u32 s8, s57
	s_cselect_b32 s9, s10, s9
	s_cselect_b32 s8, s11, s8
	s_add_i32 s10, s9, 1
	s_cmp_ge_u32 s8, s57
	s_cselect_b32 s8, s10, s9
	s_xor_b32 s8, s8, s7
	s_sub_i32 s7, s8, s7
	s_mul_i32 s8, s7, s52
	s_lshl_b32 s64, s8, 8
	s_mul_i32 s63, s63, 48
	s_cmp_eq_u32 s7, s24
	s_cselect_b32 s66, s53, s52
	s_sub_i32 s8, s63, s20
	s_add_i32 s8, s8, 48
	s_max_i32 s65, s8, 0
	s_and_saveexec_b64 s[8:9], s[2:3]
	s_xor_b64 s[30:31], exec, s[8:9]
	s_cbranch_execz .LBB273_51
; %bb.8:                                ;   in Loop: Header=BB273_7 Depth=1
	s_mul_i32 s7, s7, s50
	s_sub_i32 s6, s6, s7
	s_mul_i32 s6, s6, 48
	s_sub_i32 s18, s6, s21
	s_add_i32 s18, s18, 48
	s_max_i32 s7, s18, 0
	s_sub_i32 s34, s6, s7
	s_and_saveexec_b64 s[6:7], s[0:1]
	s_xor_b64 s[44:45], exec, s[6:7]
	s_cbranch_execz .LBB273_41
; %bb.9:                                ;   in Loop: Header=BB273_7 Depth=1
	s_and_saveexec_b64 s[46:47], s[4:5]
	s_cbranch_execz .LBB273_40
; %bb.10:                               ;   in Loop: Header=BB273_7 Depth=1
	s_waitcnt lgkmcnt(0)
	global_load_dword v111, v45, s[42:43]
	v_mov_b32_e32 v35, 0
	v_cmp_gt_i32_e32 vcc, s66, v110
	v_mov_b32_e32 v34, v35
	v_mov_b32_e32 v33, v35
	;; [unrolled: 1-line block ×35, first 2 shown]
	s_and_saveexec_b64 s[6:7], vcc
	s_cbranch_execz .LBB273_32
; %bb.11:                               ;   in Loop: Header=BB273_7 Depth=1
	v_mov_b32_e32 v4, 0
	s_mov_b64 s[8:9], 0
	v_mov_b32_e32 v5, v4
	v_mov_b32_e32 v6, v4
	;; [unrolled: 1-line block ×35, first 2 shown]
	s_branch .LBB273_13
.LBB273_12:                             ;   in Loop: Header=BB273_13 Depth=2
	s_or_b64 exec, exec, s[10:11]
	v_add_u32_e32 v90, 0x2000, v114
	ds_read2_b32 v[88:89], v90 offset1:32
	v_add_u32_e32 v110, s27, v110
	s_waitcnt lgkmcnt(0)
	v_mfma_f32_16x16x32_fp8_fp8 v[24:27], v[48:49], v[88:89], v[24:27]
	ds_read2_b32 v[48:49], v90 offset0:128 offset1:160
	v_add_u32_e32 v90, 0x2400, v114
	v_mfma_f32_16x16x32_fp8_fp8 v[12:15], v[64:65], v[88:89], v[12:15]
	s_waitcnt lgkmcnt(0)
	v_mfma_f32_16x16x32_fp8_fp8 v[24:27], v[50:51], v[48:49], v[24:27]
	ds_read2_b32 v[50:51], v90 offset1:32
	v_mfma_f32_16x16x32_fp8_fp8 v[4:7], v[96:97], v[88:89], v[4:7]
	s_waitcnt lgkmcnt(0)
	v_mfma_f32_16x16x32_fp8_fp8 v[24:27], v[56:57], v[50:51], v[24:27]
	ds_read2_b32 v[56:57], v90 offset0:128 offset1:160
	v_add_u32_e32 v90, 0x2800, v114
	v_mfma_f32_16x16x32_fp8_fp8 v[12:15], v[66:67], v[48:49], v[12:15]
	v_mfma_f32_16x16x32_fp8_fp8 v[4:7], v[82:83], v[48:49], v[4:7]
	v_add_u32_e32 v48, 2, v102
	s_waitcnt lgkmcnt(0)
	v_mfma_f32_16x16x32_fp8_fp8 v[24:27], v[52:53], v[56:57], v[24:27]
	ds_read2_b32 v[52:53], v90 offset1:32
	v_mfma_f32_16x16x32_fp8_fp8 v[12:15], v[68:69], v[50:51], v[12:15]
	v_mfma_f32_16x16x32_fp8_fp8 v[4:7], v[98:99], v[50:51], v[4:7]
	v_add_u32_e32 v50, s27, v112
	v_cmp_lt_i32_e32 vcc, 0, v50
	v_mfma_f32_16x16x32_fp8_fp8 v[12:15], v[70:71], v[56:57], v[12:15]
	s_nop 0
	v_cndmask_b32_e32 v102, v102, v48, vcc
	v_cmp_le_i32_e32 vcc, s66, v110
	s_or_b64 s[8:9], vcc, s[8:9]
	v_mfma_f32_16x16x32_fp8_fp8 v[4:7], v[86:87], v[56:57], v[4:7]
	s_waitcnt lgkmcnt(0)
	v_mfma_f32_16x16x32_fp8_fp8 v[24:27], v[58:59], v[52:53], v[24:27]
	ds_read2_b32 v[58:59], v90 offset0:128 offset1:160
	v_add_u32_e32 v90, 0x2c00, v114
	v_mfma_f32_16x16x32_fp8_fp8 v[12:15], v[72:73], v[52:53], v[12:15]
	v_mfma_f32_16x16x32_fp8_fp8 v[4:7], v[100:101], v[52:53], v[4:7]
	s_waitcnt lgkmcnt(0)
	v_mfma_f32_16x16x32_fp8_fp8 v[24:27], v[54:55], v[58:59], v[24:27]
	ds_read2_b32 v[54:55], v90 offset1:32
	v_mfma_f32_16x16x32_fp8_fp8 v[12:15], v[74:75], v[58:59], v[12:15]
	v_mfma_f32_16x16x32_fp8_fp8 v[4:7], v[92:93], v[58:59], v[4:7]
	s_waitcnt lgkmcnt(0)
	v_mfma_f32_16x16x32_fp8_fp8 v[24:27], v[60:61], v[54:55], v[24:27]
	ds_read2_b32 v[60:61], v90 offset0:128 offset1:160
	;;#ASMSTART
	s_waitcnt lgkmcnt(0)
	;;#ASMEND
	ds_write_b32 v113, v115 offset:24596
	v_mfma_f32_16x16x32_fp8_fp8 v[12:15], v[76:77], v[54:55], v[12:15]
	v_mfma_f32_16x16x32_fp8_fp8 v[4:7], v[84:85], v[54:55], v[4:7]
	s_waitcnt lgkmcnt(1)
	v_mfma_f32_16x16x32_fp8_fp8 v[24:27], v[62:63], v[60:61], v[24:27]
	v_mfma_f32_16x16x32_fp8_fp8 v[12:15], v[78:79], v[60:61], v[12:15]
	;; [unrolled: 1-line block ×3, first 2 shown]
	s_andn2_b64 exec, exec, s[8:9]
	s_cbranch_execz .LBB273_31
.LBB273_13:                             ;   Parent Loop BB273_7 Depth=1
                                        ; =>  This Loop Header: Depth=2
                                        ;       Child Loop BB273_15 Depth 3
                                        ;       Child Loop BB273_18 Depth 3
	;; [unrolled: 1-line block ×6, first 2 shown]
	v_cmp_lt_i32_e32 vcc, 0, v50
	s_nop 1
	v_subbrev_co_u32_e32 v112, vcc, 0, v50, vcc
	v_mul_lo_u32 v113, v112, 12
	ds_read_b32 v48, v113 offset:24588
	s_waitcnt lgkmcnt(0)
	v_cmp_ne_u32_e32 vcc, v48, v102
	s_and_saveexec_b64 s[10:11], vcc
	s_cbranch_execz .LBB273_16
; %bb.14:                               ;   in Loop: Header=BB273_13 Depth=2
	s_mov_b64 s[12:13], 0
.LBB273_15:                             ;   Parent Loop BB273_7 Depth=1
                                        ;     Parent Loop BB273_13 Depth=2
                                        ; =>    This Inner Loop Header: Depth=3
	;;#ASMSTART
	s_sleep 0
	;;#ASMEND
	ds_read_b32 v48, v113 offset:24588
	s_waitcnt lgkmcnt(0)
	v_cmp_eq_u32_e32 vcc, v48, v102
	s_or_b64 s[12:13], vcc, s[12:13]
	s_andn2_b64 exec, exec, s[12:13]
	s_cbranch_execnz .LBB273_15
.LBB273_16:                             ;   in Loop: Header=BB273_13 Depth=2
	s_or_b64 exec, exec, s[10:11]
	v_mul_lo_u32 v48, v112, s54
	v_or_b32_e32 v49, 0x3000, v103
	v_add_u32_e32 v114, v49, v48
	v_add_u32_e32 v49, 0x400, v114
	ds_read2_b32 v[82:83], v114 offset1:32
	ds_read2_b32 v[80:81], v114 offset0:128 offset1:160
	ds_read2_b32 v[86:87], v49 offset1:32
	ds_read2_b32 v[84:85], v49 offset0:128 offset1:160
	v_add_u32_e32 v49, 0x800, v114
	ds_read2_b32 v[92:93], v49 offset1:32
	ds_read2_b32 v[90:91], v49 offset0:128 offset1:160
	v_add_u32_e32 v49, 0xc00, v114
	ds_read2_b32 v[94:95], v49 offset1:32
	ds_read2_b32 v[88:89], v49 offset0:128 offset1:160
	;;#ASMSTART
	s_waitcnt lgkmcnt(0)
	;;#ASMEND
	ds_read_b32 v49, v113 offset:24576
	v_add_u32_e32 v115, 1, v102
	ds_write_b32 v113, v115 offset:24588
	s_waitcnt lgkmcnt(1)
	v_cmp_ne_u32_e32 vcc, v49, v102
	s_and_saveexec_b64 s[10:11], vcc
	s_cbranch_execz .LBB273_19
; %bb.17:                               ;   in Loop: Header=BB273_13 Depth=2
	s_mov_b64 s[12:13], 0
.LBB273_18:                             ;   Parent Loop BB273_7 Depth=1
                                        ;     Parent Loop BB273_13 Depth=2
                                        ; =>    This Inner Loop Header: Depth=3
	;;#ASMSTART
	s_sleep 0
	;;#ASMEND
	ds_read_b32 v49, v113 offset:24576
	s_waitcnt lgkmcnt(0)
	v_cmp_eq_u32_e32 vcc, v49, v102
	s_or_b64 s[12:13], vcc, s[12:13]
	s_andn2_b64 exec, exec, s[12:13]
	s_cbranch_execnz .LBB273_18
.LBB273_19:                             ;   in Loop: Header=BB273_13 Depth=2
	s_or_b64 exec, exec, s[10:11]
	v_add_u32_e32 v116, v103, v48
	ds_read2_b32 v[48:49], v116 offset1:32
	ds_read2_b32 v[50:51], v116 offset0:128 offset1:160
	v_add_u32_e32 v52, 0x400, v116
	ds_read2_b32 v[56:57], v52 offset1:32
	ds_read2_b32 v[52:53], v52 offset0:128 offset1:160
	;; [unrolled: 3-line block ×3, first 2 shown]
	v_add_u32_e32 v62, 0xc00, v116
	s_waitcnt lgkmcnt(5)
	v_mfma_f32_16x16x32_fp8_fp8 v[32:35], v[48:49], v[82:83], v[32:35]
	ds_read2_b32 v[60:61], v62 offset1:32
	ds_read2_b32 v[62:63], v62 offset0:128 offset1:160
	ds_read_b32 v64, v113 offset:24580
	ds_write_b32 v113, v115 offset:24576
	s_waitcnt lgkmcnt(8)
	v_mfma_f32_16x16x32_fp8_fp8 v[32:35], v[50:51], v[80:81], v[32:35]
	s_waitcnt lgkmcnt(1)
	v_cmp_ne_u32_e32 vcc, v64, v102
	v_mfma_f32_16x16x32_fp8_fp8 v[32:35], v[56:57], v[86:87], v[32:35]
	v_mfma_f32_16x16x32_fp8_fp8 v[32:35], v[52:53], v[84:85], v[32:35]
	;; [unrolled: 1-line block ×6, first 2 shown]
	s_and_saveexec_b64 s[10:11], vcc
	s_cbranch_execz .LBB273_22
; %bb.20:                               ;   in Loop: Header=BB273_13 Depth=2
	s_mov_b64 s[12:13], 0
.LBB273_21:                             ;   Parent Loop BB273_7 Depth=1
                                        ;     Parent Loop BB273_13 Depth=2
                                        ; =>    This Inner Loop Header: Depth=3
	;;#ASMSTART
	s_sleep 0
	;;#ASMEND
	ds_read_b32 v64, v113 offset:24580
	s_waitcnt lgkmcnt(0)
	v_cmp_eq_u32_e32 vcc, v64, v102
	s_or_b64 s[12:13], vcc, s[12:13]
	s_andn2_b64 exec, exec, s[12:13]
	s_cbranch_execnz .LBB273_21
.LBB273_22:                             ;   in Loop: Header=BB273_13 Depth=2
	s_or_b64 exec, exec, s[10:11]
	v_add_u32_e32 v66, 0x1000, v116
	ds_read2_b32 v[64:65], v66 offset1:32
	ds_read2_b32 v[66:67], v66 offset0:128 offset1:160
	v_add_u32_e32 v70, 0x1400, v116
	ds_read2_b32 v[68:69], v70 offset1:32
	ds_read2_b32 v[70:71], v70 offset0:128 offset1:160
	;; [unrolled: 3-line block ×3, first 2 shown]
	v_add_u32_e32 v78, 0x1c00, v116
	s_waitcnt lgkmcnt(5)
	v_mfma_f32_16x16x32_fp8_fp8 v[20:23], v[64:65], v[82:83], v[20:23]
	ds_read2_b32 v[76:77], v78 offset1:32
	ds_read2_b32 v[78:79], v78 offset0:128 offset1:160
	ds_read_b32 v96, v113 offset:24584
	ds_write_b32 v113, v115 offset:24580
	s_waitcnt lgkmcnt(8)
	v_mfma_f32_16x16x32_fp8_fp8 v[20:23], v[66:67], v[80:81], v[20:23]
	s_waitcnt lgkmcnt(1)
	v_cmp_ne_u32_e32 vcc, v96, v102
	v_mfma_f32_16x16x32_fp8_fp8 v[20:23], v[68:69], v[86:87], v[20:23]
	v_mfma_f32_16x16x32_fp8_fp8 v[20:23], v[70:71], v[84:85], v[20:23]
	;; [unrolled: 1-line block ×6, first 2 shown]
	s_and_saveexec_b64 s[10:11], vcc
	s_cbranch_execz .LBB273_25
; %bb.23:                               ;   in Loop: Header=BB273_13 Depth=2
	s_mov_b64 s[12:13], 0
.LBB273_24:                             ;   Parent Loop BB273_7 Depth=1
                                        ;     Parent Loop BB273_13 Depth=2
                                        ; =>    This Inner Loop Header: Depth=3
	;;#ASMSTART
	s_sleep 0
	;;#ASMEND
	ds_read_b32 v96, v113 offset:24584
	s_waitcnt lgkmcnt(0)
	v_cmp_eq_u32_e32 vcc, v96, v102
	s_or_b64 s[12:13], vcc, s[12:13]
	s_andn2_b64 exec, exec, s[12:13]
	s_cbranch_execnz .LBB273_24
.LBB273_25:                             ;   in Loop: Header=BB273_13 Depth=2
	s_or_b64 exec, exec, s[10:11]
	v_add_u32_e32 v98, 0x2000, v116
	ds_read2_b32 v[96:97], v98 offset1:32
	v_add_u32_e32 v100, 0x2400, v116
	s_waitcnt lgkmcnt(0)
	v_mfma_f32_16x16x32_fp8_fp8 v[8:11], v[96:97], v[82:83], v[8:11]
	ds_read2_b32 v[82:83], v98 offset0:128 offset1:160
	ds_read2_b32 v[98:99], v100 offset1:32
	s_waitcnt lgkmcnt(1)
	v_mfma_f32_16x16x32_fp8_fp8 v[8:11], v[82:83], v[80:81], v[8:11]
	v_add_u32_e32 v80, 0x2800, v116
	s_waitcnt lgkmcnt(0)
	v_mfma_f32_16x16x32_fp8_fp8 v[8:11], v[98:99], v[86:87], v[8:11]
	ds_read2_b32 v[86:87], v100 offset0:128 offset1:160
	ds_read2_b32 v[100:101], v80 offset1:32
	s_waitcnt lgkmcnt(1)
	v_mfma_f32_16x16x32_fp8_fp8 v[8:11], v[86:87], v[84:85], v[8:11]
	s_waitcnt lgkmcnt(0)
	v_mfma_f32_16x16x32_fp8_fp8 v[8:11], v[100:101], v[92:93], v[8:11]
	ds_read2_b32 v[92:93], v80 offset0:128 offset1:160
	v_add_u32_e32 v80, 0x2c00, v116
	ds_read2_b32 v[84:85], v80 offset1:32
	s_waitcnt lgkmcnt(1)
	v_mfma_f32_16x16x32_fp8_fp8 v[8:11], v[92:93], v[90:91], v[8:11]
	ds_read2_b32 v[80:81], v80 offset0:128 offset1:160
	ds_read_b32 v90, v113 offset:24592
	ds_write_b32 v113, v115 offset:24584
	s_waitcnt lgkmcnt(1)
	v_cmp_ne_u32_e32 vcc, v90, v102
	v_mfma_f32_16x16x32_fp8_fp8 v[8:11], v[84:85], v[94:95], v[8:11]
	v_mfma_f32_16x16x32_fp8_fp8 v[8:11], v[80:81], v[88:89], v[8:11]
	s_and_saveexec_b64 s[10:11], vcc
	s_cbranch_execz .LBB273_28
; %bb.26:                               ;   in Loop: Header=BB273_13 Depth=2
	s_mov_b64 s[12:13], 0
.LBB273_27:                             ;   Parent Loop BB273_7 Depth=1
                                        ;     Parent Loop BB273_13 Depth=2
                                        ; =>    This Inner Loop Header: Depth=3
	;;#ASMSTART
	s_sleep 0
	;;#ASMEND
	ds_read_b32 v88, v113 offset:24592
	s_waitcnt lgkmcnt(0)
	v_cmp_eq_u32_e32 vcc, v88, v102
	s_or_b64 s[12:13], vcc, s[12:13]
	s_andn2_b64 exec, exec, s[12:13]
	s_cbranch_execnz .LBB273_27
.LBB273_28:                             ;   in Loop: Header=BB273_13 Depth=2
	s_or_b64 exec, exec, s[10:11]
	v_add_u32_e32 v90, 0x1000, v114
	ds_read2_b32 v[88:89], v90 offset1:32
	ds_read2_b32 v[90:91], v90 offset0:128 offset1:160
	v_add_u32_e32 v116, 0x1400, v114
	ds_read2_b32 v[94:95], v116 offset1:32
	ds_read2_b32 v[116:117], v116 offset0:128 offset1:160
	s_waitcnt lgkmcnt(3)
	v_mfma_f32_16x16x32_fp8_fp8 v[28:31], v[48:49], v[88:89], v[28:31]
	v_add_u32_e32 v120, 0x1800, v114
	ds_read2_b32 v[118:119], v120 offset1:32
	ds_read2_b32 v[120:121], v120 offset0:128 offset1:160
	v_mfma_f32_16x16x32_fp8_fp8 v[16:19], v[64:65], v[88:89], v[16:19]
	v_add_u32_e32 v124, 0x1c00, v114
	ds_read2_b32 v[122:123], v124 offset1:32
	ds_read2_b32 v[124:125], v124 offset0:128 offset1:160
	v_mfma_f32_16x16x32_fp8_fp8 v[0:3], v[96:97], v[88:89], v[0:3]
	;;#ASMSTART
	s_waitcnt lgkmcnt(0)
	;;#ASMEND
	ds_read_b32 v88, v113 offset:24596
	ds_write_b32 v113, v115 offset:24592
	s_waitcnt lgkmcnt(8)
	v_mfma_f32_16x16x32_fp8_fp8 v[28:31], v[50:51], v[90:91], v[28:31]
	s_waitcnt lgkmcnt(1)
	v_cmp_ne_u32_e32 vcc, v88, v102
	v_mfma_f32_16x16x32_fp8_fp8 v[16:19], v[66:67], v[90:91], v[16:19]
	v_mfma_f32_16x16x32_fp8_fp8 v[0:3], v[82:83], v[90:91], v[0:3]
	;; [unrolled: 1-line block ×20, first 2 shown]
	s_and_saveexec_b64 s[10:11], vcc
	s_cbranch_execz .LBB273_12
; %bb.29:                               ;   in Loop: Header=BB273_13 Depth=2
	s_mov_b64 s[12:13], 0
.LBB273_30:                             ;   Parent Loop BB273_7 Depth=1
                                        ;     Parent Loop BB273_13 Depth=2
                                        ; =>    This Inner Loop Header: Depth=3
	;;#ASMSTART
	s_sleep 0
	;;#ASMEND
	ds_read_b32 v88, v113 offset:24596
	s_waitcnt lgkmcnt(0)
	v_cmp_eq_u32_e32 vcc, v88, v102
	s_or_b64 s[12:13], vcc, s[12:13]
	s_andn2_b64 exec, exec, s[12:13]
	s_cbranch_execnz .LBB273_30
	s_branch .LBB273_12
.LBB273_31:                             ;   in Loop: Header=BB273_7 Depth=1
	s_or_b64 exec, exec, s[8:9]
.LBB273_32:                             ;   in Loop: Header=BB273_7 Depth=1
	s_or_b64 exec, exec, s[6:7]
	v_cmp_le_i32_e32 vcc, s18, v36
	v_cmp_eq_u32_e64 s[6:7], 2, v104
	v_cmp_eq_u32_e64 s[8:9], 3, v104
	s_waitcnt vmcnt(0)
	v_cndmask_b32_e32 v48, 0, v111, vcc
	v_pk_mul_f32 v[32:33], v[48:49], v[32:33] op_sel_hi:[0,1]
	v_cmp_eq_u32_e32 vcc, 1, v104
	v_pk_mul_f32 v[52:53], v[48:49], v[34:35] op_sel_hi:[0,1]
	v_cmp_eq_u32_e64 s[10:11], 0, v104
	v_cndmask_b32_e32 v34, v32, v33, vcc
	v_cndmask_b32_e64 v34, v34, v52, s[6:7]
	v_cndmask_b32_e64 v34, v34, v53, s[8:9]
	ds_bpermute_b32 v49, v109, v34
	v_cmp_eq_u32_e64 s[12:13], 1, v105
	v_cmp_eq_u32_e64 s[16:17], 3, v105
	s_waitcnt lgkmcnt(0)
	v_cndmask_b32_e64 v34, v53, v49, s[8:9]
	v_cndmask_b32_e64 v35, v52, v49, s[6:7]
	v_cndmask_b32_e32 v33, v33, v49, vcc
	v_cndmask_b32_e64 v49, v32, v49, s[10:11]
	v_or_b32_e32 v32, 16, v36
	v_cmp_le_i32_e64 s[14:15], s18, v32
	v_cndmask_b32_e64 v51, v49, v33, s[12:13]
	s_nop 0
	v_cndmask_b32_e64 v32, 0, v111, s[14:15]
	v_pk_mul_f32 v[28:29], v[32:33], v[28:29] op_sel_hi:[0,1]
	v_pk_mul_f32 v[52:53], v[32:33], v[30:31] op_sel_hi:[0,1]
	v_cndmask_b32_e32 v30, v28, v29, vcc
	v_cndmask_b32_e64 v30, v30, v52, s[6:7]
	v_cndmask_b32_e64 v30, v30, v53, s[8:9]
	ds_bpermute_b32 v55, v109, v30
	v_cmp_eq_u32_e64 s[14:15], 2, v105
	s_waitcnt lgkmcnt(0)
	v_cndmask_b32_e64 v31, v53, v55, s[8:9]
	v_cndmask_b32_e64 v30, v51, v35, s[14:15]
	;; [unrolled: 1-line block ×3, first 2 shown]
	v_cndmask_b32_e32 v54, v29, v55, vcc
	v_cndmask_b32_e64 v55, v28, v55, s[10:11]
	v_or_b32_e32 v28, 32, v36
	v_cmp_le_i32_e64 s[18:19], s18, v28
	v_cndmask_b32_e64 v30, v30, v34, s[16:17]
	ds_bpermute_b32 v30, v109, v30
	v_cndmask_b32_e64 v28, 0, v111, s[18:19]
	v_pk_mul_f32 v[56:57], v[28:29], v[24:25] op_sel_hi:[0,1]
	v_pk_mul_f32 v[52:53], v[28:29], v[26:27] op_sel_hi:[0,1]
	v_cndmask_b32_e32 v24, v56, v57, vcc
	v_cndmask_b32_e64 v24, v24, v52, s[6:7]
	v_cndmask_b32_e64 v24, v24, v53, s[8:9]
	ds_bpermute_b32 v25, v109, v24
	v_cndmask_b32_e64 v24, v55, v54, s[12:13]
	v_cndmask_b32_e64 v24, v24, v51, s[14:15]
	;; [unrolled: 1-line block ×3, first 2 shown]
	v_cmp_ne_u32_e32 vcc, 0, v104
	ds_bpermute_b32 v26, v109, v24
	s_waitcnt lgkmcnt(1)
	v_cndmask_b32_e64 v27, v53, v25, s[8:9]
	v_cndmask_b32_e64 v52, v52, v25, s[6:7]
	v_cndmask_b32_e32 v24, v57, v25, vcc
	v_cndmask_b32_e64 v25, v56, v25, s[10:11]
	v_cndmask_b32_e64 v29, v25, v24, s[12:13]
	;; [unrolled: 1-line block ×4, first 2 shown]
	ds_bpermute_b32 v53, v109, v29
	v_add_u32_e32 v29, s65, v106
	v_cmp_gt_u32_e32 vcc, 48, v29
	s_and_saveexec_b64 s[18:19], vcc
	s_cbranch_execz .LBB273_39
; %bb.33:                               ;   in Loop: Header=BB273_7 Depth=1
	v_cmp_eq_u32_e64 s[8:9], 1, v105
	v_cmp_eq_u32_e64 s[10:11], 0, v105
	v_cmp_eq_u32_e32 vcc, 3, v105
	v_cndmask_b32_e64 v33, v33, v30, s[8:9]
	s_waitcnt lgkmcnt(1)
	v_cndmask_b32_e64 v54, v54, v26, s[8:9]
	s_waitcnt lgkmcnt(0)
	v_cndmask_b32_e64 v56, v24, v53, s[8:9]
	s_mul_i32 s8, s63, s21
	s_ashr_i32 s9, s8, 31
	v_cndmask_b32_e64 v49, v49, v30, s[10:11]
	s_lshl_b64 s[8:9], s[8:9], 1
	v_cndmask_b32_e64 v55, v55, v26, s[10:11]
	v_cndmask_b32_e64 v57, v25, v53, s[10:11]
	s_add_u32 s10, s40, s8
	v_cvt_f16_f32_e32 v49, v49
	v_cvt_f16_f32_sdwa v33, v33 dst_sel:WORD_1 dst_unused:UNUSED_PAD src0_sel:DWORD
	s_addc_u32 s11, s41, s9
	s_ashr_i32 s35, s34, 31
	s_lshl_b64 s[8:9], s[34:35], 1
	s_add_u32 s48, s10, s8
	s_addc_u32 s49, s11, s9
	v_or_b32_e32 v33, v33, v49
	v_lshl_add_u64 v[24:25], v[38:39], 1, s[48:49]
	;;#ASMSTART
	global_atomic_pk_add_f16 v[24:25], v33, off
	
	;;#ASMEND
	v_cvt_f16_f32_e32 v33, v55
	v_cvt_f16_f32_sdwa v49, v54 dst_sel:WORD_1 dst_unused:UNUSED_PAD src0_sel:DWORD
	v_cvt_f16_f32_e32 v57, v57
	v_cvt_f16_f32_sdwa v56, v56 dst_sel:WORD_1 dst_unused:UNUSED_PAD src0_sel:DWORD
	v_cmp_eq_u32_e64 s[6:7], 2, v105
	v_lshl_add_u64 v[54:55], v[24:25], 0, 32
	v_or_b32_e32 v33, v49, v33
	v_cmp_gt_u32_e64 s[8:9], 46, v29
	;;#ASMSTART
	global_atomic_pk_add_f16 v[54:55], v33, off
	
	;;#ASMEND
	v_lshl_add_u64 v[54:55], v[24:25], 0, 64
	v_or_b32_e32 v33, v56, v57
	;;#ASMSTART
	global_atomic_pk_add_f16 v[54:55], v33, off
	
	;;#ASMEND
	s_and_b64 exec, exec, s[8:9]
	s_cbranch_execz .LBB273_39
; %bb.34:                               ;   in Loop: Header=BB273_7 Depth=1
	v_cndmask_b32_e32 v34, v34, v30, vcc
	v_cndmask_b32_e64 v30, v35, v30, s[6:7]
	v_cndmask_b32_e32 v31, v31, v26, vcc
	v_cndmask_b32_e64 v26, v51, v26, s[6:7]
	v_cndmask_b32_e32 v35, v27, v53, vcc
	v_cvt_f16_f32_e32 v27, v30
	v_cvt_f16_f32_sdwa v30, v34 dst_sel:WORD_1 dst_unused:UNUSED_PAD src0_sel:DWORD
	v_cvt_f16_f32_e32 v34, v26
	v_cvt_f16_f32_sdwa v31, v31 dst_sel:WORD_1 dst_unused:UNUSED_PAD src0_sel:DWORD
	v_mov_b32_e32 v49, v48
	v_or_b32_e32 v26, v30, v27
	v_mov_b32_e32 v30, v48
	v_or_b32_e32 v34, v31, v34
	v_mov_b32_e32 v31, v48
	v_pk_mul_f32 v[22:23], v[30:31], v[22:23]
	v_pk_mul_f32 v[30:31], v[48:49], v[20:21]
	v_cmp_eq_u32_e32 vcc, 1, v104
	v_cndmask_b32_e64 v51, v52, v53, s[6:7]
	v_cmp_eq_u32_e64 s[6:7], 2, v104
	v_cndmask_b32_e32 v20, v30, v31, vcc
	v_lshl_add_u64 v[24:25], s[28:29], 2, v[24:25]
	v_cndmask_b32_e64 v20, v20, v22, s[6:7]
	v_cmp_eq_u32_e64 s[8:9], 3, v104
	;;#ASMSTART
	global_atomic_pk_add_f16 v[24:25], v26, off
	
	;;#ASMEND
	v_lshl_add_u64 v[26:27], v[24:25], 0, 32
	v_mov_b32_e32 v33, v32
	v_cndmask_b32_e64 v20, v20, v23, s[8:9]
	ds_bpermute_b32 v52, v109, v20
	;;#ASMSTART
	global_atomic_pk_add_f16 v[26:27], v34, off
	
	;;#ASMEND
	v_cvt_f16_f32_e32 v27, v51
	v_cvt_f16_f32_sdwa v51, v35 dst_sel:WORD_1 dst_unused:UNUSED_PAD src0_sel:DWORD
	v_lshl_add_u64 v[34:35], v[24:25], 0, 64
	v_mov_b32_e32 v24, v32
	v_mov_b32_e32 v25, v32
	v_pk_mul_f32 v[18:19], v[24:25], v[18:19]
	v_pk_mul_f32 v[24:25], v[32:33], v[16:17]
	v_cmp_eq_u32_e64 s[10:11], 0, v104
	v_cndmask_b32_e32 v16, v24, v25, vcc
	v_cndmask_b32_e64 v16, v16, v18, s[6:7]
	v_cndmask_b32_e64 v16, v16, v19, s[8:9]
	s_waitcnt lgkmcnt(0)
	v_cndmask_b32_e64 v20, v23, v52, s[8:9]
	v_cndmask_b32_e64 v23, v30, v52, s[10:11]
	ds_bpermute_b32 v30, v109, v16
	v_cndmask_b32_e64 v21, v22, v52, s[6:7]
	v_cndmask_b32_e32 v22, v31, v52, vcc
	v_cmp_eq_u32_e64 s[12:13], 1, v105
	v_mov_b32_e32 v29, v28
	v_cmp_eq_u32_e64 s[14:15], 2, v105
	v_cndmask_b32_e64 v26, v23, v22, s[12:13]
	s_waitcnt lgkmcnt(0)
	v_cndmask_b32_e64 v17, v19, v30, s[8:9]
	v_cndmask_b32_e64 v16, v26, v21, s[14:15]
	;; [unrolled: 1-line block ×3, first 2 shown]
	v_cndmask_b32_e32 v25, v25, v30, vcc
	v_cndmask_b32_e64 v26, v24, v30, s[10:11]
	v_mov_b32_e32 v30, v28
	v_mov_b32_e32 v31, v28
	v_pk_mul_f32 v[52:53], v[28:29], v[12:13]
	v_pk_mul_f32 v[30:31], v[30:31], v[14:15]
	v_cndmask_b32_e32 v12, v52, v53, vcc
	v_cndmask_b32_e64 v12, v12, v30, s[6:7]
	v_cndmask_b32_e64 v12, v12, v31, s[8:9]
	ds_bpermute_b32 v13, v109, v12
	v_cndmask_b32_e64 v12, v26, v25, s[12:13]
	v_cmp_eq_u32_e64 s[16:17], 3, v105
	v_cndmask_b32_e64 v12, v12, v18, s[14:15]
	v_cmp_ne_u32_e32 vcc, 0, v104
	v_cndmask_b32_e64 v12, v12, v17, s[16:17]
	ds_bpermute_b32 v14, v109, v12
	s_waitcnt lgkmcnt(1)
	v_cndmask_b32_e64 v15, v31, v13, s[8:9]
	v_cndmask_b32_e64 v19, v30, v13, s[6:7]
	v_cndmask_b32_e32 v12, v53, v13, vcc
	v_cndmask_b32_e64 v13, v52, v13, s[10:11]
	v_cndmask_b32_e64 v24, v13, v12, s[12:13]
	;; [unrolled: 1-line block ×5, first 2 shown]
	ds_bpermute_b32 v16, v109, v16
	ds_bpermute_b32 v24, v109, v24
	v_or_b32_e32 v27, v51, v27
	;;#ASMSTART
	global_atomic_pk_add_f16 v[34:35], v27, off
	
	;;#ASMEND
	v_or_b32_e32 v27, 16, v106
	v_add_u32_e32 v27, s65, v27
	v_cmp_gt_u32_e32 vcc, 48, v27
	s_and_b64 exec, exec, vcc
	s_cbranch_execz .LBB273_39
; %bb.35:                               ;   in Loop: Header=BB273_7 Depth=1
	v_cmp_eq_u32_e64 s[8:9], 1, v105
	v_cmp_eq_u32_e64 s[10:11], 0, v105
	v_cmp_eq_u32_e32 vcc, 3, v105
	s_waitcnt lgkmcnt(1)
	v_cndmask_b32_e64 v22, v22, v16, s[8:9]
	v_cndmask_b32_e64 v23, v23, v16, s[10:11]
	;; [unrolled: 1-line block ×4, first 2 shown]
	v_cvt_f16_f32_e32 v23, v23
	v_cvt_f16_f32_sdwa v22, v22 dst_sel:WORD_1 dst_unused:UNUSED_PAD src0_sel:DWORD
	s_waitcnt lgkmcnt(0)
	v_cndmask_b32_e64 v30, v12, v24, s[8:9]
	v_cndmask_b32_e64 v31, v13, v24, s[10:11]
	v_cvt_f16_f32_e32 v26, v26
	v_cvt_f16_f32_sdwa v25, v25 dst_sel:WORD_1 dst_unused:UNUSED_PAD src0_sel:DWORD
	v_cvt_f16_f32_e32 v31, v31
	v_cvt_f16_f32_sdwa v30, v30 dst_sel:WORD_1 dst_unused:UNUSED_PAD src0_sel:DWORD
	v_lshl_add_u64 v[12:13], v[40:41], 1, s[48:49]
	v_or_b32_e32 v22, v22, v23
	v_cmp_eq_u32_e64 s[6:7], 2, v105
	;;#ASMSTART
	global_atomic_pk_add_f16 v[12:13], v22, off
	
	;;#ASMEND
	v_lshl_add_u64 v[22:23], v[12:13], 0, 32
	v_or_b32_e32 v25, v25, v26
	v_cmp_gt_u32_e64 s[8:9], 46, v27
	;;#ASMSTART
	global_atomic_pk_add_f16 v[22:23], v25, off
	
	;;#ASMEND
	v_lshl_add_u64 v[22:23], v[12:13], 0, 64
	v_or_b32_e32 v25, v30, v31
	;;#ASMSTART
	global_atomic_pk_add_f16 v[22:23], v25, off
	
	;;#ASMEND
	s_and_b64 exec, exec, s[8:9]
	s_cbranch_execz .LBB273_39
; %bb.36:                               ;   in Loop: Header=BB273_7 Depth=1
	v_cndmask_b32_e32 v20, v20, v16, vcc
	v_cndmask_b32_e64 v16, v21, v16, s[6:7]
	v_cndmask_b32_e32 v17, v17, v14, vcc
	v_cndmask_b32_e64 v14, v18, v14, s[6:7]
	v_cndmask_b32_e32 v18, v15, v24, vcc
	v_cvt_f16_f32_e32 v15, v16
	v_cvt_f16_f32_sdwa v16, v20 dst_sel:WORD_1 dst_unused:UNUSED_PAD src0_sel:DWORD
	v_cvt_f16_f32_e32 v20, v14
	v_cvt_f16_f32_sdwa v17, v17 dst_sel:WORD_1 dst_unused:UNUSED_PAD src0_sel:DWORD
	v_cmp_eq_u32_e32 vcc, 1, v104
	v_or_b32_e32 v14, v16, v15
	v_mov_b32_e32 v16, v48
	v_or_b32_e32 v20, v17, v20
	v_mov_b32_e32 v17, v48
	v_pk_mul_f32 v[10:11], v[16:17], v[10:11]
	v_pk_mul_f32 v[16:17], v[48:49], v[8:9]
	v_cndmask_b32_e64 v19, v19, v24, s[6:7]
	v_cndmask_b32_e32 v8, v16, v17, vcc
	v_cmp_eq_u32_e64 s[6:7], 2, v104
	v_cmp_eq_u32_e64 s[8:9], 3, v104
	v_lshl_add_u64 v[12:13], s[28:29], 2, v[12:13]
	v_cndmask_b32_e64 v8, v8, v10, s[6:7]
	v_cndmask_b32_e64 v8, v8, v11, s[8:9]
	ds_bpermute_b32 v21, v109, v8
	;;#ASMSTART
	global_atomic_pk_add_f16 v[12:13], v14, off
	
	;;#ASMEND
	v_lshl_add_u64 v[14:15], v[12:13], 0, 32
	v_cmp_eq_u32_e64 s[10:11], 0, v104
	;;#ASMSTART
	global_atomic_pk_add_f16 v[14:15], v20, off
	
	;;#ASMEND
	v_cvt_f16_f32_e32 v20, v19
	v_cvt_f16_f32_sdwa v22, v18 dst_sel:WORD_1 dst_unused:UNUSED_PAD src0_sel:DWORD
	v_lshl_add_u64 v[18:19], v[12:13], 0, 64
	s_waitcnt lgkmcnt(0)
	v_cndmask_b32_e64 v8, v11, v21, s[8:9]
	v_cndmask_b32_e32 v11, v17, v21, vcc
	v_cndmask_b32_e64 v12, v16, v21, s[10:11]
	v_mov_b32_e32 v14, v32
	v_mov_b32_e32 v15, v32
	v_pk_mul_f32 v[16:17], v[32:33], v[0:1]
	v_pk_mul_f32 v[14:15], v[14:15], v[2:3]
	v_cndmask_b32_e32 v0, v16, v17, vcc
	v_cndmask_b32_e64 v0, v0, v14, s[6:7]
	v_cndmask_b32_e64 v0, v0, v15, s[8:9]
	ds_bpermute_b32 v1, v109, v0
	v_cmp_eq_u32_e64 s[12:13], 1, v105
	v_cndmask_b32_e64 v9, v10, v21, s[6:7]
	v_cmp_eq_u32_e64 s[14:15], 2, v105
	v_cndmask_b32_e64 v10, v12, v11, s[12:13]
	;; [unrolled: 2-line block ×3, first 2 shown]
	s_waitcnt lgkmcnt(0)
	v_cndmask_b32_e64 v3, v15, v1, s[8:9]
	v_cndmask_b32_e64 v0, v0, v8, s[16:17]
	ds_bpermute_b32 v2, v109, v0
	v_cndmask_b32_e64 v10, v14, v1, s[6:7]
	v_cndmask_b32_e32 v0, v17, v1, vcc
	v_cndmask_b32_e64 v1, v16, v1, s[10:11]
	v_mov_b32_e32 v14, v28
	v_mov_b32_e32 v15, v28
	v_pk_mul_f32 v[16:17], v[28:29], v[4:5]
	v_pk_mul_f32 v[14:15], v[14:15], v[6:7]
	v_cndmask_b32_e32 v4, v16, v17, vcc
	v_cndmask_b32_e64 v4, v4, v14, s[6:7]
	v_cndmask_b32_e64 v4, v4, v15, s[8:9]
	ds_bpermute_b32 v7, v109, v4
	v_cndmask_b32_e64 v4, v1, v0, s[12:13]
	v_cndmask_b32_e64 v4, v4, v10, s[14:15]
	;; [unrolled: 1-line block ×3, first 2 shown]
	v_cmp_ne_u32_e32 vcc, 0, v104
	ds_bpermute_b32 v6, v109, v4
	s_waitcnt lgkmcnt(1)
	v_cndmask_b32_e64 v4, v15, v7, s[8:9]
	v_cndmask_b32_e64 v5, v14, v7, s[6:7]
	v_cndmask_b32_e32 v14, v17, v7, vcc
	v_cndmask_b32_e64 v15, v16, v7, s[10:11]
	v_cndmask_b32_e64 v7, v15, v14, s[12:13]
	;; [unrolled: 1-line block ×4, first 2 shown]
	ds_bpermute_b32 v7, v109, v7
	v_or_b32_e32 v13, v22, v20
	;;#ASMSTART
	global_atomic_pk_add_f16 v[18:19], v13, off
	
	;;#ASMEND
	v_or_b32_e32 v13, 32, v106
	v_add_u32_e32 v13, s65, v13
	v_cmp_gt_u32_e32 vcc, 48, v13
	s_and_b64 exec, exec, vcc
	s_cbranch_execz .LBB273_39
; %bb.37:                               ;   in Loop: Header=BB273_7 Depth=1
	v_cmp_eq_u32_e64 s[8:9], 1, v105
	v_cmp_eq_u32_e64 s[10:11], 0, v105
	v_cmp_eq_u32_e32 vcc, 3, v105
	v_cndmask_b32_e64 v11, v11, v2, s[8:9]
	v_cndmask_b32_e64 v12, v12, v2, s[10:11]
	v_cvt_f16_f32_e32 v12, v12
	v_cvt_f16_f32_sdwa v11, v11 dst_sel:WORD_1 dst_unused:UNUSED_PAD src0_sel:DWORD
	s_waitcnt lgkmcnt(1)
	v_cndmask_b32_e64 v16, v0, v6, s[8:9]
	v_cndmask_b32_e64 v17, v1, v6, s[10:11]
	s_waitcnt lgkmcnt(0)
	v_cndmask_b32_e64 v18, v14, v7, s[8:9]
	v_or_b32_e32 v11, v11, v12
	v_cndmask_b32_e64 v19, v15, v7, s[10:11]
	v_lshl_add_u64 v[0:1], v[42:43], 1, s[48:49]
	;;#ASMSTART
	global_atomic_pk_add_f16 v[0:1], v11, off
	
	;;#ASMEND
	v_cvt_f16_f32_e32 v11, v17
	v_cvt_f16_f32_sdwa v12, v16 dst_sel:WORD_1 dst_unused:UNUSED_PAD src0_sel:DWORD
	v_cvt_f16_f32_e32 v16, v19
	v_cvt_f16_f32_sdwa v17, v18 dst_sel:WORD_1 dst_unused:UNUSED_PAD src0_sel:DWORD
	v_cmp_eq_u32_e64 s[6:7], 2, v105
	v_lshl_add_u64 v[14:15], v[0:1], 0, 32
	v_or_b32_e32 v11, v12, v11
	v_cmp_gt_u32_e64 s[8:9], 46, v13
	;;#ASMSTART
	global_atomic_pk_add_f16 v[14:15], v11, off
	
	;;#ASMEND
	v_lshl_add_u64 v[14:15], v[0:1], 0, 64
	v_or_b32_e32 v11, v17, v16
	;;#ASMSTART
	global_atomic_pk_add_f16 v[14:15], v11, off
	
	;;#ASMEND
	s_and_b64 exec, exec, s[8:9]
	s_cbranch_execz .LBB273_39
; %bb.38:                               ;   in Loop: Header=BB273_7 Depth=1
	v_cndmask_b32_e32 v8, v8, v2, vcc
	v_cndmask_b32_e64 v2, v9, v2, s[6:7]
	v_cvt_f16_f32_e32 v2, v2
	v_cvt_f16_f32_sdwa v8, v8 dst_sel:WORD_1 dst_unused:UNUSED_PAD src0_sel:DWORD
	v_cndmask_b32_e32 v3, v3, v6, vcc
	v_cndmask_b32_e64 v6, v10, v6, s[6:7]
	v_cndmask_b32_e32 v4, v4, v7, vcc
	v_cndmask_b32_e64 v5, v5, v7, s[6:7]
	v_cvt_f16_f32_e32 v6, v6
	v_cvt_f16_f32_sdwa v7, v3 dst_sel:WORD_1 dst_unused:UNUSED_PAD src0_sel:DWORD
	v_cvt_f16_f32_e32 v5, v5
	v_cvt_f16_f32_sdwa v4, v4 dst_sel:WORD_1 dst_unused:UNUSED_PAD src0_sel:DWORD
	v_lshl_add_u64 v[0:1], s[28:29], 2, v[0:1]
	v_or_b32_e32 v2, v8, v2
	;;#ASMSTART
	global_atomic_pk_add_f16 v[0:1], v2, off
	
	;;#ASMEND
	v_lshl_add_u64 v[2:3], v[0:1], 0, 32
	v_or_b32_e32 v6, v7, v6
	;;#ASMSTART
	global_atomic_pk_add_f16 v[2:3], v6, off
	
	;;#ASMEND
	;; [unrolled: 6-line block ×3, first 2 shown]
.LBB273_39:                             ;   in Loop: Header=BB273_7 Depth=1
	s_or_b64 exec, exec, s[18:19]
	v_subrev_u32_e32 v110, s66, v110
.LBB273_40:                             ;   in Loop: Header=BB273_7 Depth=1
	s_or_b64 exec, exec, s[46:47]
.LBB273_41:                             ;   in Loop: Header=BB273_7 Depth=1
	s_andn2_saveexec_b64 s[6:7], s[44:45]
	s_cbranch_execz .LBB273_50
; %bb.42:                               ;   in Loop: Header=BB273_7 Depth=1
	s_mul_i32 s16, s66, 3
	v_cmp_gt_i32_e32 vcc, s16, v110
	s_and_saveexec_b64 s[8:9], vcc
	s_cbranch_execz .LBB273_49
; %bb.43:                               ;   in Loop: Header=BB273_7 Depth=1
	s_mul_i32 s10, s34, s23
	s_ashr_i32 s11, s10, 31
	s_waitcnt lgkmcnt(0)
	s_add_u32 s10, s38, s10
	s_addc_u32 s11, s39, s11
	s_ashr_i32 s12, s64, 31
	s_add_u32 s10, s10, s64
	s_addc_u32 s11, s11, s12
	v_lshl_add_u64 v[0:1], s[10:11], 0, v[46:47]
	v_lshl_add_u64 v[16:17], v[0:1], 0, v[44:45]
	s_mov_b64 s[10:11], 0
	s_branch .LBB273_45
.LBB273_44:                             ;   in Loop: Header=BB273_45 Depth=2
	s_or_b64 exec, exec, s[12:13]
	v_or_b32_e32 v20, 0x3000, v108
	v_lshl_add_u32 v20, v18, 12, v20
	;;#ASMSTART
	s_waitcnt vmcnt(3)
	;;#ASMEND
	ds_write2_b32 v20, v12, v13 offset1:32
	ds_write2_b32 v20, v14, v15 offset0:64 offset1:96
	v_add_u32_e32 v12, 0x400, v20
	;;#ASMSTART
	s_waitcnt vmcnt(2)
	;;#ASMEND
	ds_write2_b32 v12, v8, v9 offset1:32
	ds_write2_b32 v12, v10, v11 offset0:64 offset1:96
	v_add_u32_e32 v8, 0x800, v20
	;; [unrolled: 6-line block ×3, first 2 shown]
	v_add_u32_e32 v110, s26, v110
	;;#ASMSTART
	s_waitcnt vmcnt(0)
	;;#ASMEND
	ds_write2_b32 v4, v0, v1 offset1:32
	ds_write2_b32 v4, v2, v3 offset0:64 offset1:96
	v_add_u32_e32 v0, 1, v102
	v_add_u32_e32 v50, s26, v18
	v_cmp_le_i32_e32 vcc, s16, v110
	ds_write_b32 v19, v0 offset:12
	v_add_u32_e32 v0, 2, v102
	s_or_b64 s[10:11], vcc, s[10:11]
	v_cmp_lt_i32_e32 vcc, 2, v50
	s_nop 1
	v_cndmask_b32_e32 v102, v102, v0, vcc
	s_andn2_b64 exec, exec, s[10:11]
	s_cbranch_execz .LBB273_48
.LBB273_45:                             ;   Parent Loop BB273_7 Depth=1
                                        ; =>  This Loop Header: Depth=2
                                        ;       Child Loop BB273_47 Depth 3
	v_cmp_gt_i32_e32 vcc, 3, v50
	s_nop 1
	v_cndmask_b32_e64 v0, -3, 0, vcc
	v_add_u32_e32 v18, v0, v50
	v_mul_hi_i32 v0, v110, s62
	v_lshrrev_b32_e32 v1, 31, v0
	v_add_u32_e32 v0, v0, v1
	v_lshl_add_u32 v1, v0, 1, v0
	v_sub_u32_e32 v2, v110, v1
	v_lshlrev_b32_e32 v0, 8, v0
	v_ashrrev_i32_e32 v1, 31, v0
	v_mul_lo_u32 v2, s56, v2
	v_lshl_add_u64 v[0:1], v[16:17], 0, v[0:1]
	v_ashrrev_i32_e32 v3, 31, v2
	v_lshl_add_u64 v[0:1], v[0:1], 0, v[2:3]
	v_lshlrev_b32_e32 v19, 2, v18
	;;#ASMSTART
	global_load_dwordx4 v[12:15], v[0:1], off offset:0    sc0 sc1 nt  
	global_load_dwordx4 v[8:11], v[0:1], off offset:64   sc0 sc1 nt  
	global_load_dwordx4 v[4:7], v[0:1], off offset:128  sc0 sc1 nt  
	global_load_dwordx4 v[0:3], v[0:1], off offset:192  sc0 sc1 nt  
	
	;;#ASMEND
	ds_read_b32 v20, v19 offset:24588
	v_add_u32_e32 v19, 0x6000, v19
	s_waitcnt lgkmcnt(0)
	v_cmp_ne_u32_e32 vcc, v20, v102
	s_and_saveexec_b64 s[12:13], vcc
	s_cbranch_execz .LBB273_44
; %bb.46:                               ;   in Loop: Header=BB273_45 Depth=2
	s_mov_b64 s[14:15], 0
.LBB273_47:                             ;   Parent Loop BB273_7 Depth=1
                                        ;     Parent Loop BB273_45 Depth=2
                                        ; =>    This Inner Loop Header: Depth=3
	;;#ASMSTART
	s_sleep 0
	;;#ASMEND
	ds_read_b32 v20, v19 offset:12
	s_waitcnt lgkmcnt(0)
	v_cmp_eq_u32_e32 vcc, v20, v102
	s_or_b64 s[14:15], vcc, s[14:15]
	s_andn2_b64 exec, exec, s[14:15]
	s_cbranch_execnz .LBB273_47
	s_branch .LBB273_44
.LBB273_48:                             ;   in Loop: Header=BB273_7 Depth=1
	s_or_b64 exec, exec, s[10:11]
.LBB273_49:                             ;   in Loop: Header=BB273_7 Depth=1
	s_or_b64 exec, exec, s[8:9]
	v_subrev_u32_e32 v110, s16, v110
.LBB273_50:                             ;   in Loop: Header=BB273_7 Depth=1
	s_or_b64 exec, exec, s[6:7]
.LBB273_51:                             ;   in Loop: Header=BB273_7 Depth=1
	s_andn2_saveexec_b64 s[6:7], s[30:31]
	s_cbranch_execz .LBB273_6
; %bb.52:                               ;   in Loop: Header=BB273_7 Depth=1
	s_mul_i32 s66, s66, 3
	v_cmp_gt_i32_e32 vcc, s66, v110
	s_and_saveexec_b64 s[8:9], vcc
	s_cbranch_execz .LBB273_5
; %bb.53:                               ;   in Loop: Header=BB273_7 Depth=1
	s_mul_i32 s63, s63, s22
	s_ashr_i32 s10, s63, 31
	s_waitcnt lgkmcnt(0)
	s_add_u32 s11, s36, s63
	v_add_u32_e32 v2, s65, v107
	s_addc_u32 s12, s37, s10
	s_ashr_i32 s13, s64, 31
	v_mul_lo_u32 v0, s22, v107
	v_cmp_gt_u32_e32 vcc, 48, v2
	s_add_u32 s10, s11, s64
	s_addc_u32 s11, s12, s13
	v_cndmask_b32_e32 v0, 0, v0, vcc
	v_ashrrev_i32_e32 v1, 31, v0
	v_lshl_add_u64 v[0:1], s[10:11], 0, v[0:1]
	v_lshl_add_u64 v[16:17], v[0:1], 0, v[44:45]
	v_sub_u32_e32 v18, 47, v2
	s_mov_b64 s[10:11], 0
	s_branch .LBB273_55
.LBB273_54:                             ;   in Loop: Header=BB273_55 Depth=2
	s_or_b64 exec, exec, s[12:13]
	v_lshl_or_b32 v21, v19, 12, v108
	;;#ASMSTART
	s_waitcnt vmcnt(3)
	;;#ASMEND
	ds_write2_b32 v21, v12, v13 offset1:32
	ds_write2_b32 v21, v14, v15 offset0:64 offset1:96
	v_add_u32_e32 v12, 0x400, v21
	;;#ASMSTART
	s_waitcnt vmcnt(2)
	;;#ASMEND
	ds_write2_b32 v12, v8, v9 offset1:32
	ds_write2_b32 v12, v10, v11 offset0:64 offset1:96
	v_add_u32_e32 v8, 0x800, v21
	;; [unrolled: 6-line block ×3, first 2 shown]
	v_add_u32_e32 v110, s25, v110
	;;#ASMSTART
	s_waitcnt vmcnt(0)
	;;#ASMEND
	ds_write2_b32 v4, v0, v1 offset1:32
	ds_write2_b32 v4, v2, v3 offset0:64 offset1:96
	v_add_u32_e32 v0, 1, v102
	v_add_u32_e32 v50, s25, v19
	v_cmp_le_i32_e32 vcc, s66, v110
	ds_write_b32 v20, v0
	v_add_u32_e32 v0, 2, v102
	s_or_b64 s[10:11], vcc, s[10:11]
	v_cmp_lt_i32_e32 vcc, 2, v50
	s_nop 1
	v_cndmask_b32_e32 v102, v102, v0, vcc
	s_andn2_b64 exec, exec, s[10:11]
	s_cbranch_execz .LBB273_4
.LBB273_55:                             ;   Parent Loop BB273_7 Depth=1
                                        ; =>  This Loop Header: Depth=2
                                        ;       Child Loop BB273_57 Depth 3
	v_cmp_gt_i32_e32 vcc, 3, v50
	s_nop 1
	v_cndmask_b32_e64 v0, -3, 0, vcc
	v_add_u32_e32 v19, v0, v50
	v_mul_hi_i32 v0, v110, s62
	v_lshrrev_b32_e32 v1, 31, v0
	v_add_u32_e32 v0, v0, v1
	v_lshl_add_u32 v1, v0, 1, v0
	v_sub_u32_e32 v1, v110, v1
	v_lshlrev_b32_e32 v1, 4, v1
	v_cmp_le_i32_e32 vcc, v1, v18
	v_lshlrev_b32_e32 v0, 8, v0
	v_lshlrev_b32_e32 v20, 2, v19
	v_cndmask_b32_e32 v2, 0, v1, vcc
	v_ashrrev_i32_e32 v1, 31, v0
	v_mul_lo_u32 v2, v2, s22
	v_lshl_add_u64 v[0:1], v[16:17], 0, v[0:1]
	v_ashrrev_i32_e32 v3, 31, v2
	v_lshl_add_u64 v[0:1], v[0:1], 0, v[2:3]
	;;#ASMSTART
	global_load_dwordx4 v[12:15], v[0:1], off offset:0    
	global_load_dwordx4 v[8:11], v[0:1], off offset:64   
	;; [unrolled: 1-line block ×4, first 2 shown]
	
	;;#ASMEND
	ds_read_b32 v21, v20 offset:24576
	v_add_u32_e32 v20, 0x6000, v20
	s_waitcnt lgkmcnt(0)
	v_cmp_ne_u32_e32 vcc, v21, v102
	s_and_saveexec_b64 s[12:13], vcc
	s_cbranch_execz .LBB273_54
; %bb.56:                               ;   in Loop: Header=BB273_55 Depth=2
	s_mov_b64 s[14:15], 0
.LBB273_57:                             ;   Parent Loop BB273_7 Depth=1
                                        ;     Parent Loop BB273_55 Depth=2
                                        ; =>    This Inner Loop Header: Depth=3
	;;#ASMSTART
	s_sleep 0
	;;#ASMEND
	ds_read_b32 v21, v20
	s_waitcnt lgkmcnt(0)
	v_cmp_eq_u32_e32 vcc, v21, v102
	s_or_b64 s[14:15], vcc, s[14:15]
	s_andn2_b64 exec, exec, s[14:15]
	s_cbranch_execnz .LBB273_57
	s_branch .LBB273_54
.LBB273_58:
	s_endpgm
	.section	.rodata,"a",@progbits
	.p2align	6, 0x0
	.amdhsa_kernel _Z19_skinny_gemm_kernelILi3ELi3ELi1ELi16ELi8EEvPKhS1_P6__halfPKfiiiiiiii
		.amdhsa_group_segment_fixed_size 24600
		.amdhsa_private_segment_fixed_size 0
		.amdhsa_kernarg_size 64
		.amdhsa_user_sgpr_count 2
		.amdhsa_user_sgpr_dispatch_ptr 0
		.amdhsa_user_sgpr_queue_ptr 0
		.amdhsa_user_sgpr_kernarg_segment_ptr 1
		.amdhsa_user_sgpr_dispatch_id 0
		.amdhsa_user_sgpr_kernarg_preload_length 0
		.amdhsa_user_sgpr_kernarg_preload_offset 0
		.amdhsa_user_sgpr_private_segment_size 0
		.amdhsa_uses_dynamic_stack 0
		.amdhsa_enable_private_segment 0
		.amdhsa_system_sgpr_workgroup_id_x 1
		.amdhsa_system_sgpr_workgroup_id_y 0
		.amdhsa_system_sgpr_workgroup_id_z 0
		.amdhsa_system_sgpr_workgroup_info 0
		.amdhsa_system_vgpr_workitem_id 0
		.amdhsa_next_free_vgpr 126
		.amdhsa_next_free_sgpr 67
		.amdhsa_accum_offset 128
		.amdhsa_reserve_vcc 1
		.amdhsa_float_round_mode_32 0
		.amdhsa_float_round_mode_16_64 0
		.amdhsa_float_denorm_mode_32 3
		.amdhsa_float_denorm_mode_16_64 3
		.amdhsa_dx10_clamp 1
		.amdhsa_ieee_mode 1
		.amdhsa_fp16_overflow 0
		.amdhsa_tg_split 0
		.amdhsa_exception_fp_ieee_invalid_op 0
		.amdhsa_exception_fp_denorm_src 0
		.amdhsa_exception_fp_ieee_div_zero 0
		.amdhsa_exception_fp_ieee_overflow 0
		.amdhsa_exception_fp_ieee_underflow 0
		.amdhsa_exception_fp_ieee_inexact 0
		.amdhsa_exception_int_div_zero 0
	.end_amdhsa_kernel
	.section	.text._Z19_skinny_gemm_kernelILi3ELi3ELi1ELi16ELi8EEvPKhS1_P6__halfPKfiiiiiiii,"axG",@progbits,_Z19_skinny_gemm_kernelILi3ELi3ELi1ELi16ELi8EEvPKhS1_P6__halfPKfiiiiiiii,comdat
.Lfunc_end273:
	.size	_Z19_skinny_gemm_kernelILi3ELi3ELi1ELi16ELi8EEvPKhS1_P6__halfPKfiiiiiiii, .Lfunc_end273-_Z19_skinny_gemm_kernelILi3ELi3ELi1ELi16ELi8EEvPKhS1_P6__halfPKfiiiiiiii
                                        ; -- End function
	.set _Z19_skinny_gemm_kernelILi3ELi3ELi1ELi16ELi8EEvPKhS1_P6__halfPKfiiiiiiii.num_vgpr, 126
	.set _Z19_skinny_gemm_kernelILi3ELi3ELi1ELi16ELi8EEvPKhS1_P6__halfPKfiiiiiiii.num_agpr, 0
	.set _Z19_skinny_gemm_kernelILi3ELi3ELi1ELi16ELi8EEvPKhS1_P6__halfPKfiiiiiiii.numbered_sgpr, 67
	.set _Z19_skinny_gemm_kernelILi3ELi3ELi1ELi16ELi8EEvPKhS1_P6__halfPKfiiiiiiii.num_named_barrier, 0
	.set _Z19_skinny_gemm_kernelILi3ELi3ELi1ELi16ELi8EEvPKhS1_P6__halfPKfiiiiiiii.private_seg_size, 0
	.set _Z19_skinny_gemm_kernelILi3ELi3ELi1ELi16ELi8EEvPKhS1_P6__halfPKfiiiiiiii.uses_vcc, 1
	.set _Z19_skinny_gemm_kernelILi3ELi3ELi1ELi16ELi8EEvPKhS1_P6__halfPKfiiiiiiii.uses_flat_scratch, 0
	.set _Z19_skinny_gemm_kernelILi3ELi3ELi1ELi16ELi8EEvPKhS1_P6__halfPKfiiiiiiii.has_dyn_sized_stack, 0
	.set _Z19_skinny_gemm_kernelILi3ELi3ELi1ELi16ELi8EEvPKhS1_P6__halfPKfiiiiiiii.has_recursion, 0
	.set _Z19_skinny_gemm_kernelILi3ELi3ELi1ELi16ELi8EEvPKhS1_P6__halfPKfiiiiiiii.has_indirect_call, 0
	.section	.AMDGPU.csdata,"",@progbits
; Kernel info:
; codeLenInByte = 6784
; TotalNumSgprs: 73
; NumVgprs: 126
; NumAgprs: 0
; TotalNumVgprs: 126
; ScratchSize: 0
; MemoryBound: 0
; FloatMode: 240
; IeeeMode: 1
; LDSByteSize: 24600 bytes/workgroup (compile time only)
; SGPRBlocks: 9
; VGPRBlocks: 15
; NumSGPRsForWavesPerEU: 73
; NumVGPRsForWavesPerEU: 126
; AccumOffset: 128
; Occupancy: 4
; WaveLimiterHint : 0
; COMPUTE_PGM_RSRC2:SCRATCH_EN: 0
; COMPUTE_PGM_RSRC2:USER_SGPR: 2
; COMPUTE_PGM_RSRC2:TRAP_HANDLER: 0
; COMPUTE_PGM_RSRC2:TGID_X_EN: 1
; COMPUTE_PGM_RSRC2:TGID_Y_EN: 0
; COMPUTE_PGM_RSRC2:TGID_Z_EN: 0
; COMPUTE_PGM_RSRC2:TIDIG_COMP_CNT: 0
; COMPUTE_PGM_RSRC3_GFX90A:ACCUM_OFFSET: 31
; COMPUTE_PGM_RSRC3_GFX90A:TG_SPLIT: 0
	.section	.text._Z19_skinny_gemm_kernelILi3ELi3ELi1ELi32ELi4EEvPKhS1_P6__halfPKfiiiiiiii,"axG",@progbits,_Z19_skinny_gemm_kernelILi3ELi3ELi1ELi32ELi4EEvPKhS1_P6__halfPKfiiiiiiii,comdat
	.protected	_Z19_skinny_gemm_kernelILi3ELi3ELi1ELi32ELi4EEvPKhS1_P6__halfPKfiiiiiiii ; -- Begin function _Z19_skinny_gemm_kernelILi3ELi3ELi1ELi32ELi4EEvPKhS1_P6__halfPKfiiiiiiii
	.globl	_Z19_skinny_gemm_kernelILi3ELi3ELi1ELi32ELi4EEvPKhS1_P6__halfPKfiiiiiiii
	.p2align	8
	.type	_Z19_skinny_gemm_kernelILi3ELi3ELi1ELi32ELi4EEvPKhS1_P6__halfPKfiiiiiiii,@function
_Z19_skinny_gemm_kernelILi3ELi3ELi1ELi32ELi4EEvPKhS1_P6__halfPKfiiiiiiii: ; @_Z19_skinny_gemm_kernelILi3ELi3ELi1ELi32ELi4EEvPKhS1_P6__halfPKfiiiiiiii
; %bb.0:
	v_cmp_gt_u32_e32 vcc, 6, v0
	s_and_saveexec_b64 s[4:5], vcc
; %bb.1:
	v_lshlrev_b32_e32 v1, 2, v0
	v_mov_b32_e32 v2, 0
	ds_write_b32 v1, v2 offset:12288
; %bb.2:
	s_or_b64 exec, exec, s[4:5]
	s_load_dwordx8 s[92:99], s[0:1], 0x20
	s_waitcnt lgkmcnt(0)
	s_barrier
	s_add_i32 s3, s92, 0x5f
	s_mul_hi_i32 s3, s3, 0x2aaaaaab
	s_add_i32 s4, s93, 0x5f
	s_lshr_b32 s5, s3, 31
	s_ashr_i32 s3, s3, 4
	s_add_i32 s14, s3, s5
	s_mul_hi_i32 s3, s4, 0x2aaaaaab
	s_lshr_b32 s4, s3, 31
	s_ashr_i32 s3, s3, 4
	s_add_i32 s15, s3, s4
	s_mul_i32 s3, s15, s14
	s_mul_i32 s3, s3, s96
	s_add_i32 s4, s3, 0x12f
	s_mul_hi_i32 s4, s4, 0x6bca1af3
	s_lshr_b32 s5, s4, 31
	s_ashr_i32 s4, s4, 7
	s_add_i32 s4, s4, s5
	s_add_i32 s5, s2, 1
	s_mul_i32 s5, s4, s5
	v_cvt_f64_i32_e32 v[2:3], s3
	v_cvt_f64_u32_e32 v[4:5], s5
	v_min_f64 v[2:3], v[2:3], v[4:5]
	v_cvt_i32_f64_e32 v62, v[2:3]
	s_mul_i32 s33, s4, s2
	v_cmp_ge_i32_e32 vcc, s33, v62
	s_cbranch_vccnz .LBB274_51
; %bb.3:
	s_load_dwordx8 s[16:23], s[0:1], 0x0
	v_lshrrev_b32_e32 v1, 6, v0
	s_add_i32 s0, s98, s97
	v_cmp_le_i32_e64 s[24:25], s0, v1
	v_mov_b32_e32 v2, s97
	v_cmp_le_i32_e64 s[26:27], s97, v1
	v_mov_b32_e32 v3, s98
	v_cndmask_b32_e64 v3, 0, v3, s[24:25]
	v_cndmask_b32_e64 v2, 0, v2, s[26:27]
	s_abs_i32 s1, s96
	v_add_u32_e32 v2, v2, v3
	v_cvt_f32_u32_e32 v3, s1
	v_sub_u32_e32 v56, v1, v2
	s_ashr_i32 s2, s94, 31
	s_lshr_b32 s2, s2, 26
	v_rcp_iflag_f32_e32 v2, v3
	s_sub_i32 s5, 0, s1
	s_add_i32 s2, s94, s2
	s_ashr_i32 s2, s2, 6
	v_mul_f32_e32 v2, 0x4f7ffffe, v2
	v_cvt_u32_f32_e32 v2, v2
	s_abs_i32 s4, s2
	s_xor_b32 s3, s2, s96
	s_ashr_i32 s3, s3, 31
	v_readfirstlane_b32 s6, v2
	s_mul_i32 s5, s5, s6
	s_mul_hi_u32 s5, s6, s5
	s_add_i32 s6, s6, s5
	s_mul_hi_u32 s5, s4, s6
	s_mul_i32 s6, s5, s1
	s_sub_i32 s4, s4, s6
	s_add_i32 s6, s5, 1
	s_sub_i32 s7, s4, s1
	s_cmp_ge_u32 s4, s1
	s_cselect_b32 s5, s6, s5
	s_cselect_b32 s4, s7, s4
	s_add_i32 s6, s5, 1
	s_cmp_ge_u32 s4, s1
	s_cselect_b32 s1, s6, s5
	s_add_i32 s0, s0, s99
	v_and_b32_e32 v64, 31, v0
	v_lshrrev_b32_e32 v2, 3, v0
	v_cmp_gt_i32_e64 s[34:35], s0, v1
	v_lshlrev_b32_e32 v1, 2, v64
	v_and_b32_e32 v3, 4, v2
	v_lshlrev_b32_e32 v2, 6, v3
	v_or_b32_e32 v4, 0x1800, v1
	v_and_b32_e32 v5, 1, v0
                                        ; implicit-def: $vgpr93 : SGPR spill to VGPR lane
	s_add_i32 s29, s96, -1
	v_or_b32_e32 v65, v1, v2
	v_or_b32_e32 v66, v4, v2
	v_lshlrev_b32_e32 v2, 1, v5
	v_lshrrev_b32_e32 v7, 1, v0
	s_abs_i32 s96, s14
	v_writelane_b32 v93, s14, 0
	v_sub_u32_e32 v2, v0, v2
	v_and_b32_e32 v50, 16, v7
	v_cvt_f32_u32_e32 v7, s96
	v_writelane_b32 v93, s15, 1
	v_add_u32_e32 v2, 1, v2
	s_waitcnt lgkmcnt(0)
	v_writelane_b32 v93, s16, 2
	v_and_b32_e32 v6, 63, v2
	v_bitop3_b32 v67, v0, 1, v0 bitop3:0xc
	v_bitop3_b32 v68, v0, 3, 1 bitop3:0x6c
	;; [unrolled: 1-line block ×8, first 2 shown]
	v_and_b32_e32 v2, 30, v0
	v_lshlrev_b32_e32 v0, 4, v0
	v_writelane_b32 v93, s17, 3
	v_and_b32_e32 v0, 0x200, v0
	v_writelane_b32 v93, s18, 4
	v_or_b32_e32 v77, v4, v0
	v_rcp_iflag_f32_e32 v4, v7
	s_abs_i32 s90, s15
	v_writelane_b32 v93, s19, 5
	v_or_b32_e32 v79, v1, v0
	v_cvt_f32_u32_e32 v1, s90
	v_writelane_b32 v93, s20, 6
	v_writelane_b32 v93, s21, 7
	;; [unrolled: 1-line block ×3, first 2 shown]
	v_mul_f32_e32 v0, 0x4f7ffffe, v4
	v_writelane_b32 v93, s23, 9
	v_cndmask_b32_e64 v63, 0, 1, s[24:25]
	v_cvt_u32_f32_e32 v0, v0
	v_rcp_iflag_f32_e32 v1, v1
	v_writelane_b32 v93, s24, 10
	s_xor_b32 s1, s1, s3
	s_sub_i32 s28, s1, s3
	v_writelane_b32 v93, s25, 11
	v_writelane_b32 v93, s26, 12
	s_mul_i32 s1, s28, s29
	s_sub_i32 s30, s2, s1
	v_writelane_b32 v93, s27, 13
	v_readfirstlane_b32 s1, v0
	v_mul_f32_e32 v0, 0x4f7ffffe, v1
	v_writelane_b32 v93, s28, 14
	v_cvt_u32_f32_e32 v0, v0
	v_writelane_b32 v93, s29, 15
	s_sub_i32 s0, 0, s96
	v_writelane_b32 v93, s30, 16
	s_mul_i32 s0, s0, s1
	v_writelane_b32 v93, s34, 17
	s_lshl_b32 s31, s95, 5
	s_mul_hi_u32 s0, s1, s0
	v_writelane_b32 v93, s35, 18
	s_ashr_i32 s36, s14, 31
	s_add_i32 s37, s1, s0
	s_sub_i32 s0, 0, s90
	v_readfirstlane_b32 s1, v0
	v_mbcnt_lo_u32_b32 v0, -1, 0
	v_writelane_b32 v93, s31, 19
	s_mul_i32 s0, s0, s1
	v_mbcnt_hi_u32_b32 v0, -1, v0
	v_writelane_b32 v93, s36, 20
	v_mov_b32_e32 v49, 0
	v_mul_lo_u32 v52, s95, v64
	v_or_b32_e32 v80, v5, v3
	s_ashr_i32 s38, s15, 31
	s_mul_hi_u32 s0, s1, s0
	v_and_or_b32 v0, v0, 64, v6
	v_writelane_b32 v93, s37, 21
	v_or_b32_e32 v75, 32, v64
	v_or_b32_e32 v76, 64, v64
	v_ashrrev_i32_e32 v53, 31, v52
	v_mov_b32_e32 v51, v49
	v_mul_lo_u32 v78, s94, v64
	v_or_b32_e32 v81, 2, v80
	s_add_i32 s39, s1, s0
	v_lshlrev_b32_e32 v48, 1, v2
	s_mov_b32 s91, 0x55555556
	v_lshlrev_b32_e32 v82, 2, v0
	v_mov_b32_e32 v83, v56
	v_writelane_b32 v93, s38, 22
	v_writelane_b32 v93, s39, 23
	s_branch .LBB274_7
.LBB274_4:                              ;   in Loop: Header=BB274_7 Depth=1
	s_or_b64 exec, exec, s[4:5]
.LBB274_5:                              ;   in Loop: Header=BB274_7 Depth=1
	s_or_b64 exec, exec, s[2:3]
	v_subrev_u32_e32 v83, s10, v83
.LBB274_6:                              ;   in Loop: Header=BB274_7 Depth=1
	s_or_b64 exec, exec, s[0:1]
	s_add_i32 s33, s33, 1
	v_cmp_ge_i32_e32 vcc, s33, v62
	s_cbranch_vccnz .LBB274_51
.LBB274_7:                              ; =>This Loop Header: Depth=1
                                        ;     Child Loop BB274_13 Depth 2
                                        ;       Child Loop BB274_15 Depth 3
                                        ;       Child Loop BB274_18 Depth 3
	;; [unrolled: 1-line block ×4, first 2 shown]
                                        ;     Child Loop BB274_29 Depth 2
                                        ;     Child Loop BB274_38 Depth 2
                                        ;       Child Loop BB274_40 Depth 3
                                        ;     Child Loop BB274_48 Depth 2
                                        ;       Child Loop BB274_50 Depth 3
	s_abs_i32 s1, s33
	s_mul_hi_u32 s2, s1, s37
	s_mul_i32 s3, s2, s96
	s_ashr_i32 s0, s33, 31
	s_sub_i32 s1, s1, s3
	s_xor_b32 s0, s0, s36
	s_add_i32 s3, s2, 1
	s_sub_i32 s4, s1, s96
	s_cmp_ge_u32 s1, s96
	s_cselect_b32 s2, s3, s2
	s_cselect_b32 s1, s4, s1
	s_add_i32 s3, s2, 1
	s_cmp_ge_u32 s1, s96
	s_cselect_b32 s1, s3, s2
	s_xor_b32 s1, s1, s0
	s_sub_i32 s0, s1, s0
	s_abs_i32 s2, s0
	s_mul_i32 s1, s0, s14
	s_mul_hi_u32 s3, s2, s39
	s_sub_i32 s1, s33, s1
	s_mul_i32 s4, s3, s90
	s_mul_i32 s40, s1, 0x60
	s_ashr_i32 s1, s0, 31
	s_sub_i32 s2, s2, s4
	s_xor_b32 s1, s1, s38
	s_add_i32 s4, s3, 1
	s_sub_i32 s5, s2, s90
	s_cmp_ge_u32 s2, s90
	s_cselect_b32 s3, s4, s3
	s_cselect_b32 s2, s5, s2
	s_add_i32 s4, s3, 1
	s_cmp_ge_u32 s2, s90
	s_cselect_b32 s2, s4, s3
	s_xor_b32 s2, s2, s1
	s_sub_i32 s1, s2, s1
	s_mul_i32 s2, s1, s28
	s_lshl_b32 s13, s2, 6
	s_cmp_eq_u32 s1, s29
	s_cselect_b32 s4, s30, s28
	s_sub_i32 s2, s40, s92
	s_addk_i32 s2, 0x60
	s_max_i32 s5, s2, 0
	s_and_saveexec_b64 s[2:3], s[26:27]
	s_xor_b64 s[2:3], exec, s[2:3]
	v_writelane_b32 v93, s2, 24
	s_nop 1
	v_writelane_b32 v93, s3, 25
	s_cbranch_execz .LBB274_44
; %bb.8:                                ;   in Loop: Header=BB274_7 Depth=1
	s_mul_i32 s1, s1, s15
	s_sub_i32 s0, s0, s1
	s_mulk_i32 s0, 0x60
	s_sub_i32 s70, s0, s93
	s_addk_i32 s70, 0x60
	s_max_i32 s1, s70, 0
	s_sub_i32 s0, s0, s1
	v_writelane_b32 v93, s13, 26
	s_and_saveexec_b64 s[2:3], s[24:25]
	s_xor_b64 s[2:3], exec, s[2:3]
	s_cbranch_execz .LBB274_34
; %bb.9:                                ;   in Loop: Header=BB274_7 Depth=1
	s_mov_b64 s[6:7], exec
	v_writelane_b32 v93, s6, 27
	s_nop 1
	v_writelane_b32 v93, s7, 28
	s_and_b64 s[6:7], s[6:7], s[34:35]
	s_mov_b64 exec, s[6:7]
	s_cbranch_execz .LBB274_33
; %bb.10:                               ;   in Loop: Header=BB274_7 Depth=1
	global_load_dword v84, v49, s[22:23]
	v_mov_b32_e32 v47, 0
	v_cmp_gt_i32_e32 vcc, s4, v83
	v_mov_b32_e32 v46, v47
	v_mov_b32_e32 v45, v47
	;; [unrolled: 1-line block ×47, first 2 shown]
	s_and_saveexec_b64 s[6:7], vcc
	s_cbranch_execz .LBB274_26
; %bb.11:                               ;   in Loop: Header=BB274_7 Depth=1
	v_mov_b32_e32 v0, 0
	s_mov_b64 s[8:9], 0
	v_mov_b32_e32 v1, v0
	v_mov_b32_e32 v2, v0
	;; [unrolled: 1-line block ×47, first 2 shown]
	s_branch .LBB274_13
.LBB274_12:                             ;   in Loop: Header=BB274_13 Depth=2
	s_or_b64 exec, exec, s[10:11]
	v_add_u32_e32 v89, 0x1000, v88
	ds_read2_b32 v[90:91], v89 offset1:32
	v_add_u32_e32 v83, s99, v83
	s_waitcnt lgkmcnt(0)
	v_mfma_f32_32x32x16_fp8_fp8 v[0:15], v[60:61], v[90:91], v[0:15]
	ds_read2_b32 v[60:61], v89 offset0:128 offset1:160
	s_waitcnt lgkmcnt(0)
	v_mfma_f32_32x32x16_fp8_fp8 v[0:15], v[58:59], v[60:61], v[0:15]
	v_add_u32_e32 v60, 0x1400, v88
	ds_read2_b32 v[58:59], v60 offset1:32
	ds_read2_b32 v[60:61], v60 offset0:128 offset1:160
	ds_write_b32 v86, v87 offset:12308
	s_waitcnt lgkmcnt(2)
	v_mfma_f32_32x32x16_fp8_fp8 v[0:15], v[56:57], v[58:59], v[0:15]
	v_add_u32_e32 v56, s99, v85
	v_add_u32_e32 v57, 2, v63
	v_cmp_lt_i32_e32 vcc, 0, v56
	s_nop 1
	v_cndmask_b32_e32 v63, v63, v57, vcc
	v_cmp_le_i32_e32 vcc, s4, v83
	s_waitcnt lgkmcnt(1)
	v_mfma_f32_32x32x16_fp8_fp8 v[0:15], v[54:55], v[60:61], v[0:15]
	s_or_b64 s[8:9], vcc, s[8:9]
	s_andn2_b64 exec, exec, s[8:9]
	s_cbranch_execz .LBB274_25
.LBB274_13:                             ;   Parent Loop BB274_7 Depth=1
                                        ; =>  This Loop Header: Depth=2
                                        ;       Child Loop BB274_15 Depth 3
                                        ;       Child Loop BB274_18 Depth 3
                                        ;       Child Loop BB274_21 Depth 3
                                        ;       Child Loop BB274_24 Depth 3
	v_cmp_lt_i32_e32 vcc, 0, v56
	s_nop 1
	v_subbrev_co_u32_e32 v85, vcc, 0, v56, vcc
	v_mul_lo_u32 v86, v85, 24
	ds_read_b32 v54, v86 offset:12288
	s_waitcnt lgkmcnt(0)
	v_cmp_ne_u32_e32 vcc, v54, v63
	s_and_saveexec_b64 s[10:11], vcc
	s_cbranch_execz .LBB274_16
; %bb.14:                               ;   in Loop: Header=BB274_13 Depth=2
	s_mov_b64 s[12:13], 0
.LBB274_15:                             ;   Parent Loop BB274_7 Depth=1
                                        ;     Parent Loop BB274_13 Depth=2
                                        ; =>    This Inner Loop Header: Depth=3
	;;#ASMSTART
	s_sleep 0
	;;#ASMEND
	ds_read_b32 v54, v86 offset:12288
	s_waitcnt lgkmcnt(0)
	v_cmp_eq_u32_e32 vcc, v54, v63
	s_or_b64 s[12:13], vcc, s[12:13]
	s_andn2_b64 exec, exec, s[12:13]
	s_cbranch_execnz .LBB274_15
.LBB274_16:                             ;   in Loop: Header=BB274_13 Depth=2
	s_or_b64 exec, exec, s[10:11]
	v_lshl_or_b32 v54, v85, 11, v65
	ds_read2_b32 v[60:61], v54 offset1:32
	ds_read2_b32 v[58:59], v54 offset0:128 offset1:160
	v_add_u32_e32 v54, 0x400, v54
	ds_read2_b32 v[56:57], v54 offset1:32
	ds_read_b32 v88, v86 offset:12292
	ds_read2_b32 v[54:55], v54 offset0:128 offset1:160
	v_add_u32_e32 v87, 1, v63
	ds_write_b32 v86, v87 offset:12288
	s_waitcnt lgkmcnt(2)
	v_cmp_ne_u32_e32 vcc, v88, v63
	s_and_saveexec_b64 s[10:11], vcc
	s_cbranch_execz .LBB274_19
; %bb.17:                               ;   in Loop: Header=BB274_13 Depth=2
	s_mov_b64 s[12:13], 0
.LBB274_18:                             ;   Parent Loop BB274_7 Depth=1
                                        ;     Parent Loop BB274_13 Depth=2
                                        ; =>    This Inner Loop Header: Depth=3
	;;#ASMSTART
	s_sleep 0
	;;#ASMEND
	ds_read_b32 v88, v86 offset:12292
	s_waitcnt lgkmcnt(0)
	v_cmp_eq_u32_e32 vcc, v88, v63
	s_or_b64 s[12:13], vcc, s[12:13]
	s_andn2_b64 exec, exec, s[12:13]
	s_cbranch_execnz .LBB274_18
.LBB274_19:                             ;   in Loop: Header=BB274_13 Depth=2
	s_or_b64 exec, exec, s[10:11]
	s_movk_i32 s1, 0x1800
	v_mul_lo_u32 v88, v85, s1
	v_add_u32_e32 v88, v66, v88
	ds_read2_b32 v[90:91], v88 offset1:32
	v_add_u32_e32 v89, 0x400, v88
	ds_write_b32 v86, v87 offset:12292
	s_waitcnt lgkmcnt(1)
	v_mfma_f32_32x32x16_fp8_fp8 v[32:47], v[60:61], v[90:91], v[32:47]
	ds_read2_b32 v[90:91], v88 offset0:128 offset1:160
	s_waitcnt lgkmcnt(0)
	v_mfma_f32_32x32x16_fp8_fp8 v[32:47], v[58:59], v[90:91], v[32:47]
	ds_read2_b32 v[90:91], v89 offset1:32
	s_waitcnt lgkmcnt(0)
	v_mfma_f32_32x32x16_fp8_fp8 v[32:47], v[56:57], v[90:91], v[32:47]
	ds_read2_b32 v[90:91], v89 offset0:128 offset1:160
	ds_read_b32 v89, v86 offset:12300
	s_waitcnt lgkmcnt(0)
	v_cmp_ne_u32_e32 vcc, v89, v63
	v_mfma_f32_32x32x16_fp8_fp8 v[32:47], v[54:55], v[90:91], v[32:47]
	s_and_saveexec_b64 s[10:11], vcc
	s_cbranch_execz .LBB274_22
; %bb.20:                               ;   in Loop: Header=BB274_13 Depth=2
	s_mov_b64 s[12:13], 0
.LBB274_21:                             ;   Parent Loop BB274_7 Depth=1
                                        ;     Parent Loop BB274_13 Depth=2
                                        ; =>    This Inner Loop Header: Depth=3
	;;#ASMSTART
	s_sleep 0
	;;#ASMEND
	ds_read_b32 v89, v86 offset:12300
	s_waitcnt lgkmcnt(0)
	v_cmp_eq_u32_e32 vcc, v89, v63
	s_or_b64 s[12:13], vcc, s[12:13]
	s_andn2_b64 exec, exec, s[12:13]
	s_cbranch_execnz .LBB274_21
.LBB274_22:                             ;   in Loop: Header=BB274_13 Depth=2
	s_or_b64 exec, exec, s[10:11]
	v_add_u32_e32 v89, 0x800, v88
	ds_read2_b32 v[90:91], v89 offset1:32
	s_waitcnt lgkmcnt(0)
	v_mfma_f32_32x32x16_fp8_fp8 v[16:31], v[60:61], v[90:91], v[16:31]
	ds_read2_b32 v[90:91], v89 offset0:128 offset1:160
	v_add_u32_e32 v89, 0xc00, v88
	s_waitcnt lgkmcnt(0)
	v_mfma_f32_32x32x16_fp8_fp8 v[16:31], v[58:59], v[90:91], v[16:31]
	ds_read2_b32 v[90:91], v89 offset1:32
	s_waitcnt lgkmcnt(0)
	v_mfma_f32_32x32x16_fp8_fp8 v[16:31], v[56:57], v[90:91], v[16:31]
	ds_read_b32 v92, v86 offset:12308
	ds_read2_b32 v[90:91], v89 offset0:128 offset1:160
	ds_write_b32 v86, v87 offset:12300
	s_waitcnt lgkmcnt(2)
	v_cmp_ne_u32_e32 vcc, v92, v63
	s_waitcnt lgkmcnt(1)
	v_mfma_f32_32x32x16_fp8_fp8 v[16:31], v[54:55], v[90:91], v[16:31]
	s_and_saveexec_b64 s[10:11], vcc
	s_cbranch_execz .LBB274_12
; %bb.23:                               ;   in Loop: Header=BB274_13 Depth=2
	s_mov_b64 s[12:13], 0
.LBB274_24:                             ;   Parent Loop BB274_7 Depth=1
                                        ;     Parent Loop BB274_13 Depth=2
                                        ; =>    This Inner Loop Header: Depth=3
	;;#ASMSTART
	s_sleep 0
	;;#ASMEND
	ds_read_b32 v89, v86 offset:12308
	s_waitcnt lgkmcnt(0)
	v_cmp_eq_u32_e32 vcc, v89, v63
	s_or_b64 s[12:13], vcc, s[12:13]
	s_andn2_b64 exec, exec, s[12:13]
	s_cbranch_execnz .LBB274_24
	s_branch .LBB274_12
.LBB274_25:                             ;   in Loop: Header=BB274_7 Depth=1
	s_or_b64 exec, exec, s[8:9]
.LBB274_26:                             ;   in Loop: Header=BB274_7 Depth=1
	s_or_b64 exec, exec, s[6:7]
	v_cmp_le_i32_e32 vcc, s70, v64
	v_cmp_eq_u32_e64 s[60:61], 1, v67
	v_cmp_eq_u32_e64 s[26:27], 2, v67
	s_waitcnt vmcnt(0)
	v_cndmask_b32_e32 v54, 0, v84, vcc
	v_pk_mul_f32 v[32:33], v[54:55], v[32:33] op_sel_hi:[0,1]
	v_pk_mul_f32 v[46:47], v[54:55], v[46:47] op_sel_hi:[0,1]
	;; [unrolled: 1-line block ×8, first 2 shown]
	v_cndmask_b32_e64 v54, v32, v33, s[60:61]
	v_writelane_b32 v93, s40, 29
	s_mul_i32 s6, s40, s93
	v_cndmask_b32_e64 v54, v54, v34, s[26:27]
	v_cmp_eq_u32_e64 s[40:41], 3, v67
	v_cmp_eq_u32_e64 s[42:43], 4, v67
	v_cmp_eq_u32_e64 s[44:45], 5, v67
	v_cndmask_b32_e64 v54, v54, v35, s[40:41]
	v_cndmask_b32_e64 v54, v54, v36, s[42:43]
	v_cndmask_b32_e64 v54, v54, v37, s[44:45]
	v_cmp_eq_u32_e64 s[46:47], 6, v67
	v_cmp_eq_u32_e64 s[48:49], 7, v67
	v_cmp_eq_u32_e64 s[50:51], 8, v67
	v_cndmask_b32_e64 v54, v54, v38, s[46:47]
	v_cndmask_b32_e64 v54, v54, v39, s[48:49]
	;; [unrolled: 6-line block ×4, first 2 shown]
	v_cndmask_b32_e64 v54, v54, v46, s[64:65]
	v_cmp_eq_u32_e64 s[66:67], 15, v67
	s_ashr_i32 s7, s6, 31
	s_lshl_b64 s[6:7], s[6:7], 1
	v_cndmask_b32_e64 v54, v54, v47, s[66:67]
	ds_bpermute_b32 v54, v82, v54
	v_cmp_eq_u32_e64 s[36:37], 0, v67
	s_add_u32 s71, s20, s6
	v_cmp_eq_u32_e32 vcc, 1, v68
	s_addc_u32 s72, s21, s7
	s_waitcnt lgkmcnt(0)
	v_cndmask_b32_e64 v47, v47, v54, s[66:67]
	v_cndmask_b32_e64 v46, v46, v54, s[64:65]
	;; [unrolled: 1-line block ×16, first 2 shown]
	v_cndmask_b32_e32 v32, v54, v86, vcc
	v_cmp_eq_u32_e64 s[6:7], 2, v68
	v_cmp_eq_u32_e64 s[8:9], 3, v68
	v_cmp_eq_u32_e64 s[10:11], 4, v68
	v_cndmask_b32_e64 v32, v32, v85, s[6:7]
	v_cndmask_b32_e64 v32, v32, v61, s[8:9]
	v_cndmask_b32_e64 v32, v32, v60, s[10:11]
	v_cmp_eq_u32_e64 s[12:13], 5, v68
	v_cmp_eq_u32_e64 s[14:15], 6, v68
	v_cmp_eq_u32_e64 s[16:17], 7, v68
	v_cndmask_b32_e64 v32, v32, v59, s[12:13]
	v_cndmask_b32_e64 v32, v32, v58, s[14:15]
	v_cndmask_b32_e64 v32, v32, v57, s[16:17]
	;; [unrolled: 6-line block ×4, first 2 shown]
	v_cmp_eq_u32_e64 s[34:35], 14, v68
	v_cmp_eq_u32_e64 s[38:39], 15, v68
	s_ashr_i32 s1, s0, 31
	v_cndmask_b32_e64 v32, v32, v46, s[34:35]
	v_cndmask_b32_e64 v32, v32, v47, s[38:39]
	ds_bpermute_b32 v55, v82, v32
	s_lshl_b64 s[68:69], s[0:1], 1
	s_add_u32 s68, s71, s68
	s_addc_u32 s69, s72, s69
	v_writelane_b32 v93, s68, 30
	s_waitcnt lgkmcnt(0)
	v_cndmask_b32_e64 v33, v47, v55, s[38:39]
	v_cndmask_b32_e64 v38, v42, v55, s[22:23]
	v_writelane_b32 v93, s69, 31
	v_cmp_le_i32_e64 s[68:69], s70, v75
	v_cmp_le_i32_e64 s[70:71], s70, v76
	v_cndmask_b32_e64 v42, v58, v55, s[14:15]
	v_cndmask_b32_e64 v32, 0, v84, s[68:69]
	;; [unrolled: 1-line block ×3, first 2 shown]
	v_pk_mul_f32 v[16:17], v[32:33], v[16:17] op_sel_hi:[0,1]
	v_pk_mul_f32 v[0:1], v[58:59], v[0:1] op_sel_hi:[0,1]
	v_cndmask_b32_e64 v35, v45, v55, s[30:31]
	v_cndmask_b32_e64 v36, v44, v55, s[28:29]
	;; [unrolled: 1-line block ×4, first 2 shown]
	v_pk_mul_f32 v[30:31], v[32:33], v[30:31] op_sel_hi:[0,1]
	v_pk_mul_f32 v[28:29], v[32:33], v[28:29] op_sel_hi:[0,1]
	;; [unrolled: 1-line block ×7, first 2 shown]
	v_cndmask_b32_e64 v32, v16, v17, s[60:61]
	v_pk_mul_f32 v[60:61], v[58:59], v[4:5] op_sel_hi:[0,1]
	v_pk_mul_f32 v[2:3], v[58:59], v[2:3] op_sel_hi:[0,1]
	v_cndmask_b32_e64 v4, v0, v1, s[60:61]
	v_cndmask_b32_e64 v32, v32, v18, s[26:27]
	;; [unrolled: 1-line block ×8, first 2 shown]
	v_pk_mul_f32 v[6:7], v[58:59], v[6:7] op_sel_hi:[0,1]
	v_cndmask_b32_e64 v4, v4, v61, s[44:45]
	v_cndmask_b32_e64 v32, v32, v22, s[46:47]
	v_cndmask_b32_e64 v4, v4, v6, s[46:47]
	v_cndmask_b32_e64 v32, v32, v23, s[48:49]
	v_pk_mul_f32 v[8:9], v[58:59], v[8:9] op_sel_hi:[0,1]
	v_cndmask_b32_e64 v4, v4, v7, s[48:49]
	v_cndmask_b32_e64 v32, v32, v24, s[50:51]
	v_cndmask_b32_e64 v4, v4, v8, s[50:51]
	v_cndmask_b32_e64 v32, v32, v25, s[52:53]
	;; [unrolled: 5-line block ×5, first 2 shown]
	v_cndmask_b32_e64 v4, v4, v15, s[66:67]
	ds_bpermute_b32 v32, v82, v32
	ds_bpermute_b32 v5, v82, v4
	v_cmp_eq_u32_e64 s[68:69], 0, v68
	v_cndmask_b32_e32 v47, v86, v55, vcc
	v_cmp_eq_u32_e64 s[70:71], 1, v69
	v_cndmask_b32_e64 v54, v54, v55, s[68:69]
	v_cndmask_b32_e64 v34, v46, v55, s[34:35]
	;; [unrolled: 1-line block ×9, first 2 shown]
	s_waitcnt lgkmcnt(1)
	v_cndmask_b32_e64 v4, v17, v32, s[60:61]
	v_cmp_eq_u32_e64 s[60:61], 2, v69
	v_cndmask_b32_e64 v18, v18, v32, s[26:27]
	s_waitcnt lgkmcnt(0)
	v_cndmask_b32_e64 v2, v2, v5, s[26:27]
	v_cmp_ne_u32_e64 s[26:27], 0, v67
	v_cndmask_b32_e64 v17, v55, v46, s[60:61]
	v_cndmask_b32_e64 v31, v31, v32, s[66:67]
	v_cndmask_b32_e64 v15, v15, v5, s[66:67]
	v_cmp_eq_u32_e64 s[66:67], 3, v69
	v_cndmask_b32_e64 v1, v1, v5, s[26:27]
	v_cndmask_b32_e64 v16, v16, v32, s[36:37]
	;; [unrolled: 1-line block ×6, first 2 shown]
	v_cmp_eq_u32_e64 s[64:65], 4, v69
	v_cndmask_b32_e64 v29, v29, v32, s[62:63]
	v_cndmask_b32_e64 v13, v13, v5, s[62:63]
	;; [unrolled: 1-line block ×22, first 2 shown]
	v_cndmask_b32_e32 v32, v16, v4, vcc
	v_cndmask_b32_e32 v5, v0, v1, vcc
	v_cndmask_b32_e64 v17, v17, v44, s[64:65]
	v_cmp_eq_u32_e64 s[62:63], 5, v69
	v_cndmask_b32_e64 v32, v32, v18, s[6:7]
	v_cndmask_b32_e64 v5, v5, v2, s[6:7]
	v_cndmask_b32_e64 v17, v17, v43, s[62:63]
	v_cmp_eq_u32_e64 s[58:59], 6, v69
	v_cndmask_b32_e64 v32, v32, v19, s[8:9]
	v_cndmask_b32_e64 v5, v5, v3, s[8:9]
	;; [unrolled: 4-line block ×11, first 2 shown]
	v_cndmask_b32_e64 v17, v17, v33, s[82:83]
	v_cndmask_b32_e64 v32, v32, v29, s[30:31]
	;; [unrolled: 1-line block ×3, first 2 shown]
	ds_bpermute_b32 v17, v82, v17
	v_cndmask_b32_e64 v32, v32, v30, s[34:35]
	v_cndmask_b32_e64 v5, v5, v14, s[34:35]
	;; [unrolled: 1-line block ×4, first 2 shown]
	ds_bpermute_b32 v32, v82, v32
	ds_bpermute_b32 v5, v82, v5
	v_cmp_eq_u32_e64 s[42:43], 0, v69
	s_waitcnt lgkmcnt(2)
	v_cndmask_b32_e64 v33, v33, v17, s[82:83]
	v_cndmask_b32_e64 v34, v34, v17, s[76:77]
	;; [unrolled: 1-line block ×16, first 2 shown]
	v_cmp_eq_u32_e64 s[26:27], 1, v70
	v_cmp_eq_u32_e64 s[36:37], 2, v70
	s_waitcnt lgkmcnt(1)
	v_cndmask_b32_e64 v30, v30, v32, s[34:35]
	v_cndmask_b32_e64 v54, v17, v47, s[26:27]
	;; [unrolled: 1-line block ×3, first 2 shown]
	s_waitcnt lgkmcnt(0)
	v_cndmask_b32_e64 v14, v14, v5, s[34:35]
	v_cmp_eq_u32_e64 s[34:35], 3, v70
	v_cndmask_b32_e32 v4, v4, v32, vcc
	v_cndmask_b32_e32 v1, v1, v5, vcc
	v_cndmask_b32_e64 v16, v16, v32, s[68:69]
	v_cndmask_b32_e64 v0, v0, v5, s[68:69]
	;; [unrolled: 1-line block ×7, first 2 shown]
	v_cmp_eq_u32_e64 s[30:31], 4, v70
	v_cndmask_b32_e64 v28, v28, v32, s[28:29]
	v_cndmask_b32_e64 v12, v12, v5, s[28:29]
	;; [unrolled: 1-line block ×25, first 2 shown]
	v_cmp_eq_u32_e64 s[38:39], 5, v70
	v_cndmask_b32_e64 v32, v32, v18, s[60:61]
	v_cndmask_b32_e64 v5, v5, v2, s[60:61]
	v_cndmask_b32_e64 v54, v54, v43, s[38:39]
	v_cmp_eq_u32_e64 s[24:25], 6, v70
	v_cndmask_b32_e64 v32, v32, v19, s[66:67]
	v_cndmask_b32_e64 v5, v5, v3, s[66:67]
	v_cndmask_b32_e64 v54, v54, v42, s[24:25]
	;; [unrolled: 4-line block ×11, first 2 shown]
	v_cndmask_b32_e64 v32, v32, v29, s[44:45]
	v_cndmask_b32_e64 v5, v5, v13, s[44:45]
	ds_bpermute_b32 v54, v82, v54
	v_cndmask_b32_e64 v32, v32, v30, s[76:77]
	v_cndmask_b32_e64 v5, v5, v14, s[76:77]
	;; [unrolled: 1-line block ×4, first 2 shown]
	ds_bpermute_b32 v32, v82, v32
	ds_bpermute_b32 v5, v82, v5
	v_cmp_eq_u32_e64 s[16:17], 0, v70
	s_waitcnt lgkmcnt(2)
	v_cndmask_b32_e64 v47, v47, v54, s[26:27]
	v_cmp_eq_u32_e64 s[8:9], 1, v71
	v_cndmask_b32_e64 v17, v17, v54, s[16:17]
	v_cndmask_b32_e64 v33, v33, v54, s[86:87]
	;; [unrolled: 1-line block ×16, first 2 shown]
	v_cmp_eq_u32_e64 s[14:15], 2, v71
	v_cmp_eq_u32_e64 s[18:19], 3, v71
	s_waitcnt lgkmcnt(1)
	v_cndmask_b32_e64 v4, v4, v32, s[70:71]
	v_cndmask_b32_e64 v54, v54, v46, s[14:15]
	s_waitcnt lgkmcnt(0)
	v_cndmask_b32_e64 v1, v1, v5, s[70:71]
	v_cndmask_b32_e64 v16, v16, v32, s[42:43]
	;; [unrolled: 1-line block ×10, first 2 shown]
	v_cmp_eq_u32_e64 s[28:29], 4, v71
	v_cndmask_b32_e64 v28, v28, v32, s[46:47]
	v_cndmask_b32_e64 v12, v12, v5, s[46:47]
	v_cndmask_b32_e64 v27, v27, v32, s[48:49]
	v_cndmask_b32_e64 v11, v11, v5, s[48:49]
	v_cndmask_b32_e64 v26, v26, v32, s[50:51]
	v_cndmask_b32_e64 v10, v10, v5, s[50:51]
	v_cndmask_b32_e64 v25, v25, v32, s[52:53]
	v_cndmask_b32_e64 v9, v9, v5, s[52:53]
	v_cndmask_b32_e64 v24, v24, v32, s[54:55]
	v_cndmask_b32_e64 v8, v8, v5, s[54:55]
	v_cndmask_b32_e64 v23, v23, v32, s[56:57]
	v_cndmask_b32_e64 v7, v7, v5, s[56:57]
	v_cndmask_b32_e64 v22, v22, v32, s[58:59]
	v_cndmask_b32_e64 v6, v6, v5, s[58:59]
	v_cndmask_b32_e64 v21, v21, v32, s[62:63]
	v_cndmask_b32_e64 v55, v55, v5, s[62:63]
	v_cndmask_b32_e64 v20, v20, v32, s[64:65]
	v_cndmask_b32_e64 v57, v57, v5, s[64:65]
	v_cndmask_b32_e64 v19, v19, v32, s[66:67]
	v_cndmask_b32_e64 v3, v3, v5, s[66:67]
	v_cndmask_b32_e64 v18, v18, v32, s[60:61]
	v_cndmask_b32_e64 v2, v2, v5, s[60:61]
	v_cndmask_b32_e64 v32, v16, v4, s[26:27]
	v_cndmask_b32_e64 v5, v0, v1, s[26:27]
	v_cndmask_b32_e64 v54, v54, v44, s[28:29]
	v_cmp_eq_u32_e64 s[40:41], 5, v71
	v_cndmask_b32_e64 v32, v32, v18, s[36:37]
	v_cndmask_b32_e64 v5, v5, v2, s[36:37]
	v_cndmask_b32_e64 v54, v54, v43, s[40:41]
	v_cmp_eq_u32_e64 s[48:49], 6, v71
	v_cndmask_b32_e64 v32, v32, v19, s[34:35]
	v_cndmask_b32_e64 v5, v5, v3, s[34:35]
	v_cndmask_b32_e64 v54, v54, v42, s[48:49]
	;; [unrolled: 4-line block ×11, first 2 shown]
	v_cndmask_b32_e64 v32, v32, v29, s[12:13]
	v_cndmask_b32_e64 v5, v5, v13, s[12:13]
	ds_bpermute_b32 v54, v82, v54
	v_cndmask_b32_e64 v32, v32, v30, s[10:11]
	v_cndmask_b32_e64 v5, v5, v14, s[10:11]
	;; [unrolled: 1-line block ×4, first 2 shown]
	ds_bpermute_b32 v32, v82, v32
	ds_bpermute_b32 v5, v82, v5
	v_cmp_eq_u32_e64 s[60:61], 0, v71
	s_waitcnt lgkmcnt(2)
	v_cndmask_b32_e64 v47, v47, v54, s[8:9]
	v_cmp_eq_u32_e32 vcc, 1, v72
	v_cndmask_b32_e64 v17, v17, v54, s[60:61]
	v_cndmask_b32_e64 v33, v33, v54, s[88:89]
	;; [unrolled: 1-line block ×15, first 2 shown]
	v_cndmask_b32_e32 v54, v17, v47, vcc
	v_cmp_eq_u32_e64 s[6:7], 2, v72
	s_waitcnt lgkmcnt(1)
	v_cndmask_b32_e64 v30, v30, v32, s[10:11]
	s_waitcnt lgkmcnt(0)
	v_cndmask_b32_e64 v14, v14, v5, s[10:11]
	v_cndmask_b32_e64 v54, v54, v46, s[6:7]
	v_cmp_eq_u32_e64 s[10:11], 3, v72
	v_cndmask_b32_e64 v29, v29, v32, s[12:13]
	v_cndmask_b32_e64 v13, v13, v5, s[12:13]
	;; [unrolled: 1-line block ×3, first 2 shown]
	v_cmp_eq_u32_e64 s[12:13], 4, v72
	v_cmp_eq_u32_e64 s[42:43], 5, v72
	;; [unrolled: 1-line block ×3, first 2 shown]
	v_cndmask_b32_e64 v54, v54, v44, s[12:13]
	v_cndmask_b32_e64 v54, v54, v43, s[42:43]
	;; [unrolled: 1-line block ×7, first 2 shown]
	v_cmp_eq_u32_e64 s[52:53], 7, v72
	v_cndmask_b32_e64 v9, v9, v5, s[72:73]
	v_cndmask_b32_e64 v8, v8, v5, s[20:21]
	;; [unrolled: 1-line block ×11, first 2 shown]
	v_cmp_eq_u32_e64 s[54:55], 8, v72
	v_cndmask_b32_e64 v0, v5, v58, s[8:9]
	v_cndmask_b32_e64 v31, v31, v32, s[86:87]
	;; [unrolled: 1-line block ×8, first 2 shown]
	v_cmp_eq_u32_e64 s[56:57], 9, v72
	v_cndmask_b32_e64 v23, v23, v32, s[22:23]
	v_cndmask_b32_e64 v22, v22, v32, s[24:25]
	;; [unrolled: 1-line block ×10, first 2 shown]
	v_cmp_eq_u32_e64 s[62:63], 10, v72
	v_cndmask_b32_e64 v1, v32, v4, s[8:9]
	v_cndmask_b32_e64 v0, v0, v3, s[18:19]
	v_cndmask_b32_e64 v54, v54, v38, s[62:63]
	v_cmp_eq_u32_e64 s[66:67], 11, v72
	v_cndmask_b32_e64 v1, v1, v18, s[14:15]
	v_cndmask_b32_e64 v0, v0, v57, s[28:29]
	v_cndmask_b32_e64 v54, v54, v37, s[66:67]
	;; [unrolled: 4-line block ×6, first 2 shown]
	v_cndmask_b32_e64 v1, v1, v23, s[46:47]
	v_cndmask_b32_e64 v0, v0, v9, s[68:69]
	ds_bpermute_b32 v54, v82, v54
	v_cndmask_b32_e64 v1, v1, v24, s[44:45]
	v_cndmask_b32_e64 v0, v0, v10, s[76:77]
	;; [unrolled: 1-line block ×10, first 2 shown]
	v_cmp_eq_u32_e64 s[34:35], 0, v72
	s_waitcnt lgkmcnt(0)
	v_cndmask_b32_e32 v47, v47, v54, vcc
	v_cndmask_b32_e64 v1, v1, v29, s[64:65]
	v_cndmask_b32_e64 v0, v0, v15, s[88:89]
	;; [unrolled: 1-line block ×3, first 2 shown]
	v_cmp_eq_u32_e64 s[16:17], 1, v73
	v_cndmask_b32_e64 v46, v46, v54, s[6:7]
	v_cndmask_b32_e64 v1, v1, v30, s[84:85]
	ds_bpermute_b32 v60, v82, v0
	v_cndmask_b32_e64 v0, v17, v47, s[16:17]
	v_cmp_eq_u32_e64 s[20:21], 2, v73
	v_cndmask_b32_e64 v45, v45, v54, s[10:11]
	v_cndmask_b32_e64 v1, v1, v31, s[88:89]
	;; [unrolled: 1-line block ×3, first 2 shown]
	v_cmp_eq_u32_e64 s[22:23], 3, v73
	v_cndmask_b32_e64 v44, v44, v54, s[12:13]
	ds_bpermute_b32 v59, v82, v1
	v_cndmask_b32_e64 v0, v0, v45, s[22:23]
	v_cmp_eq_u32_e64 s[24:25], 4, v73
	v_cndmask_b32_e64 v43, v43, v54, s[42:43]
	v_cmp_eq_u32_e64 s[26:27], 5, v73
	v_cndmask_b32_e64 v0, v0, v44, s[24:25]
	v_cndmask_b32_e64 v42, v42, v54, s[50:51]
	;; [unrolled: 1-line block ×3, first 2 shown]
	v_cmp_eq_u32_e64 s[30:31], 6, v73
	v_cndmask_b32_e64 v41, v41, v54, s[52:53]
	v_cmp_eq_u32_e64 s[36:37], 7, v73
	v_cndmask_b32_e64 v0, v0, v42, s[30:31]
	v_cndmask_b32_e64 v40, v40, v54, s[54:55]
	;; [unrolled: 1-line block ×3, first 2 shown]
	v_cmp_eq_u32_e64 s[38:39], 8, v73
	v_cndmask_b32_e64 v39, v39, v54, s[56:57]
	s_waitcnt lgkmcnt(0)
	v_cndmask_b32_e64 v24, v24, v59, s[44:45]
	v_cndmask_b32_e64 v0, v0, v40, s[38:39]
	v_cndmask_b32_e64 v8, v8, v60, s[44:45]
	v_cmp_eq_u32_e64 s[44:45], 9, v73
	v_cndmask_b32_e64 v38, v38, v54, s[62:63]
	v_cndmask_b32_e64 v23, v23, v59, s[46:47]
	v_cndmask_b32_e64 v0, v0, v39, s[44:45]
	v_cndmask_b32_e64 v7, v7, v60, s[46:47]
	v_cmp_eq_u32_e64 s[46:47], 10, v73
	v_cndmask_b32_e64 v37, v37, v54, s[66:67]
	;; [unrolled: 5-line block ×3, first 2 shown]
	v_cndmask_b32_e64 v34, v34, v54, s[74:75]
	v_cndmask_b32_e64 v35, v35, v54, s[72:73]
	;; [unrolled: 1-line block ×6, first 2 shown]
	v_cmp_eq_u32_e64 s[40:41], 12, v73
	v_cndmask_b32_e64 v20, v20, v59, s[28:29]
	v_cndmask_b32_e64 v55, v57, v60, s[28:29]
	v_cndmask_b32_e64 v0, v0, v36, s[40:41]
	v_cmp_eq_u32_e64 s[28:29], 13, v73
	v_cndmask_b32_e64 v27, v27, v59, s[58:59]
	v_cndmask_b32_e64 v11, v11, v60, s[58:59]
	v_cndmask_b32_e64 v0, v0, v35, s[28:29]
	;; [unrolled: 4-line block ×4, first 2 shown]
	ds_bpermute_b32 v57, v82, v0
	v_cndmask_b32_e64 v32, v32, v59, s[60:61]
	v_cndmask_b32_e64 v18, v18, v59, s[14:15]
	;; [unrolled: 1-line block ×4, first 2 shown]
	s_waitcnt lgkmcnt(0)
	v_cndmask_b32_e64 v1, v43, v57, s[26:27]
	v_cndmask_b32_e64 v3, v45, v57, s[22:23]
	;; [unrolled: 1-line block ×5, first 2 shown]
	v_cndmask_b32_e32 v44, v32, v4, vcc
	v_cndmask_b32_e32 v5, v45, v43, vcc
	v_cndmask_b32_e64 v44, v44, v18, s[6:7]
	v_cndmask_b32_e64 v5, v5, v84, s[6:7]
	;; [unrolled: 1-line block ×38, first 2 shown]
	v_cmp_eq_u32_e64 s[76:77], 0, v73
	v_cndmask_b32_e64 v16, v46, v57, s[20:21]
	v_cndmask_b32_e64 v0, v47, v57, s[16:17]
	ds_bpermute_b32 v44, v82, v44
	ds_bpermute_b32 v46, v82, v5
	v_cndmask_b32_e64 v47, v17, v57, s[76:77]
	v_cmp_eq_u32_e64 s[8:9], 1, v74
	v_cmp_eq_u32_e64 s[14:15], 2, v74
	;; [unrolled: 1-line block ×3, first 2 shown]
	v_cndmask_b32_e64 v5, v47, v0, s[8:9]
	v_cndmask_b32_e64 v5, v5, v16, s[14:15]
	;; [unrolled: 1-line block ×3, first 2 shown]
	v_cmp_eq_u32_e64 s[60:61], 4, v74
	v_cmp_eq_u32_e64 s[68:69], 5, v74
	v_cndmask_b32_e64 v42, v42, v57, s[30:31]
	v_cndmask_b32_e64 v5, v5, v2, s[60:61]
	;; [unrolled: 1-line block ×3, first 2 shown]
	s_waitcnt lgkmcnt(1)
	v_cndmask_b32_e64 v27, v27, v44, s[66:67]
	s_waitcnt lgkmcnt(0)
	v_cndmask_b32_e64 v60, v11, v46, s[66:67]
	v_cmp_eq_u32_e64 s[66:67], 6, v74
	v_cndmask_b32_e32 v91, v4, v44, vcc
	v_cndmask_b32_e64 v32, v32, v44, s[34:35]
	v_cndmask_b32_e64 v41, v41, v57, s[36:37]
	v_cndmask_b32_e64 v5, v5, v42, s[66:67]
	v_cndmask_b32_e64 v26, v26, v44, s[62:63]
	v_cndmask_b32_e64 v85, v10, v46, s[62:63]
	v_cmp_eq_u32_e64 s[62:63], 7, v74
	v_cndmask_b32_e64 v18, v18, v44, s[6:7]
	v_cndmask_b32_e64 v4, v32, v91, s[16:17]
	v_cndmask_b32_e64 v40, v40, v57, s[38:39]
	v_cndmask_b32_e64 v5, v5, v41, s[62:63]
	v_cndmask_b32_e64 v25, v25, v44, s[56:57]
	v_cndmask_b32_e64 v86, v9, v46, s[56:57]
	v_cmp_eq_u32_e64 s[56:57], 8, v74
	v_cndmask_b32_e64 v19, v19, v44, s[10:11]
	;; [unrolled: 7-line block ×5, first 2 shown]
	v_cndmask_b32_e64 v36, v36, v57, s[40:41]
	v_cndmask_b32_e64 v5, v5, v37, s[50:51]
	v_cndmask_b32_e64 v54, v54, v46, s[42:43]
	v_cmp_eq_u32_e64 s[42:43], 12, v74
	v_cndmask_b32_e64 v4, v4, v22, s[30:31]
	v_cndmask_b32_e64 v35, v35, v57, s[28:29]
	v_cndmask_b32_e64 v5, v5, v36, s[42:43]
	v_cndmask_b32_e64 v55, v55, v46, s[12:13]
	v_cmp_eq_u32_e64 s[12:13], 13, v74
	v_cndmask_b32_e64 v4, v4, v23, s[36:37]
	;; [unrolled: 5-line block ×4, first 2 shown]
	v_cndmask_b32_e64 v4, v4, v26, s[46:47]
	v_cndmask_b32_e64 v5, v5, v33, s[6:7]
	;; [unrolled: 1-line block ×3, first 2 shown]
	ds_bpermute_b32 v90, v82, v5
	v_cndmask_b32_e64 v4, v4, v27, s[48:49]
	v_cndmask_b32_e64 v29, v29, v44, s[72:73]
	;; [unrolled: 1-line block ×9, first 2 shown]
	s_waitcnt lgkmcnt(0)
	v_cndmask_b32_e64 v15, v33, v90, s[6:7]
	ds_bpermute_b32 v33, v82, v4
	v_cndmask_b32_e64 v57, v14, v46, s[74:75]
	v_cndmask_b32_e64 v14, v34, v90, s[10:11]
	;; [unrolled: 1-line block ×4, first 2 shown]
	s_waitcnt lgkmcnt(0)
	v_cndmask_b32_e64 v34, v91, v33, s[16:17]
	v_cndmask_b32_e64 v32, v32, v33, s[76:77]
	;; [unrolled: 1-line block ×32, first 2 shown]
	ds_bpermute_b32 v33, v82, v1
	v_cndmask_b32_e64 v58, v13, v46, s[72:73]
	v_cndmask_b32_e32 v43, v43, v46, vcc
	v_cndmask_b32_e64 v13, v35, v90, s[12:13]
	v_cndmask_b32_e64 v35, v45, v46, s[34:35]
	s_waitcnt lgkmcnt(0)
	v_cndmask_b32_e64 v31, v16, v33, s[6:7]
	v_cndmask_b32_e64 v16, v35, v43, s[16:17]
	;; [unrolled: 1-line block ×17, first 2 shown]
	ds_bpermute_b32 v16, v82, v16
	v_cndmask_b32_e64 v11, v37, v90, s[50:51]
	v_cndmask_b32_e64 v7, v41, v90, s[62:63]
	;; [unrolled: 1-line block ×4, first 2 shown]
	s_waitcnt lgkmcnt(0)
	v_cndmask_b32_e64 v37, v57, v16, s[58:59]
	v_cndmask_b32_e64 v41, v85, v16, s[46:47]
	;; [unrolled: 1-line block ×33, first 2 shown]
	ds_bpermute_b32 v87, v82, v16
	v_cmp_eq_u32_e32 vcc, 0, v74
	v_cndmask_b32_e64 v1, v0, v90, s[8:9]
	v_readlane_b32 s24, v93, 10
	v_cndmask_b32_e32 v0, v47, v90, vcc
	s_waitcnt lgkmcnt(0)
	v_cndmask_b32_e64 v47, v36, v87, s[6:7]
	v_readlane_b32 s6, v93, 30
	v_readlane_b32 s7, v93, 31
	;; [unrolled: 1-line block ×4, first 2 shown]
	v_subrev_u32_e32 v83, s4, v83
	s_mov_b32 s1, 0
	v_cndmask_b32_e64 v6, v42, v90, s[66:67]
	v_cndmask_b32_e64 v3, v3, v90, s[18:19]
	;; [unrolled: 1-line block ×16, first 2 shown]
	v_cndmask_b32_e32 v16, v32, v33, vcc
	v_cndmask_b32_e64 v46, v37, v87, s[10:11]
	v_cndmask_b32_e64 v45, v38, v87, s[12:13]
	;; [unrolled: 1-line block ×14, first 2 shown]
	v_cndmask_b32_e32 v32, v86, v87, vcc
	v_lshl_add_u64 v[54:55], s[6:7], 0, v[48:49]
	s_mov_b64 s[6:7], 0
	s_mov_b32 s16, 0
	v_readlane_b32 s25, v93, 11
	v_readlane_b32 s27, v93, 13
	v_readlane_b32 s28, v93, 14
	v_readlane_b32 s29, v93, 15
	v_readlane_b32 s30, v93, 16
	v_readlane_b32 s35, v93, 18
	v_readlane_b32 s31, v93, 19
	v_readlane_b32 s36, v93, 20
	v_readlane_b32 s37, v93, 21
	v_readlane_b32 s38, v93, 22
	v_readlane_b32 s39, v93, 23
	s_mov_b64 s[20:21], 0x80
                                        ; implicit-def: $sgpr8_sgpr9
	s_branch .LBB274_29
.LBB274_27:                             ;   in Loop: Header=BB274_29 Depth=2
	s_or_b64 exec, exec, s[12:13]
	s_andn2_b64 s[8:9], s[8:9], exec
	s_and_b64 s[12:13], s[14:15], exec
	s_or_b64 s[8:9], s[8:9], s[12:13]
.LBB274_28:                             ;   in Loop: Header=BB274_29 Depth=2
	s_or_b64 exec, exec, s[10:11]
	s_and_b64 s[10:11], exec, s[8:9]
	s_or_b64 s[6:7], s[10:11], s[6:7]
	s_andn2_b64 exec, exec, s[6:7]
	s_cbranch_execz .LBB274_32
.LBB274_29:                             ;   Parent Loop BB274_7 Depth=1
                                        ; =>  This Inner Loop Header: Depth=2
	s_and_b32 s12, s1, 24
	v_or_b32_e32 v57, s12, v80
	v_add_u32_e32 v58, s5, v57
	v_cmp_gt_u32_e32 vcc, 32, v58
	s_or_b64 s[8:9], s[8:9], exec
	s_and_saveexec_b64 s[10:11], vcc
	s_cbranch_execz .LBB274_28
; %bb.30:                               ;   in Loop: Header=BB274_29 Depth=2
	s_add_i32 s13, s16, 1
	s_set_gpr_idx_on s16, gpr_idx(SRC0)
	v_mov_b32_e32 v58, v0
	s_set_gpr_idx_off
	v_cvt_f16_f32_e32 v60, v58
	s_set_gpr_idx_on s13, gpr_idx(SRC0)
	v_mov_b32_e32 v58, v0
	s_set_gpr_idx_off
	v_cvt_f16_f32_sdwa v61, v58 dst_sel:WORD_1 dst_unused:UNUSED_PAD src0_sel:DWORD
	v_mul_lo_u32 v58, v57, s93
	v_ashrrev_i32_e32 v59, 31, v58
	v_lshl_add_u64 v[58:59], v[58:59], 1, v[54:55]
	v_or_b32_e32 v57, v61, v60
	;;#ASMSTART
	global_atomic_pk_add_f16 v[58:59], v57, off
	
	;;#ASMEND
	s_set_gpr_idx_on s16, gpr_idx(SRC0)
	v_mov_b32_e32 v57, v16
	s_set_gpr_idx_off
	v_cvt_f16_f32_e32 v57, v57
	s_set_gpr_idx_on s13, gpr_idx(SRC0)
	v_mov_b32_e32 v60, v16
	s_set_gpr_idx_off
	v_cvt_f16_f32_sdwa v84, v60 dst_sel:WORD_1 dst_unused:UNUSED_PAD src0_sel:DWORD
	v_lshl_add_u64 v[60:61], v[58:59], 0, 64
	v_lshl_add_u64 v[58:59], v[58:59], 0, s[20:21]
	s_mov_b64 s[14:15], -1
	v_or_b32_e32 v57, v84, v57
	;;#ASMSTART
	global_atomic_pk_add_f16 v[60:61], v57, off
	
	;;#ASMEND
	s_set_gpr_idx_on s16, gpr_idx(SRC0)
	v_mov_b32_e32 v57, v32
	s_set_gpr_idx_off
	v_cvt_f16_f32_e32 v57, v57
	s_set_gpr_idx_on s13, gpr_idx(SRC0)
	v_mov_b32_e32 v60, v32
	s_set_gpr_idx_off
	v_cvt_f16_f32_sdwa v60, v60 dst_sel:WORD_1 dst_unused:UNUSED_PAD src0_sel:DWORD
	s_nop 0
	v_or_b32_e32 v57, v60, v57
	;;#ASMSTART
	global_atomic_pk_add_f16 v[58:59], v57, off
	
	;;#ASMEND
	v_or_b32_e32 v57, s12, v81
	v_add_u32_e32 v58, s5, v57
	v_cmp_gt_u32_e32 vcc, 32, v58
	s_and_saveexec_b64 s[12:13], vcc
	s_cbranch_execz .LBB274_27
; %bb.31:                               ;   in Loop: Header=BB274_29 Depth=2
	s_add_i32 s14, s16, 2
	s_add_i32 s15, s16, 3
	s_set_gpr_idx_on s14, gpr_idx(SRC0)
	v_mov_b32_e32 v58, v0
	s_set_gpr_idx_off
	v_cvt_f16_f32_e32 v60, v58
	s_set_gpr_idx_on s15, gpr_idx(SRC0)
	v_mov_b32_e32 v58, v0
	s_set_gpr_idx_off
	v_cvt_f16_f32_sdwa v61, v58 dst_sel:WORD_1 dst_unused:UNUSED_PAD src0_sel:DWORD
	v_mul_lo_u32 v58, v57, s93
	v_ashrrev_i32_e32 v59, 31, v58
	v_lshl_add_u64 v[58:59], v[58:59], 1, v[54:55]
	v_or_b32_e32 v57, v61, v60
	;;#ASMSTART
	global_atomic_pk_add_f16 v[58:59], v57, off
	
	;;#ASMEND
	s_set_gpr_idx_on s14, gpr_idx(SRC0)
	v_mov_b32_e32 v57, v16
	s_set_gpr_idx_off
	v_cvt_f16_f32_e32 v57, v57
	s_set_gpr_idx_on s15, gpr_idx(SRC0)
	v_mov_b32_e32 v60, v16
	s_set_gpr_idx_off
	v_cvt_f16_f32_sdwa v84, v60 dst_sel:WORD_1 dst_unused:UNUSED_PAD src0_sel:DWORD
	v_lshl_add_u64 v[60:61], v[58:59], 0, 64
	s_add_i32 s16, s16, 4
	s_add_i32 s1, s1, 8
	v_or_b32_e32 v57, v84, v57
	;;#ASMSTART
	global_atomic_pk_add_f16 v[60:61], v57, off
	
	;;#ASMEND
	s_set_gpr_idx_on s14, gpr_idx(SRC0)
	v_mov_b32_e32 v57, v32
	s_set_gpr_idx_off
	v_cvt_f16_f32_e32 v57, v57
	s_set_gpr_idx_on s15, gpr_idx(SRC0)
	v_mov_b32_e32 v60, v32
	s_set_gpr_idx_off
	v_cvt_f16_f32_sdwa v60, v60 dst_sel:WORD_1 dst_unused:UNUSED_PAD src0_sel:DWORD
	s_cmp_eq_u32 s16, 16
	s_cselect_b64 s[14:15], -1, 0
	s_orn2_b64 s[14:15], s[14:15], exec
	v_lshl_add_u64 v[58:59], v[58:59], 0, s[20:21]
	v_or_b32_e32 v57, v60, v57
	;;#ASMSTART
	global_atomic_pk_add_f16 v[58:59], v57, off
	
	;;#ASMEND
	s_branch .LBB274_27
.LBB274_32:                             ;   in Loop: Header=BB274_7 Depth=1
	s_or_b64 exec, exec, s[6:7]
	v_readlane_b32 s16, v93, 2
	v_readlane_b32 s14, v93, 0
	;; [unrolled: 1-line block ×11, first 2 shown]
.LBB274_33:                             ;   in Loop: Header=BB274_7 Depth=1
	v_readlane_b32 s6, v93, 27
	v_readlane_b32 s7, v93, 28
	s_or_b64 exec, exec, s[6:7]
.LBB274_34:                             ;   in Loop: Header=BB274_7 Depth=1
	s_or_saveexec_b64 s[2:3], s[2:3]
	v_readlane_b32 s13, v93, 26
	s_xor_b64 exec, exec, s[2:3]
	s_cbranch_execz .LBB274_43
; %bb.35:                               ;   in Loop: Header=BB274_7 Depth=1
	s_mul_i32 s12, s4, 3
	v_cmp_gt_i32_e32 vcc, s12, v83
	s_and_saveexec_b64 s[6:7], vcc
	s_cbranch_execz .LBB274_42
; %bb.36:                               ;   in Loop: Header=BB274_7 Depth=1
	s_mul_i32 s0, s0, s95
	s_ashr_i32 s1, s0, 31
	s_add_u32 s0, s18, s0
	s_addc_u32 s1, s19, s1
	s_ashr_i32 s8, s13, 31
	s_add_u32 s0, s0, s13
	s_addc_u32 s1, s1, s8
	v_lshl_add_u64 v[0:1], s[0:1], 0, v[52:53]
	v_lshl_add_u64 v[8:9], v[0:1], 0, v[50:51]
	s_mov_b64 s[0:1], 0
	s_branch .LBB274_38
.LBB274_37:                             ;   in Loop: Header=BB274_38 Depth=2
	s_or_b64 exec, exec, s[8:9]
	v_lshl_add_u32 v12, v10, 11, v77
	;;#ASMSTART
	s_waitcnt vmcnt(1)
	;;#ASMEND
	ds_write2_b32 v12, v4, v5 offset1:32
	ds_write2_b32 v12, v6, v7 offset0:64 offset1:96
	v_add_u32_e32 v4, 0x400, v12
	v_add_u32_e32 v83, s98, v83
	;;#ASMSTART
	s_waitcnt vmcnt(0)
	;;#ASMEND
	ds_write2_b32 v4, v0, v1 offset1:32
	ds_write2_b32 v4, v2, v3 offset0:64 offset1:96
	v_add_u32_e32 v0, 1, v63
	v_add_u32_e32 v56, s98, v10
	v_cmp_le_i32_e32 vcc, s12, v83
	ds_write_b32 v11, v0 offset:12
	v_add_u32_e32 v0, 2, v63
	s_or_b64 s[0:1], vcc, s[0:1]
	v_cmp_lt_i32_e32 vcc, 2, v56
	s_nop 1
	v_cndmask_b32_e32 v63, v63, v0, vcc
	s_andn2_b64 exec, exec, s[0:1]
	s_cbranch_execz .LBB274_41
.LBB274_38:                             ;   Parent Loop BB274_7 Depth=1
                                        ; =>  This Loop Header: Depth=2
                                        ;       Child Loop BB274_40 Depth 3
	v_cmp_gt_i32_e32 vcc, 3, v56
	s_nop 1
	v_cndmask_b32_e64 v0, -3, 0, vcc
	v_add_u32_e32 v10, v0, v56
	v_mul_hi_i32 v0, v83, s91
	v_lshrrev_b32_e32 v1, 31, v0
	v_add_u32_e32 v0, v0, v1
	v_lshl_add_u32 v1, v0, 1, v0
	v_sub_u32_e32 v2, v83, v1
	v_lshlrev_b32_e32 v0, 6, v0
	v_ashrrev_i32_e32 v1, 31, v0
	v_mul_lo_u32 v2, s31, v2
	v_lshl_add_u64 v[0:1], v[8:9], 0, v[0:1]
	v_ashrrev_i32_e32 v3, 31, v2
	v_lshl_add_u64 v[0:1], v[0:1], 0, v[2:3]
	v_lshlrev_b32_e32 v11, 2, v10
	;;#ASMSTART
	global_load_dwordx4 v[4:7], v[0:1], off offset:0   sc0 sc1 nt  
	global_load_dwordx4 v[0:3], v[0:1], off offset:32  sc0 sc1 nt  
	
	;;#ASMEND
	ds_read_b32 v12, v11 offset:12300
	v_add_u32_e32 v11, 0x3000, v11
	s_waitcnt lgkmcnt(0)
	v_cmp_ne_u32_e32 vcc, v12, v63
	s_and_saveexec_b64 s[8:9], vcc
	s_cbranch_execz .LBB274_37
; %bb.39:                               ;   in Loop: Header=BB274_38 Depth=2
	s_mov_b64 s[10:11], 0
.LBB274_40:                             ;   Parent Loop BB274_7 Depth=1
                                        ;     Parent Loop BB274_38 Depth=2
                                        ; =>    This Inner Loop Header: Depth=3
	;;#ASMSTART
	s_sleep 0
	;;#ASMEND
	ds_read_b32 v12, v11 offset:12
	s_waitcnt lgkmcnt(0)
	v_cmp_eq_u32_e32 vcc, v12, v63
	s_or_b64 s[10:11], vcc, s[10:11]
	s_andn2_b64 exec, exec, s[10:11]
	s_cbranch_execnz .LBB274_40
	s_branch .LBB274_37
.LBB274_41:                             ;   in Loop: Header=BB274_7 Depth=1
	s_or_b64 exec, exec, s[0:1]
.LBB274_42:                             ;   in Loop: Header=BB274_7 Depth=1
	s_or_b64 exec, exec, s[6:7]
	v_subrev_u32_e32 v83, s12, v83
.LBB274_43:                             ;   in Loop: Header=BB274_7 Depth=1
	s_or_b64 exec, exec, s[2:3]
.LBB274_44:                             ;   in Loop: Header=BB274_7 Depth=1
	v_readlane_b32 s0, v93, 24
	v_readlane_b32 s1, v93, 25
	s_andn2_saveexec_b64 s[0:1], s[0:1]
	s_cbranch_execz .LBB274_6
; %bb.45:                               ;   in Loop: Header=BB274_7 Depth=1
	s_mul_i32 s10, s4, 3
	v_cmp_gt_i32_e32 vcc, s10, v83
	s_and_saveexec_b64 s[2:3], vcc
	s_cbranch_execz .LBB274_5
; %bb.46:                               ;   in Loop: Header=BB274_7 Depth=1
	s_mul_i32 s4, s40, s94
	s_ashr_i32 s6, s4, 31
	s_add_u32 s4, s16, s4
	s_addc_u32 s7, s17, s6
	s_ashr_i32 s8, s13, 31
	s_add_u32 s6, s4, s13
	v_add_u32_e32 v2, s5, v64
	s_movk_i32 s4, 0x60
	v_cmp_gt_u32_e32 vcc, s4, v2
	s_addc_u32 s7, s7, s8
	v_sub_u32_e32 v10, 0x5f, v2
	v_cndmask_b32_e32 v0, 0, v78, vcc
	v_ashrrev_i32_e32 v1, 31, v0
	v_lshl_add_u64 v[0:1], s[6:7], 0, v[0:1]
	v_lshl_add_u64 v[8:9], v[0:1], 0, v[50:51]
	s_mov_b64 s[4:5], 0
	s_branch .LBB274_48
.LBB274_47:                             ;   in Loop: Header=BB274_48 Depth=2
	s_or_b64 exec, exec, s[6:7]
	v_lshl_or_b32 v13, v11, 11, v79
	;;#ASMSTART
	s_waitcnt vmcnt(1)
	;;#ASMEND
	ds_write2_b32 v13, v4, v5 offset1:32
	ds_write2_b32 v13, v6, v7 offset0:64 offset1:96
	v_add_u32_e32 v4, 0x400, v13
	v_add_u32_e32 v83, s97, v83
	;;#ASMSTART
	s_waitcnt vmcnt(0)
	;;#ASMEND
	ds_write2_b32 v4, v0, v1 offset1:32
	ds_write2_b32 v4, v2, v3 offset0:64 offset1:96
	v_add_u32_e32 v0, 1, v63
	v_add_u32_e32 v56, s97, v11
	v_cmp_le_i32_e32 vcc, s10, v83
	ds_write_b32 v12, v0
	v_add_u32_e32 v0, 2, v63
	s_or_b64 s[4:5], vcc, s[4:5]
	v_cmp_lt_i32_e32 vcc, 2, v56
	s_nop 1
	v_cndmask_b32_e32 v63, v63, v0, vcc
	s_andn2_b64 exec, exec, s[4:5]
	s_cbranch_execz .LBB274_4
.LBB274_48:                             ;   Parent Loop BB274_7 Depth=1
                                        ; =>  This Loop Header: Depth=2
                                        ;       Child Loop BB274_50 Depth 3
	v_cmp_gt_i32_e32 vcc, 3, v56
	s_nop 1
	v_cndmask_b32_e64 v0, -3, 0, vcc
	v_add_u32_e32 v11, v0, v56
	v_mul_hi_i32 v0, v83, s91
	v_lshrrev_b32_e32 v1, 31, v0
	v_add_u32_e32 v0, v0, v1
	v_lshl_add_u32 v1, v0, 1, v0
	v_sub_u32_e32 v1, v83, v1
	v_lshlrev_b32_e32 v1, 5, v1
	v_cmp_le_i32_e32 vcc, v1, v10
	v_lshlrev_b32_e32 v0, 6, v0
	v_lshlrev_b32_e32 v12, 2, v11
	v_cndmask_b32_e32 v2, 0, v1, vcc
	v_ashrrev_i32_e32 v1, 31, v0
	v_mul_lo_u32 v2, v2, s94
	v_lshl_add_u64 v[0:1], v[8:9], 0, v[0:1]
	v_ashrrev_i32_e32 v3, 31, v2
	v_lshl_add_u64 v[0:1], v[0:1], 0, v[2:3]
	;;#ASMSTART
	global_load_dwordx4 v[4:7], v[0:1], off offset:0   
	global_load_dwordx4 v[0:3], v[0:1], off offset:32  
	
	;;#ASMEND
	ds_read_b32 v13, v12 offset:12288
	v_add_u32_e32 v12, 0x3000, v12
	s_waitcnt lgkmcnt(0)
	v_cmp_ne_u32_e32 vcc, v13, v63
	s_and_saveexec_b64 s[6:7], vcc
	s_cbranch_execz .LBB274_47
; %bb.49:                               ;   in Loop: Header=BB274_48 Depth=2
	s_mov_b64 s[8:9], 0
.LBB274_50:                             ;   Parent Loop BB274_7 Depth=1
                                        ;     Parent Loop BB274_48 Depth=2
                                        ; =>    This Inner Loop Header: Depth=3
	;;#ASMSTART
	s_sleep 0
	;;#ASMEND
	ds_read_b32 v13, v12
	s_waitcnt lgkmcnt(0)
	v_cmp_eq_u32_e32 vcc, v13, v63
	s_or_b64 s[8:9], vcc, s[8:9]
	s_andn2_b64 exec, exec, s[8:9]
	s_cbranch_execnz .LBB274_50
	s_branch .LBB274_47
.LBB274_51:
	s_endpgm
	.section	.rodata,"a",@progbits
	.p2align	6, 0x0
	.amdhsa_kernel _Z19_skinny_gemm_kernelILi3ELi3ELi1ELi32ELi4EEvPKhS1_P6__halfPKfiiiiiiii
		.amdhsa_group_segment_fixed_size 12312
		.amdhsa_private_segment_fixed_size 0
		.amdhsa_kernarg_size 64
		.amdhsa_user_sgpr_count 2
		.amdhsa_user_sgpr_dispatch_ptr 0
		.amdhsa_user_sgpr_queue_ptr 0
		.amdhsa_user_sgpr_kernarg_segment_ptr 1
		.amdhsa_user_sgpr_dispatch_id 0
		.amdhsa_user_sgpr_kernarg_preload_length 0
		.amdhsa_user_sgpr_kernarg_preload_offset 0
		.amdhsa_user_sgpr_private_segment_size 0
		.amdhsa_uses_dynamic_stack 0
		.amdhsa_enable_private_segment 0
		.amdhsa_system_sgpr_workgroup_id_x 1
		.amdhsa_system_sgpr_workgroup_id_y 0
		.amdhsa_system_sgpr_workgroup_id_z 0
		.amdhsa_system_sgpr_workgroup_info 0
		.amdhsa_system_vgpr_workitem_id 0
		.amdhsa_next_free_vgpr 94
		.amdhsa_next_free_sgpr 100
		.amdhsa_accum_offset 96
		.amdhsa_reserve_vcc 1
		.amdhsa_float_round_mode_32 0
		.amdhsa_float_round_mode_16_64 0
		.amdhsa_float_denorm_mode_32 3
		.amdhsa_float_denorm_mode_16_64 3
		.amdhsa_dx10_clamp 1
		.amdhsa_ieee_mode 1
		.amdhsa_fp16_overflow 0
		.amdhsa_tg_split 0
		.amdhsa_exception_fp_ieee_invalid_op 0
		.amdhsa_exception_fp_denorm_src 0
		.amdhsa_exception_fp_ieee_div_zero 0
		.amdhsa_exception_fp_ieee_overflow 0
		.amdhsa_exception_fp_ieee_underflow 0
		.amdhsa_exception_fp_ieee_inexact 0
		.amdhsa_exception_int_div_zero 0
	.end_amdhsa_kernel
	.section	.text._Z19_skinny_gemm_kernelILi3ELi3ELi1ELi32ELi4EEvPKhS1_P6__halfPKfiiiiiiii,"axG",@progbits,_Z19_skinny_gemm_kernelILi3ELi3ELi1ELi32ELi4EEvPKhS1_P6__halfPKfiiiiiiii,comdat
.Lfunc_end274:
	.size	_Z19_skinny_gemm_kernelILi3ELi3ELi1ELi32ELi4EEvPKhS1_P6__halfPKfiiiiiiii, .Lfunc_end274-_Z19_skinny_gemm_kernelILi3ELi3ELi1ELi32ELi4EEvPKhS1_P6__halfPKfiiiiiiii
                                        ; -- End function
	.set _Z19_skinny_gemm_kernelILi3ELi3ELi1ELi32ELi4EEvPKhS1_P6__halfPKfiiiiiiii.num_vgpr, 94
	.set _Z19_skinny_gemm_kernelILi3ELi3ELi1ELi32ELi4EEvPKhS1_P6__halfPKfiiiiiiii.num_agpr, 0
	.set _Z19_skinny_gemm_kernelILi3ELi3ELi1ELi32ELi4EEvPKhS1_P6__halfPKfiiiiiiii.numbered_sgpr, 100
	.set _Z19_skinny_gemm_kernelILi3ELi3ELi1ELi32ELi4EEvPKhS1_P6__halfPKfiiiiiiii.num_named_barrier, 0
	.set _Z19_skinny_gemm_kernelILi3ELi3ELi1ELi32ELi4EEvPKhS1_P6__halfPKfiiiiiiii.private_seg_size, 0
	.set _Z19_skinny_gemm_kernelILi3ELi3ELi1ELi32ELi4EEvPKhS1_P6__halfPKfiiiiiiii.uses_vcc, 1
	.set _Z19_skinny_gemm_kernelILi3ELi3ELi1ELi32ELi4EEvPKhS1_P6__halfPKfiiiiiiii.uses_flat_scratch, 0
	.set _Z19_skinny_gemm_kernelILi3ELi3ELi1ELi32ELi4EEvPKhS1_P6__halfPKfiiiiiiii.has_dyn_sized_stack, 0
	.set _Z19_skinny_gemm_kernelILi3ELi3ELi1ELi32ELi4EEvPKhS1_P6__halfPKfiiiiiiii.has_recursion, 0
	.set _Z19_skinny_gemm_kernelILi3ELi3ELi1ELi32ELi4EEvPKhS1_P6__halfPKfiiiiiiii.has_indirect_call, 0
	.section	.AMDGPU.csdata,"",@progbits
; Kernel info:
; codeLenInByte = 11640
; TotalNumSgprs: 106
; NumVgprs: 94
; NumAgprs: 0
; TotalNumVgprs: 94
; ScratchSize: 0
; MemoryBound: 0
; FloatMode: 240
; IeeeMode: 1
; LDSByteSize: 12312 bytes/workgroup (compile time only)
; SGPRBlocks: 13
; VGPRBlocks: 11
; NumSGPRsForWavesPerEU: 106
; NumVGPRsForWavesPerEU: 94
; AccumOffset: 96
; Occupancy: 5
; WaveLimiterHint : 0
; COMPUTE_PGM_RSRC2:SCRATCH_EN: 0
; COMPUTE_PGM_RSRC2:USER_SGPR: 2
; COMPUTE_PGM_RSRC2:TRAP_HANDLER: 0
; COMPUTE_PGM_RSRC2:TGID_X_EN: 1
; COMPUTE_PGM_RSRC2:TGID_Y_EN: 0
; COMPUTE_PGM_RSRC2:TGID_Z_EN: 0
; COMPUTE_PGM_RSRC2:TIDIG_COMP_CNT: 0
; COMPUTE_PGM_RSRC3_GFX90A:ACCUM_OFFSET: 23
; COMPUTE_PGM_RSRC3_GFX90A:TG_SPLIT: 0
	.section	.text._Z19_skinny_gemm_kernelILi3ELi3ELi1ELi32ELi8EEvPKhS1_P6__halfPKfiiiiiiii,"axG",@progbits,_Z19_skinny_gemm_kernelILi3ELi3ELi1ELi32ELi8EEvPKhS1_P6__halfPKfiiiiiiii,comdat
	.protected	_Z19_skinny_gemm_kernelILi3ELi3ELi1ELi32ELi8EEvPKhS1_P6__halfPKfiiiiiiii ; -- Begin function _Z19_skinny_gemm_kernelILi3ELi3ELi1ELi32ELi8EEvPKhS1_P6__halfPKfiiiiiiii
	.globl	_Z19_skinny_gemm_kernelILi3ELi3ELi1ELi32ELi8EEvPKhS1_P6__halfPKfiiiiiiii
	.p2align	8
	.type	_Z19_skinny_gemm_kernelILi3ELi3ELi1ELi32ELi8EEvPKhS1_P6__halfPKfiiiiiiii,@function
_Z19_skinny_gemm_kernelILi3ELi3ELi1ELi32ELi8EEvPKhS1_P6__halfPKfiiiiiiii: ; @_Z19_skinny_gemm_kernelILi3ELi3ELi1ELi32ELi8EEvPKhS1_P6__halfPKfiiiiiiii
; %bb.0:
	v_cmp_gt_u32_e32 vcc, 6, v0
	s_and_saveexec_b64 s[4:5], vcc
; %bb.1:
	v_lshlrev_b32_e32 v1, 2, v0
	v_mov_b32_e32 v2, 0
	ds_write_b32 v1, v2 offset:24576
; %bb.2:
	s_or_b64 exec, exec, s[4:5]
	s_load_dwordx8 s[92:99], s[0:1], 0x20
	s_waitcnt lgkmcnt(0)
	s_barrier
	s_add_i32 s3, s92, 0x5f
	s_mul_hi_i32 s3, s3, 0x2aaaaaab
	s_add_i32 s4, s93, 0x5f
	s_lshr_b32 s5, s3, 31
	s_ashr_i32 s3, s3, 4
	s_add_i32 s14, s3, s5
	s_mul_hi_i32 s3, s4, 0x2aaaaaab
	s_lshr_b32 s4, s3, 31
	s_ashr_i32 s3, s3, 4
	s_add_i32 s15, s3, s4
	s_mul_i32 s3, s15, s14
	s_mul_i32 s3, s3, s96
	s_add_i32 s4, s3, 0x12f
	s_mul_hi_i32 s4, s4, 0x6bca1af3
	s_lshr_b32 s5, s4, 31
	s_ashr_i32 s4, s4, 7
	s_add_i32 s4, s4, s5
	s_add_i32 s5, s2, 1
	s_mul_i32 s5, s4, s5
	v_cvt_f64_i32_e32 v[2:3], s3
	v_cvt_f64_u32_e32 v[4:5], s5
	v_min_f64 v[2:3], v[2:3], v[4:5]
	v_cvt_i32_f64_e32 v70, v[2:3]
	s_mul_i32 s33, s4, s2
	v_cmp_ge_i32_e32 vcc, s33, v70
	s_cbranch_vccnz .LBB275_51
; %bb.3:
	s_load_dwordx8 s[16:23], s[0:1], 0x0
	v_lshrrev_b32_e32 v1, 6, v0
	s_add_i32 s0, s98, s97
	v_cmp_le_i32_e64 s[24:25], s0, v1
	v_mov_b32_e32 v2, s97
	v_cmp_le_i32_e64 s[26:27], s97, v1
	v_mov_b32_e32 v3, s98
	v_cndmask_b32_e64 v3, 0, v3, s[24:25]
	v_cndmask_b32_e64 v2, 0, v2, s[26:27]
	s_abs_i32 s1, s96
	v_add_u32_e32 v2, v2, v3
	v_cvt_f32_u32_e32 v3, s1
	v_sub_u32_e32 v56, v1, v2
	s_ashr_i32 s2, s94, 31
	s_lshr_b32 s2, s2, 25
	v_rcp_iflag_f32_e32 v2, v3
	s_sub_i32 s5, 0, s1
	s_add_i32 s2, s94, s2
	s_ashr_i32 s2, s2, 7
	v_mul_f32_e32 v2, 0x4f7ffffe, v2
	v_cvt_u32_f32_e32 v2, v2
	s_abs_i32 s4, s2
	s_xor_b32 s3, s2, s96
	s_ashr_i32 s3, s3, 31
	v_readfirstlane_b32 s6, v2
	s_mul_i32 s5, s5, s6
	s_mul_hi_u32 s5, s6, s5
	s_add_i32 s6, s6, s5
	s_mul_hi_u32 s5, s4, s6
	s_mul_i32 s6, s5, s1
	s_sub_i32 s4, s4, s6
	s_add_i32 s6, s5, 1
	s_sub_i32 s7, s4, s1
	s_cmp_ge_u32 s4, s1
	s_cselect_b32 s5, s6, s5
	s_cselect_b32 s4, s7, s4
	s_add_i32 s6, s5, 1
	s_cmp_ge_u32 s4, s1
	s_cselect_b32 s1, s6, s5
	s_add_i32 s0, s0, s99
	v_and_b32_e32 v72, 31, v0
	v_lshrrev_b32_e32 v2, 3, v0
	v_cmp_gt_i32_e64 s[34:35], s0, v1
	v_lshlrev_b32_e32 v1, 2, v72
	v_and_b32_e32 v3, 4, v2
	v_lshlrev_b32_e32 v2, 6, v3
	v_or_b32_e32 v4, 0x3000, v1
	v_and_b32_e32 v5, 1, v0
                                        ; implicit-def: $vgpr101 : SGPR spill to VGPR lane
	s_add_i32 s29, s96, -1
	v_or_b32_e32 v73, v1, v2
	v_or_b32_e32 v74, v4, v2
	v_lshlrev_b32_e32 v2, 1, v5
	v_lshrrev_b32_e32 v7, 1, v0
	s_abs_i32 s96, s14
	v_writelane_b32 v101, s14, 0
	v_sub_u32_e32 v2, v0, v2
	v_and_b32_e32 v50, 16, v7
	v_cvt_f32_u32_e32 v7, s96
	v_writelane_b32 v101, s15, 1
	v_add_u32_e32 v2, 1, v2
	s_waitcnt lgkmcnt(0)
	v_writelane_b32 v101, s16, 2
	v_and_b32_e32 v6, 63, v2
	v_bitop3_b32 v75, v0, 1, v0 bitop3:0xc
	v_bitop3_b32 v76, v0, 3, 1 bitop3:0x6c
	;; [unrolled: 1-line block ×8, first 2 shown]
	v_and_b32_e32 v2, 30, v0
	v_lshlrev_b32_e32 v0, 4, v0
	v_writelane_b32 v101, s17, 3
	v_and_b32_e32 v0, 0x200, v0
	v_writelane_b32 v101, s18, 4
	v_or_b32_e32 v85, v4, v0
	v_rcp_iflag_f32_e32 v4, v7
	s_abs_i32 s90, s15
	v_writelane_b32 v101, s19, 5
	v_or_b32_e32 v87, v1, v0
	v_cvt_f32_u32_e32 v1, s90
	v_writelane_b32 v101, s20, 6
	v_writelane_b32 v101, s21, 7
	;; [unrolled: 1-line block ×3, first 2 shown]
	v_mul_f32_e32 v0, 0x4f7ffffe, v4
	v_writelane_b32 v101, s23, 9
	v_cndmask_b32_e64 v71, 0, 1, s[24:25]
	v_cvt_u32_f32_e32 v0, v0
	v_rcp_iflag_f32_e32 v1, v1
	v_writelane_b32 v101, s24, 10
	s_xor_b32 s1, s1, s3
	s_sub_i32 s28, s1, s3
	v_writelane_b32 v101, s25, 11
	v_writelane_b32 v101, s26, 12
	s_mul_i32 s1, s28, s29
	s_sub_i32 s30, s2, s1
	v_writelane_b32 v101, s27, 13
	v_readfirstlane_b32 s1, v0
	v_mul_f32_e32 v0, 0x4f7ffffe, v1
	v_writelane_b32 v101, s28, 14
	v_cvt_u32_f32_e32 v0, v0
	v_writelane_b32 v101, s29, 15
	s_sub_i32 s0, 0, s96
	v_writelane_b32 v101, s30, 16
	s_mul_i32 s0, s0, s1
	v_writelane_b32 v101, s34, 17
	s_lshl_b32 s31, s95, 5
	s_mul_hi_u32 s0, s1, s0
	v_writelane_b32 v101, s35, 18
	s_ashr_i32 s36, s14, 31
	s_add_i32 s37, s1, s0
	s_sub_i32 s0, 0, s90
	v_readfirstlane_b32 s1, v0
	v_mbcnt_lo_u32_b32 v0, -1, 0
	v_writelane_b32 v101, s31, 19
	s_mul_i32 s0, s0, s1
	v_mbcnt_hi_u32_b32 v0, -1, v0
	v_writelane_b32 v101, s36, 20
	v_mov_b32_e32 v49, 0
	v_mul_lo_u32 v52, s95, v72
	v_or_b32_e32 v88, v5, v3
	s_ashr_i32 s38, s15, 31
	s_mul_hi_u32 s0, s1, s0
	v_and_or_b32 v0, v0, 64, v6
	v_writelane_b32 v101, s37, 21
	v_or_b32_e32 v83, 32, v72
	v_or_b32_e32 v84, 64, v72
	v_ashrrev_i32_e32 v53, 31, v52
	v_mov_b32_e32 v51, v49
	v_mul_lo_u32 v86, s94, v72
	v_or_b32_e32 v89, 2, v88
	s_add_i32 s39, s1, s0
	v_lshlrev_b32_e32 v48, 1, v2
	s_mov_b32 s91, 0x55555556
	v_lshlrev_b32_e32 v90, 2, v0
	v_mov_b32_e32 v91, v56
	v_writelane_b32 v101, s38, 22
	v_writelane_b32 v101, s39, 23
	s_branch .LBB275_7
.LBB275_4:                              ;   in Loop: Header=BB275_7 Depth=1
	s_or_b64 exec, exec, s[4:5]
.LBB275_5:                              ;   in Loop: Header=BB275_7 Depth=1
	s_or_b64 exec, exec, s[2:3]
	v_subrev_u32_e32 v91, s10, v91
.LBB275_6:                              ;   in Loop: Header=BB275_7 Depth=1
	s_or_b64 exec, exec, s[0:1]
	s_add_i32 s33, s33, 1
	v_cmp_ge_i32_e32 vcc, s33, v70
	s_cbranch_vccnz .LBB275_51
.LBB275_7:                              ; =>This Loop Header: Depth=1
                                        ;     Child Loop BB275_13 Depth 2
                                        ;       Child Loop BB275_15 Depth 3
                                        ;       Child Loop BB275_18 Depth 3
	;; [unrolled: 1-line block ×4, first 2 shown]
                                        ;     Child Loop BB275_29 Depth 2
                                        ;     Child Loop BB275_38 Depth 2
                                        ;       Child Loop BB275_40 Depth 3
                                        ;     Child Loop BB275_48 Depth 2
                                        ;       Child Loop BB275_50 Depth 3
	s_abs_i32 s1, s33
	s_mul_hi_u32 s2, s1, s37
	s_mul_i32 s3, s2, s96
	s_ashr_i32 s0, s33, 31
	s_sub_i32 s1, s1, s3
	s_xor_b32 s0, s0, s36
	s_add_i32 s3, s2, 1
	s_sub_i32 s4, s1, s96
	s_cmp_ge_u32 s1, s96
	s_cselect_b32 s2, s3, s2
	s_cselect_b32 s1, s4, s1
	s_add_i32 s3, s2, 1
	s_cmp_ge_u32 s1, s96
	s_cselect_b32 s1, s3, s2
	s_xor_b32 s1, s1, s0
	s_sub_i32 s0, s1, s0
	s_abs_i32 s2, s0
	s_mul_i32 s1, s0, s14
	s_mul_hi_u32 s3, s2, s39
	s_sub_i32 s1, s33, s1
	s_mul_i32 s4, s3, s90
	s_mul_i32 s40, s1, 0x60
	s_ashr_i32 s1, s0, 31
	s_sub_i32 s2, s2, s4
	s_xor_b32 s1, s1, s38
	s_add_i32 s4, s3, 1
	s_sub_i32 s5, s2, s90
	s_cmp_ge_u32 s2, s90
	s_cselect_b32 s3, s4, s3
	s_cselect_b32 s2, s5, s2
	s_add_i32 s4, s3, 1
	s_cmp_ge_u32 s2, s90
	s_cselect_b32 s2, s4, s3
	s_xor_b32 s2, s2, s1
	s_sub_i32 s1, s2, s1
	s_mul_i32 s2, s1, s28
	s_lshl_b32 s13, s2, 7
	s_cmp_eq_u32 s1, s29
	s_cselect_b32 s4, s30, s28
	s_sub_i32 s2, s40, s92
	s_addk_i32 s2, 0x60
	s_max_i32 s5, s2, 0
	s_and_saveexec_b64 s[2:3], s[26:27]
	s_xor_b64 s[2:3], exec, s[2:3]
	v_writelane_b32 v101, s2, 24
	s_nop 1
	v_writelane_b32 v101, s3, 25
	s_cbranch_execz .LBB275_44
; %bb.8:                                ;   in Loop: Header=BB275_7 Depth=1
	s_mul_i32 s1, s1, s15
	s_sub_i32 s0, s0, s1
	s_mulk_i32 s0, 0x60
	s_sub_i32 s70, s0, s93
	s_addk_i32 s70, 0x60
	s_max_i32 s1, s70, 0
	s_sub_i32 s0, s0, s1
	v_writelane_b32 v101, s13, 26
	s_and_saveexec_b64 s[2:3], s[24:25]
	s_xor_b64 s[2:3], exec, s[2:3]
	s_cbranch_execz .LBB275_34
; %bb.9:                                ;   in Loop: Header=BB275_7 Depth=1
	s_mov_b64 s[6:7], exec
	v_writelane_b32 v101, s6, 27
	s_nop 1
	v_writelane_b32 v101, s7, 28
	s_and_b64 s[6:7], s[6:7], s[34:35]
	s_mov_b64 exec, s[6:7]
	s_cbranch_execz .LBB275_33
; %bb.10:                               ;   in Loop: Header=BB275_7 Depth=1
	global_load_dword v92, v49, s[22:23]
	v_mov_b32_e32 v47, 0
	v_cmp_gt_i32_e32 vcc, s4, v91
	v_mov_b32_e32 v46, v47
	v_mov_b32_e32 v45, v47
	;; [unrolled: 1-line block ×47, first 2 shown]
	s_and_saveexec_b64 s[6:7], vcc
	s_cbranch_execz .LBB275_26
; %bb.11:                               ;   in Loop: Header=BB275_7 Depth=1
	v_mov_b32_e32 v0, 0
	s_mov_b64 s[8:9], 0
	v_mov_b32_e32 v1, v0
	v_mov_b32_e32 v2, v0
	v_mov_b32_e32 v3, v0
	v_mov_b32_e32 v4, v0
	v_mov_b32_e32 v5, v0
	v_mov_b32_e32 v6, v0
	v_mov_b32_e32 v7, v0
	v_mov_b32_e32 v8, v0
	v_mov_b32_e32 v9, v0
	v_mov_b32_e32 v10, v0
	v_mov_b32_e32 v11, v0
	v_mov_b32_e32 v12, v0
	v_mov_b32_e32 v13, v0
	v_mov_b32_e32 v14, v0
	v_mov_b32_e32 v15, v0
	v_mov_b32_e32 v16, v0
	v_mov_b32_e32 v17, v0
	v_mov_b32_e32 v18, v0
	v_mov_b32_e32 v19, v0
	v_mov_b32_e32 v20, v0
	v_mov_b32_e32 v21, v0
	v_mov_b32_e32 v22, v0
	v_mov_b32_e32 v23, v0
	v_mov_b32_e32 v24, v0
	v_mov_b32_e32 v25, v0
	v_mov_b32_e32 v26, v0
	v_mov_b32_e32 v27, v0
	v_mov_b32_e32 v28, v0
	v_mov_b32_e32 v29, v0
	v_mov_b32_e32 v30, v0
	v_mov_b32_e32 v31, v0
	v_mov_b32_e32 v32, v0
	v_mov_b32_e32 v33, v0
	v_mov_b32_e32 v34, v0
	v_mov_b32_e32 v35, v0
	v_mov_b32_e32 v36, v0
	v_mov_b32_e32 v37, v0
	v_mov_b32_e32 v38, v0
	v_mov_b32_e32 v39, v0
	v_mov_b32_e32 v40, v0
	v_mov_b32_e32 v41, v0
	v_mov_b32_e32 v42, v0
	v_mov_b32_e32 v43, v0
	v_mov_b32_e32 v44, v0
	v_mov_b32_e32 v45, v0
	v_mov_b32_e32 v46, v0
	v_mov_b32_e32 v47, v0
	s_branch .LBB275_13
.LBB275_12:                             ;   in Loop: Header=BB275_13 Depth=2
	s_or_b64 exec, exec, s[10:11]
	v_add_u32_e32 v97, 0x2000, v96
	ds_read2_b32 v[98:99], v97 offset1:32
	v_add_u32_e32 v91, s99, v91
	s_waitcnt lgkmcnt(0)
	v_mfma_f32_32x32x16_fp8_fp8 v[0:15], v[68:69], v[98:99], v[0:15]
	ds_read2_b32 v[68:69], v97 offset0:128 offset1:160
	s_waitcnt lgkmcnt(0)
	v_mfma_f32_32x32x16_fp8_fp8 v[0:15], v[66:67], v[68:69], v[0:15]
	v_add_u32_e32 v68, 0x2400, v96
	ds_read2_b32 v[66:67], v68 offset1:32
	s_waitcnt lgkmcnt(0)
	v_mfma_f32_32x32x16_fp8_fp8 v[0:15], v[64:65], v[66:67], v[0:15]
	ds_read2_b32 v[64:65], v68 offset0:128 offset1:160
	s_waitcnt lgkmcnt(0)
	v_mfma_f32_32x32x16_fp8_fp8 v[0:15], v[62:63], v[64:65], v[0:15]
	v_add_u32_e32 v64, 0x2800, v96
	ds_read2_b32 v[62:63], v64 offset1:32
	;; [unrolled: 7-line block ×3, first 2 shown]
	ds_read2_b32 v[60:61], v60 offset0:128 offset1:160
	ds_write_b32 v94, v95 offset:24596
	s_waitcnt lgkmcnt(2)
	v_mfma_f32_32x32x16_fp8_fp8 v[0:15], v[56:57], v[58:59], v[0:15]
	v_add_u32_e32 v56, s99, v93
	v_add_u32_e32 v57, 2, v71
	v_cmp_lt_i32_e32 vcc, 0, v56
	s_nop 1
	v_cndmask_b32_e32 v71, v71, v57, vcc
	v_cmp_le_i32_e32 vcc, s4, v91
	s_waitcnt lgkmcnt(1)
	v_mfma_f32_32x32x16_fp8_fp8 v[0:15], v[54:55], v[60:61], v[0:15]
	s_or_b64 s[8:9], vcc, s[8:9]
	s_andn2_b64 exec, exec, s[8:9]
	s_cbranch_execz .LBB275_25
.LBB275_13:                             ;   Parent Loop BB275_7 Depth=1
                                        ; =>  This Loop Header: Depth=2
                                        ;       Child Loop BB275_15 Depth 3
                                        ;       Child Loop BB275_18 Depth 3
	;; [unrolled: 1-line block ×4, first 2 shown]
	v_cmp_lt_i32_e32 vcc, 0, v56
	s_nop 1
	v_subbrev_co_u32_e32 v93, vcc, 0, v56, vcc
	v_mul_lo_u32 v94, v93, 24
	ds_read_b32 v54, v94 offset:24576
	s_waitcnt lgkmcnt(0)
	v_cmp_ne_u32_e32 vcc, v54, v71
	s_and_saveexec_b64 s[10:11], vcc
	s_cbranch_execz .LBB275_16
; %bb.14:                               ;   in Loop: Header=BB275_13 Depth=2
	s_mov_b64 s[12:13], 0
.LBB275_15:                             ;   Parent Loop BB275_7 Depth=1
                                        ;     Parent Loop BB275_13 Depth=2
                                        ; =>    This Inner Loop Header: Depth=3
	;;#ASMSTART
	s_sleep 0
	;;#ASMEND
	ds_read_b32 v54, v94 offset:24576
	s_waitcnt lgkmcnt(0)
	v_cmp_eq_u32_e32 vcc, v54, v71
	s_or_b64 s[12:13], vcc, s[12:13]
	s_andn2_b64 exec, exec, s[12:13]
	s_cbranch_execnz .LBB275_15
.LBB275_16:                             ;   in Loop: Header=BB275_13 Depth=2
	s_or_b64 exec, exec, s[10:11]
	v_lshl_or_b32 v54, v93, 12, v73
	v_add_u32_e32 v55, 0x400, v54
	ds_read2_b32 v[68:69], v54 offset1:32
	ds_read2_b32 v[66:67], v54 offset0:128 offset1:160
	ds_read2_b32 v[64:65], v55 offset1:32
	ds_read2_b32 v[62:63], v55 offset0:128 offset1:160
	v_add_u32_e32 v55, 0x800, v54
	v_add_u32_e32 v54, 0xc00, v54
	ds_read2_b32 v[60:61], v55 offset1:32
	ds_read2_b32 v[58:59], v55 offset0:128 offset1:160
	ds_read2_b32 v[56:57], v54 offset1:32
	ds_read_b32 v96, v94 offset:24580
	ds_read2_b32 v[54:55], v54 offset0:128 offset1:160
	v_add_u32_e32 v95, 1, v71
	ds_write_b32 v94, v95 offset:24576
	s_waitcnt lgkmcnt(2)
	v_cmp_ne_u32_e32 vcc, v96, v71
	s_and_saveexec_b64 s[10:11], vcc
	s_cbranch_execz .LBB275_19
; %bb.17:                               ;   in Loop: Header=BB275_13 Depth=2
	s_mov_b64 s[12:13], 0
.LBB275_18:                             ;   Parent Loop BB275_7 Depth=1
                                        ;     Parent Loop BB275_13 Depth=2
                                        ; =>    This Inner Loop Header: Depth=3
	;;#ASMSTART
	s_sleep 0
	;;#ASMEND
	ds_read_b32 v96, v94 offset:24580
	s_waitcnt lgkmcnt(0)
	v_cmp_eq_u32_e32 vcc, v96, v71
	s_or_b64 s[12:13], vcc, s[12:13]
	s_andn2_b64 exec, exec, s[12:13]
	s_cbranch_execnz .LBB275_18
.LBB275_19:                             ;   in Loop: Header=BB275_13 Depth=2
	s_or_b64 exec, exec, s[10:11]
	s_movk_i32 s1, 0x3000
	v_mul_lo_u32 v96, v93, s1
	v_add_u32_e32 v96, v74, v96
	ds_read2_b32 v[98:99], v96 offset1:32
	v_add_u32_e32 v97, 0x400, v96
	ds_write_b32 v94, v95 offset:24580
	s_waitcnt lgkmcnt(1)
	v_mfma_f32_32x32x16_fp8_fp8 v[32:47], v[68:69], v[98:99], v[32:47]
	ds_read2_b32 v[98:99], v96 offset0:128 offset1:160
	s_waitcnt lgkmcnt(0)
	v_mfma_f32_32x32x16_fp8_fp8 v[32:47], v[66:67], v[98:99], v[32:47]
	ds_read2_b32 v[98:99], v97 offset1:32
	s_waitcnt lgkmcnt(0)
	v_mfma_f32_32x32x16_fp8_fp8 v[32:47], v[64:65], v[98:99], v[32:47]
	ds_read2_b32 v[98:99], v97 offset0:128 offset1:160
	v_add_u32_e32 v97, 0x800, v96
	s_waitcnt lgkmcnt(0)
	v_mfma_f32_32x32x16_fp8_fp8 v[32:47], v[62:63], v[98:99], v[32:47]
	ds_read2_b32 v[98:99], v97 offset1:32
	s_waitcnt lgkmcnt(0)
	v_mfma_f32_32x32x16_fp8_fp8 v[32:47], v[60:61], v[98:99], v[32:47]
	ds_read2_b32 v[98:99], v97 offset0:128 offset1:160
	v_add_u32_e32 v97, 0xc00, v96
	s_waitcnt lgkmcnt(0)
	v_mfma_f32_32x32x16_fp8_fp8 v[32:47], v[58:59], v[98:99], v[32:47]
	ds_read2_b32 v[98:99], v97 offset1:32
	s_waitcnt lgkmcnt(0)
	v_mfma_f32_32x32x16_fp8_fp8 v[32:47], v[56:57], v[98:99], v[32:47]
	ds_read2_b32 v[98:99], v97 offset0:128 offset1:160
	ds_read_b32 v97, v94 offset:24588
	s_waitcnt lgkmcnt(0)
	v_cmp_ne_u32_e32 vcc, v97, v71
	v_mfma_f32_32x32x16_fp8_fp8 v[32:47], v[54:55], v[98:99], v[32:47]
	s_and_saveexec_b64 s[10:11], vcc
	s_cbranch_execz .LBB275_22
; %bb.20:                               ;   in Loop: Header=BB275_13 Depth=2
	s_mov_b64 s[12:13], 0
.LBB275_21:                             ;   Parent Loop BB275_7 Depth=1
                                        ;     Parent Loop BB275_13 Depth=2
                                        ; =>    This Inner Loop Header: Depth=3
	;;#ASMSTART
	s_sleep 0
	;;#ASMEND
	ds_read_b32 v97, v94 offset:24588
	s_waitcnt lgkmcnt(0)
	v_cmp_eq_u32_e32 vcc, v97, v71
	s_or_b64 s[12:13], vcc, s[12:13]
	s_andn2_b64 exec, exec, s[12:13]
	s_cbranch_execnz .LBB275_21
.LBB275_22:                             ;   in Loop: Header=BB275_13 Depth=2
	s_or_b64 exec, exec, s[10:11]
	v_add_u32_e32 v97, 0x1000, v96
	ds_read2_b32 v[98:99], v97 offset1:32
	s_waitcnt lgkmcnt(0)
	v_mfma_f32_32x32x16_fp8_fp8 v[16:31], v[68:69], v[98:99], v[16:31]
	ds_read2_b32 v[98:99], v97 offset0:128 offset1:160
	v_add_u32_e32 v97, 0x1400, v96
	s_waitcnt lgkmcnt(0)
	v_mfma_f32_32x32x16_fp8_fp8 v[16:31], v[66:67], v[98:99], v[16:31]
	ds_read2_b32 v[98:99], v97 offset1:32
	s_waitcnt lgkmcnt(0)
	v_mfma_f32_32x32x16_fp8_fp8 v[16:31], v[64:65], v[98:99], v[16:31]
	ds_read2_b32 v[98:99], v97 offset0:128 offset1:160
	v_add_u32_e32 v97, 0x1800, v96
	s_waitcnt lgkmcnt(0)
	v_mfma_f32_32x32x16_fp8_fp8 v[16:31], v[62:63], v[98:99], v[16:31]
	;; [unrolled: 7-line block ×3, first 2 shown]
	ds_read2_b32 v[98:99], v97 offset1:32
	s_waitcnt lgkmcnt(0)
	v_mfma_f32_32x32x16_fp8_fp8 v[16:31], v[56:57], v[98:99], v[16:31]
	ds_read_b32 v100, v94 offset:24596
	ds_read2_b32 v[98:99], v97 offset0:128 offset1:160
	ds_write_b32 v94, v95 offset:24588
	s_waitcnt lgkmcnt(2)
	v_cmp_ne_u32_e32 vcc, v100, v71
	s_waitcnt lgkmcnt(1)
	v_mfma_f32_32x32x16_fp8_fp8 v[16:31], v[54:55], v[98:99], v[16:31]
	s_and_saveexec_b64 s[10:11], vcc
	s_cbranch_execz .LBB275_12
; %bb.23:                               ;   in Loop: Header=BB275_13 Depth=2
	s_mov_b64 s[12:13], 0
.LBB275_24:                             ;   Parent Loop BB275_7 Depth=1
                                        ;     Parent Loop BB275_13 Depth=2
                                        ; =>    This Inner Loop Header: Depth=3
	;;#ASMSTART
	s_sleep 0
	;;#ASMEND
	ds_read_b32 v97, v94 offset:24596
	s_waitcnt lgkmcnt(0)
	v_cmp_eq_u32_e32 vcc, v97, v71
	s_or_b64 s[12:13], vcc, s[12:13]
	s_andn2_b64 exec, exec, s[12:13]
	s_cbranch_execnz .LBB275_24
	s_branch .LBB275_12
.LBB275_25:                             ;   in Loop: Header=BB275_7 Depth=1
	s_or_b64 exec, exec, s[8:9]
.LBB275_26:                             ;   in Loop: Header=BB275_7 Depth=1
	s_or_b64 exec, exec, s[6:7]
	v_cmp_le_i32_e32 vcc, s70, v72
	v_cmp_eq_u32_e64 s[60:61], 1, v75
	v_cmp_eq_u32_e64 s[26:27], 2, v75
	s_waitcnt vmcnt(0)
	v_cndmask_b32_e32 v54, 0, v92, vcc
	v_pk_mul_f32 v[32:33], v[54:55], v[32:33] op_sel_hi:[0,1]
	v_pk_mul_f32 v[46:47], v[54:55], v[46:47] op_sel_hi:[0,1]
	;; [unrolled: 1-line block ×8, first 2 shown]
	v_cndmask_b32_e64 v54, v32, v33, s[60:61]
	v_writelane_b32 v101, s40, 29
	s_mul_i32 s6, s40, s93
	v_cndmask_b32_e64 v54, v54, v34, s[26:27]
	v_cmp_eq_u32_e64 s[40:41], 3, v75
	v_cmp_eq_u32_e64 s[42:43], 4, v75
	v_cmp_eq_u32_e64 s[44:45], 5, v75
	v_cndmask_b32_e64 v54, v54, v35, s[40:41]
	v_cndmask_b32_e64 v54, v54, v36, s[42:43]
	v_cndmask_b32_e64 v54, v54, v37, s[44:45]
	v_cmp_eq_u32_e64 s[46:47], 6, v75
	v_cmp_eq_u32_e64 s[48:49], 7, v75
	v_cmp_eq_u32_e64 s[50:51], 8, v75
	v_cndmask_b32_e64 v54, v54, v38, s[46:47]
	v_cndmask_b32_e64 v54, v54, v39, s[48:49]
	;; [unrolled: 6-line block ×4, first 2 shown]
	v_cndmask_b32_e64 v54, v54, v46, s[64:65]
	v_cmp_eq_u32_e64 s[66:67], 15, v75
	s_ashr_i32 s7, s6, 31
	s_lshl_b64 s[6:7], s[6:7], 1
	v_cndmask_b32_e64 v54, v54, v47, s[66:67]
	ds_bpermute_b32 v54, v90, v54
	v_cmp_eq_u32_e64 s[36:37], 0, v75
	s_add_u32 s71, s20, s6
	v_cmp_eq_u32_e32 vcc, 1, v76
	s_addc_u32 s72, s21, s7
	s_waitcnt lgkmcnt(0)
	v_cndmask_b32_e64 v47, v47, v54, s[66:67]
	v_cndmask_b32_e64 v46, v46, v54, s[64:65]
	;; [unrolled: 1-line block ×16, first 2 shown]
	v_cndmask_b32_e32 v32, v54, v63, vcc
	v_cmp_eq_u32_e64 s[6:7], 2, v76
	v_cmp_eq_u32_e64 s[8:9], 3, v76
	v_cmp_eq_u32_e64 s[10:11], 4, v76
	v_cndmask_b32_e64 v32, v32, v62, s[6:7]
	v_cndmask_b32_e64 v32, v32, v61, s[8:9]
	v_cndmask_b32_e64 v32, v32, v60, s[10:11]
	v_cmp_eq_u32_e64 s[12:13], 5, v76
	v_cmp_eq_u32_e64 s[14:15], 6, v76
	v_cmp_eq_u32_e64 s[16:17], 7, v76
	v_cndmask_b32_e64 v32, v32, v59, s[12:13]
	v_cndmask_b32_e64 v32, v32, v58, s[14:15]
	v_cndmask_b32_e64 v32, v32, v57, s[16:17]
	;; [unrolled: 6-line block ×4, first 2 shown]
	v_cmp_eq_u32_e64 s[34:35], 14, v76
	v_cmp_eq_u32_e64 s[38:39], 15, v76
	s_ashr_i32 s1, s0, 31
	v_cndmask_b32_e64 v32, v32, v46, s[34:35]
	v_cndmask_b32_e64 v32, v32, v47, s[38:39]
	ds_bpermute_b32 v55, v90, v32
	s_lshl_b64 s[68:69], s[0:1], 1
	s_add_u32 s68, s71, s68
	s_addc_u32 s69, s72, s69
	v_writelane_b32 v101, s68, 30
	s_waitcnt lgkmcnt(0)
	v_cndmask_b32_e64 v33, v47, v55, s[38:39]
	v_cndmask_b32_e64 v38, v42, v55, s[22:23]
	v_writelane_b32 v101, s69, 31
	v_cmp_le_i32_e64 s[68:69], s70, v83
	v_cmp_le_i32_e64 s[70:71], s70, v84
	v_cndmask_b32_e64 v42, v58, v55, s[14:15]
	v_cndmask_b32_e64 v32, 0, v92, s[68:69]
	;; [unrolled: 1-line block ×3, first 2 shown]
	v_pk_mul_f32 v[16:17], v[32:33], v[16:17] op_sel_hi:[0,1]
	v_pk_mul_f32 v[0:1], v[58:59], v[0:1] op_sel_hi:[0,1]
	v_cndmask_b32_e64 v35, v45, v55, s[30:31]
	v_cndmask_b32_e64 v36, v44, v55, s[28:29]
	;; [unrolled: 1-line block ×4, first 2 shown]
	v_pk_mul_f32 v[30:31], v[32:33], v[30:31] op_sel_hi:[0,1]
	v_pk_mul_f32 v[28:29], v[32:33], v[28:29] op_sel_hi:[0,1]
	;; [unrolled: 1-line block ×7, first 2 shown]
	v_cndmask_b32_e64 v32, v16, v17, s[60:61]
	v_pk_mul_f32 v[60:61], v[58:59], v[4:5] op_sel_hi:[0,1]
	v_pk_mul_f32 v[2:3], v[58:59], v[2:3] op_sel_hi:[0,1]
	v_cndmask_b32_e64 v4, v0, v1, s[60:61]
	v_cndmask_b32_e64 v32, v32, v18, s[26:27]
	;; [unrolled: 1-line block ×8, first 2 shown]
	v_pk_mul_f32 v[6:7], v[58:59], v[6:7] op_sel_hi:[0,1]
	v_cndmask_b32_e64 v4, v4, v61, s[44:45]
	v_cndmask_b32_e64 v32, v32, v22, s[46:47]
	v_cndmask_b32_e64 v4, v4, v6, s[46:47]
	v_cndmask_b32_e64 v32, v32, v23, s[48:49]
	v_pk_mul_f32 v[8:9], v[58:59], v[8:9] op_sel_hi:[0,1]
	v_cndmask_b32_e64 v4, v4, v7, s[48:49]
	v_cndmask_b32_e64 v32, v32, v24, s[50:51]
	v_cndmask_b32_e64 v4, v4, v8, s[50:51]
	v_cndmask_b32_e64 v32, v32, v25, s[52:53]
	;; [unrolled: 5-line block ×5, first 2 shown]
	v_cndmask_b32_e64 v4, v4, v15, s[66:67]
	ds_bpermute_b32 v32, v90, v32
	ds_bpermute_b32 v5, v90, v4
	v_cmp_eq_u32_e64 s[68:69], 0, v76
	v_cndmask_b32_e32 v47, v63, v55, vcc
	v_cmp_eq_u32_e64 s[70:71], 1, v77
	v_cndmask_b32_e64 v54, v54, v55, s[68:69]
	s_waitcnt lgkmcnt(1)
	v_cndmask_b32_e64 v18, v18, v32, s[26:27]
	s_waitcnt lgkmcnt(0)
	v_cndmask_b32_e64 v2, v2, v5, s[26:27]
	v_cmp_ne_u32_e64 s[26:27], 0, v75
	v_cndmask_b32_e64 v34, v46, v55, s[34:35]
	v_cndmask_b32_e64 v37, v43, v55, s[24:25]
	;; [unrolled: 1-line block ×9, first 2 shown]
	v_cmp_eq_u32_e64 s[60:61], 2, v77
	v_cndmask_b32_e64 v1, v1, v5, s[26:27]
	v_cndmask_b32_e64 v16, v16, v32, s[36:37]
	;; [unrolled: 1-line block ×6, first 2 shown]
	v_cmp_eq_u32_e64 s[66:67], 3, v77
	v_cndmask_b32_e64 v30, v30, v32, s[64:65]
	v_cndmask_b32_e64 v14, v14, v5, s[64:65]
	;; [unrolled: 1-line block ×24, first 2 shown]
	v_cndmask_b32_e32 v32, v16, v4, vcc
	v_cndmask_b32_e32 v5, v0, v1, vcc
	v_cndmask_b32_e64 v17, v17, v45, s[66:67]
	v_cmp_eq_u32_e64 s[64:65], 4, v77
	v_cndmask_b32_e64 v32, v32, v18, s[6:7]
	v_cndmask_b32_e64 v5, v5, v2, s[6:7]
	v_cndmask_b32_e64 v17, v17, v44, s[64:65]
	v_cmp_eq_u32_e64 s[62:63], 5, v77
	v_cndmask_b32_e64 v32, v32, v19, s[8:9]
	v_cndmask_b32_e64 v5, v5, v3, s[8:9]
	v_cndmask_b32_e64 v17, v17, v43, s[62:63]
	v_cmp_eq_u32_e64 s[58:59], 6, v77
	v_cndmask_b32_e64 v32, v32, v20, s[10:11]
	v_cndmask_b32_e64 v5, v5, v57, s[10:11]
	v_cndmask_b32_e64 v17, v17, v42, s[58:59]
	v_cmp_eq_u32_e64 s[56:57], 7, v77
	v_cndmask_b32_e64 v32, v32, v21, s[12:13]
	v_cndmask_b32_e64 v5, v5, v55, s[12:13]
	v_cndmask_b32_e64 v17, v17, v41, s[56:57]
	v_cmp_eq_u32_e64 s[54:55], 8, v77
	v_cndmask_b32_e64 v32, v32, v22, s[14:15]
	v_cndmask_b32_e64 v5, v5, v6, s[14:15]
	v_cndmask_b32_e64 v17, v17, v40, s[54:55]
	v_cmp_eq_u32_e64 s[72:73], 9, v77
	v_cndmask_b32_e64 v32, v32, v23, s[16:17]
	v_cndmask_b32_e64 v5, v5, v7, s[16:17]
	v_cndmask_b32_e64 v17, v17, v39, s[72:73]
	v_cmp_eq_u32_e64 s[50:51], 10, v77
	v_cndmask_b32_e64 v32, v32, v24, s[18:19]
	v_cndmask_b32_e64 v5, v5, v8, s[18:19]
	v_cndmask_b32_e64 v17, v17, v38, s[50:51]
	v_cmp_eq_u32_e64 s[48:49], 11, v77
	v_cndmask_b32_e64 v32, v32, v25, s[20:21]
	v_cndmask_b32_e64 v5, v5, v9, s[20:21]
	v_cndmask_b32_e64 v17, v17, v37, s[48:49]
	v_cmp_eq_u32_e64 s[52:53], 12, v77
	v_cndmask_b32_e64 v32, v32, v26, s[22:23]
	v_cndmask_b32_e64 v5, v5, v10, s[22:23]
	v_cndmask_b32_e64 v17, v17, v36, s[52:53]
	v_cmp_eq_u32_e64 s[44:45], 13, v77
	v_cndmask_b32_e64 v32, v32, v27, s[24:25]
	v_cndmask_b32_e64 v5, v5, v11, s[24:25]
	v_cndmask_b32_e64 v17, v17, v35, s[44:45]
	v_cmp_eq_u32_e64 s[78:79], 14, v77
	v_cndmask_b32_e64 v32, v32, v28, s[28:29]
	v_cndmask_b32_e64 v5, v5, v12, s[28:29]
	v_cndmask_b32_e64 v17, v17, v34, s[78:79]
	v_cmp_eq_u32_e64 s[82:83], 15, v77
	v_cndmask_b32_e64 v32, v32, v29, s[30:31]
	v_cndmask_b32_e64 v5, v5, v13, s[30:31]
	v_cndmask_b32_e64 v17, v17, v33, s[82:83]
	v_cndmask_b32_e64 v32, v32, v30, s[34:35]
	;; [unrolled: 1-line block ×3, first 2 shown]
	ds_bpermute_b32 v17, v90, v17
	v_cndmask_b32_e64 v32, v32, v31, s[38:39]
	v_cndmask_b32_e64 v5, v5, v15, s[38:39]
	ds_bpermute_b32 v32, v90, v32
	ds_bpermute_b32 v5, v90, v5
	v_cmp_eq_u32_e64 s[40:41], 0, v77
	s_waitcnt lgkmcnt(2)
	v_cndmask_b32_e64 v33, v33, v17, s[82:83]
	v_cndmask_b32_e64 v34, v34, v17, s[78:79]
	v_cndmask_b32_e64 v35, v35, v17, s[44:45]
	v_cndmask_b32_e64 v36, v36, v17, s[52:53]
	v_cndmask_b32_e64 v37, v37, v17, s[48:49]
	v_cndmask_b32_e64 v38, v38, v17, s[50:51]
	v_cndmask_b32_e64 v39, v39, v17, s[72:73]
	v_cndmask_b32_e64 v40, v40, v17, s[54:55]
	v_cndmask_b32_e64 v41, v41, v17, s[56:57]
	v_cndmask_b32_e64 v42, v42, v17, s[58:59]
	v_cndmask_b32_e64 v43, v43, v17, s[62:63]
	v_cndmask_b32_e64 v44, v44, v17, s[64:65]
	v_cndmask_b32_e64 v45, v45, v17, s[66:67]
	v_cndmask_b32_e64 v46, v46, v17, s[60:61]
	v_cndmask_b32_e64 v47, v47, v17, s[70:71]
	v_cndmask_b32_e64 v17, v54, v17, s[40:41]
	v_cmp_eq_u32_e64 s[26:27], 1, v78
	v_cmp_eq_u32_e64 s[36:37], 2, v78
	s_waitcnt lgkmcnt(1)
	v_cndmask_b32_e32 v4, v4, v32, vcc
	v_cndmask_b32_e64 v54, v17, v47, s[26:27]
	s_waitcnt lgkmcnt(0)
	v_cndmask_b32_e32 v1, v1, v5, vcc
	v_cndmask_b32_e64 v16, v16, v32, s[68:69]
	v_cndmask_b32_e64 v0, v0, v5, s[68:69]
	;; [unrolled: 1-line block ×7, first 2 shown]
	v_cmp_eq_u32_e64 s[34:35], 3, v78
	v_cndmask_b32_e64 v29, v29, v32, s[30:31]
	v_cndmask_b32_e64 v13, v13, v5, s[30:31]
	;; [unrolled: 1-line block ×27, first 2 shown]
	v_cmp_eq_u32_e64 s[30:31], 4, v78
	v_cndmask_b32_e64 v32, v32, v18, s[60:61]
	v_cndmask_b32_e64 v5, v5, v2, s[60:61]
	v_cndmask_b32_e64 v54, v54, v44, s[30:31]
	v_cmp_eq_u32_e64 s[28:29], 5, v78
	v_cndmask_b32_e64 v32, v32, v19, s[66:67]
	v_cndmask_b32_e64 v5, v5, v3, s[66:67]
	v_cndmask_b32_e64 v54, v54, v43, s[28:29]
	;; [unrolled: 4-line block ×12, first 2 shown]
	v_cndmask_b32_e64 v32, v32, v30, s[78:79]
	v_cndmask_b32_e64 v5, v5, v14, s[78:79]
	ds_bpermute_b32 v54, v90, v54
	v_cndmask_b32_e64 v32, v32, v31, s[82:83]
	v_cndmask_b32_e64 v5, v5, v15, s[82:83]
	ds_bpermute_b32 v32, v90, v32
	ds_bpermute_b32 v5, v90, v5
	v_cmp_eq_u32_e64 s[16:17], 0, v78
	s_waitcnt lgkmcnt(2)
	v_cndmask_b32_e64 v47, v47, v54, s[26:27]
	v_cmp_eq_u32_e64 s[6:7], 1, v79
	v_cndmask_b32_e64 v17, v17, v54, s[16:17]
	v_cndmask_b32_e64 v33, v33, v54, s[8:9]
	;; [unrolled: 1-line block ×16, first 2 shown]
	v_cmp_eq_u32_e64 s[14:15], 2, v79
	s_waitcnt lgkmcnt(1)
	v_cndmask_b32_e64 v4, v4, v32, s[70:71]
	s_waitcnt lgkmcnt(0)
	v_cndmask_b32_e64 v1, v1, v5, s[70:71]
	v_cndmask_b32_e64 v16, v16, v32, s[40:41]
	v_cndmask_b32_e64 v0, v0, v5, s[40:41]
	v_cndmask_b32_e64 v31, v31, v32, s[82:83]
	v_cndmask_b32_e64 v15, v15, v5, s[82:83]
	v_cndmask_b32_e64 v54, v54, v46, s[14:15]
	v_cndmask_b32_e64 v30, v30, v32, s[78:79]
	v_cndmask_b32_e64 v14, v14, v5, s[78:79]
	v_cmp_eq_u32_e64 s[18:19], 3, v79
	v_cndmask_b32_e64 v29, v29, v32, s[44:45]
	v_cndmask_b32_e64 v13, v13, v5, s[44:45]
	;; [unrolled: 1-line block ×27, first 2 shown]
	v_cmp_eq_u32_e64 s[24:25], 4, v79
	v_cndmask_b32_e64 v32, v32, v18, s[36:37]
	v_cndmask_b32_e64 v5, v5, v2, s[36:37]
	v_cndmask_b32_e64 v54, v54, v44, s[24:25]
	v_cmp_eq_u32_e64 s[38:39], 5, v79
	v_cndmask_b32_e64 v32, v32, v19, s[34:35]
	v_cndmask_b32_e64 v5, v5, v3, s[34:35]
	v_cndmask_b32_e64 v54, v54, v43, s[38:39]
	;; [unrolled: 4-line block ×12, first 2 shown]
	v_cndmask_b32_e64 v32, v32, v30, s[10:11]
	v_cndmask_b32_e64 v5, v5, v14, s[10:11]
	ds_bpermute_b32 v54, v90, v54
	v_cndmask_b32_e64 v32, v32, v31, s[8:9]
	v_cndmask_b32_e64 v5, v5, v15, s[8:9]
	ds_bpermute_b32 v32, v90, v32
	ds_bpermute_b32 v5, v90, v5
	v_cmp_eq_u32_e64 s[50:51], 0, v79
	s_waitcnt lgkmcnt(2)
	v_cndmask_b32_e64 v47, v47, v54, s[6:7]
	v_cmp_eq_u32_e32 vcc, 1, v80
	v_cndmask_b32_e64 v17, v17, v54, s[50:51]
	v_cndmask_b32_e64 v33, v33, v54, s[88:89]
	;; [unrolled: 1-line block ×15, first 2 shown]
	v_cndmask_b32_e32 v54, v17, v47, vcc
	s_waitcnt lgkmcnt(1)
	v_cndmask_b32_e64 v31, v31, v32, s[8:9]
	s_waitcnt lgkmcnt(0)
	v_cndmask_b32_e64 v15, v15, v5, s[8:9]
	v_cmp_eq_u32_e64 s[8:9], 2, v80
	v_cndmask_b32_e64 v30, v30, v32, s[10:11]
	v_cndmask_b32_e64 v14, v14, v5, s[10:11]
	;; [unrolled: 1-line block ×3, first 2 shown]
	v_cmp_eq_u32_e64 s[10:11], 3, v80
	v_cndmask_b32_e64 v29, v29, v32, s[12:13]
	v_cndmask_b32_e64 v13, v13, v5, s[12:13]
	;; [unrolled: 1-line block ×3, first 2 shown]
	v_cmp_eq_u32_e64 s[12:13], 4, v80
	v_cmp_eq_u32_e64 s[40:41], 5, v80
	v_cndmask_b32_e64 v27, v27, v32, s[46:47]
	v_cndmask_b32_e64 v54, v54, v44, s[12:13]
	v_cndmask_b32_e64 v54, v54, v43, s[40:41]
	v_cndmask_b32_e64 v11, v11, v5, s[46:47]
	v_cmp_eq_u32_e64 s[46:47], 6, v80
	v_cmp_eq_u32_e64 s[54:55], 7, v80
	v_cndmask_b32_e64 v59, v1, v5, s[26:27]
	v_cndmask_b32_e64 v54, v54, v42, s[46:47]
	v_cndmask_b32_e64 v61, v0, v5, s[16:17]
	v_cndmask_b32_e64 v54, v54, v41, s[54:55]
	v_cmp_eq_u32_e64 s[56:57], 8, v80
	v_cndmask_b32_e64 v2, v2, v5, s[36:37]
	v_cndmask_b32_e64 v0, v61, v59, s[6:7]
	;; [unrolled: 1-line block ×7, first 2 shown]
	v_cmp_eq_u32_e64 s[58:59], 9, v80
	v_cndmask_b32_e64 v23, v23, v32, s[22:23]
	v_cndmask_b32_e64 v22, v22, v32, s[42:43]
	;; [unrolled: 1-line block ×11, first 2 shown]
	v_cmp_eq_u32_e64 s[60:61], 10, v80
	v_cndmask_b32_e64 v57, v57, v5, s[30:31]
	v_cndmask_b32_e64 v1, v32, v58, s[6:7]
	;; [unrolled: 1-line block ×4, first 2 shown]
	v_cmp_eq_u32_e64 s[62:63], 11, v80
	v_cndmask_b32_e64 v55, v55, v5, s[28:29]
	v_cndmask_b32_e64 v1, v1, v18, s[14:15]
	;; [unrolled: 1-line block ×5, first 2 shown]
	v_cmp_eq_u32_e64 s[64:65], 12, v80
	v_cndmask_b32_e64 v1, v1, v19, s[18:19]
	v_cndmask_b32_e64 v0, v0, v55, s[38:39]
	v_cndmask_b32_e64 v7, v7, v5, s[22:23]
	v_cndmask_b32_e64 v54, v54, v36, s[64:65]
	v_cmp_eq_u32_e64 s[66:67], 13, v80
	v_cndmask_b32_e64 v1, v1, v20, s[24:25]
	v_cndmask_b32_e64 v0, v0, v6, s[44:45]
	v_cndmask_b32_e64 v8, v8, v5, s[20:21]
	v_cndmask_b32_e64 v54, v54, v35, s[66:67]
	;; [unrolled: 5-line block ×4, first 2 shown]
	v_cndmask_b32_e64 v1, v1, v23, s[52:53]
	v_cndmask_b32_e64 v0, v0, v9, s[68:69]
	ds_bpermute_b32 v54, v90, v54
	v_cndmask_b32_e64 v1, v1, v24, s[48:49]
	v_cndmask_b32_e64 v0, v0, v10, s[72:73]
	;; [unrolled: 1-line block ×9, first 2 shown]
	v_cmp_eq_u32_e64 s[20:21], 0, v80
	v_cndmask_b32_e64 v1, v1, v28, s[82:83]
	v_cndmask_b32_e64 v0, v0, v14, s[86:87]
	s_waitcnt lgkmcnt(0)
	v_cndmask_b32_e32 v47, v47, v54, vcc
	v_cndmask_b32_e64 v1, v1, v29, s[84:85]
	v_cndmask_b32_e64 v0, v0, v15, s[88:89]
	;; [unrolled: 1-line block ×3, first 2 shown]
	v_cmp_eq_u32_e64 s[16:17], 1, v81
	v_cndmask_b32_e64 v46, v46, v54, s[8:9]
	v_cndmask_b32_e64 v1, v1, v30, s[86:87]
	ds_bpermute_b32 v62, v90, v0
	v_cndmask_b32_e64 v0, v17, v47, s[16:17]
	v_cmp_eq_u32_e64 s[22:23], 2, v81
	v_cndmask_b32_e64 v45, v45, v54, s[10:11]
	v_cndmask_b32_e64 v1, v1, v31, s[88:89]
	;; [unrolled: 1-line block ×3, first 2 shown]
	v_cmp_eq_u32_e64 s[26:27], 3, v81
	v_cndmask_b32_e64 v44, v44, v54, s[12:13]
	ds_bpermute_b32 v60, v90, v1
	v_cndmask_b32_e64 v0, v0, v45, s[26:27]
	v_cmp_eq_u32_e64 s[28:29], 4, v81
	v_cndmask_b32_e64 v43, v43, v54, s[40:41]
	v_cmp_eq_u32_e64 s[30:31], 5, v81
	v_cndmask_b32_e64 v0, v0, v44, s[28:29]
	v_cndmask_b32_e64 v42, v42, v54, s[46:47]
	v_cndmask_b32_e64 v0, v0, v43, s[30:31]
	v_cmp_eq_u32_e64 s[34:35], 6, v81
	v_cndmask_b32_e64 v41, v41, v54, s[54:55]
	v_cmp_eq_u32_e64 s[36:37], 7, v81
	v_cndmask_b32_e64 v0, v0, v42, s[34:35]
	v_cndmask_b32_e64 v40, v40, v54, s[56:57]
	;; [unrolled: 1-line block ×3, first 2 shown]
	v_cmp_eq_u32_e64 s[42:43], 8, v81
	v_cndmask_b32_e64 v39, v39, v54, s[58:59]
	s_waitcnt lgkmcnt(0)
	v_cndmask_b32_e64 v24, v24, v60, s[48:49]
	v_cndmask_b32_e64 v0, v0, v40, s[42:43]
	;; [unrolled: 1-line block ×3, first 2 shown]
	v_cmp_eq_u32_e64 s[48:49], 9, v81
	v_cndmask_b32_e64 v38, v38, v54, s[60:61]
	v_cndmask_b32_e64 v23, v23, v60, s[52:53]
	;; [unrolled: 1-line block ×4, first 2 shown]
	v_cmp_eq_u32_e64 s[52:53], 10, v81
	v_cndmask_b32_e64 v33, v33, v54, s[74:75]
	v_cndmask_b32_e64 v34, v34, v54, s[70:71]
	;; [unrolled: 1-line block ×8, first 2 shown]
	v_cmp_eq_u32_e64 s[44:45], 11, v81
	v_cndmask_b32_e64 v21, v21, v60, s[38:39]
	v_cndmask_b32_e64 v55, v55, v62, s[38:39]
	v_cndmask_b32_e64 v0, v0, v37, s[44:45]
	v_cmp_eq_u32_e64 s[38:39], 12, v81
	v_cndmask_b32_e64 v20, v20, v60, s[24:25]
	v_cndmask_b32_e64 v57, v57, v62, s[24:25]
	v_cndmask_b32_e64 v0, v0, v36, s[38:39]
	;; [unrolled: 4-line block ×5, first 2 shown]
	ds_bpermute_b32 v18, v90, v0
	v_cndmask_b32_e64 v9, v9, v62, s[68:69]
	v_cndmask_b32_e64 v26, v26, v60, s[72:73]
	v_cndmask_b32_e64 v10, v10, v62, s[72:73]
	v_cndmask_b32_e64 v27, v27, v60, s[78:79]
	s_waitcnt lgkmcnt(0)
	v_cndmask_b32_e64 v1, v43, v18, s[30:31]
	v_cndmask_b32_e64 v2, v44, v18, s[28:29]
	;; [unrolled: 1-line block ×8, first 2 shown]
	v_cndmask_b32_e32 v45, v32, v43, vcc
	v_cndmask_b32_e32 v47, v46, v44, vcc
	v_cndmask_b32_e64 v45, v45, v5, s[8:9]
	v_cndmask_b32_e64 v47, v47, v6, s[8:9]
	v_cndmask_b32_e64 v45, v45, v19, s[10:11]
	v_cndmask_b32_e64 v47, v47, v4, s[10:11]
	v_cndmask_b32_e64 v45, v45, v20, s[12:13]
	v_cndmask_b32_e64 v47, v47, v57, s[12:13]
	v_cndmask_b32_e64 v45, v45, v21, s[40:41]
	v_cndmask_b32_e64 v47, v47, v55, s[40:41]
	v_cndmask_b32_e64 v45, v45, v22, s[46:47]
	v_cndmask_b32_e64 v47, v47, v54, s[46:47]
	v_cndmask_b32_e64 v45, v45, v23, s[54:55]
	v_cndmask_b32_e64 v47, v47, v7, s[54:55]
	v_cndmask_b32_e64 v45, v45, v24, s[56:57]
	v_cndmask_b32_e64 v47, v47, v8, s[56:57]
	v_cndmask_b32_e64 v45, v45, v25, s[58:59]
	v_cndmask_b32_e64 v47, v47, v9, s[58:59]
	v_cndmask_b32_e64 v11, v11, v62, s[78:79]
	v_cndmask_b32_e64 v45, v45, v26, s[60:61]
	v_cndmask_b32_e64 v47, v47, v10, s[60:61]
	v_cndmask_b32_e64 v28, v28, v60, s[82:83]
	v_cndmask_b32_e64 v12, v12, v62, s[82:83]
	v_cndmask_b32_e64 v45, v45, v27, s[62:63]
	v_cndmask_b32_e64 v47, v47, v11, s[62:63]
	v_cndmask_b32_e64 v29, v29, v60, s[84:85]
	v_cndmask_b32_e64 v13, v13, v62, s[84:85]
	v_cndmask_b32_e64 v45, v45, v28, s[64:65]
	v_cndmask_b32_e64 v47, v47, v12, s[64:65]
	v_cndmask_b32_e64 v30, v30, v60, s[86:87]
	v_cndmask_b32_e64 v14, v14, v62, s[86:87]
	v_cndmask_b32_e64 v45, v45, v29, s[66:67]
	v_cndmask_b32_e64 v47, v47, v13, s[66:67]
	v_cndmask_b32_e64 v31, v31, v60, s[88:89]
	v_cndmask_b32_e64 v15, v15, v62, s[88:89]
	v_cndmask_b32_e64 v45, v45, v30, s[70:71]
	v_cndmask_b32_e64 v47, v47, v14, s[70:71]
	v_cndmask_b32_e64 v45, v45, v31, s[74:75]
	v_cndmask_b32_e64 v47, v47, v15, s[74:75]
	ds_bpermute_b32 v45, v90, v45
	ds_bpermute_b32 v47, v90, v47
	v_cmp_eq_u32_e64 s[6:7], 0, v81
	v_cndmask_b32_e64 v33, v33, v18, s[14:15]
	v_cndmask_b32_e64 v34, v34, v18, s[18:19]
	;; [unrolled: 1-line block ×11, first 2 shown]
	v_cmp_eq_u32_e64 s[50:51], 1, v82
	v_cmp_eq_u32_e64 s[68:69], 2, v82
	s_waitcnt lgkmcnt(0)
	v_cndmask_b32_e64 v17, v15, v47, s[74:75]
	v_cndmask_b32_e64 v58, v18, v0, s[50:51]
	;; [unrolled: 1-line block ×5, first 2 shown]
	v_cmp_eq_u32_e64 s[70:71], 3, v82
	v_cndmask_b32_e64 v29, v29, v45, s[66:67]
	v_cndmask_b32_e64 v59, v13, v47, s[66:67]
	v_cndmask_b32_e64 v14, v15, v3, s[70:71]
	v_cmp_eq_u32_e64 s[66:67], 4, v82
	v_cndmask_b32_e64 v28, v28, v45, s[64:65]
	v_cndmask_b32_e64 v60, v12, v47, s[64:65]
	v_cndmask_b32_e64 v13, v14, v2, s[66:67]
	;; [unrolled: 4-line block ×12, first 2 shown]
	v_cmp_eq_u32_e64 s[8:9], 15, v82
	v_cndmask_b32_e32 v43, v43, v45, vcc
	v_cndmask_b32_e64 v32, v32, v45, s[20:21]
	v_cndmask_b32_e64 v4, v4, v33, s[8:9]
	ds_bpermute_b32 v69, v90, v4
	v_cndmask_b32_e64 v4, v32, v43, s[16:17]
	v_cndmask_b32_e64 v4, v4, v67, s[22:23]
	;; [unrolled: 1-line block ×16, first 2 shown]
	s_waitcnt lgkmcnt(0)
	v_cndmask_b32_e64 v15, v33, v69, s[8:9]
	ds_bpermute_b32 v33, v90, v4
	v_cndmask_b32_e64 v13, v35, v69, s[12:13]
	v_cndmask_b32_e64 v14, v34, v69, s[10:11]
	v_cndmask_b32_e64 v5, v1, v69, s[64:65]
	v_cndmask_b32_e64 v4, v2, v69, s[66:67]
	s_waitcnt lgkmcnt(0)
	v_cndmask_b32_e64 v35, v43, v33, s[16:17]
	v_cndmask_b32_e64 v32, v32, v33, s[6:7]
	;; [unrolled: 1-line block ×32, first 2 shown]
	ds_bpermute_b32 v33, v90, v1
	v_cndmask_b32_e32 v44, v44, v47, vcc
	v_cndmask_b32_e64 v12, v36, v69, s[40:41]
	v_cndmask_b32_e64 v36, v46, v47, s[20:21]
	;; [unrolled: 1-line block ×3, first 2 shown]
	s_waitcnt lgkmcnt(0)
	v_cndmask_b32_e64 v31, v16, v33, s[8:9]
	v_cndmask_b32_e64 v16, v36, v44, s[16:17]
	;; [unrolled: 1-line block ×16, first 2 shown]
	ds_bpermute_b32 v16, v90, v16
	v_cndmask_b32_e64 v9, v39, v69, s[56:57]
	v_cndmask_b32_e64 v11, v37, v69, s[46:47]
	;; [unrolled: 1-line block ×4, first 2 shown]
	s_waitcnt lgkmcnt(0)
	v_cndmask_b32_e64 v38, v58, v16, s[18:19]
	v_cndmask_b32_e64 v39, v59, v16, s[24:25]
	;; [unrolled: 1-line block ×32, first 2 shown]
	ds_bpermute_b32 v65, v90, v16
	v_readlane_b32 s6, v101, 30
	v_cmp_eq_u32_e32 vcc, 0, v82
	v_readlane_b32 s7, v101, 31
	v_readlane_b32 s24, v101, 10
	;; [unrolled: 1-line block ×4, first 2 shown]
	v_subrev_u32_e32 v91, s4, v91
	s_mov_b32 s1, 0
	v_cndmask_b32_e64 v3, v3, v69, s[70:71]
	v_cndmask_b32_e64 v1, v0, v69, s[50:51]
	v_cndmask_b32_e32 v0, v18, v69, vcc
	v_cndmask_b32_e64 v30, v30, v33, s[10:11]
	v_cndmask_b32_e64 v29, v29, v33, s[12:13]
	;; [unrolled: 1-line block ×14, first 2 shown]
	v_cndmask_b32_e32 v16, v32, v33, vcc
	s_waitcnt lgkmcnt(0)
	v_cndmask_b32_e64 v47, v37, v65, s[8:9]
	v_cndmask_b32_e64 v46, v38, v65, s[10:11]
	;; [unrolled: 1-line block ×15, first 2 shown]
	v_cndmask_b32_e32 v32, v64, v65, vcc
	v_lshl_add_u64 v[54:55], s[6:7], 0, v[48:49]
	s_mov_b64 s[6:7], 0
	s_mov_b32 s16, 0
	v_readlane_b32 s25, v101, 11
	v_readlane_b32 s27, v101, 13
	;; [unrolled: 1-line block ×11, first 2 shown]
	s_mov_b64 s[20:21], 0x80
                                        ; implicit-def: $sgpr8_sgpr9
	s_branch .LBB275_29
.LBB275_27:                             ;   in Loop: Header=BB275_29 Depth=2
	s_or_b64 exec, exec, s[12:13]
	s_andn2_b64 s[8:9], s[8:9], exec
	s_and_b64 s[12:13], s[14:15], exec
	s_or_b64 s[8:9], s[8:9], s[12:13]
.LBB275_28:                             ;   in Loop: Header=BB275_29 Depth=2
	s_or_b64 exec, exec, s[10:11]
	s_and_b64 s[10:11], exec, s[8:9]
	s_or_b64 s[6:7], s[10:11], s[6:7]
	s_andn2_b64 exec, exec, s[6:7]
	s_cbranch_execz .LBB275_32
.LBB275_29:                             ;   Parent Loop BB275_7 Depth=1
                                        ; =>  This Inner Loop Header: Depth=2
	s_and_b32 s12, s1, 24
	v_or_b32_e32 v57, s12, v88
	v_add_u32_e32 v58, s5, v57
	v_cmp_gt_u32_e32 vcc, 32, v58
	s_or_b64 s[8:9], s[8:9], exec
	s_and_saveexec_b64 s[10:11], vcc
	s_cbranch_execz .LBB275_28
; %bb.30:                               ;   in Loop: Header=BB275_29 Depth=2
	s_add_i32 s13, s16, 1
	s_set_gpr_idx_on s16, gpr_idx(SRC0)
	v_mov_b32_e32 v58, v0
	s_set_gpr_idx_off
	v_cvt_f16_f32_e32 v60, v58
	s_set_gpr_idx_on s13, gpr_idx(SRC0)
	v_mov_b32_e32 v58, v0
	s_set_gpr_idx_off
	v_cvt_f16_f32_sdwa v61, v58 dst_sel:WORD_1 dst_unused:UNUSED_PAD src0_sel:DWORD
	v_mul_lo_u32 v58, v57, s93
	v_ashrrev_i32_e32 v59, 31, v58
	v_lshl_add_u64 v[58:59], v[58:59], 1, v[54:55]
	v_or_b32_e32 v57, v61, v60
	;;#ASMSTART
	global_atomic_pk_add_f16 v[58:59], v57, off
	
	;;#ASMEND
	s_set_gpr_idx_on s16, gpr_idx(SRC0)
	v_mov_b32_e32 v57, v16
	s_set_gpr_idx_off
	v_cvt_f16_f32_e32 v57, v57
	s_set_gpr_idx_on s13, gpr_idx(SRC0)
	v_mov_b32_e32 v60, v16
	s_set_gpr_idx_off
	v_cvt_f16_f32_sdwa v62, v60 dst_sel:WORD_1 dst_unused:UNUSED_PAD src0_sel:DWORD
	v_lshl_add_u64 v[60:61], v[58:59], 0, 64
	v_lshl_add_u64 v[58:59], v[58:59], 0, s[20:21]
	s_mov_b64 s[14:15], -1
	v_or_b32_e32 v57, v62, v57
	;;#ASMSTART
	global_atomic_pk_add_f16 v[60:61], v57, off
	
	;;#ASMEND
	s_set_gpr_idx_on s16, gpr_idx(SRC0)
	v_mov_b32_e32 v57, v32
	s_set_gpr_idx_off
	v_cvt_f16_f32_e32 v57, v57
	s_set_gpr_idx_on s13, gpr_idx(SRC0)
	v_mov_b32_e32 v60, v32
	s_set_gpr_idx_off
	v_cvt_f16_f32_sdwa v60, v60 dst_sel:WORD_1 dst_unused:UNUSED_PAD src0_sel:DWORD
	s_nop 0
	v_or_b32_e32 v57, v60, v57
	;;#ASMSTART
	global_atomic_pk_add_f16 v[58:59], v57, off
	
	;;#ASMEND
	v_or_b32_e32 v57, s12, v89
	v_add_u32_e32 v58, s5, v57
	v_cmp_gt_u32_e32 vcc, 32, v58
	s_and_saveexec_b64 s[12:13], vcc
	s_cbranch_execz .LBB275_27
; %bb.31:                               ;   in Loop: Header=BB275_29 Depth=2
	s_add_i32 s14, s16, 2
	s_add_i32 s15, s16, 3
	s_set_gpr_idx_on s14, gpr_idx(SRC0)
	v_mov_b32_e32 v58, v0
	s_set_gpr_idx_off
	v_cvt_f16_f32_e32 v60, v58
	s_set_gpr_idx_on s15, gpr_idx(SRC0)
	v_mov_b32_e32 v58, v0
	s_set_gpr_idx_off
	v_cvt_f16_f32_sdwa v61, v58 dst_sel:WORD_1 dst_unused:UNUSED_PAD src0_sel:DWORD
	v_mul_lo_u32 v58, v57, s93
	v_ashrrev_i32_e32 v59, 31, v58
	v_lshl_add_u64 v[58:59], v[58:59], 1, v[54:55]
	v_or_b32_e32 v57, v61, v60
	;;#ASMSTART
	global_atomic_pk_add_f16 v[58:59], v57, off
	
	;;#ASMEND
	s_set_gpr_idx_on s14, gpr_idx(SRC0)
	v_mov_b32_e32 v57, v16
	s_set_gpr_idx_off
	v_cvt_f16_f32_e32 v57, v57
	s_set_gpr_idx_on s15, gpr_idx(SRC0)
	v_mov_b32_e32 v60, v16
	s_set_gpr_idx_off
	v_cvt_f16_f32_sdwa v62, v60 dst_sel:WORD_1 dst_unused:UNUSED_PAD src0_sel:DWORD
	v_lshl_add_u64 v[60:61], v[58:59], 0, 64
	s_add_i32 s16, s16, 4
	s_add_i32 s1, s1, 8
	v_or_b32_e32 v57, v62, v57
	;;#ASMSTART
	global_atomic_pk_add_f16 v[60:61], v57, off
	
	;;#ASMEND
	s_set_gpr_idx_on s14, gpr_idx(SRC0)
	v_mov_b32_e32 v57, v32
	s_set_gpr_idx_off
	v_cvt_f16_f32_e32 v57, v57
	s_set_gpr_idx_on s15, gpr_idx(SRC0)
	v_mov_b32_e32 v60, v32
	s_set_gpr_idx_off
	v_cvt_f16_f32_sdwa v60, v60 dst_sel:WORD_1 dst_unused:UNUSED_PAD src0_sel:DWORD
	s_cmp_eq_u32 s16, 16
	s_cselect_b64 s[14:15], -1, 0
	s_orn2_b64 s[14:15], s[14:15], exec
	v_lshl_add_u64 v[58:59], v[58:59], 0, s[20:21]
	v_or_b32_e32 v57, v60, v57
	;;#ASMSTART
	global_atomic_pk_add_f16 v[58:59], v57, off
	
	;;#ASMEND
	s_branch .LBB275_27
.LBB275_32:                             ;   in Loop: Header=BB275_7 Depth=1
	s_or_b64 exec, exec, s[6:7]
	v_readlane_b32 s16, v101, 2
	v_readlane_b32 s14, v101, 0
	;; [unrolled: 1-line block ×11, first 2 shown]
.LBB275_33:                             ;   in Loop: Header=BB275_7 Depth=1
	v_readlane_b32 s6, v101, 27
	v_readlane_b32 s7, v101, 28
	s_or_b64 exec, exec, s[6:7]
.LBB275_34:                             ;   in Loop: Header=BB275_7 Depth=1
	s_or_saveexec_b64 s[2:3], s[2:3]
	v_readlane_b32 s13, v101, 26
	s_xor_b64 exec, exec, s[2:3]
	s_cbranch_execz .LBB275_43
; %bb.35:                               ;   in Loop: Header=BB275_7 Depth=1
	s_mul_i32 s12, s4, 3
	v_cmp_gt_i32_e32 vcc, s12, v91
	s_and_saveexec_b64 s[6:7], vcc
	s_cbranch_execz .LBB275_42
; %bb.36:                               ;   in Loop: Header=BB275_7 Depth=1
	s_mul_i32 s0, s0, s95
	s_ashr_i32 s1, s0, 31
	s_add_u32 s0, s18, s0
	s_addc_u32 s1, s19, s1
	s_ashr_i32 s8, s13, 31
	s_add_u32 s0, s0, s13
	s_addc_u32 s1, s1, s8
	v_lshl_add_u64 v[0:1], s[0:1], 0, v[52:53]
	v_lshl_add_u64 v[16:17], v[0:1], 0, v[50:51]
	s_mov_b64 s[0:1], 0
	s_branch .LBB275_38
.LBB275_37:                             ;   in Loop: Header=BB275_38 Depth=2
	s_or_b64 exec, exec, s[8:9]
	v_lshl_add_u32 v20, v18, 12, v85
	;;#ASMSTART
	s_waitcnt vmcnt(3)
	;;#ASMEND
	ds_write2_b32 v20, v12, v13 offset1:32
	ds_write2_b32 v20, v14, v15 offset0:64 offset1:96
	v_add_u32_e32 v12, 0x400, v20
	;;#ASMSTART
	s_waitcnt vmcnt(2)
	;;#ASMEND
	ds_write2_b32 v12, v8, v9 offset1:32
	ds_write2_b32 v12, v10, v11 offset0:64 offset1:96
	v_add_u32_e32 v8, 0x800, v20
	;; [unrolled: 6-line block ×3, first 2 shown]
	v_add_u32_e32 v91, s98, v91
	;;#ASMSTART
	s_waitcnt vmcnt(0)
	;;#ASMEND
	ds_write2_b32 v4, v0, v1 offset1:32
	ds_write2_b32 v4, v2, v3 offset0:64 offset1:96
	v_add_u32_e32 v0, 1, v71
	v_add_u32_e32 v56, s98, v18
	v_cmp_le_i32_e32 vcc, s12, v91
	ds_write_b32 v19, v0 offset:12
	v_add_u32_e32 v0, 2, v71
	s_or_b64 s[0:1], vcc, s[0:1]
	v_cmp_lt_i32_e32 vcc, 2, v56
	s_nop 1
	v_cndmask_b32_e32 v71, v71, v0, vcc
	s_andn2_b64 exec, exec, s[0:1]
	s_cbranch_execz .LBB275_41
.LBB275_38:                             ;   Parent Loop BB275_7 Depth=1
                                        ; =>  This Loop Header: Depth=2
                                        ;       Child Loop BB275_40 Depth 3
	v_cmp_gt_i32_e32 vcc, 3, v56
	s_nop 1
	v_cndmask_b32_e64 v0, -3, 0, vcc
	v_add_u32_e32 v18, v0, v56
	v_mul_hi_i32 v0, v91, s91
	v_lshrrev_b32_e32 v1, 31, v0
	v_add_u32_e32 v0, v0, v1
	v_lshl_add_u32 v1, v0, 1, v0
	v_sub_u32_e32 v2, v91, v1
	v_lshlrev_b32_e32 v0, 7, v0
	v_ashrrev_i32_e32 v1, 31, v0
	v_mul_lo_u32 v2, s31, v2
	v_lshl_add_u64 v[0:1], v[16:17], 0, v[0:1]
	v_ashrrev_i32_e32 v3, 31, v2
	v_lshl_add_u64 v[0:1], v[0:1], 0, v[2:3]
	v_lshlrev_b32_e32 v19, 2, v18
	;;#ASMSTART
	global_load_dwordx4 v[12:15], v[0:1], off offset:0   sc0 sc1 nt  
	global_load_dwordx4 v[8:11], v[0:1], off offset:32  sc0 sc1 nt  
	global_load_dwordx4 v[4:7], v[0:1], off offset:64  sc0 sc1 nt  
	;; [unrolled: 1-line block ×3, first 2 shown]
	
	;;#ASMEND
	ds_read_b32 v20, v19 offset:24588
	v_add_u32_e32 v19, 0x6000, v19
	s_waitcnt lgkmcnt(0)
	v_cmp_ne_u32_e32 vcc, v20, v71
	s_and_saveexec_b64 s[8:9], vcc
	s_cbranch_execz .LBB275_37
; %bb.39:                               ;   in Loop: Header=BB275_38 Depth=2
	s_mov_b64 s[10:11], 0
.LBB275_40:                             ;   Parent Loop BB275_7 Depth=1
                                        ;     Parent Loop BB275_38 Depth=2
                                        ; =>    This Inner Loop Header: Depth=3
	;;#ASMSTART
	s_sleep 0
	;;#ASMEND
	ds_read_b32 v20, v19 offset:12
	s_waitcnt lgkmcnt(0)
	v_cmp_eq_u32_e32 vcc, v20, v71
	s_or_b64 s[10:11], vcc, s[10:11]
	s_andn2_b64 exec, exec, s[10:11]
	s_cbranch_execnz .LBB275_40
	s_branch .LBB275_37
.LBB275_41:                             ;   in Loop: Header=BB275_7 Depth=1
	s_or_b64 exec, exec, s[0:1]
.LBB275_42:                             ;   in Loop: Header=BB275_7 Depth=1
	s_or_b64 exec, exec, s[6:7]
	v_subrev_u32_e32 v91, s12, v91
.LBB275_43:                             ;   in Loop: Header=BB275_7 Depth=1
	s_or_b64 exec, exec, s[2:3]
.LBB275_44:                             ;   in Loop: Header=BB275_7 Depth=1
	v_readlane_b32 s0, v101, 24
	v_readlane_b32 s1, v101, 25
	s_andn2_saveexec_b64 s[0:1], s[0:1]
	s_cbranch_execz .LBB275_6
; %bb.45:                               ;   in Loop: Header=BB275_7 Depth=1
	s_mul_i32 s10, s4, 3
	v_cmp_gt_i32_e32 vcc, s10, v91
	s_and_saveexec_b64 s[2:3], vcc
	s_cbranch_execz .LBB275_5
; %bb.46:                               ;   in Loop: Header=BB275_7 Depth=1
	s_mul_i32 s4, s40, s94
	s_ashr_i32 s6, s4, 31
	s_add_u32 s4, s16, s4
	s_addc_u32 s7, s17, s6
	s_ashr_i32 s8, s13, 31
	s_add_u32 s6, s4, s13
	v_add_u32_e32 v2, s5, v72
	s_movk_i32 s4, 0x60
	v_cmp_gt_u32_e32 vcc, s4, v2
	s_addc_u32 s7, s7, s8
	v_sub_u32_e32 v18, 0x5f, v2
	v_cndmask_b32_e32 v0, 0, v86, vcc
	v_ashrrev_i32_e32 v1, 31, v0
	v_lshl_add_u64 v[0:1], s[6:7], 0, v[0:1]
	v_lshl_add_u64 v[16:17], v[0:1], 0, v[50:51]
	s_mov_b64 s[4:5], 0
	s_branch .LBB275_48
.LBB275_47:                             ;   in Loop: Header=BB275_48 Depth=2
	s_or_b64 exec, exec, s[6:7]
	v_lshl_or_b32 v21, v19, 12, v87
	;;#ASMSTART
	s_waitcnt vmcnt(3)
	;;#ASMEND
	ds_write2_b32 v21, v12, v13 offset1:32
	ds_write2_b32 v21, v14, v15 offset0:64 offset1:96
	v_add_u32_e32 v12, 0x400, v21
	;;#ASMSTART
	s_waitcnt vmcnt(2)
	;;#ASMEND
	ds_write2_b32 v12, v8, v9 offset1:32
	ds_write2_b32 v12, v10, v11 offset0:64 offset1:96
	v_add_u32_e32 v8, 0x800, v21
	;; [unrolled: 6-line block ×3, first 2 shown]
	v_add_u32_e32 v91, s97, v91
	;;#ASMSTART
	s_waitcnt vmcnt(0)
	;;#ASMEND
	ds_write2_b32 v4, v0, v1 offset1:32
	ds_write2_b32 v4, v2, v3 offset0:64 offset1:96
	v_add_u32_e32 v0, 1, v71
	v_add_u32_e32 v56, s97, v19
	v_cmp_le_i32_e32 vcc, s10, v91
	ds_write_b32 v20, v0
	v_add_u32_e32 v0, 2, v71
	s_or_b64 s[4:5], vcc, s[4:5]
	v_cmp_lt_i32_e32 vcc, 2, v56
	s_nop 1
	v_cndmask_b32_e32 v71, v71, v0, vcc
	s_andn2_b64 exec, exec, s[4:5]
	s_cbranch_execz .LBB275_4
.LBB275_48:                             ;   Parent Loop BB275_7 Depth=1
                                        ; =>  This Loop Header: Depth=2
                                        ;       Child Loop BB275_50 Depth 3
	v_cmp_gt_i32_e32 vcc, 3, v56
	s_nop 1
	v_cndmask_b32_e64 v0, -3, 0, vcc
	v_add_u32_e32 v19, v0, v56
	v_mul_hi_i32 v0, v91, s91
	v_lshrrev_b32_e32 v1, 31, v0
	v_add_u32_e32 v0, v0, v1
	v_lshl_add_u32 v1, v0, 1, v0
	v_sub_u32_e32 v1, v91, v1
	v_lshlrev_b32_e32 v1, 5, v1
	v_cmp_le_i32_e32 vcc, v1, v18
	v_lshlrev_b32_e32 v0, 7, v0
	v_lshlrev_b32_e32 v20, 2, v19
	v_cndmask_b32_e32 v2, 0, v1, vcc
	v_ashrrev_i32_e32 v1, 31, v0
	v_mul_lo_u32 v2, v2, s94
	v_lshl_add_u64 v[0:1], v[16:17], 0, v[0:1]
	v_ashrrev_i32_e32 v3, 31, v2
	v_lshl_add_u64 v[0:1], v[0:1], 0, v[2:3]
	;;#ASMSTART
	global_load_dwordx4 v[12:15], v[0:1], off offset:0   
	global_load_dwordx4 v[8:11], v[0:1], off offset:32  
	;; [unrolled: 1-line block ×4, first 2 shown]
	
	;;#ASMEND
	ds_read_b32 v21, v20 offset:24576
	v_add_u32_e32 v20, 0x6000, v20
	s_waitcnt lgkmcnt(0)
	v_cmp_ne_u32_e32 vcc, v21, v71
	s_and_saveexec_b64 s[6:7], vcc
	s_cbranch_execz .LBB275_47
; %bb.49:                               ;   in Loop: Header=BB275_48 Depth=2
	s_mov_b64 s[8:9], 0
.LBB275_50:                             ;   Parent Loop BB275_7 Depth=1
                                        ;     Parent Loop BB275_48 Depth=2
                                        ; =>    This Inner Loop Header: Depth=3
	;;#ASMSTART
	s_sleep 0
	;;#ASMEND
	ds_read_b32 v21, v20
	s_waitcnt lgkmcnt(0)
	v_cmp_eq_u32_e32 vcc, v21, v71
	s_or_b64 s[8:9], vcc, s[8:9]
	s_andn2_b64 exec, exec, s[8:9]
	s_cbranch_execnz .LBB275_50
	s_branch .LBB275_47
.LBB275_51:
	s_endpgm
	.section	.rodata,"a",@progbits
	.p2align	6, 0x0
	.amdhsa_kernel _Z19_skinny_gemm_kernelILi3ELi3ELi1ELi32ELi8EEvPKhS1_P6__halfPKfiiiiiiii
		.amdhsa_group_segment_fixed_size 24600
		.amdhsa_private_segment_fixed_size 0
		.amdhsa_kernarg_size 64
		.amdhsa_user_sgpr_count 2
		.amdhsa_user_sgpr_dispatch_ptr 0
		.amdhsa_user_sgpr_queue_ptr 0
		.amdhsa_user_sgpr_kernarg_segment_ptr 1
		.amdhsa_user_sgpr_dispatch_id 0
		.amdhsa_user_sgpr_kernarg_preload_length 0
		.amdhsa_user_sgpr_kernarg_preload_offset 0
		.amdhsa_user_sgpr_private_segment_size 0
		.amdhsa_uses_dynamic_stack 0
		.amdhsa_enable_private_segment 0
		.amdhsa_system_sgpr_workgroup_id_x 1
		.amdhsa_system_sgpr_workgroup_id_y 0
		.amdhsa_system_sgpr_workgroup_id_z 0
		.amdhsa_system_sgpr_workgroup_info 0
		.amdhsa_system_vgpr_workitem_id 0
		.amdhsa_next_free_vgpr 102
		.amdhsa_next_free_sgpr 100
		.amdhsa_accum_offset 104
		.amdhsa_reserve_vcc 1
		.amdhsa_float_round_mode_32 0
		.amdhsa_float_round_mode_16_64 0
		.amdhsa_float_denorm_mode_32 3
		.amdhsa_float_denorm_mode_16_64 3
		.amdhsa_dx10_clamp 1
		.amdhsa_ieee_mode 1
		.amdhsa_fp16_overflow 0
		.amdhsa_tg_split 0
		.amdhsa_exception_fp_ieee_invalid_op 0
		.amdhsa_exception_fp_denorm_src 0
		.amdhsa_exception_fp_ieee_div_zero 0
		.amdhsa_exception_fp_ieee_overflow 0
		.amdhsa_exception_fp_ieee_underflow 0
		.amdhsa_exception_fp_ieee_inexact 0
		.amdhsa_exception_int_div_zero 0
	.end_amdhsa_kernel
	.section	.text._Z19_skinny_gemm_kernelILi3ELi3ELi1ELi32ELi8EEvPKhS1_P6__halfPKfiiiiiiii,"axG",@progbits,_Z19_skinny_gemm_kernelILi3ELi3ELi1ELi32ELi8EEvPKhS1_P6__halfPKfiiiiiiii,comdat
.Lfunc_end275:
	.size	_Z19_skinny_gemm_kernelILi3ELi3ELi1ELi32ELi8EEvPKhS1_P6__halfPKfiiiiiiii, .Lfunc_end275-_Z19_skinny_gemm_kernelILi3ELi3ELi1ELi32ELi8EEvPKhS1_P6__halfPKfiiiiiiii
                                        ; -- End function
	.set _Z19_skinny_gemm_kernelILi3ELi3ELi1ELi32ELi8EEvPKhS1_P6__halfPKfiiiiiiii.num_vgpr, 102
	.set _Z19_skinny_gemm_kernelILi3ELi3ELi1ELi32ELi8EEvPKhS1_P6__halfPKfiiiiiiii.num_agpr, 0
	.set _Z19_skinny_gemm_kernelILi3ELi3ELi1ELi32ELi8EEvPKhS1_P6__halfPKfiiiiiiii.numbered_sgpr, 100
	.set _Z19_skinny_gemm_kernelILi3ELi3ELi1ELi32ELi8EEvPKhS1_P6__halfPKfiiiiiiii.num_named_barrier, 0
	.set _Z19_skinny_gemm_kernelILi3ELi3ELi1ELi32ELi8EEvPKhS1_P6__halfPKfiiiiiiii.private_seg_size, 0
	.set _Z19_skinny_gemm_kernelILi3ELi3ELi1ELi32ELi8EEvPKhS1_P6__halfPKfiiiiiiii.uses_vcc, 1
	.set _Z19_skinny_gemm_kernelILi3ELi3ELi1ELi32ELi8EEvPKhS1_P6__halfPKfiiiiiiii.uses_flat_scratch, 0
	.set _Z19_skinny_gemm_kernelILi3ELi3ELi1ELi32ELi8EEvPKhS1_P6__halfPKfiiiiiiii.has_dyn_sized_stack, 0
	.set _Z19_skinny_gemm_kernelILi3ELi3ELi1ELi32ELi8EEvPKhS1_P6__halfPKfiiiiiiii.has_recursion, 0
	.set _Z19_skinny_gemm_kernelILi3ELi3ELi1ELi32ELi8EEvPKhS1_P6__halfPKfiiiiiiii.has_indirect_call, 0
	.section	.AMDGPU.csdata,"",@progbits
; Kernel info:
; codeLenInByte = 12196
; TotalNumSgprs: 106
; NumVgprs: 102
; NumAgprs: 0
; TotalNumVgprs: 102
; ScratchSize: 0
; MemoryBound: 0
; FloatMode: 240
; IeeeMode: 1
; LDSByteSize: 24600 bytes/workgroup (compile time only)
; SGPRBlocks: 13
; VGPRBlocks: 12
; NumSGPRsForWavesPerEU: 106
; NumVGPRsForWavesPerEU: 102
; AccumOffset: 104
; Occupancy: 4
; WaveLimiterHint : 0
; COMPUTE_PGM_RSRC2:SCRATCH_EN: 0
; COMPUTE_PGM_RSRC2:USER_SGPR: 2
; COMPUTE_PGM_RSRC2:TRAP_HANDLER: 0
; COMPUTE_PGM_RSRC2:TGID_X_EN: 1
; COMPUTE_PGM_RSRC2:TGID_Y_EN: 0
; COMPUTE_PGM_RSRC2:TGID_Z_EN: 0
; COMPUTE_PGM_RSRC2:TIDIG_COMP_CNT: 0
; COMPUTE_PGM_RSRC3_GFX90A:ACCUM_OFFSET: 25
; COMPUTE_PGM_RSRC3_GFX90A:TG_SPLIT: 0
	.section	.text._Z19_skinny_gemm_kernelILi3ELi3ELi2ELi16ELi4EEvPKhS1_P6__halfPKfiiiiiiii,"axG",@progbits,_Z19_skinny_gemm_kernelILi3ELi3ELi2ELi16ELi4EEvPKhS1_P6__halfPKfiiiiiiii,comdat
	.protected	_Z19_skinny_gemm_kernelILi3ELi3ELi2ELi16ELi4EEvPKhS1_P6__halfPKfiiiiiiii ; -- Begin function _Z19_skinny_gemm_kernelILi3ELi3ELi2ELi16ELi4EEvPKhS1_P6__halfPKfiiiiiiii
	.globl	_Z19_skinny_gemm_kernelILi3ELi3ELi2ELi16ELi4EEvPKhS1_P6__halfPKfiiiiiiii
	.p2align	8
	.type	_Z19_skinny_gemm_kernelILi3ELi3ELi2ELi16ELi4EEvPKhS1_P6__halfPKfiiiiiiii,@function
_Z19_skinny_gemm_kernelILi3ELi3ELi2ELi16ELi4EEvPKhS1_P6__halfPKfiiiiiiii: ; @_Z19_skinny_gemm_kernelILi3ELi3ELi2ELi16ELi4EEvPKhS1_P6__halfPKfiiiiiiii
; %bb.0:
	v_cmp_gt_u32_e32 vcc, 12, v0
	v_lshlrev_b32_e32 v1, 2, v0
	s_and_saveexec_b64 s[4:5], vcc
; %bb.1:
	v_mov_b32_e32 v2, 0
	ds_write_b32 v1, v2 offset:24576
; %bb.2:
	s_or_b64 exec, exec, s[4:5]
	s_load_dwordx8 s[20:27], s[0:1], 0x20
	s_waitcnt lgkmcnt(0)
	s_barrier
	s_add_i32 s3, s20, 47
	s_add_i32 s4, s21, 47
	s_mul_hi_i32 s3, s3, 0x2aaaaaab
	s_lshr_b32 s5, s3, 31
	s_ashr_i32 s33, s3, 3
	s_mul_hi_i32 s3, s4, 0x2aaaaaab
	s_lshr_b32 s4, s3, 31
	s_ashr_i32 s50, s3, 3
	s_add_i32 s33, s33, s5
	s_add_i32 s50, s50, s4
	s_mul_i32 s3, s50, s33
	s_mul_i32 s3, s3, s24
	s_add_i32 s4, s3, 0x12f
	s_mul_hi_i32 s4, s4, 0x6bca1af3
	s_lshr_b32 s5, s4, 31
	s_ashr_i32 s4, s4, 7
	s_add_i32 s4, s4, s5
	s_add_i32 s5, s2, 1
	s_mul_i32 s5, s4, s5
	v_cvt_f64_i32_e32 v[2:3], s3
	v_cvt_f64_u32_e32 v[4:5], s5
	v_min_f64 v[2:3], v[2:3], v[4:5]
	v_cvt_i32_f64_e32 v37, v[2:3]
	s_mul_i32 s51, s4, s2
	v_cmp_ge_i32_e32 vcc, s51, v37
	s_cbranch_vccnz .LBB276_58
; %bb.3:
	v_lshrrev_b32_e32 v2, 6, v0
	s_add_i32 s4, s26, s25
	s_load_dwordx8 s[36:43], s[0:1], 0x0
	v_cmp_le_i32_e64 s[0:1], s4, v2
	v_mov_b32_e32 v3, s25
	v_cmp_le_i32_e64 s[2:3], s25, v2
	v_mov_b32_e32 v4, s26
	v_cndmask_b32_e64 v4, 0, v4, s[0:1]
	v_cndmask_b32_e64 v3, 0, v3, s[2:3]
	s_abs_i32 s5, s24
	v_add_u32_e32 v3, v3, v4
	v_cvt_f32_u32_e32 v4, s5
	v_sub_u32_e32 v50, v2, v3
	s_ashr_i32 s6, s22, 31
	s_lshr_b32 s6, s6, 25
	v_rcp_iflag_f32_e32 v3, v4
	s_sub_i32 s9, 0, s5
	s_add_i32 s6, s22, s6
	s_ashr_i32 s6, s6, 7
	v_mul_f32_e32 v3, 0x4f7ffffe, v3
	v_cvt_u32_f32_e32 v3, v3
	s_abs_i32 s8, s6
	s_xor_b32 s7, s6, s24
	s_ashr_i32 s7, s7, 31
	v_readfirstlane_b32 s10, v3
	s_mul_i32 s9, s9, s10
	s_mul_hi_u32 s9, s10, s9
	s_add_i32 s10, s10, s9
	s_mul_hi_u32 s9, s8, s10
	s_mul_i32 s10, s9, s5
	s_sub_i32 s8, s8, s10
	s_add_i32 s10, s9, 1
	s_sub_i32 s11, s8, s5
	s_cmp_ge_u32 s8, s5
	s_cselect_b32 s9, s10, s9
	s_cselect_b32 s8, s11, s8
	s_add_i32 s10, s9, 1
	s_cmp_ge_u32 s8, s5
	s_cselect_b32 s5, s10, s9
	s_xor_b32 s5, s5, s7
	s_sub_i32 s52, s5, s7
	s_add_i32 s24, s24, -1
	s_mul_i32 s5, s52, s24
	s_add_i32 s4, s4, s27
	s_sub_i32 s53, s6, s5
	v_cmp_gt_i32_e64 s[4:5], s4, v2
	v_lshlrev_b32_e32 v2, 1, v0
	v_lshlrev_b32_e32 v3, 4, v0
	v_and_b32_e32 v1, 60, v1
	v_and_b32_e32 v2, 64, v2
	;; [unrolled: 1-line block ×3, first 2 shown]
	v_or3_b32 v77, v1, v2, v4
	v_and_b32_e32 v1, 1, v0
	v_lshrrev_b32_e32 v4, 2, v0
	s_abs_i32 s54, s33
	v_and_or_b32 v83, v4, 12, v1
	v_cvt_f32_u32_e32 v4, s54
	v_lshlrev_b32_e32 v2, 1, v1
	v_and_b32_e32 v36, 14, v0
	v_sub_u32_e32 v2, v0, v2
	v_bitop3_b32 v79, v0, 1, v0 bitop3:0xc
	v_bitop3_b32 v80, v0, 3, 1 bitop3:0x6c
	v_and_b32_e32 v44, 48, v3
	v_bfe_u32 v86, v0, 2, 4
	v_and_b32_e32 v1, 60, v0
	v_lshlrev_b32_e32 v3, 8, v0
	v_lshlrev_b32_e32 v0, 6, v0
	v_and_b32_e32 v3, 0x200, v3
	v_and_b32_e32 v0, 64, v0
	v_or3_b32 v87, v1, v3, v0
	v_rcp_iflag_f32_e32 v0, v4
	s_abs_i32 s56, s50
	v_cvt_f32_u32_e32 v1, s56
	v_mad_u64_u32 v[38:39], s[6:7], s21, v83, v[36:37]
	v_mul_f32_e32 v0, 0x4f7ffffe, v0
	v_cvt_u32_f32_e32 v0, v0
	v_rcp_iflag_f32_e32 v1, v1
	s_lshl_b32 s6, s21, 4
	v_add_u32_e32 v40, s6, v38
	v_readfirstlane_b32 s7, v0
	v_mul_f32_e32 v0, 0x4f7ffffe, v1
	v_cvt_u32_f32_e32 v0, v0
	v_add_u32_e32 v42, s6, v40
	s_sub_i32 s6, 0, s54
	s_mul_i32 s6, s6, s7
	s_mul_hi_u32 s6, s7, s6
	v_add_u32_e32 v2, 1, v2
	s_add_i32 s58, s7, s6
	s_sub_i32 s6, 0, s56
	v_readfirstlane_b32 s7, v0
	v_mbcnt_lo_u32_b32 v0, -1, 0
	v_and_b32_e32 v2, 63, v2
	s_mul_i32 s6, s6, s7
	v_mbcnt_hi_u32_b32 v0, -1, v0
	v_mul_lo_u32 v46, s23, v86
	s_mul_hi_u32 s6, s7, s6
	v_and_or_b32 v0, v0, 64, v2
	v_cndmask_b32_e64 v76, 0, 1, s[0:1]
	v_or_b32_e32 v78, 0x3000, v77
	s_ashr_i32 s29, s21, 31
	s_mov_b32 s28, s21
	v_or_b32_e32 v81, 16, v36
	v_or_b32_e32 v82, 32, v36
	v_ashrrev_i32_e32 v39, 31, v38
	v_or_b32_e32 v84, 16, v83
	v_ashrrev_i32_e32 v41, 31, v40
	;; [unrolled: 2-line block ×3, first 2 shown]
	v_ashrrev_i32_e32 v47, 31, v46
	v_mov_b32_e32 v45, 0
	v_or_b32_e32 v88, 0x3000, v87
	s_lshl_b32 s55, s23, 4
	v_mul_lo_u32 v89, s22, v86
	s_ashr_i32 s57, s33, 31
	s_ashr_i32 s59, s50, 31
	s_add_i32 s60, s7, s6
	s_movk_i32 s61, 0x1800
	s_mov_b32 s62, 0x55555556
	v_lshlrev_b32_e32 v90, 2, v0
	v_mov_b32_e32 v91, v50
	s_branch .LBB276_7
.LBB276_4:                              ;   in Loop: Header=BB276_7 Depth=1
	s_or_b64 exec, exec, s[10:11]
.LBB276_5:                              ;   in Loop: Header=BB276_7 Depth=1
	s_or_b64 exec, exec, s[8:9]
	v_subrev_u32_e32 v91, s66, v91
.LBB276_6:                              ;   in Loop: Header=BB276_7 Depth=1
	s_or_b64 exec, exec, s[6:7]
	s_add_i32 s51, s51, 1
	v_cmp_ge_i32_e32 vcc, s51, v37
	s_cbranch_vccnz .LBB276_58
.LBB276_7:                              ; =>This Loop Header: Depth=1
                                        ;     Child Loop BB276_13 Depth 2
                                        ;       Child Loop BB276_15 Depth 3
                                        ;       Child Loop BB276_18 Depth 3
	;; [unrolled: 1-line block ×6, first 2 shown]
                                        ;     Child Loop BB276_45 Depth 2
                                        ;       Child Loop BB276_47 Depth 3
                                        ;     Child Loop BB276_55 Depth 2
                                        ;       Child Loop BB276_57 Depth 3
	s_abs_i32 s7, s51
	s_mul_hi_u32 s8, s7, s58
	s_mul_i32 s9, s8, s54
	s_ashr_i32 s6, s51, 31
	s_sub_i32 s7, s7, s9
	s_xor_b32 s6, s6, s57
	s_add_i32 s9, s8, 1
	s_sub_i32 s10, s7, s54
	s_cmp_ge_u32 s7, s54
	s_cselect_b32 s8, s9, s8
	s_cselect_b32 s7, s10, s7
	s_add_i32 s9, s8, 1
	s_cmp_ge_u32 s7, s54
	s_cselect_b32 s7, s9, s8
	s_xor_b32 s7, s7, s6
	s_sub_i32 s6, s7, s6
	s_abs_i32 s8, s6
	s_mul_hi_u32 s9, s8, s60
	s_mul_i32 s7, s6, s33
	s_mul_i32 s10, s9, s56
	s_sub_i32 s63, s51, s7
	s_ashr_i32 s7, s6, 31
	s_sub_i32 s8, s8, s10
	s_xor_b32 s7, s7, s59
	s_add_i32 s10, s9, 1
	s_sub_i32 s11, s8, s56
	s_cmp_ge_u32 s8, s56
	s_cselect_b32 s9, s10, s9
	s_cselect_b32 s8, s11, s8
	s_add_i32 s10, s9, 1
	s_cmp_ge_u32 s8, s56
	s_cselect_b32 s8, s10, s9
	s_xor_b32 s8, s8, s7
	s_sub_i32 s7, s8, s7
	s_mul_i32 s8, s7, s52
	s_lshl_b32 s64, s8, 7
	s_mul_i32 s63, s63, 48
	s_cmp_eq_u32 s7, s24
	s_cselect_b32 s66, s53, s52
	s_sub_i32 s8, s63, s20
	s_add_i32 s8, s8, 48
	s_max_i32 s65, s8, 0
	s_and_saveexec_b64 s[8:9], s[2:3]
	s_xor_b64 s[30:31], exec, s[8:9]
	s_cbranch_execz .LBB276_51
; %bb.8:                                ;   in Loop: Header=BB276_7 Depth=1
	s_mul_i32 s7, s7, s50
	s_sub_i32 s6, s6, s7
	s_mul_i32 s6, s6, 48
	s_sub_i32 s18, s6, s21
	s_add_i32 s18, s18, 48
	s_max_i32 s7, s18, 0
	s_sub_i32 s34, s6, s7
	s_and_saveexec_b64 s[6:7], s[0:1]
	s_xor_b64 s[44:45], exec, s[6:7]
	s_cbranch_execz .LBB276_41
; %bb.9:                                ;   in Loop: Header=BB276_7 Depth=1
	s_and_saveexec_b64 s[46:47], s[4:5]
	s_cbranch_execz .LBB276_40
; %bb.10:                               ;   in Loop: Header=BB276_7 Depth=1
	s_waitcnt lgkmcnt(0)
	global_load_dword v92, v45, s[42:43]
	v_mov_b32_e32 v35, 0
	v_cmp_gt_i32_e32 vcc, s66, v91
	v_mov_b32_e32 v34, v35
	v_mov_b32_e32 v33, v35
	v_mov_b32_e32 v32, v35
	v_mov_b32_e32 v31, v35
	v_mov_b32_e32 v30, v35
	v_mov_b32_e32 v29, v35
	v_mov_b32_e32 v28, v35
	v_mov_b32_e32 v27, v35
	v_mov_b32_e32 v26, v35
	v_mov_b32_e32 v25, v35
	v_mov_b32_e32 v24, v35
	v_mov_b32_e32 v23, v35
	v_mov_b32_e32 v22, v35
	v_mov_b32_e32 v21, v35
	v_mov_b32_e32 v20, v35
	v_mov_b32_e32 v19, v35
	v_mov_b32_e32 v18, v35
	v_mov_b32_e32 v17, v35
	v_mov_b32_e32 v16, v35
	v_mov_b32_e32 v15, v35
	v_mov_b32_e32 v14, v35
	v_mov_b32_e32 v13, v35
	v_mov_b32_e32 v12, v35
	v_mov_b32_e32 v11, v35
	v_mov_b32_e32 v10, v35
	v_mov_b32_e32 v9, v35
	v_mov_b32_e32 v8, v35
	v_mov_b32_e32 v3, v35
	v_mov_b32_e32 v2, v35
	v_mov_b32_e32 v1, v35
	v_mov_b32_e32 v0, v35
	v_mov_b32_e32 v7, v35
	v_mov_b32_e32 v6, v35
	v_mov_b32_e32 v5, v35
	v_mov_b32_e32 v4, v35
	s_and_saveexec_b64 s[6:7], vcc
	s_cbranch_execz .LBB276_32
; %bb.11:                               ;   in Loop: Header=BB276_7 Depth=1
	v_mov_b32_e32 v4, 0
	s_mov_b64 s[8:9], 0
	v_mov_b32_e32 v5, v4
	v_mov_b32_e32 v6, v4
	;; [unrolled: 1-line block ×35, first 2 shown]
	s_branch .LBB276_13
.LBB276_12:                             ;   in Loop: Header=BB276_13 Depth=2
	s_or_b64 exec, exec, s[10:11]
	v_add_u32_e32 v70, 0x1000, v95
	ds_read2_b32 v[66:67], v70 offset1:32
	v_add_u32_e32 v95, 0x1400, v95
	v_add_u32_e32 v91, s27, v91
	s_waitcnt lgkmcnt(0)
	v_mfma_f32_16x16x32_fp8_fp8 v[24:27], v[48:49], v[66:67], v[24:27]
	ds_read2_b32 v[48:49], v70 offset0:128 offset1:160
	ds_read2_b32 v[70:71], v95 offset1:32
	v_mfma_f32_16x16x32_fp8_fp8 v[12:15], v[56:57], v[66:67], v[12:15]
	v_mfma_f32_16x16x32_fp8_fp8 v[4:7], v[72:73], v[66:67], v[4:7]
	s_waitcnt lgkmcnt(1)
	v_mfma_f32_16x16x32_fp8_fp8 v[24:27], v[50:51], v[48:49], v[24:27]
	v_add_u32_e32 v50, s27, v93
	v_cmp_lt_i32_e32 vcc, 1, v50
	v_mfma_f32_16x16x32_fp8_fp8 v[12:15], v[58:59], v[48:49], v[12:15]
	v_mfma_f32_16x16x32_fp8_fp8 v[4:7], v[74:75], v[48:49], v[4:7]
	v_add_u32_e32 v48, 2, v76
	v_cndmask_b32_e32 v76, v76, v48, vcc
	v_cmp_le_i32_e32 vcc, s66, v91
	s_waitcnt lgkmcnt(0)
	v_mfma_f32_16x16x32_fp8_fp8 v[24:27], v[52:53], v[70:71], v[24:27]
	ds_read2_b32 v[52:53], v95 offset0:128 offset1:160
	s_or_b64 s[8:9], vcc, s[8:9]
	;;#ASMSTART
	s_waitcnt lgkmcnt(0)
	;;#ASMEND
	v_mfma_f32_16x16x32_fp8_fp8 v[12:15], v[60:61], v[70:71], v[12:15]
	ds_write_b32 v94, v96 offset:24608
	v_mfma_f32_16x16x32_fp8_fp8 v[4:7], v[68:69], v[70:71], v[4:7]
	s_waitcnt lgkmcnt(1)
	v_mfma_f32_16x16x32_fp8_fp8 v[24:27], v[54:55], v[52:53], v[24:27]
	v_mfma_f32_16x16x32_fp8_fp8 v[12:15], v[62:63], v[52:53], v[12:15]
	;; [unrolled: 1-line block ×3, first 2 shown]
	s_andn2_b64 exec, exec, s[8:9]
	s_cbranch_execz .LBB276_31
.LBB276_13:                             ;   Parent Loop BB276_7 Depth=1
                                        ; =>  This Loop Header: Depth=2
                                        ;       Child Loop BB276_15 Depth 3
                                        ;       Child Loop BB276_18 Depth 3
	;; [unrolled: 1-line block ×6, first 2 shown]
	v_cmp_gt_i32_e32 vcc, 2, v50
	s_nop 1
	v_cndmask_b32_e64 v48, -2, 0, vcc
	v_add_u32_e32 v93, v48, v50
	v_mul_lo_u32 v94, v93, 12
	ds_read_b32 v48, v94 offset:24600
	s_waitcnt lgkmcnt(0)
	v_cmp_ne_u32_e32 vcc, v48, v76
	s_and_saveexec_b64 s[10:11], vcc
	s_cbranch_execz .LBB276_16
; %bb.14:                               ;   in Loop: Header=BB276_13 Depth=2
	s_mov_b64 s[12:13], 0
.LBB276_15:                             ;   Parent Loop BB276_7 Depth=1
                                        ;     Parent Loop BB276_13 Depth=2
                                        ; =>    This Inner Loop Header: Depth=3
	;;#ASMSTART
	s_sleep 0
	;;#ASMEND
	ds_read_b32 v48, v94 offset:24600
	s_waitcnt lgkmcnt(0)
	v_cmp_eq_u32_e32 vcc, v48, v76
	s_or_b64 s[12:13], vcc, s[12:13]
	s_andn2_b64 exec, exec, s[12:13]
	s_cbranch_execnz .LBB276_15
.LBB276_16:                             ;   in Loop: Header=BB276_13 Depth=2
	s_or_b64 exec, exec, s[10:11]
	v_mul_lo_u32 v48, v93, s61
	v_add_u32_e32 v95, v78, v48
	v_add_u32_e32 v49, 0x400, v95
	ds_read2_b32 v[68:69], v95 offset1:32
	ds_read2_b32 v[64:65], v95 offset0:128 offset1:160
	ds_read2_b32 v[70:71], v49 offset1:32
	ds_read2_b32 v[66:67], v49 offset0:128 offset1:160
	;;#ASMSTART
	s_waitcnt lgkmcnt(0)
	;;#ASMEND
	ds_read_b32 v49, v94 offset:24576
	v_add_u32_e32 v96, 1, v76
	ds_write_b32 v94, v96 offset:24600
	s_waitcnt lgkmcnt(1)
	v_cmp_ne_u32_e32 vcc, v49, v76
	s_and_saveexec_b64 s[10:11], vcc
	s_cbranch_execz .LBB276_19
; %bb.17:                               ;   in Loop: Header=BB276_13 Depth=2
	s_mov_b64 s[12:13], 0
.LBB276_18:                             ;   Parent Loop BB276_7 Depth=1
                                        ;     Parent Loop BB276_13 Depth=2
                                        ; =>    This Inner Loop Header: Depth=3
	;;#ASMSTART
	s_sleep 0
	;;#ASMEND
	ds_read_b32 v49, v94 offset:24576
	s_waitcnt lgkmcnt(0)
	v_cmp_eq_u32_e32 vcc, v49, v76
	s_or_b64 s[12:13], vcc, s[12:13]
	s_andn2_b64 exec, exec, s[12:13]
	s_cbranch_execnz .LBB276_18
.LBB276_19:                             ;   in Loop: Header=BB276_13 Depth=2
	s_or_b64 exec, exec, s[10:11]
	v_add_u32_e32 v97, v77, v48
	ds_read2_b32 v[48:49], v97 offset1:32
	ds_read2_b32 v[50:51], v97 offset0:128 offset1:160
	v_add_u32_e32 v54, 0x400, v97
	ds_read2_b32 v[52:53], v54 offset1:32
	ds_read2_b32 v[54:55], v54 offset0:128 offset1:160
	ds_read_b32 v56, v94 offset:24580
	ds_write_b32 v94, v96 offset:24576
	s_waitcnt lgkmcnt(5)
	v_mfma_f32_16x16x32_fp8_fp8 v[32:35], v[48:49], v[68:69], v[32:35]
	s_waitcnt lgkmcnt(1)
	v_cmp_ne_u32_e32 vcc, v56, v76
	v_mfma_f32_16x16x32_fp8_fp8 v[32:35], v[50:51], v[64:65], v[32:35]
	v_mfma_f32_16x16x32_fp8_fp8 v[32:35], v[52:53], v[70:71], v[32:35]
	;; [unrolled: 1-line block ×3, first 2 shown]
	s_and_saveexec_b64 s[10:11], vcc
	s_cbranch_execz .LBB276_22
; %bb.20:                               ;   in Loop: Header=BB276_13 Depth=2
	s_mov_b64 s[12:13], 0
.LBB276_21:                             ;   Parent Loop BB276_7 Depth=1
                                        ;     Parent Loop BB276_13 Depth=2
                                        ; =>    This Inner Loop Header: Depth=3
	;;#ASMSTART
	s_sleep 0
	;;#ASMEND
	ds_read_b32 v56, v94 offset:24580
	s_waitcnt lgkmcnt(0)
	v_cmp_eq_u32_e32 vcc, v56, v76
	s_or_b64 s[12:13], vcc, s[12:13]
	s_andn2_b64 exec, exec, s[12:13]
	s_cbranch_execnz .LBB276_21
.LBB276_22:                             ;   in Loop: Header=BB276_13 Depth=2
	s_or_b64 exec, exec, s[10:11]
	v_add_u32_e32 v58, 0x800, v97
	ds_read2_b32 v[56:57], v58 offset1:32
	ds_read2_b32 v[58:59], v58 offset0:128 offset1:160
	v_add_u32_e32 v62, 0xc00, v97
	ds_read2_b32 v[60:61], v62 offset1:32
	ds_read2_b32 v[62:63], v62 offset0:128 offset1:160
	ds_read_b32 v72, v94 offset:24584
	ds_write_b32 v94, v96 offset:24580
	s_waitcnt lgkmcnt(5)
	v_mfma_f32_16x16x32_fp8_fp8 v[20:23], v[56:57], v[68:69], v[20:23]
	s_waitcnt lgkmcnt(1)
	v_cmp_ne_u32_e32 vcc, v72, v76
	v_mfma_f32_16x16x32_fp8_fp8 v[20:23], v[58:59], v[64:65], v[20:23]
	v_mfma_f32_16x16x32_fp8_fp8 v[20:23], v[60:61], v[70:71], v[20:23]
	;; [unrolled: 1-line block ×3, first 2 shown]
	s_and_saveexec_b64 s[10:11], vcc
	s_cbranch_execz .LBB276_25
; %bb.23:                               ;   in Loop: Header=BB276_13 Depth=2
	s_mov_b64 s[12:13], 0
.LBB276_24:                             ;   Parent Loop BB276_7 Depth=1
                                        ;     Parent Loop BB276_13 Depth=2
                                        ; =>    This Inner Loop Header: Depth=3
	;;#ASMSTART
	s_sleep 0
	;;#ASMEND
	ds_read_b32 v72, v94 offset:24584
	s_waitcnt lgkmcnt(0)
	v_cmp_eq_u32_e32 vcc, v72, v76
	s_or_b64 s[12:13], vcc, s[12:13]
	s_andn2_b64 exec, exec, s[12:13]
	s_cbranch_execnz .LBB276_24
.LBB276_25:                             ;   in Loop: Header=BB276_13 Depth=2
	s_or_b64 exec, exec, s[10:11]
	v_add_u32_e32 v74, 0x1000, v97
	ds_read2_b32 v[72:73], v74 offset1:32
	ds_read2_b32 v[74:75], v74 offset0:128 offset1:160
	v_add_u32_e32 v97, 0x1400, v97
	s_waitcnt lgkmcnt(1)
	v_mfma_f32_16x16x32_fp8_fp8 v[8:11], v[72:73], v[68:69], v[8:11]
	ds_read2_b32 v[68:69], v97 offset1:32
	s_waitcnt lgkmcnt(1)
	v_mfma_f32_16x16x32_fp8_fp8 v[8:11], v[74:75], v[64:65], v[8:11]
	s_waitcnt lgkmcnt(0)
	v_mfma_f32_16x16x32_fp8_fp8 v[8:11], v[68:69], v[70:71], v[8:11]
	ds_read2_b32 v[64:65], v97 offset0:128 offset1:160
	ds_read_b32 v70, v94 offset:24604
	ds_write_b32 v94, v96 offset:24584
	s_waitcnt lgkmcnt(1)
	v_cmp_ne_u32_e32 vcc, v70, v76
	v_mfma_f32_16x16x32_fp8_fp8 v[8:11], v[64:65], v[66:67], v[8:11]
	s_and_saveexec_b64 s[10:11], vcc
	s_cbranch_execz .LBB276_28
; %bb.26:                               ;   in Loop: Header=BB276_13 Depth=2
	s_mov_b64 s[12:13], 0
.LBB276_27:                             ;   Parent Loop BB276_7 Depth=1
                                        ;     Parent Loop BB276_13 Depth=2
                                        ; =>    This Inner Loop Header: Depth=3
	;;#ASMSTART
	s_sleep 0
	;;#ASMEND
	ds_read_b32 v66, v94 offset:24604
	s_waitcnt lgkmcnt(0)
	v_cmp_eq_u32_e32 vcc, v66, v76
	s_or_b64 s[12:13], vcc, s[12:13]
	s_andn2_b64 exec, exec, s[12:13]
	s_cbranch_execnz .LBB276_27
.LBB276_28:                             ;   in Loop: Header=BB276_13 Depth=2
	s_or_b64 exec, exec, s[10:11]
	v_add_u32_e32 v70, 0x800, v95
	ds_read2_b32 v[66:67], v70 offset1:32
	ds_read2_b32 v[70:71], v70 offset0:128 offset1:160
	v_add_u32_e32 v97, 0xc00, v95
	ds_read2_b32 v[98:99], v97 offset1:32
	ds_read2_b32 v[100:101], v97 offset0:128 offset1:160
	s_waitcnt lgkmcnt(3)
	v_mfma_f32_16x16x32_fp8_fp8 v[28:31], v[48:49], v[66:67], v[28:31]
	;;#ASMSTART
	s_waitcnt lgkmcnt(0)
	;;#ASMEND
	ds_write_b32 v94, v96 offset:24604
	v_mfma_f32_16x16x32_fp8_fp8 v[16:19], v[56:57], v[66:67], v[16:19]
	v_mfma_f32_16x16x32_fp8_fp8 v[0:3], v[72:73], v[66:67], v[0:3]
	ds_read_b32 v66, v94 offset:24608
	s_waitcnt lgkmcnt(0)
	v_cmp_ne_u32_e32 vcc, v66, v76
	v_mfma_f32_16x16x32_fp8_fp8 v[28:31], v[50:51], v[70:71], v[28:31]
	v_mfma_f32_16x16x32_fp8_fp8 v[16:19], v[58:59], v[70:71], v[16:19]
	;; [unrolled: 1-line block ×9, first 2 shown]
	s_and_saveexec_b64 s[10:11], vcc
	s_cbranch_execz .LBB276_12
; %bb.29:                               ;   in Loop: Header=BB276_13 Depth=2
	s_mov_b64 s[12:13], 0
.LBB276_30:                             ;   Parent Loop BB276_7 Depth=1
                                        ;     Parent Loop BB276_13 Depth=2
                                        ; =>    This Inner Loop Header: Depth=3
	;;#ASMSTART
	s_sleep 0
	;;#ASMEND
	ds_read_b32 v66, v94 offset:24608
	s_waitcnt lgkmcnt(0)
	v_cmp_eq_u32_e32 vcc, v66, v76
	s_or_b64 s[12:13], vcc, s[12:13]
	s_andn2_b64 exec, exec, s[12:13]
	s_cbranch_execnz .LBB276_30
	s_branch .LBB276_12
.LBB276_31:                             ;   in Loop: Header=BB276_7 Depth=1
	s_or_b64 exec, exec, s[8:9]
.LBB276_32:                             ;   in Loop: Header=BB276_7 Depth=1
	s_or_b64 exec, exec, s[6:7]
	v_cmp_le_i32_e32 vcc, s18, v36
	v_cmp_eq_u32_e64 s[6:7], 2, v79
	v_cmp_eq_u32_e64 s[8:9], 3, v79
	s_waitcnt vmcnt(0)
	v_cndmask_b32_e32 v48, 0, v92, vcc
	v_pk_mul_f32 v[32:33], v[48:49], v[32:33] op_sel_hi:[0,1]
	v_cmp_eq_u32_e32 vcc, 1, v79
	v_pk_mul_f32 v[52:53], v[48:49], v[34:35] op_sel_hi:[0,1]
	v_cmp_eq_u32_e64 s[10:11], 0, v79
	v_cndmask_b32_e32 v34, v32, v33, vcc
	v_cndmask_b32_e64 v34, v34, v52, s[6:7]
	v_cndmask_b32_e64 v34, v34, v53, s[8:9]
	ds_bpermute_b32 v49, v90, v34
	v_cmp_le_i32_e64 s[14:15], s18, v81
	v_cmp_eq_u32_e64 s[12:13], 1, v80
	v_cmp_le_i32_e64 s[18:19], s18, v82
	v_cmp_eq_u32_e64 s[16:17], 3, v80
	s_waitcnt lgkmcnt(0)
	v_cndmask_b32_e64 v34, v53, v49, s[8:9]
	v_cndmask_b32_e64 v35, v52, v49, s[6:7]
	v_cndmask_b32_e32 v33, v33, v49, vcc
	v_cndmask_b32_e64 v49, v32, v49, s[10:11]
	v_cndmask_b32_e64 v32, 0, v92, s[14:15]
	v_pk_mul_f32 v[28:29], v[32:33], v[28:29] op_sel_hi:[0,1]
	v_pk_mul_f32 v[52:53], v[32:33], v[30:31] op_sel_hi:[0,1]
	v_cndmask_b32_e32 v30, v28, v29, vcc
	v_cndmask_b32_e64 v30, v30, v52, s[6:7]
	v_cndmask_b32_e64 v30, v30, v53, s[8:9]
	ds_bpermute_b32 v55, v90, v30
	v_cndmask_b32_e64 v51, v49, v33, s[12:13]
	v_cmp_eq_u32_e64 s[14:15], 2, v80
	s_waitcnt lgkmcnt(0)
	v_cndmask_b32_e64 v31, v53, v55, s[8:9]
	v_cndmask_b32_e64 v30, v51, v35, s[14:15]
	;; [unrolled: 1-line block ×3, first 2 shown]
	v_cndmask_b32_e32 v54, v29, v55, vcc
	v_cndmask_b32_e64 v55, v28, v55, s[10:11]
	v_cndmask_b32_e64 v28, 0, v92, s[18:19]
	v_pk_mul_f32 v[56:57], v[28:29], v[24:25] op_sel_hi:[0,1]
	v_pk_mul_f32 v[52:53], v[28:29], v[26:27] op_sel_hi:[0,1]
	v_cndmask_b32_e32 v24, v56, v57, vcc
	v_cndmask_b32_e64 v24, v24, v52, s[6:7]
	v_cndmask_b32_e64 v24, v24, v53, s[8:9]
	ds_bpermute_b32 v25, v90, v24
	v_cndmask_b32_e64 v24, v55, v54, s[12:13]
	v_cndmask_b32_e64 v24, v24, v51, s[14:15]
	;; [unrolled: 1-line block ×3, first 2 shown]
	v_cmp_ne_u32_e32 vcc, 0, v79
	ds_bpermute_b32 v26, v90, v24
	s_waitcnt lgkmcnt(1)
	v_cndmask_b32_e64 v27, v53, v25, s[8:9]
	v_cndmask_b32_e64 v52, v52, v25, s[6:7]
	v_cndmask_b32_e32 v24, v57, v25, vcc
	v_cndmask_b32_e64 v25, v56, v25, s[10:11]
	v_cndmask_b32_e64 v29, v25, v24, s[12:13]
	;; [unrolled: 1-line block ×5, first 2 shown]
	ds_bpermute_b32 v30, v90, v30
	ds_bpermute_b32 v53, v90, v29
	v_add_u32_e32 v29, s65, v83
	v_cmp_gt_u32_e32 vcc, 48, v29
	s_and_saveexec_b64 s[18:19], vcc
	s_cbranch_execz .LBB276_39
; %bb.33:                               ;   in Loop: Header=BB276_7 Depth=1
	v_cmp_eq_u32_e64 s[8:9], 1, v80
	v_cmp_eq_u32_e64 s[10:11], 0, v80
	v_cmp_eq_u32_e32 vcc, 3, v80
	s_waitcnt lgkmcnt(1)
	v_cndmask_b32_e64 v33, v33, v30, s[8:9]
	v_cndmask_b32_e64 v54, v54, v26, s[8:9]
	s_waitcnt lgkmcnt(0)
	v_cndmask_b32_e64 v56, v24, v53, s[8:9]
	s_mul_i32 s8, s63, s21
	s_ashr_i32 s9, s8, 31
	v_cndmask_b32_e64 v49, v49, v30, s[10:11]
	s_lshl_b64 s[8:9], s[8:9], 1
	v_cndmask_b32_e64 v55, v55, v26, s[10:11]
	v_cndmask_b32_e64 v57, v25, v53, s[10:11]
	s_add_u32 s10, s40, s8
	v_cvt_f16_f32_e32 v49, v49
	v_cvt_f16_f32_sdwa v33, v33 dst_sel:WORD_1 dst_unused:UNUSED_PAD src0_sel:DWORD
	s_addc_u32 s11, s41, s9
	s_ashr_i32 s35, s34, 31
	s_lshl_b64 s[8:9], s[34:35], 1
	s_add_u32 s48, s10, s8
	s_addc_u32 s49, s11, s9
	v_or_b32_e32 v33, v33, v49
	v_lshl_add_u64 v[24:25], v[38:39], 1, s[48:49]
	;;#ASMSTART
	global_atomic_pk_add_f16 v[24:25], v33, off
	
	;;#ASMEND
	v_cvt_f16_f32_e32 v33, v55
	v_cvt_f16_f32_sdwa v49, v54 dst_sel:WORD_1 dst_unused:UNUSED_PAD src0_sel:DWORD
	v_cvt_f16_f32_e32 v57, v57
	v_cvt_f16_f32_sdwa v56, v56 dst_sel:WORD_1 dst_unused:UNUSED_PAD src0_sel:DWORD
	v_cmp_eq_u32_e64 s[6:7], 2, v80
	v_lshl_add_u64 v[54:55], v[24:25], 0, 32
	v_or_b32_e32 v33, v49, v33
	v_cmp_gt_u32_e64 s[8:9], 46, v29
	;;#ASMSTART
	global_atomic_pk_add_f16 v[54:55], v33, off
	
	;;#ASMEND
	v_lshl_add_u64 v[54:55], v[24:25], 0, 64
	v_or_b32_e32 v33, v56, v57
	;;#ASMSTART
	global_atomic_pk_add_f16 v[54:55], v33, off
	
	;;#ASMEND
	s_and_b64 exec, exec, s[8:9]
	s_cbranch_execz .LBB276_39
; %bb.34:                               ;   in Loop: Header=BB276_7 Depth=1
	v_cndmask_b32_e32 v34, v34, v30, vcc
	v_cndmask_b32_e64 v30, v35, v30, s[6:7]
	v_cndmask_b32_e32 v31, v31, v26, vcc
	v_cndmask_b32_e64 v26, v51, v26, s[6:7]
	v_cndmask_b32_e32 v35, v27, v53, vcc
	v_cvt_f16_f32_e32 v27, v30
	v_cvt_f16_f32_sdwa v30, v34 dst_sel:WORD_1 dst_unused:UNUSED_PAD src0_sel:DWORD
	v_cvt_f16_f32_e32 v34, v26
	v_cvt_f16_f32_sdwa v31, v31 dst_sel:WORD_1 dst_unused:UNUSED_PAD src0_sel:DWORD
	v_mov_b32_e32 v49, v48
	v_or_b32_e32 v26, v30, v27
	v_mov_b32_e32 v30, v48
	v_or_b32_e32 v34, v31, v34
	v_mov_b32_e32 v31, v48
	v_pk_mul_f32 v[22:23], v[30:31], v[22:23]
	v_pk_mul_f32 v[30:31], v[48:49], v[20:21]
	v_cmp_eq_u32_e32 vcc, 1, v79
	v_cndmask_b32_e64 v51, v52, v53, s[6:7]
	v_cmp_eq_u32_e64 s[6:7], 2, v79
	v_cndmask_b32_e32 v20, v30, v31, vcc
	v_lshl_add_u64 v[24:25], s[28:29], 2, v[24:25]
	v_cndmask_b32_e64 v20, v20, v22, s[6:7]
	v_cmp_eq_u32_e64 s[8:9], 3, v79
	;;#ASMSTART
	global_atomic_pk_add_f16 v[24:25], v26, off
	
	;;#ASMEND
	v_lshl_add_u64 v[26:27], v[24:25], 0, 32
	v_mov_b32_e32 v33, v32
	v_cndmask_b32_e64 v20, v20, v23, s[8:9]
	ds_bpermute_b32 v52, v90, v20
	;;#ASMSTART
	global_atomic_pk_add_f16 v[26:27], v34, off
	
	;;#ASMEND
	v_cvt_f16_f32_e32 v27, v51
	v_cvt_f16_f32_sdwa v51, v35 dst_sel:WORD_1 dst_unused:UNUSED_PAD src0_sel:DWORD
	v_lshl_add_u64 v[34:35], v[24:25], 0, 64
	v_mov_b32_e32 v24, v32
	v_mov_b32_e32 v25, v32
	v_pk_mul_f32 v[18:19], v[24:25], v[18:19]
	v_pk_mul_f32 v[24:25], v[32:33], v[16:17]
	v_cmp_eq_u32_e64 s[10:11], 0, v79
	v_cndmask_b32_e32 v16, v24, v25, vcc
	v_cndmask_b32_e64 v16, v16, v18, s[6:7]
	v_cndmask_b32_e64 v16, v16, v19, s[8:9]
	s_waitcnt lgkmcnt(0)
	v_cndmask_b32_e64 v20, v23, v52, s[8:9]
	v_cndmask_b32_e64 v23, v30, v52, s[10:11]
	ds_bpermute_b32 v30, v90, v16
	v_cndmask_b32_e64 v21, v22, v52, s[6:7]
	v_cndmask_b32_e32 v22, v31, v52, vcc
	v_cmp_eq_u32_e64 s[12:13], 1, v80
	v_mov_b32_e32 v29, v28
	v_cmp_eq_u32_e64 s[14:15], 2, v80
	v_cndmask_b32_e64 v26, v23, v22, s[12:13]
	s_waitcnt lgkmcnt(0)
	v_cndmask_b32_e64 v17, v19, v30, s[8:9]
	v_cndmask_b32_e64 v16, v26, v21, s[14:15]
	;; [unrolled: 1-line block ×3, first 2 shown]
	v_cndmask_b32_e32 v25, v25, v30, vcc
	v_cndmask_b32_e64 v26, v24, v30, s[10:11]
	v_mov_b32_e32 v30, v28
	v_mov_b32_e32 v31, v28
	v_pk_mul_f32 v[52:53], v[28:29], v[12:13]
	v_pk_mul_f32 v[30:31], v[30:31], v[14:15]
	v_cndmask_b32_e32 v12, v52, v53, vcc
	v_cndmask_b32_e64 v12, v12, v30, s[6:7]
	v_cndmask_b32_e64 v12, v12, v31, s[8:9]
	ds_bpermute_b32 v13, v90, v12
	v_cndmask_b32_e64 v12, v26, v25, s[12:13]
	v_cmp_eq_u32_e64 s[16:17], 3, v80
	v_cndmask_b32_e64 v12, v12, v18, s[14:15]
	v_cmp_ne_u32_e32 vcc, 0, v79
	v_cndmask_b32_e64 v12, v12, v17, s[16:17]
	ds_bpermute_b32 v14, v90, v12
	s_waitcnt lgkmcnt(1)
	v_cndmask_b32_e64 v15, v31, v13, s[8:9]
	v_cndmask_b32_e64 v19, v30, v13, s[6:7]
	v_cndmask_b32_e32 v12, v53, v13, vcc
	v_cndmask_b32_e64 v13, v52, v13, s[10:11]
	v_cndmask_b32_e64 v24, v13, v12, s[12:13]
	;; [unrolled: 1-line block ×5, first 2 shown]
	ds_bpermute_b32 v16, v90, v16
	ds_bpermute_b32 v24, v90, v24
	v_or_b32_e32 v27, v51, v27
	;;#ASMSTART
	global_atomic_pk_add_f16 v[34:35], v27, off
	
	;;#ASMEND
	v_add_u32_e32 v27, s65, v84
	v_cmp_gt_u32_e32 vcc, 48, v27
	s_and_b64 exec, exec, vcc
	s_cbranch_execz .LBB276_39
; %bb.35:                               ;   in Loop: Header=BB276_7 Depth=1
	v_cmp_eq_u32_e64 s[8:9], 1, v80
	v_cmp_eq_u32_e64 s[10:11], 0, v80
	v_cmp_eq_u32_e32 vcc, 3, v80
	s_waitcnt lgkmcnt(1)
	v_cndmask_b32_e64 v22, v22, v16, s[8:9]
	v_cndmask_b32_e64 v23, v23, v16, s[10:11]
	;; [unrolled: 1-line block ×4, first 2 shown]
	v_cvt_f16_f32_e32 v23, v23
	v_cvt_f16_f32_sdwa v22, v22 dst_sel:WORD_1 dst_unused:UNUSED_PAD src0_sel:DWORD
	s_waitcnt lgkmcnt(0)
	v_cndmask_b32_e64 v30, v12, v24, s[8:9]
	v_cndmask_b32_e64 v31, v13, v24, s[10:11]
	v_cvt_f16_f32_e32 v26, v26
	v_cvt_f16_f32_sdwa v25, v25 dst_sel:WORD_1 dst_unused:UNUSED_PAD src0_sel:DWORD
	v_cvt_f16_f32_e32 v31, v31
	v_cvt_f16_f32_sdwa v30, v30 dst_sel:WORD_1 dst_unused:UNUSED_PAD src0_sel:DWORD
	v_lshl_add_u64 v[12:13], v[40:41], 1, s[48:49]
	v_or_b32_e32 v22, v22, v23
	v_cmp_eq_u32_e64 s[6:7], 2, v80
	;;#ASMSTART
	global_atomic_pk_add_f16 v[12:13], v22, off
	
	;;#ASMEND
	v_lshl_add_u64 v[22:23], v[12:13], 0, 32
	v_or_b32_e32 v25, v25, v26
	v_cmp_gt_u32_e64 s[8:9], 46, v27
	;;#ASMSTART
	global_atomic_pk_add_f16 v[22:23], v25, off
	
	;;#ASMEND
	v_lshl_add_u64 v[22:23], v[12:13], 0, 64
	v_or_b32_e32 v25, v30, v31
	;;#ASMSTART
	global_atomic_pk_add_f16 v[22:23], v25, off
	
	;;#ASMEND
	s_and_b64 exec, exec, s[8:9]
	s_cbranch_execz .LBB276_39
; %bb.36:                               ;   in Loop: Header=BB276_7 Depth=1
	v_cndmask_b32_e32 v20, v20, v16, vcc
	v_cndmask_b32_e64 v16, v21, v16, s[6:7]
	v_cndmask_b32_e32 v17, v17, v14, vcc
	v_cndmask_b32_e64 v14, v18, v14, s[6:7]
	v_cndmask_b32_e32 v18, v15, v24, vcc
	v_cvt_f16_f32_e32 v15, v16
	v_cvt_f16_f32_sdwa v16, v20 dst_sel:WORD_1 dst_unused:UNUSED_PAD src0_sel:DWORD
	v_cvt_f16_f32_e32 v20, v14
	v_cvt_f16_f32_sdwa v17, v17 dst_sel:WORD_1 dst_unused:UNUSED_PAD src0_sel:DWORD
	v_cmp_eq_u32_e32 vcc, 1, v79
	v_or_b32_e32 v14, v16, v15
	v_mov_b32_e32 v16, v48
	v_or_b32_e32 v20, v17, v20
	v_mov_b32_e32 v17, v48
	v_pk_mul_f32 v[10:11], v[16:17], v[10:11]
	v_pk_mul_f32 v[16:17], v[48:49], v[8:9]
	v_cndmask_b32_e64 v19, v19, v24, s[6:7]
	v_cndmask_b32_e32 v8, v16, v17, vcc
	v_cmp_eq_u32_e64 s[6:7], 2, v79
	v_cmp_eq_u32_e64 s[8:9], 3, v79
	v_lshl_add_u64 v[12:13], s[28:29], 2, v[12:13]
	v_cndmask_b32_e64 v8, v8, v10, s[6:7]
	v_cndmask_b32_e64 v8, v8, v11, s[8:9]
	ds_bpermute_b32 v21, v90, v8
	;;#ASMSTART
	global_atomic_pk_add_f16 v[12:13], v14, off
	
	;;#ASMEND
	v_lshl_add_u64 v[14:15], v[12:13], 0, 32
	v_cmp_eq_u32_e64 s[10:11], 0, v79
	;;#ASMSTART
	global_atomic_pk_add_f16 v[14:15], v20, off
	
	;;#ASMEND
	v_cvt_f16_f32_e32 v20, v19
	v_cvt_f16_f32_sdwa v22, v18 dst_sel:WORD_1 dst_unused:UNUSED_PAD src0_sel:DWORD
	v_lshl_add_u64 v[18:19], v[12:13], 0, 64
	s_waitcnt lgkmcnt(0)
	v_cndmask_b32_e64 v8, v11, v21, s[8:9]
	v_cndmask_b32_e32 v11, v17, v21, vcc
	v_cndmask_b32_e64 v12, v16, v21, s[10:11]
	v_mov_b32_e32 v14, v32
	v_mov_b32_e32 v15, v32
	v_pk_mul_f32 v[16:17], v[32:33], v[0:1]
	v_pk_mul_f32 v[14:15], v[14:15], v[2:3]
	v_cndmask_b32_e32 v0, v16, v17, vcc
	v_cndmask_b32_e64 v0, v0, v14, s[6:7]
	v_cndmask_b32_e64 v0, v0, v15, s[8:9]
	ds_bpermute_b32 v1, v90, v0
	v_cmp_eq_u32_e64 s[12:13], 1, v80
	v_cndmask_b32_e64 v9, v10, v21, s[6:7]
	v_cmp_eq_u32_e64 s[14:15], 2, v80
	v_cndmask_b32_e64 v10, v12, v11, s[12:13]
	;; [unrolled: 2-line block ×3, first 2 shown]
	s_waitcnt lgkmcnt(0)
	v_cndmask_b32_e64 v3, v15, v1, s[8:9]
	v_cndmask_b32_e64 v0, v0, v8, s[16:17]
	ds_bpermute_b32 v2, v90, v0
	v_cndmask_b32_e64 v10, v14, v1, s[6:7]
	v_cndmask_b32_e32 v0, v17, v1, vcc
	v_cndmask_b32_e64 v1, v16, v1, s[10:11]
	v_mov_b32_e32 v14, v28
	v_mov_b32_e32 v15, v28
	v_pk_mul_f32 v[16:17], v[28:29], v[4:5]
	v_pk_mul_f32 v[14:15], v[14:15], v[6:7]
	v_cndmask_b32_e32 v4, v16, v17, vcc
	v_cndmask_b32_e64 v4, v4, v14, s[6:7]
	v_cndmask_b32_e64 v4, v4, v15, s[8:9]
	ds_bpermute_b32 v7, v90, v4
	v_cndmask_b32_e64 v4, v1, v0, s[12:13]
	v_cndmask_b32_e64 v4, v4, v10, s[14:15]
	;; [unrolled: 1-line block ×3, first 2 shown]
	v_cmp_ne_u32_e32 vcc, 0, v79
	ds_bpermute_b32 v6, v90, v4
	s_waitcnt lgkmcnt(1)
	v_cndmask_b32_e64 v4, v15, v7, s[8:9]
	v_cndmask_b32_e64 v5, v14, v7, s[6:7]
	v_cndmask_b32_e32 v14, v17, v7, vcc
	v_cndmask_b32_e64 v15, v16, v7, s[10:11]
	v_cndmask_b32_e64 v7, v15, v14, s[12:13]
	;; [unrolled: 1-line block ×4, first 2 shown]
	ds_bpermute_b32 v7, v90, v7
	v_or_b32_e32 v13, v22, v20
	;;#ASMSTART
	global_atomic_pk_add_f16 v[18:19], v13, off
	
	;;#ASMEND
	v_add_u32_e32 v13, s65, v85
	v_cmp_gt_u32_e32 vcc, 48, v13
	s_and_b64 exec, exec, vcc
	s_cbranch_execz .LBB276_39
; %bb.37:                               ;   in Loop: Header=BB276_7 Depth=1
	v_cmp_eq_u32_e64 s[8:9], 1, v80
	v_cmp_eq_u32_e64 s[10:11], 0, v80
	v_cmp_eq_u32_e32 vcc, 3, v80
	v_cndmask_b32_e64 v11, v11, v2, s[8:9]
	v_cndmask_b32_e64 v12, v12, v2, s[10:11]
	v_cvt_f16_f32_e32 v12, v12
	v_cvt_f16_f32_sdwa v11, v11 dst_sel:WORD_1 dst_unused:UNUSED_PAD src0_sel:DWORD
	s_waitcnt lgkmcnt(1)
	v_cndmask_b32_e64 v16, v0, v6, s[8:9]
	v_cndmask_b32_e64 v17, v1, v6, s[10:11]
	s_waitcnt lgkmcnt(0)
	v_cndmask_b32_e64 v18, v14, v7, s[8:9]
	v_or_b32_e32 v11, v11, v12
	v_cndmask_b32_e64 v19, v15, v7, s[10:11]
	v_lshl_add_u64 v[0:1], v[42:43], 1, s[48:49]
	;;#ASMSTART
	global_atomic_pk_add_f16 v[0:1], v11, off
	
	;;#ASMEND
	v_cvt_f16_f32_e32 v11, v17
	v_cvt_f16_f32_sdwa v12, v16 dst_sel:WORD_1 dst_unused:UNUSED_PAD src0_sel:DWORD
	v_cvt_f16_f32_e32 v16, v19
	v_cvt_f16_f32_sdwa v17, v18 dst_sel:WORD_1 dst_unused:UNUSED_PAD src0_sel:DWORD
	v_cmp_eq_u32_e64 s[6:7], 2, v80
	v_lshl_add_u64 v[14:15], v[0:1], 0, 32
	v_or_b32_e32 v11, v12, v11
	v_cmp_gt_u32_e64 s[8:9], 46, v13
	;;#ASMSTART
	global_atomic_pk_add_f16 v[14:15], v11, off
	
	;;#ASMEND
	v_lshl_add_u64 v[14:15], v[0:1], 0, 64
	v_or_b32_e32 v11, v17, v16
	;;#ASMSTART
	global_atomic_pk_add_f16 v[14:15], v11, off
	
	;;#ASMEND
	s_and_b64 exec, exec, s[8:9]
	s_cbranch_execz .LBB276_39
; %bb.38:                               ;   in Loop: Header=BB276_7 Depth=1
	v_cndmask_b32_e32 v8, v8, v2, vcc
	v_cndmask_b32_e64 v2, v9, v2, s[6:7]
	v_cvt_f16_f32_e32 v2, v2
	v_cvt_f16_f32_sdwa v8, v8 dst_sel:WORD_1 dst_unused:UNUSED_PAD src0_sel:DWORD
	v_cndmask_b32_e32 v3, v3, v6, vcc
	v_cndmask_b32_e64 v6, v10, v6, s[6:7]
	v_cndmask_b32_e32 v4, v4, v7, vcc
	v_cndmask_b32_e64 v5, v5, v7, s[6:7]
	v_cvt_f16_f32_e32 v6, v6
	v_cvt_f16_f32_sdwa v7, v3 dst_sel:WORD_1 dst_unused:UNUSED_PAD src0_sel:DWORD
	v_cvt_f16_f32_e32 v5, v5
	v_cvt_f16_f32_sdwa v4, v4 dst_sel:WORD_1 dst_unused:UNUSED_PAD src0_sel:DWORD
	v_lshl_add_u64 v[0:1], s[28:29], 2, v[0:1]
	v_or_b32_e32 v2, v8, v2
	;;#ASMSTART
	global_atomic_pk_add_f16 v[0:1], v2, off
	
	;;#ASMEND
	v_lshl_add_u64 v[2:3], v[0:1], 0, 32
	v_or_b32_e32 v6, v7, v6
	;;#ASMSTART
	global_atomic_pk_add_f16 v[2:3], v6, off
	
	;;#ASMEND
	;; [unrolled: 6-line block ×3, first 2 shown]
.LBB276_39:                             ;   in Loop: Header=BB276_7 Depth=1
	s_or_b64 exec, exec, s[18:19]
	v_subrev_u32_e32 v91, s66, v91
.LBB276_40:                             ;   in Loop: Header=BB276_7 Depth=1
	s_or_b64 exec, exec, s[46:47]
.LBB276_41:                             ;   in Loop: Header=BB276_7 Depth=1
	s_andn2_saveexec_b64 s[6:7], s[44:45]
	s_cbranch_execz .LBB276_50
; %bb.42:                               ;   in Loop: Header=BB276_7 Depth=1
	s_mul_i32 s16, s66, 3
	v_cmp_gt_i32_e32 vcc, s16, v91
	s_and_saveexec_b64 s[8:9], vcc
	s_cbranch_execz .LBB276_49
; %bb.43:                               ;   in Loop: Header=BB276_7 Depth=1
	s_mul_i32 s10, s34, s23
	s_ashr_i32 s11, s10, 31
	s_waitcnt lgkmcnt(0)
	s_add_u32 s10, s38, s10
	s_addc_u32 s11, s39, s11
	s_ashr_i32 s12, s64, 31
	s_add_u32 s10, s10, s64
	s_addc_u32 s11, s11, s12
	v_lshl_add_u64 v[0:1], s[10:11], 0, v[46:47]
	v_lshl_add_u64 v[8:9], v[0:1], 0, v[44:45]
	s_mov_b64 s[10:11], 0
	s_branch .LBB276_45
.LBB276_44:                             ;   in Loop: Header=BB276_45 Depth=2
	s_or_b64 exec, exec, s[12:13]
	v_lshl_add_u32 v12, v10, 11, v88
	;;#ASMSTART
	s_waitcnt vmcnt(1)
	;;#ASMEND
	ds_write2_b32 v12, v4, v5 offset1:32
	ds_write2_b32 v12, v6, v7 offset0:64 offset1:96
	v_add_u32_e32 v4, 0x400, v12
	v_add_u32_e32 v91, s26, v91
	;;#ASMSTART
	s_waitcnt vmcnt(0)
	;;#ASMEND
	ds_write2_b32 v4, v0, v1 offset1:32
	ds_write2_b32 v4, v2, v3 offset0:64 offset1:96
	v_add_u32_e32 v0, 1, v76
	v_add_u32_e32 v50, s26, v10
	v_cmp_le_i32_e32 vcc, s16, v91
	ds_write_b32 v11, v0 offset:24
	v_add_u32_e32 v0, 2, v76
	s_or_b64 s[10:11], vcc, s[10:11]
	v_cmp_lt_i32_e32 vcc, 5, v50
	s_nop 1
	v_cndmask_b32_e32 v76, v76, v0, vcc
	s_andn2_b64 exec, exec, s[10:11]
	s_cbranch_execz .LBB276_48
.LBB276_45:                             ;   Parent Loop BB276_7 Depth=1
                                        ; =>  This Loop Header: Depth=2
                                        ;       Child Loop BB276_47 Depth 3
	v_cmp_gt_i32_e32 vcc, 6, v50
	s_nop 1
	v_cndmask_b32_e64 v0, -6, 0, vcc
	v_add_u32_e32 v10, v0, v50
	v_mul_hi_i32 v0, v91, s62
	v_lshrrev_b32_e32 v1, 31, v0
	v_add_u32_e32 v0, v0, v1
	v_lshl_add_u32 v1, v0, 1, v0
	v_sub_u32_e32 v2, v91, v1
	v_lshlrev_b32_e32 v0, 7, v0
	v_ashrrev_i32_e32 v1, 31, v0
	v_mul_lo_u32 v2, s55, v2
	v_lshl_add_u64 v[0:1], v[8:9], 0, v[0:1]
	v_ashrrev_i32_e32 v3, 31, v2
	v_lshl_add_u64 v[0:1], v[0:1], 0, v[2:3]
	v_lshlrev_b32_e32 v11, 2, v10
	;;#ASMSTART
	global_load_dwordx4 v[4:7], v[0:1], off offset:0   sc0 sc1 nt  
	global_load_dwordx4 v[0:3], v[0:1], off offset:64  sc0 sc1 nt  
	
	;;#ASMEND
	ds_read_b32 v12, v11 offset:24600
	v_add_u32_e32 v11, 0x6000, v11
	s_waitcnt lgkmcnt(0)
	v_cmp_ne_u32_e32 vcc, v12, v76
	s_and_saveexec_b64 s[12:13], vcc
	s_cbranch_execz .LBB276_44
; %bb.46:                               ;   in Loop: Header=BB276_45 Depth=2
	s_mov_b64 s[14:15], 0
.LBB276_47:                             ;   Parent Loop BB276_7 Depth=1
                                        ;     Parent Loop BB276_45 Depth=2
                                        ; =>    This Inner Loop Header: Depth=3
	;;#ASMSTART
	s_sleep 0
	;;#ASMEND
	ds_read_b32 v12, v11 offset:24
	s_waitcnt lgkmcnt(0)
	v_cmp_eq_u32_e32 vcc, v12, v76
	s_or_b64 s[14:15], vcc, s[14:15]
	s_andn2_b64 exec, exec, s[14:15]
	s_cbranch_execnz .LBB276_47
	s_branch .LBB276_44
.LBB276_48:                             ;   in Loop: Header=BB276_7 Depth=1
	s_or_b64 exec, exec, s[10:11]
.LBB276_49:                             ;   in Loop: Header=BB276_7 Depth=1
	s_or_b64 exec, exec, s[8:9]
	v_subrev_u32_e32 v91, s16, v91
.LBB276_50:                             ;   in Loop: Header=BB276_7 Depth=1
	s_or_b64 exec, exec, s[6:7]
.LBB276_51:                             ;   in Loop: Header=BB276_7 Depth=1
	s_andn2_saveexec_b64 s[6:7], s[30:31]
	s_cbranch_execz .LBB276_6
; %bb.52:                               ;   in Loop: Header=BB276_7 Depth=1
	s_mul_i32 s66, s66, 3
	v_cmp_gt_i32_e32 vcc, s66, v91
	s_and_saveexec_b64 s[8:9], vcc
	s_cbranch_execz .LBB276_5
; %bb.53:                               ;   in Loop: Header=BB276_7 Depth=1
	s_mul_i32 s63, s63, s22
	s_ashr_i32 s10, s63, 31
	s_waitcnt lgkmcnt(0)
	s_add_u32 s11, s36, s63
	v_add_u32_e32 v2, s65, v86
	s_addc_u32 s12, s37, s10
	s_ashr_i32 s13, s64, 31
	v_cmp_gt_u32_e32 vcc, 48, v2
	s_add_u32 s10, s11, s64
	s_addc_u32 s11, s12, s13
	v_cndmask_b32_e32 v0, 0, v89, vcc
	v_ashrrev_i32_e32 v1, 31, v0
	v_lshl_add_u64 v[0:1], s[10:11], 0, v[0:1]
	v_lshl_add_u64 v[8:9], v[0:1], 0, v[44:45]
	v_sub_u32_e32 v10, 47, v2
	s_mov_b64 s[10:11], 0
	s_branch .LBB276_55
.LBB276_54:                             ;   in Loop: Header=BB276_55 Depth=2
	s_or_b64 exec, exec, s[12:13]
	v_lshl_or_b32 v13, v11, 11, v87
	;;#ASMSTART
	s_waitcnt vmcnt(1)
	;;#ASMEND
	ds_write2_b32 v13, v4, v5 offset1:32
	ds_write2_b32 v13, v6, v7 offset0:64 offset1:96
	v_add_u32_e32 v4, 0x400, v13
	v_add_u32_e32 v91, s25, v91
	;;#ASMSTART
	s_waitcnt vmcnt(0)
	;;#ASMEND
	ds_write2_b32 v4, v0, v1 offset1:32
	ds_write2_b32 v4, v2, v3 offset0:64 offset1:96
	v_add_u32_e32 v0, 1, v76
	v_add_u32_e32 v50, s25, v11
	v_cmp_le_i32_e32 vcc, s66, v91
	ds_write_b32 v12, v0
	v_add_u32_e32 v0, 2, v76
	s_or_b64 s[10:11], vcc, s[10:11]
	v_cmp_lt_i32_e32 vcc, 5, v50
	s_nop 1
	v_cndmask_b32_e32 v76, v76, v0, vcc
	s_andn2_b64 exec, exec, s[10:11]
	s_cbranch_execz .LBB276_4
.LBB276_55:                             ;   Parent Loop BB276_7 Depth=1
                                        ; =>  This Loop Header: Depth=2
                                        ;       Child Loop BB276_57 Depth 3
	v_cmp_gt_i32_e32 vcc, 6, v50
	s_nop 1
	v_cndmask_b32_e64 v0, -6, 0, vcc
	v_add_u32_e32 v11, v0, v50
	v_mul_hi_i32 v0, v91, s62
	v_lshrrev_b32_e32 v1, 31, v0
	v_add_u32_e32 v0, v0, v1
	v_lshl_add_u32 v1, v0, 1, v0
	v_sub_u32_e32 v1, v91, v1
	v_lshlrev_b32_e32 v1, 4, v1
	v_cmp_le_i32_e32 vcc, v1, v10
	v_lshlrev_b32_e32 v0, 7, v0
	v_lshlrev_b32_e32 v12, 2, v11
	v_cndmask_b32_e32 v2, 0, v1, vcc
	v_ashrrev_i32_e32 v1, 31, v0
	v_mul_lo_u32 v2, v2, s22
	v_lshl_add_u64 v[0:1], v[8:9], 0, v[0:1]
	v_ashrrev_i32_e32 v3, 31, v2
	v_lshl_add_u64 v[0:1], v[0:1], 0, v[2:3]
	;;#ASMSTART
	global_load_dwordx4 v[4:7], v[0:1], off offset:0   
	global_load_dwordx4 v[0:3], v[0:1], off offset:64  
	
	;;#ASMEND
	ds_read_b32 v13, v12 offset:24576
	v_add_u32_e32 v12, 0x6000, v12
	s_waitcnt lgkmcnt(0)
	v_cmp_ne_u32_e32 vcc, v13, v76
	s_and_saveexec_b64 s[12:13], vcc
	s_cbranch_execz .LBB276_54
; %bb.56:                               ;   in Loop: Header=BB276_55 Depth=2
	s_mov_b64 s[14:15], 0
.LBB276_57:                             ;   Parent Loop BB276_7 Depth=1
                                        ;     Parent Loop BB276_55 Depth=2
                                        ; =>    This Inner Loop Header: Depth=3
	;;#ASMSTART
	s_sleep 0
	;;#ASMEND
	ds_read_b32 v13, v12
	s_waitcnt lgkmcnt(0)
	v_cmp_eq_u32_e32 vcc, v13, v76
	s_or_b64 s[14:15], vcc, s[14:15]
	s_andn2_b64 exec, exec, s[14:15]
	s_cbranch_execnz .LBB276_57
	s_branch .LBB276_54
.LBB276_58:
	s_endpgm
	.section	.rodata,"a",@progbits
	.p2align	6, 0x0
	.amdhsa_kernel _Z19_skinny_gemm_kernelILi3ELi3ELi2ELi16ELi4EEvPKhS1_P6__halfPKfiiiiiiii
		.amdhsa_group_segment_fixed_size 24624
		.amdhsa_private_segment_fixed_size 0
		.amdhsa_kernarg_size 64
		.amdhsa_user_sgpr_count 2
		.amdhsa_user_sgpr_dispatch_ptr 0
		.amdhsa_user_sgpr_queue_ptr 0
		.amdhsa_user_sgpr_kernarg_segment_ptr 1
		.amdhsa_user_sgpr_dispatch_id 0
		.amdhsa_user_sgpr_kernarg_preload_length 0
		.amdhsa_user_sgpr_kernarg_preload_offset 0
		.amdhsa_user_sgpr_private_segment_size 0
		.amdhsa_uses_dynamic_stack 0
		.amdhsa_enable_private_segment 0
		.amdhsa_system_sgpr_workgroup_id_x 1
		.amdhsa_system_sgpr_workgroup_id_y 0
		.amdhsa_system_sgpr_workgroup_id_z 0
		.amdhsa_system_sgpr_workgroup_info 0
		.amdhsa_system_vgpr_workitem_id 0
		.amdhsa_next_free_vgpr 102
		.amdhsa_next_free_sgpr 67
		.amdhsa_accum_offset 104
		.amdhsa_reserve_vcc 1
		.amdhsa_float_round_mode_32 0
		.amdhsa_float_round_mode_16_64 0
		.amdhsa_float_denorm_mode_32 3
		.amdhsa_float_denorm_mode_16_64 3
		.amdhsa_dx10_clamp 1
		.amdhsa_ieee_mode 1
		.amdhsa_fp16_overflow 0
		.amdhsa_tg_split 0
		.amdhsa_exception_fp_ieee_invalid_op 0
		.amdhsa_exception_fp_denorm_src 0
		.amdhsa_exception_fp_ieee_div_zero 0
		.amdhsa_exception_fp_ieee_overflow 0
		.amdhsa_exception_fp_ieee_underflow 0
		.amdhsa_exception_fp_ieee_inexact 0
		.amdhsa_exception_int_div_zero 0
	.end_amdhsa_kernel
	.section	.text._Z19_skinny_gemm_kernelILi3ELi3ELi2ELi16ELi4EEvPKhS1_P6__halfPKfiiiiiiii,"axG",@progbits,_Z19_skinny_gemm_kernelILi3ELi3ELi2ELi16ELi4EEvPKhS1_P6__halfPKfiiiiiiii,comdat
.Lfunc_end276:
	.size	_Z19_skinny_gemm_kernelILi3ELi3ELi2ELi16ELi4EEvPKhS1_P6__halfPKfiiiiiiii, .Lfunc_end276-_Z19_skinny_gemm_kernelILi3ELi3ELi2ELi16ELi4EEvPKhS1_P6__halfPKfiiiiiiii
                                        ; -- End function
	.set _Z19_skinny_gemm_kernelILi3ELi3ELi2ELi16ELi4EEvPKhS1_P6__halfPKfiiiiiiii.num_vgpr, 102
	.set _Z19_skinny_gemm_kernelILi3ELi3ELi2ELi16ELi4EEvPKhS1_P6__halfPKfiiiiiiii.num_agpr, 0
	.set _Z19_skinny_gemm_kernelILi3ELi3ELi2ELi16ELi4EEvPKhS1_P6__halfPKfiiiiiiii.numbered_sgpr, 67
	.set _Z19_skinny_gemm_kernelILi3ELi3ELi2ELi16ELi4EEvPKhS1_P6__halfPKfiiiiiiii.num_named_barrier, 0
	.set _Z19_skinny_gemm_kernelILi3ELi3ELi2ELi16ELi4EEvPKhS1_P6__halfPKfiiiiiiii.private_seg_size, 0
	.set _Z19_skinny_gemm_kernelILi3ELi3ELi2ELi16ELi4EEvPKhS1_P6__halfPKfiiiiiiii.uses_vcc, 1
	.set _Z19_skinny_gemm_kernelILi3ELi3ELi2ELi16ELi4EEvPKhS1_P6__halfPKfiiiiiiii.uses_flat_scratch, 0
	.set _Z19_skinny_gemm_kernelILi3ELi3ELi2ELi16ELi4EEvPKhS1_P6__halfPKfiiiiiiii.has_dyn_sized_stack, 0
	.set _Z19_skinny_gemm_kernelILi3ELi3ELi2ELi16ELi4EEvPKhS1_P6__halfPKfiiiiiiii.has_recursion, 0
	.set _Z19_skinny_gemm_kernelILi3ELi3ELi2ELi16ELi4EEvPKhS1_P6__halfPKfiiiiiiii.has_indirect_call, 0
	.section	.AMDGPU.csdata,"",@progbits
; Kernel info:
; codeLenInByte = 5944
; TotalNumSgprs: 73
; NumVgprs: 102
; NumAgprs: 0
; TotalNumVgprs: 102
; ScratchSize: 0
; MemoryBound: 0
; FloatMode: 240
; IeeeMode: 1
; LDSByteSize: 24624 bytes/workgroup (compile time only)
; SGPRBlocks: 9
; VGPRBlocks: 12
; NumSGPRsForWavesPerEU: 73
; NumVGPRsForWavesPerEU: 102
; AccumOffset: 104
; Occupancy: 4
; WaveLimiterHint : 0
; COMPUTE_PGM_RSRC2:SCRATCH_EN: 0
; COMPUTE_PGM_RSRC2:USER_SGPR: 2
; COMPUTE_PGM_RSRC2:TRAP_HANDLER: 0
; COMPUTE_PGM_RSRC2:TGID_X_EN: 1
; COMPUTE_PGM_RSRC2:TGID_Y_EN: 0
; COMPUTE_PGM_RSRC2:TGID_Z_EN: 0
; COMPUTE_PGM_RSRC2:TIDIG_COMP_CNT: 0
; COMPUTE_PGM_RSRC3_GFX90A:ACCUM_OFFSET: 25
; COMPUTE_PGM_RSRC3_GFX90A:TG_SPLIT: 0
	.section	.text._Z19_skinny_gemm_kernelILi3ELi3ELi2ELi16ELi8EEvPKhS1_P6__halfPKfiiiiiiii,"axG",@progbits,_Z19_skinny_gemm_kernelILi3ELi3ELi2ELi16ELi8EEvPKhS1_P6__halfPKfiiiiiiii,comdat
	.protected	_Z19_skinny_gemm_kernelILi3ELi3ELi2ELi16ELi8EEvPKhS1_P6__halfPKfiiiiiiii ; -- Begin function _Z19_skinny_gemm_kernelILi3ELi3ELi2ELi16ELi8EEvPKhS1_P6__halfPKfiiiiiiii
	.globl	_Z19_skinny_gemm_kernelILi3ELi3ELi2ELi16ELi8EEvPKhS1_P6__halfPKfiiiiiiii
	.p2align	8
	.type	_Z19_skinny_gemm_kernelILi3ELi3ELi2ELi16ELi8EEvPKhS1_P6__halfPKfiiiiiiii,@function
_Z19_skinny_gemm_kernelILi3ELi3ELi2ELi16ELi8EEvPKhS1_P6__halfPKfiiiiiiii: ; @_Z19_skinny_gemm_kernelILi3ELi3ELi2ELi16ELi8EEvPKhS1_P6__halfPKfiiiiiiii
; %bb.0:
	v_cmp_gt_u32_e32 vcc, 12, v0
	v_lshlrev_b32_e32 v1, 2, v0
	s_and_saveexec_b64 s[4:5], vcc
; %bb.1:
	v_mov_b32_e32 v2, 0
	ds_write_b32 v1, v2 offset:49152
; %bb.2:
	s_or_b64 exec, exec, s[4:5]
	s_load_dwordx8 s[20:27], s[0:1], 0x20
	s_waitcnt lgkmcnt(0)
	s_barrier
	s_add_i32 s3, s20, 47
	s_add_i32 s4, s21, 47
	s_mul_hi_i32 s3, s3, 0x2aaaaaab
	s_lshr_b32 s5, s3, 31
	s_ashr_i32 s33, s3, 3
	s_mul_hi_i32 s3, s4, 0x2aaaaaab
	s_lshr_b32 s4, s3, 31
	s_ashr_i32 s50, s3, 3
	s_add_i32 s33, s33, s5
	s_add_i32 s50, s50, s4
	s_mul_i32 s3, s50, s33
	s_mul_i32 s3, s3, s24
	s_add_i32 s4, s3, 0x12f
	s_mul_hi_i32 s4, s4, 0x6bca1af3
	s_lshr_b32 s5, s4, 31
	s_ashr_i32 s4, s4, 7
	s_add_i32 s4, s4, s5
	s_add_i32 s5, s2, 1
	s_mul_i32 s5, s4, s5
	v_cvt_f64_i32_e32 v[2:3], s3
	v_cvt_f64_u32_e32 v[4:5], s5
	v_min_f64 v[2:3], v[2:3], v[4:5]
	v_cvt_i32_f64_e32 v37, v[2:3]
	s_mul_i32 s51, s4, s2
	v_cmp_ge_i32_e32 vcc, s51, v37
	s_cbranch_vccnz .LBB277_58
; %bb.3:
	v_lshrrev_b32_e32 v2, 6, v0
	s_add_i32 s4, s26, s25
	s_load_dwordx8 s[36:43], s[0:1], 0x0
	v_cmp_le_i32_e64 s[0:1], s4, v2
	v_mov_b32_e32 v3, s25
	v_cmp_le_i32_e64 s[2:3], s25, v2
	v_mov_b32_e32 v4, s26
	v_cndmask_b32_e64 v4, 0, v4, s[0:1]
	v_cndmask_b32_e64 v3, 0, v3, s[2:3]
	s_abs_i32 s5, s24
	v_add_u32_e32 v3, v3, v4
	v_cvt_f32_u32_e32 v4, s5
	v_sub_u32_e32 v50, v2, v3
	s_ashr_i32 s6, s22, 31
	s_lshr_b32 s6, s6, 24
	v_rcp_iflag_f32_e32 v3, v4
	s_sub_i32 s9, 0, s5
	s_add_i32 s6, s22, s6
	s_ashr_i32 s6, s6, 8
	v_mul_f32_e32 v3, 0x4f7ffffe, v3
	v_cvt_u32_f32_e32 v3, v3
	s_abs_i32 s8, s6
	s_xor_b32 s7, s6, s24
	s_ashr_i32 s7, s7, 31
	v_readfirstlane_b32 s10, v3
	s_mul_i32 s9, s9, s10
	s_mul_hi_u32 s9, s10, s9
	s_add_i32 s10, s10, s9
	s_mul_hi_u32 s9, s8, s10
	s_mul_i32 s10, s9, s5
	s_sub_i32 s8, s8, s10
	s_add_i32 s10, s9, 1
	s_sub_i32 s11, s8, s5
	s_cmp_ge_u32 s8, s5
	s_cselect_b32 s9, s10, s9
	s_cselect_b32 s8, s11, s8
	s_add_i32 s10, s9, 1
	s_cmp_ge_u32 s8, s5
	s_cselect_b32 s5, s10, s9
	s_xor_b32 s5, s5, s7
	s_sub_i32 s52, s5, s7
	s_add_i32 s24, s24, -1
	s_mul_i32 s5, s52, s24
	s_add_i32 s4, s4, s27
	s_sub_i32 s53, s6, s5
	v_cmp_gt_i32_e64 s[4:5], s4, v2
	v_lshlrev_b32_e32 v2, 1, v0
	v_lshlrev_b32_e32 v3, 4, v0
	s_abs_i32 s54, s33
	v_and_b32_e32 v1, 60, v1
	v_and_b32_e32 v2, 64, v2
	;; [unrolled: 1-line block ×4, first 2 shown]
	v_cvt_f32_u32_e32 v3, s54
	v_or3_b32 v103, v1, v2, v4
	v_and_b32_e32 v1, 1, v0
	v_lshlrev_b32_e32 v2, 1, v1
	v_lshrrev_b32_e32 v4, 2, v0
	v_and_b32_e32 v36, 14, v0
	v_sub_u32_e32 v2, v0, v2
	v_bitop3_b32 v104, v0, 1, v0 bitop3:0xc
	v_bitop3_b32 v105, v0, 3, 1 bitop3:0x6c
	v_and_or_b32 v106, v4, 12, v1
	v_bfe_u32 v107, v0, 2, 4
	v_and_b32_e32 v1, 60, v0
	v_lshlrev_b32_e32 v4, 8, v0
	v_lshlrev_b32_e32 v0, 6, v0
	v_and_b32_e32 v4, 0x200, v4
	v_rcp_iflag_f32_e32 v3, v3
	v_and_b32_e32 v0, 64, v0
	s_abs_i32 s56, s50
	v_or3_b32 v108, v1, v4, v0
	v_cvt_f32_u32_e32 v1, s56
	v_mul_f32_e32 v0, 0x4f7ffffe, v3
	v_cvt_u32_f32_e32 v0, v0
	v_mad_u64_u32 v[38:39], s[6:7], s21, v106, v[36:37]
	v_rcp_iflag_f32_e32 v1, v1
	s_lshl_b32 s6, s21, 4
	v_readfirstlane_b32 s7, v0
	v_add_u32_e32 v40, s6, v38
	v_mul_f32_e32 v0, 0x4f7ffffe, v1
	v_cvt_u32_f32_e32 v0, v0
	v_add_u32_e32 v42, s6, v40
	s_sub_i32 s6, 0, s54
	s_mul_i32 s6, s6, s7
	s_mul_hi_u32 s6, s7, s6
	v_add_u32_e32 v2, 1, v2
	s_add_i32 s58, s7, s6
	s_sub_i32 s6, 0, s56
	v_readfirstlane_b32 s7, v0
	v_mbcnt_lo_u32_b32 v0, -1, 0
	v_and_b32_e32 v2, 63, v2
	s_mul_i32 s6, s6, s7
	v_mbcnt_hi_u32_b32 v0, -1, v0
	v_mul_lo_u32 v46, s23, v107
	s_mul_hi_u32 s6, s7, s6
	v_and_or_b32 v0, v0, 64, v2
	v_cndmask_b32_e64 v102, 0, 1, s[0:1]
	s_ashr_i32 s29, s21, 31
	s_mov_b32 s28, s21
	v_ashrrev_i32_e32 v39, 31, v38
	v_ashrrev_i32_e32 v41, 31, v40
	;; [unrolled: 1-line block ×4, first 2 shown]
	v_mov_b32_e32 v45, 0
	s_lshl_b32 s55, s23, 4
	s_ashr_i32 s57, s33, 31
	s_ashr_i32 s59, s50, 31
	s_add_i32 s60, s7, s6
	s_movk_i32 s61, 0x3000
	s_mov_b32 s62, 0x55555556
	v_lshlrev_b32_e32 v109, 2, v0
	v_mov_b32_e32 v110, v50
	s_branch .LBB277_7
.LBB277_4:                              ;   in Loop: Header=BB277_7 Depth=1
	s_or_b64 exec, exec, s[10:11]
.LBB277_5:                              ;   in Loop: Header=BB277_7 Depth=1
	s_or_b64 exec, exec, s[8:9]
	v_subrev_u32_e32 v110, s66, v110
.LBB277_6:                              ;   in Loop: Header=BB277_7 Depth=1
	s_or_b64 exec, exec, s[6:7]
	s_add_i32 s51, s51, 1
	v_cmp_ge_i32_e32 vcc, s51, v37
	s_cbranch_vccnz .LBB277_58
.LBB277_7:                              ; =>This Loop Header: Depth=1
                                        ;     Child Loop BB277_13 Depth 2
                                        ;       Child Loop BB277_15 Depth 3
                                        ;       Child Loop BB277_18 Depth 3
                                        ;       Child Loop BB277_21 Depth 3
                                        ;       Child Loop BB277_24 Depth 3
                                        ;       Child Loop BB277_27 Depth 3
                                        ;       Child Loop BB277_30 Depth 3
                                        ;     Child Loop BB277_45 Depth 2
                                        ;       Child Loop BB277_47 Depth 3
                                        ;     Child Loop BB277_55 Depth 2
                                        ;       Child Loop BB277_57 Depth 3
	s_abs_i32 s7, s51
	s_mul_hi_u32 s8, s7, s58
	s_mul_i32 s9, s8, s54
	s_ashr_i32 s6, s51, 31
	s_sub_i32 s7, s7, s9
	s_xor_b32 s6, s6, s57
	s_add_i32 s9, s8, 1
	s_sub_i32 s10, s7, s54
	s_cmp_ge_u32 s7, s54
	s_cselect_b32 s8, s9, s8
	s_cselect_b32 s7, s10, s7
	s_add_i32 s9, s8, 1
	s_cmp_ge_u32 s7, s54
	s_cselect_b32 s7, s9, s8
	s_xor_b32 s7, s7, s6
	s_sub_i32 s6, s7, s6
	s_abs_i32 s8, s6
	s_mul_hi_u32 s9, s8, s60
	s_mul_i32 s7, s6, s33
	s_mul_i32 s10, s9, s56
	s_sub_i32 s63, s51, s7
	s_ashr_i32 s7, s6, 31
	s_sub_i32 s8, s8, s10
	s_xor_b32 s7, s7, s59
	s_add_i32 s10, s9, 1
	s_sub_i32 s11, s8, s56
	s_cmp_ge_u32 s8, s56
	s_cselect_b32 s9, s10, s9
	s_cselect_b32 s8, s11, s8
	s_add_i32 s10, s9, 1
	s_cmp_ge_u32 s8, s56
	s_cselect_b32 s8, s10, s9
	s_xor_b32 s8, s8, s7
	s_sub_i32 s7, s8, s7
	s_mul_i32 s8, s7, s52
	s_lshl_b32 s64, s8, 8
	s_mul_i32 s63, s63, 48
	s_cmp_eq_u32 s7, s24
	s_cselect_b32 s66, s53, s52
	s_sub_i32 s8, s63, s20
	s_add_i32 s8, s8, 48
	s_max_i32 s65, s8, 0
	s_and_saveexec_b64 s[8:9], s[2:3]
	s_xor_b64 s[30:31], exec, s[8:9]
	s_cbranch_execz .LBB277_51
; %bb.8:                                ;   in Loop: Header=BB277_7 Depth=1
	s_mul_i32 s7, s7, s50
	s_sub_i32 s6, s6, s7
	s_mul_i32 s6, s6, 48
	s_sub_i32 s18, s6, s21
	s_add_i32 s18, s18, 48
	s_max_i32 s7, s18, 0
	s_sub_i32 s34, s6, s7
	s_and_saveexec_b64 s[6:7], s[0:1]
	s_xor_b64 s[44:45], exec, s[6:7]
	s_cbranch_execz .LBB277_41
; %bb.9:                                ;   in Loop: Header=BB277_7 Depth=1
	s_and_saveexec_b64 s[46:47], s[4:5]
	s_cbranch_execz .LBB277_40
; %bb.10:                               ;   in Loop: Header=BB277_7 Depth=1
	s_waitcnt lgkmcnt(0)
	global_load_dword v111, v45, s[42:43]
	v_mov_b32_e32 v35, 0
	v_cmp_gt_i32_e32 vcc, s66, v110
	v_mov_b32_e32 v34, v35
	v_mov_b32_e32 v33, v35
	;; [unrolled: 1-line block ×35, first 2 shown]
	s_and_saveexec_b64 s[6:7], vcc
	s_cbranch_execz .LBB277_32
; %bb.11:                               ;   in Loop: Header=BB277_7 Depth=1
	v_mov_b32_e32 v4, 0
	s_mov_b64 s[8:9], 0
	v_mov_b32_e32 v5, v4
	v_mov_b32_e32 v6, v4
	;; [unrolled: 1-line block ×35, first 2 shown]
	s_branch .LBB277_13
.LBB277_12:                             ;   in Loop: Header=BB277_13 Depth=2
	s_or_b64 exec, exec, s[10:11]
	v_add_u32_e32 v90, 0x2000, v114
	ds_read2_b32 v[88:89], v90 offset1:32
	v_add_u32_e32 v110, s27, v110
	s_waitcnt lgkmcnt(0)
	v_mfma_f32_16x16x32_fp8_fp8 v[24:27], v[48:49], v[88:89], v[24:27]
	ds_read2_b32 v[48:49], v90 offset0:128 offset1:160
	v_add_u32_e32 v90, 0x2400, v114
	v_mfma_f32_16x16x32_fp8_fp8 v[12:15], v[64:65], v[88:89], v[12:15]
	s_waitcnt lgkmcnt(0)
	v_mfma_f32_16x16x32_fp8_fp8 v[24:27], v[50:51], v[48:49], v[24:27]
	ds_read2_b32 v[50:51], v90 offset1:32
	v_mfma_f32_16x16x32_fp8_fp8 v[4:7], v[96:97], v[88:89], v[4:7]
	s_waitcnt lgkmcnt(0)
	v_mfma_f32_16x16x32_fp8_fp8 v[24:27], v[56:57], v[50:51], v[24:27]
	ds_read2_b32 v[56:57], v90 offset0:128 offset1:160
	v_add_u32_e32 v90, 0x2800, v114
	v_mfma_f32_16x16x32_fp8_fp8 v[12:15], v[66:67], v[48:49], v[12:15]
	v_mfma_f32_16x16x32_fp8_fp8 v[4:7], v[82:83], v[48:49], v[4:7]
	v_add_u32_e32 v48, 2, v102
	s_waitcnt lgkmcnt(0)
	v_mfma_f32_16x16x32_fp8_fp8 v[24:27], v[52:53], v[56:57], v[24:27]
	ds_read2_b32 v[52:53], v90 offset1:32
	v_mfma_f32_16x16x32_fp8_fp8 v[12:15], v[68:69], v[50:51], v[12:15]
	v_mfma_f32_16x16x32_fp8_fp8 v[4:7], v[98:99], v[50:51], v[4:7]
	v_add_u32_e32 v50, s27, v112
	v_cmp_lt_i32_e32 vcc, 1, v50
	v_mfma_f32_16x16x32_fp8_fp8 v[12:15], v[70:71], v[56:57], v[12:15]
	s_nop 0
	v_cndmask_b32_e32 v102, v102, v48, vcc
	v_cmp_le_i32_e32 vcc, s66, v110
	s_or_b64 s[8:9], vcc, s[8:9]
	v_mfma_f32_16x16x32_fp8_fp8 v[4:7], v[86:87], v[56:57], v[4:7]
	s_waitcnt lgkmcnt(0)
	v_mfma_f32_16x16x32_fp8_fp8 v[24:27], v[58:59], v[52:53], v[24:27]
	ds_read2_b32 v[58:59], v90 offset0:128 offset1:160
	v_add_u32_e32 v90, 0x2c00, v114
	v_mfma_f32_16x16x32_fp8_fp8 v[12:15], v[72:73], v[52:53], v[12:15]
	v_mfma_f32_16x16x32_fp8_fp8 v[4:7], v[100:101], v[52:53], v[4:7]
	s_waitcnt lgkmcnt(0)
	v_mfma_f32_16x16x32_fp8_fp8 v[24:27], v[54:55], v[58:59], v[24:27]
	ds_read2_b32 v[54:55], v90 offset1:32
	v_mfma_f32_16x16x32_fp8_fp8 v[12:15], v[74:75], v[58:59], v[12:15]
	v_mfma_f32_16x16x32_fp8_fp8 v[4:7], v[92:93], v[58:59], v[4:7]
	s_waitcnt lgkmcnt(0)
	v_mfma_f32_16x16x32_fp8_fp8 v[24:27], v[60:61], v[54:55], v[24:27]
	ds_read2_b32 v[60:61], v90 offset0:128 offset1:160
	;;#ASMSTART
	s_waitcnt lgkmcnt(0)
	;;#ASMEND
	ds_write_b32 v113, v115 offset:49184
	v_mfma_f32_16x16x32_fp8_fp8 v[12:15], v[76:77], v[54:55], v[12:15]
	v_mfma_f32_16x16x32_fp8_fp8 v[4:7], v[84:85], v[54:55], v[4:7]
	s_waitcnt lgkmcnt(1)
	v_mfma_f32_16x16x32_fp8_fp8 v[24:27], v[62:63], v[60:61], v[24:27]
	v_mfma_f32_16x16x32_fp8_fp8 v[12:15], v[78:79], v[60:61], v[12:15]
	;; [unrolled: 1-line block ×3, first 2 shown]
	s_andn2_b64 exec, exec, s[8:9]
	s_cbranch_execz .LBB277_31
.LBB277_13:                             ;   Parent Loop BB277_7 Depth=1
                                        ; =>  This Loop Header: Depth=2
                                        ;       Child Loop BB277_15 Depth 3
                                        ;       Child Loop BB277_18 Depth 3
	;; [unrolled: 1-line block ×6, first 2 shown]
	v_cmp_gt_i32_e32 vcc, 2, v50
	s_nop 1
	v_cndmask_b32_e64 v48, -2, 0, vcc
	v_add_u32_e32 v112, v48, v50
	v_mul_lo_u32 v113, v112, 12
	ds_read_b32 v48, v113 offset:49176
	s_waitcnt lgkmcnt(0)
	v_cmp_ne_u32_e32 vcc, v48, v102
	s_and_saveexec_b64 s[10:11], vcc
	s_cbranch_execz .LBB277_16
; %bb.14:                               ;   in Loop: Header=BB277_13 Depth=2
	s_mov_b64 s[12:13], 0
.LBB277_15:                             ;   Parent Loop BB277_7 Depth=1
                                        ;     Parent Loop BB277_13 Depth=2
                                        ; =>    This Inner Loop Header: Depth=3
	;;#ASMSTART
	s_sleep 0
	;;#ASMEND
	ds_read_b32 v48, v113 offset:49176
	s_waitcnt lgkmcnt(0)
	v_cmp_eq_u32_e32 vcc, v48, v102
	s_or_b64 s[12:13], vcc, s[12:13]
	s_andn2_b64 exec, exec, s[12:13]
	s_cbranch_execnz .LBB277_15
.LBB277_16:                             ;   in Loop: Header=BB277_13 Depth=2
	s_or_b64 exec, exec, s[10:11]
	v_mul_lo_u32 v48, v112, s61
	v_or_b32_e32 v49, 0x6000, v103
	v_add_u32_e32 v114, v49, v48
	v_add_u32_e32 v49, 0x400, v114
	ds_read2_b32 v[82:83], v114 offset1:32
	ds_read2_b32 v[80:81], v114 offset0:128 offset1:160
	ds_read2_b32 v[86:87], v49 offset1:32
	ds_read2_b32 v[84:85], v49 offset0:128 offset1:160
	v_add_u32_e32 v49, 0x800, v114
	ds_read2_b32 v[92:93], v49 offset1:32
	ds_read2_b32 v[90:91], v49 offset0:128 offset1:160
	v_add_u32_e32 v49, 0xc00, v114
	ds_read2_b32 v[94:95], v49 offset1:32
	ds_read2_b32 v[88:89], v49 offset0:128 offset1:160
	;;#ASMSTART
	s_waitcnt lgkmcnt(0)
	;;#ASMEND
	ds_read_b32 v49, v113 offset:49152
	v_add_u32_e32 v115, 1, v102
	ds_write_b32 v113, v115 offset:49176
	s_waitcnt lgkmcnt(1)
	v_cmp_ne_u32_e32 vcc, v49, v102
	s_and_saveexec_b64 s[10:11], vcc
	s_cbranch_execz .LBB277_19
; %bb.17:                               ;   in Loop: Header=BB277_13 Depth=2
	s_mov_b64 s[12:13], 0
.LBB277_18:                             ;   Parent Loop BB277_7 Depth=1
                                        ;     Parent Loop BB277_13 Depth=2
                                        ; =>    This Inner Loop Header: Depth=3
	;;#ASMSTART
	s_sleep 0
	;;#ASMEND
	ds_read_b32 v49, v113 offset:49152
	s_waitcnt lgkmcnt(0)
	v_cmp_eq_u32_e32 vcc, v49, v102
	s_or_b64 s[12:13], vcc, s[12:13]
	s_andn2_b64 exec, exec, s[12:13]
	s_cbranch_execnz .LBB277_18
.LBB277_19:                             ;   in Loop: Header=BB277_13 Depth=2
	s_or_b64 exec, exec, s[10:11]
	v_add_u32_e32 v116, v103, v48
	ds_read2_b32 v[48:49], v116 offset1:32
	ds_read2_b32 v[50:51], v116 offset0:128 offset1:160
	v_add_u32_e32 v52, 0x400, v116
	ds_read2_b32 v[56:57], v52 offset1:32
	ds_read2_b32 v[52:53], v52 offset0:128 offset1:160
	;; [unrolled: 3-line block ×3, first 2 shown]
	v_add_u32_e32 v62, 0xc00, v116
	s_waitcnt lgkmcnt(5)
	v_mfma_f32_16x16x32_fp8_fp8 v[32:35], v[48:49], v[82:83], v[32:35]
	ds_read2_b32 v[60:61], v62 offset1:32
	ds_read2_b32 v[62:63], v62 offset0:128 offset1:160
	ds_read_b32 v64, v113 offset:49156
	ds_write_b32 v113, v115 offset:49152
	s_waitcnt lgkmcnt(8)
	v_mfma_f32_16x16x32_fp8_fp8 v[32:35], v[50:51], v[80:81], v[32:35]
	s_waitcnt lgkmcnt(1)
	v_cmp_ne_u32_e32 vcc, v64, v102
	v_mfma_f32_16x16x32_fp8_fp8 v[32:35], v[56:57], v[86:87], v[32:35]
	v_mfma_f32_16x16x32_fp8_fp8 v[32:35], v[52:53], v[84:85], v[32:35]
	;; [unrolled: 1-line block ×6, first 2 shown]
	s_and_saveexec_b64 s[10:11], vcc
	s_cbranch_execz .LBB277_22
; %bb.20:                               ;   in Loop: Header=BB277_13 Depth=2
	s_mov_b64 s[12:13], 0
.LBB277_21:                             ;   Parent Loop BB277_7 Depth=1
                                        ;     Parent Loop BB277_13 Depth=2
                                        ; =>    This Inner Loop Header: Depth=3
	;;#ASMSTART
	s_sleep 0
	;;#ASMEND
	ds_read_b32 v64, v113 offset:49156
	s_waitcnt lgkmcnt(0)
	v_cmp_eq_u32_e32 vcc, v64, v102
	s_or_b64 s[12:13], vcc, s[12:13]
	s_andn2_b64 exec, exec, s[12:13]
	s_cbranch_execnz .LBB277_21
.LBB277_22:                             ;   in Loop: Header=BB277_13 Depth=2
	s_or_b64 exec, exec, s[10:11]
	v_add_u32_e32 v66, 0x1000, v116
	ds_read2_b32 v[64:65], v66 offset1:32
	ds_read2_b32 v[66:67], v66 offset0:128 offset1:160
	v_add_u32_e32 v70, 0x1400, v116
	ds_read2_b32 v[68:69], v70 offset1:32
	ds_read2_b32 v[70:71], v70 offset0:128 offset1:160
	;; [unrolled: 3-line block ×3, first 2 shown]
	v_add_u32_e32 v78, 0x1c00, v116
	s_waitcnt lgkmcnt(5)
	v_mfma_f32_16x16x32_fp8_fp8 v[20:23], v[64:65], v[82:83], v[20:23]
	ds_read2_b32 v[76:77], v78 offset1:32
	ds_read2_b32 v[78:79], v78 offset0:128 offset1:160
	ds_read_b32 v96, v113 offset:49160
	ds_write_b32 v113, v115 offset:49156
	s_waitcnt lgkmcnt(8)
	v_mfma_f32_16x16x32_fp8_fp8 v[20:23], v[66:67], v[80:81], v[20:23]
	s_waitcnt lgkmcnt(1)
	v_cmp_ne_u32_e32 vcc, v96, v102
	v_mfma_f32_16x16x32_fp8_fp8 v[20:23], v[68:69], v[86:87], v[20:23]
	v_mfma_f32_16x16x32_fp8_fp8 v[20:23], v[70:71], v[84:85], v[20:23]
	;; [unrolled: 1-line block ×6, first 2 shown]
	s_and_saveexec_b64 s[10:11], vcc
	s_cbranch_execz .LBB277_25
; %bb.23:                               ;   in Loop: Header=BB277_13 Depth=2
	s_mov_b64 s[12:13], 0
.LBB277_24:                             ;   Parent Loop BB277_7 Depth=1
                                        ;     Parent Loop BB277_13 Depth=2
                                        ; =>    This Inner Loop Header: Depth=3
	;;#ASMSTART
	s_sleep 0
	;;#ASMEND
	ds_read_b32 v96, v113 offset:49160
	s_waitcnt lgkmcnt(0)
	v_cmp_eq_u32_e32 vcc, v96, v102
	s_or_b64 s[12:13], vcc, s[12:13]
	s_andn2_b64 exec, exec, s[12:13]
	s_cbranch_execnz .LBB277_24
.LBB277_25:                             ;   in Loop: Header=BB277_13 Depth=2
	s_or_b64 exec, exec, s[10:11]
	v_add_u32_e32 v98, 0x2000, v116
	ds_read2_b32 v[96:97], v98 offset1:32
	v_add_u32_e32 v100, 0x2400, v116
	s_waitcnt lgkmcnt(0)
	v_mfma_f32_16x16x32_fp8_fp8 v[8:11], v[96:97], v[82:83], v[8:11]
	ds_read2_b32 v[82:83], v98 offset0:128 offset1:160
	ds_read2_b32 v[98:99], v100 offset1:32
	s_waitcnt lgkmcnt(1)
	v_mfma_f32_16x16x32_fp8_fp8 v[8:11], v[82:83], v[80:81], v[8:11]
	v_add_u32_e32 v80, 0x2800, v116
	s_waitcnt lgkmcnt(0)
	v_mfma_f32_16x16x32_fp8_fp8 v[8:11], v[98:99], v[86:87], v[8:11]
	ds_read2_b32 v[86:87], v100 offset0:128 offset1:160
	ds_read2_b32 v[100:101], v80 offset1:32
	s_waitcnt lgkmcnt(1)
	v_mfma_f32_16x16x32_fp8_fp8 v[8:11], v[86:87], v[84:85], v[8:11]
	s_waitcnt lgkmcnt(0)
	v_mfma_f32_16x16x32_fp8_fp8 v[8:11], v[100:101], v[92:93], v[8:11]
	ds_read2_b32 v[92:93], v80 offset0:128 offset1:160
	v_add_u32_e32 v80, 0x2c00, v116
	ds_read2_b32 v[84:85], v80 offset1:32
	s_waitcnt lgkmcnt(1)
	v_mfma_f32_16x16x32_fp8_fp8 v[8:11], v[92:93], v[90:91], v[8:11]
	ds_read2_b32 v[80:81], v80 offset0:128 offset1:160
	ds_read_b32 v90, v113 offset:49180
	ds_write_b32 v113, v115 offset:49160
	s_waitcnt lgkmcnt(1)
	v_cmp_ne_u32_e32 vcc, v90, v102
	v_mfma_f32_16x16x32_fp8_fp8 v[8:11], v[84:85], v[94:95], v[8:11]
	v_mfma_f32_16x16x32_fp8_fp8 v[8:11], v[80:81], v[88:89], v[8:11]
	s_and_saveexec_b64 s[10:11], vcc
	s_cbranch_execz .LBB277_28
; %bb.26:                               ;   in Loop: Header=BB277_13 Depth=2
	s_mov_b64 s[12:13], 0
.LBB277_27:                             ;   Parent Loop BB277_7 Depth=1
                                        ;     Parent Loop BB277_13 Depth=2
                                        ; =>    This Inner Loop Header: Depth=3
	;;#ASMSTART
	s_sleep 0
	;;#ASMEND
	ds_read_b32 v88, v113 offset:49180
	s_waitcnt lgkmcnt(0)
	v_cmp_eq_u32_e32 vcc, v88, v102
	s_or_b64 s[12:13], vcc, s[12:13]
	s_andn2_b64 exec, exec, s[12:13]
	s_cbranch_execnz .LBB277_27
.LBB277_28:                             ;   in Loop: Header=BB277_13 Depth=2
	s_or_b64 exec, exec, s[10:11]
	v_add_u32_e32 v90, 0x1000, v114
	ds_read2_b32 v[88:89], v90 offset1:32
	ds_read2_b32 v[90:91], v90 offset0:128 offset1:160
	v_add_u32_e32 v116, 0x1400, v114
	ds_read2_b32 v[94:95], v116 offset1:32
	ds_read2_b32 v[116:117], v116 offset0:128 offset1:160
	s_waitcnt lgkmcnt(3)
	v_mfma_f32_16x16x32_fp8_fp8 v[28:31], v[48:49], v[88:89], v[28:31]
	v_add_u32_e32 v120, 0x1800, v114
	ds_read2_b32 v[118:119], v120 offset1:32
	ds_read2_b32 v[120:121], v120 offset0:128 offset1:160
	v_mfma_f32_16x16x32_fp8_fp8 v[16:19], v[64:65], v[88:89], v[16:19]
	v_add_u32_e32 v124, 0x1c00, v114
	ds_read2_b32 v[122:123], v124 offset1:32
	ds_read2_b32 v[124:125], v124 offset0:128 offset1:160
	v_mfma_f32_16x16x32_fp8_fp8 v[0:3], v[96:97], v[88:89], v[0:3]
	;;#ASMSTART
	s_waitcnt lgkmcnt(0)
	;;#ASMEND
	ds_read_b32 v88, v113 offset:49184
	ds_write_b32 v113, v115 offset:49180
	s_waitcnt lgkmcnt(8)
	v_mfma_f32_16x16x32_fp8_fp8 v[28:31], v[50:51], v[90:91], v[28:31]
	s_waitcnt lgkmcnt(1)
	v_cmp_ne_u32_e32 vcc, v88, v102
	v_mfma_f32_16x16x32_fp8_fp8 v[16:19], v[66:67], v[90:91], v[16:19]
	v_mfma_f32_16x16x32_fp8_fp8 v[0:3], v[82:83], v[90:91], v[0:3]
	;; [unrolled: 1-line block ×20, first 2 shown]
	s_and_saveexec_b64 s[10:11], vcc
	s_cbranch_execz .LBB277_12
; %bb.29:                               ;   in Loop: Header=BB277_13 Depth=2
	s_mov_b64 s[12:13], 0
.LBB277_30:                             ;   Parent Loop BB277_7 Depth=1
                                        ;     Parent Loop BB277_13 Depth=2
                                        ; =>    This Inner Loop Header: Depth=3
	;;#ASMSTART
	s_sleep 0
	;;#ASMEND
	ds_read_b32 v88, v113 offset:49184
	s_waitcnt lgkmcnt(0)
	v_cmp_eq_u32_e32 vcc, v88, v102
	s_or_b64 s[12:13], vcc, s[12:13]
	s_andn2_b64 exec, exec, s[12:13]
	s_cbranch_execnz .LBB277_30
	s_branch .LBB277_12
.LBB277_31:                             ;   in Loop: Header=BB277_7 Depth=1
	s_or_b64 exec, exec, s[8:9]
.LBB277_32:                             ;   in Loop: Header=BB277_7 Depth=1
	s_or_b64 exec, exec, s[6:7]
	v_cmp_le_i32_e32 vcc, s18, v36
	v_cmp_eq_u32_e64 s[6:7], 2, v104
	v_cmp_eq_u32_e64 s[8:9], 3, v104
	s_waitcnt vmcnt(0)
	v_cndmask_b32_e32 v48, 0, v111, vcc
	v_pk_mul_f32 v[32:33], v[48:49], v[32:33] op_sel_hi:[0,1]
	v_cmp_eq_u32_e32 vcc, 1, v104
	v_pk_mul_f32 v[52:53], v[48:49], v[34:35] op_sel_hi:[0,1]
	v_cmp_eq_u32_e64 s[10:11], 0, v104
	v_cndmask_b32_e32 v34, v32, v33, vcc
	v_cndmask_b32_e64 v34, v34, v52, s[6:7]
	v_cndmask_b32_e64 v34, v34, v53, s[8:9]
	ds_bpermute_b32 v49, v109, v34
	v_cmp_eq_u32_e64 s[12:13], 1, v105
	v_cmp_eq_u32_e64 s[16:17], 3, v105
	s_waitcnt lgkmcnt(0)
	v_cndmask_b32_e64 v34, v53, v49, s[8:9]
	v_cndmask_b32_e64 v35, v52, v49, s[6:7]
	v_cndmask_b32_e32 v33, v33, v49, vcc
	v_cndmask_b32_e64 v49, v32, v49, s[10:11]
	v_or_b32_e32 v32, 16, v36
	v_cmp_le_i32_e64 s[14:15], s18, v32
	v_cndmask_b32_e64 v51, v49, v33, s[12:13]
	s_nop 0
	v_cndmask_b32_e64 v32, 0, v111, s[14:15]
	v_pk_mul_f32 v[28:29], v[32:33], v[28:29] op_sel_hi:[0,1]
	v_pk_mul_f32 v[52:53], v[32:33], v[30:31] op_sel_hi:[0,1]
	v_cndmask_b32_e32 v30, v28, v29, vcc
	v_cndmask_b32_e64 v30, v30, v52, s[6:7]
	v_cndmask_b32_e64 v30, v30, v53, s[8:9]
	ds_bpermute_b32 v55, v109, v30
	v_cmp_eq_u32_e64 s[14:15], 2, v105
	s_waitcnt lgkmcnt(0)
	v_cndmask_b32_e64 v31, v53, v55, s[8:9]
	v_cndmask_b32_e64 v30, v51, v35, s[14:15]
	;; [unrolled: 1-line block ×3, first 2 shown]
	v_cndmask_b32_e32 v54, v29, v55, vcc
	v_cndmask_b32_e64 v55, v28, v55, s[10:11]
	v_or_b32_e32 v28, 32, v36
	v_cmp_le_i32_e64 s[18:19], s18, v28
	v_cndmask_b32_e64 v30, v30, v34, s[16:17]
	ds_bpermute_b32 v30, v109, v30
	v_cndmask_b32_e64 v28, 0, v111, s[18:19]
	v_pk_mul_f32 v[56:57], v[28:29], v[24:25] op_sel_hi:[0,1]
	v_pk_mul_f32 v[52:53], v[28:29], v[26:27] op_sel_hi:[0,1]
	v_cndmask_b32_e32 v24, v56, v57, vcc
	v_cndmask_b32_e64 v24, v24, v52, s[6:7]
	v_cndmask_b32_e64 v24, v24, v53, s[8:9]
	ds_bpermute_b32 v25, v109, v24
	v_cndmask_b32_e64 v24, v55, v54, s[12:13]
	v_cndmask_b32_e64 v24, v24, v51, s[14:15]
	;; [unrolled: 1-line block ×3, first 2 shown]
	v_cmp_ne_u32_e32 vcc, 0, v104
	ds_bpermute_b32 v26, v109, v24
	s_waitcnt lgkmcnt(1)
	v_cndmask_b32_e64 v27, v53, v25, s[8:9]
	v_cndmask_b32_e64 v52, v52, v25, s[6:7]
	v_cndmask_b32_e32 v24, v57, v25, vcc
	v_cndmask_b32_e64 v25, v56, v25, s[10:11]
	v_cndmask_b32_e64 v29, v25, v24, s[12:13]
	;; [unrolled: 1-line block ×4, first 2 shown]
	ds_bpermute_b32 v53, v109, v29
	v_add_u32_e32 v29, s65, v106
	v_cmp_gt_u32_e32 vcc, 48, v29
	s_and_saveexec_b64 s[18:19], vcc
	s_cbranch_execz .LBB277_39
; %bb.33:                               ;   in Loop: Header=BB277_7 Depth=1
	v_cmp_eq_u32_e64 s[8:9], 1, v105
	v_cmp_eq_u32_e64 s[10:11], 0, v105
	v_cmp_eq_u32_e32 vcc, 3, v105
	v_cndmask_b32_e64 v33, v33, v30, s[8:9]
	s_waitcnt lgkmcnt(1)
	v_cndmask_b32_e64 v54, v54, v26, s[8:9]
	s_waitcnt lgkmcnt(0)
	v_cndmask_b32_e64 v56, v24, v53, s[8:9]
	s_mul_i32 s8, s63, s21
	s_ashr_i32 s9, s8, 31
	v_cndmask_b32_e64 v49, v49, v30, s[10:11]
	s_lshl_b64 s[8:9], s[8:9], 1
	v_cndmask_b32_e64 v55, v55, v26, s[10:11]
	v_cndmask_b32_e64 v57, v25, v53, s[10:11]
	s_add_u32 s10, s40, s8
	v_cvt_f16_f32_e32 v49, v49
	v_cvt_f16_f32_sdwa v33, v33 dst_sel:WORD_1 dst_unused:UNUSED_PAD src0_sel:DWORD
	s_addc_u32 s11, s41, s9
	s_ashr_i32 s35, s34, 31
	s_lshl_b64 s[8:9], s[34:35], 1
	s_add_u32 s48, s10, s8
	s_addc_u32 s49, s11, s9
	v_or_b32_e32 v33, v33, v49
	v_lshl_add_u64 v[24:25], v[38:39], 1, s[48:49]
	;;#ASMSTART
	global_atomic_pk_add_f16 v[24:25], v33, off
	
	;;#ASMEND
	v_cvt_f16_f32_e32 v33, v55
	v_cvt_f16_f32_sdwa v49, v54 dst_sel:WORD_1 dst_unused:UNUSED_PAD src0_sel:DWORD
	v_cvt_f16_f32_e32 v57, v57
	v_cvt_f16_f32_sdwa v56, v56 dst_sel:WORD_1 dst_unused:UNUSED_PAD src0_sel:DWORD
	v_cmp_eq_u32_e64 s[6:7], 2, v105
	v_lshl_add_u64 v[54:55], v[24:25], 0, 32
	v_or_b32_e32 v33, v49, v33
	v_cmp_gt_u32_e64 s[8:9], 46, v29
	;;#ASMSTART
	global_atomic_pk_add_f16 v[54:55], v33, off
	
	;;#ASMEND
	v_lshl_add_u64 v[54:55], v[24:25], 0, 64
	v_or_b32_e32 v33, v56, v57
	;;#ASMSTART
	global_atomic_pk_add_f16 v[54:55], v33, off
	
	;;#ASMEND
	s_and_b64 exec, exec, s[8:9]
	s_cbranch_execz .LBB277_39
; %bb.34:                               ;   in Loop: Header=BB277_7 Depth=1
	v_cndmask_b32_e32 v34, v34, v30, vcc
	v_cndmask_b32_e64 v30, v35, v30, s[6:7]
	v_cndmask_b32_e32 v31, v31, v26, vcc
	v_cndmask_b32_e64 v26, v51, v26, s[6:7]
	v_cndmask_b32_e32 v35, v27, v53, vcc
	v_cvt_f16_f32_e32 v27, v30
	v_cvt_f16_f32_sdwa v30, v34 dst_sel:WORD_1 dst_unused:UNUSED_PAD src0_sel:DWORD
	v_cvt_f16_f32_e32 v34, v26
	v_cvt_f16_f32_sdwa v31, v31 dst_sel:WORD_1 dst_unused:UNUSED_PAD src0_sel:DWORD
	v_mov_b32_e32 v49, v48
	v_or_b32_e32 v26, v30, v27
	v_mov_b32_e32 v30, v48
	v_or_b32_e32 v34, v31, v34
	v_mov_b32_e32 v31, v48
	v_pk_mul_f32 v[22:23], v[30:31], v[22:23]
	v_pk_mul_f32 v[30:31], v[48:49], v[20:21]
	v_cmp_eq_u32_e32 vcc, 1, v104
	v_cndmask_b32_e64 v51, v52, v53, s[6:7]
	v_cmp_eq_u32_e64 s[6:7], 2, v104
	v_cndmask_b32_e32 v20, v30, v31, vcc
	v_lshl_add_u64 v[24:25], s[28:29], 2, v[24:25]
	v_cndmask_b32_e64 v20, v20, v22, s[6:7]
	v_cmp_eq_u32_e64 s[8:9], 3, v104
	;;#ASMSTART
	global_atomic_pk_add_f16 v[24:25], v26, off
	
	;;#ASMEND
	v_lshl_add_u64 v[26:27], v[24:25], 0, 32
	v_mov_b32_e32 v33, v32
	v_cndmask_b32_e64 v20, v20, v23, s[8:9]
	ds_bpermute_b32 v52, v109, v20
	;;#ASMSTART
	global_atomic_pk_add_f16 v[26:27], v34, off
	
	;;#ASMEND
	v_cvt_f16_f32_e32 v27, v51
	v_cvt_f16_f32_sdwa v51, v35 dst_sel:WORD_1 dst_unused:UNUSED_PAD src0_sel:DWORD
	v_lshl_add_u64 v[34:35], v[24:25], 0, 64
	v_mov_b32_e32 v24, v32
	v_mov_b32_e32 v25, v32
	v_pk_mul_f32 v[18:19], v[24:25], v[18:19]
	v_pk_mul_f32 v[24:25], v[32:33], v[16:17]
	v_cmp_eq_u32_e64 s[10:11], 0, v104
	v_cndmask_b32_e32 v16, v24, v25, vcc
	v_cndmask_b32_e64 v16, v16, v18, s[6:7]
	v_cndmask_b32_e64 v16, v16, v19, s[8:9]
	s_waitcnt lgkmcnt(0)
	v_cndmask_b32_e64 v20, v23, v52, s[8:9]
	v_cndmask_b32_e64 v23, v30, v52, s[10:11]
	ds_bpermute_b32 v30, v109, v16
	v_cndmask_b32_e64 v21, v22, v52, s[6:7]
	v_cndmask_b32_e32 v22, v31, v52, vcc
	v_cmp_eq_u32_e64 s[12:13], 1, v105
	v_mov_b32_e32 v29, v28
	v_cmp_eq_u32_e64 s[14:15], 2, v105
	v_cndmask_b32_e64 v26, v23, v22, s[12:13]
	s_waitcnt lgkmcnt(0)
	v_cndmask_b32_e64 v17, v19, v30, s[8:9]
	v_cndmask_b32_e64 v16, v26, v21, s[14:15]
	;; [unrolled: 1-line block ×3, first 2 shown]
	v_cndmask_b32_e32 v25, v25, v30, vcc
	v_cndmask_b32_e64 v26, v24, v30, s[10:11]
	v_mov_b32_e32 v30, v28
	v_mov_b32_e32 v31, v28
	v_pk_mul_f32 v[52:53], v[28:29], v[12:13]
	v_pk_mul_f32 v[30:31], v[30:31], v[14:15]
	v_cndmask_b32_e32 v12, v52, v53, vcc
	v_cndmask_b32_e64 v12, v12, v30, s[6:7]
	v_cndmask_b32_e64 v12, v12, v31, s[8:9]
	ds_bpermute_b32 v13, v109, v12
	v_cndmask_b32_e64 v12, v26, v25, s[12:13]
	v_cmp_eq_u32_e64 s[16:17], 3, v105
	v_cndmask_b32_e64 v12, v12, v18, s[14:15]
	v_cmp_ne_u32_e32 vcc, 0, v104
	v_cndmask_b32_e64 v12, v12, v17, s[16:17]
	ds_bpermute_b32 v14, v109, v12
	s_waitcnt lgkmcnt(1)
	v_cndmask_b32_e64 v15, v31, v13, s[8:9]
	v_cndmask_b32_e64 v19, v30, v13, s[6:7]
	v_cndmask_b32_e32 v12, v53, v13, vcc
	v_cndmask_b32_e64 v13, v52, v13, s[10:11]
	v_cndmask_b32_e64 v24, v13, v12, s[12:13]
	;; [unrolled: 1-line block ×5, first 2 shown]
	ds_bpermute_b32 v16, v109, v16
	ds_bpermute_b32 v24, v109, v24
	v_or_b32_e32 v27, v51, v27
	;;#ASMSTART
	global_atomic_pk_add_f16 v[34:35], v27, off
	
	;;#ASMEND
	v_or_b32_e32 v27, 16, v106
	v_add_u32_e32 v27, s65, v27
	v_cmp_gt_u32_e32 vcc, 48, v27
	s_and_b64 exec, exec, vcc
	s_cbranch_execz .LBB277_39
; %bb.35:                               ;   in Loop: Header=BB277_7 Depth=1
	v_cmp_eq_u32_e64 s[8:9], 1, v105
	v_cmp_eq_u32_e64 s[10:11], 0, v105
	v_cmp_eq_u32_e32 vcc, 3, v105
	s_waitcnt lgkmcnt(1)
	v_cndmask_b32_e64 v22, v22, v16, s[8:9]
	v_cndmask_b32_e64 v23, v23, v16, s[10:11]
	;; [unrolled: 1-line block ×4, first 2 shown]
	v_cvt_f16_f32_e32 v23, v23
	v_cvt_f16_f32_sdwa v22, v22 dst_sel:WORD_1 dst_unused:UNUSED_PAD src0_sel:DWORD
	s_waitcnt lgkmcnt(0)
	v_cndmask_b32_e64 v30, v12, v24, s[8:9]
	v_cndmask_b32_e64 v31, v13, v24, s[10:11]
	v_cvt_f16_f32_e32 v26, v26
	v_cvt_f16_f32_sdwa v25, v25 dst_sel:WORD_1 dst_unused:UNUSED_PAD src0_sel:DWORD
	v_cvt_f16_f32_e32 v31, v31
	v_cvt_f16_f32_sdwa v30, v30 dst_sel:WORD_1 dst_unused:UNUSED_PAD src0_sel:DWORD
	v_lshl_add_u64 v[12:13], v[40:41], 1, s[48:49]
	v_or_b32_e32 v22, v22, v23
	v_cmp_eq_u32_e64 s[6:7], 2, v105
	;;#ASMSTART
	global_atomic_pk_add_f16 v[12:13], v22, off
	
	;;#ASMEND
	v_lshl_add_u64 v[22:23], v[12:13], 0, 32
	v_or_b32_e32 v25, v25, v26
	v_cmp_gt_u32_e64 s[8:9], 46, v27
	;;#ASMSTART
	global_atomic_pk_add_f16 v[22:23], v25, off
	
	;;#ASMEND
	v_lshl_add_u64 v[22:23], v[12:13], 0, 64
	v_or_b32_e32 v25, v30, v31
	;;#ASMSTART
	global_atomic_pk_add_f16 v[22:23], v25, off
	
	;;#ASMEND
	s_and_b64 exec, exec, s[8:9]
	s_cbranch_execz .LBB277_39
; %bb.36:                               ;   in Loop: Header=BB277_7 Depth=1
	v_cndmask_b32_e32 v20, v20, v16, vcc
	v_cndmask_b32_e64 v16, v21, v16, s[6:7]
	v_cndmask_b32_e32 v17, v17, v14, vcc
	v_cndmask_b32_e64 v14, v18, v14, s[6:7]
	v_cndmask_b32_e32 v18, v15, v24, vcc
	v_cvt_f16_f32_e32 v15, v16
	v_cvt_f16_f32_sdwa v16, v20 dst_sel:WORD_1 dst_unused:UNUSED_PAD src0_sel:DWORD
	v_cvt_f16_f32_e32 v20, v14
	v_cvt_f16_f32_sdwa v17, v17 dst_sel:WORD_1 dst_unused:UNUSED_PAD src0_sel:DWORD
	v_cmp_eq_u32_e32 vcc, 1, v104
	v_or_b32_e32 v14, v16, v15
	v_mov_b32_e32 v16, v48
	v_or_b32_e32 v20, v17, v20
	v_mov_b32_e32 v17, v48
	v_pk_mul_f32 v[10:11], v[16:17], v[10:11]
	v_pk_mul_f32 v[16:17], v[48:49], v[8:9]
	v_cndmask_b32_e64 v19, v19, v24, s[6:7]
	v_cndmask_b32_e32 v8, v16, v17, vcc
	v_cmp_eq_u32_e64 s[6:7], 2, v104
	v_cmp_eq_u32_e64 s[8:9], 3, v104
	v_lshl_add_u64 v[12:13], s[28:29], 2, v[12:13]
	v_cndmask_b32_e64 v8, v8, v10, s[6:7]
	v_cndmask_b32_e64 v8, v8, v11, s[8:9]
	ds_bpermute_b32 v21, v109, v8
	;;#ASMSTART
	global_atomic_pk_add_f16 v[12:13], v14, off
	
	;;#ASMEND
	v_lshl_add_u64 v[14:15], v[12:13], 0, 32
	v_cmp_eq_u32_e64 s[10:11], 0, v104
	;;#ASMSTART
	global_atomic_pk_add_f16 v[14:15], v20, off
	
	;;#ASMEND
	v_cvt_f16_f32_e32 v20, v19
	v_cvt_f16_f32_sdwa v22, v18 dst_sel:WORD_1 dst_unused:UNUSED_PAD src0_sel:DWORD
	v_lshl_add_u64 v[18:19], v[12:13], 0, 64
	s_waitcnt lgkmcnt(0)
	v_cndmask_b32_e64 v8, v11, v21, s[8:9]
	v_cndmask_b32_e32 v11, v17, v21, vcc
	v_cndmask_b32_e64 v12, v16, v21, s[10:11]
	v_mov_b32_e32 v14, v32
	v_mov_b32_e32 v15, v32
	v_pk_mul_f32 v[16:17], v[32:33], v[0:1]
	v_pk_mul_f32 v[14:15], v[14:15], v[2:3]
	v_cndmask_b32_e32 v0, v16, v17, vcc
	v_cndmask_b32_e64 v0, v0, v14, s[6:7]
	v_cndmask_b32_e64 v0, v0, v15, s[8:9]
	ds_bpermute_b32 v1, v109, v0
	v_cmp_eq_u32_e64 s[12:13], 1, v105
	v_cndmask_b32_e64 v9, v10, v21, s[6:7]
	v_cmp_eq_u32_e64 s[14:15], 2, v105
	v_cndmask_b32_e64 v10, v12, v11, s[12:13]
	;; [unrolled: 2-line block ×3, first 2 shown]
	s_waitcnt lgkmcnt(0)
	v_cndmask_b32_e64 v3, v15, v1, s[8:9]
	v_cndmask_b32_e64 v0, v0, v8, s[16:17]
	ds_bpermute_b32 v2, v109, v0
	v_cndmask_b32_e64 v10, v14, v1, s[6:7]
	v_cndmask_b32_e32 v0, v17, v1, vcc
	v_cndmask_b32_e64 v1, v16, v1, s[10:11]
	v_mov_b32_e32 v14, v28
	v_mov_b32_e32 v15, v28
	v_pk_mul_f32 v[16:17], v[28:29], v[4:5]
	v_pk_mul_f32 v[14:15], v[14:15], v[6:7]
	v_cndmask_b32_e32 v4, v16, v17, vcc
	v_cndmask_b32_e64 v4, v4, v14, s[6:7]
	v_cndmask_b32_e64 v4, v4, v15, s[8:9]
	ds_bpermute_b32 v7, v109, v4
	v_cndmask_b32_e64 v4, v1, v0, s[12:13]
	v_cndmask_b32_e64 v4, v4, v10, s[14:15]
	;; [unrolled: 1-line block ×3, first 2 shown]
	v_cmp_ne_u32_e32 vcc, 0, v104
	ds_bpermute_b32 v6, v109, v4
	s_waitcnt lgkmcnt(1)
	v_cndmask_b32_e64 v4, v15, v7, s[8:9]
	v_cndmask_b32_e64 v5, v14, v7, s[6:7]
	v_cndmask_b32_e32 v14, v17, v7, vcc
	v_cndmask_b32_e64 v15, v16, v7, s[10:11]
	v_cndmask_b32_e64 v7, v15, v14, s[12:13]
	v_cndmask_b32_e64 v7, v7, v5, s[14:15]
	v_cndmask_b32_e64 v7, v7, v4, s[16:17]
	ds_bpermute_b32 v7, v109, v7
	v_or_b32_e32 v13, v22, v20
	;;#ASMSTART
	global_atomic_pk_add_f16 v[18:19], v13, off
	
	;;#ASMEND
	v_or_b32_e32 v13, 32, v106
	v_add_u32_e32 v13, s65, v13
	v_cmp_gt_u32_e32 vcc, 48, v13
	s_and_b64 exec, exec, vcc
	s_cbranch_execz .LBB277_39
; %bb.37:                               ;   in Loop: Header=BB277_7 Depth=1
	v_cmp_eq_u32_e64 s[8:9], 1, v105
	v_cmp_eq_u32_e64 s[10:11], 0, v105
	v_cmp_eq_u32_e32 vcc, 3, v105
	v_cndmask_b32_e64 v11, v11, v2, s[8:9]
	v_cndmask_b32_e64 v12, v12, v2, s[10:11]
	v_cvt_f16_f32_e32 v12, v12
	v_cvt_f16_f32_sdwa v11, v11 dst_sel:WORD_1 dst_unused:UNUSED_PAD src0_sel:DWORD
	s_waitcnt lgkmcnt(1)
	v_cndmask_b32_e64 v16, v0, v6, s[8:9]
	v_cndmask_b32_e64 v17, v1, v6, s[10:11]
	s_waitcnt lgkmcnt(0)
	v_cndmask_b32_e64 v18, v14, v7, s[8:9]
	v_or_b32_e32 v11, v11, v12
	v_cndmask_b32_e64 v19, v15, v7, s[10:11]
	v_lshl_add_u64 v[0:1], v[42:43], 1, s[48:49]
	;;#ASMSTART
	global_atomic_pk_add_f16 v[0:1], v11, off
	
	;;#ASMEND
	v_cvt_f16_f32_e32 v11, v17
	v_cvt_f16_f32_sdwa v12, v16 dst_sel:WORD_1 dst_unused:UNUSED_PAD src0_sel:DWORD
	v_cvt_f16_f32_e32 v16, v19
	v_cvt_f16_f32_sdwa v17, v18 dst_sel:WORD_1 dst_unused:UNUSED_PAD src0_sel:DWORD
	v_cmp_eq_u32_e64 s[6:7], 2, v105
	v_lshl_add_u64 v[14:15], v[0:1], 0, 32
	v_or_b32_e32 v11, v12, v11
	v_cmp_gt_u32_e64 s[8:9], 46, v13
	;;#ASMSTART
	global_atomic_pk_add_f16 v[14:15], v11, off
	
	;;#ASMEND
	v_lshl_add_u64 v[14:15], v[0:1], 0, 64
	v_or_b32_e32 v11, v17, v16
	;;#ASMSTART
	global_atomic_pk_add_f16 v[14:15], v11, off
	
	;;#ASMEND
	s_and_b64 exec, exec, s[8:9]
	s_cbranch_execz .LBB277_39
; %bb.38:                               ;   in Loop: Header=BB277_7 Depth=1
	v_cndmask_b32_e32 v8, v8, v2, vcc
	v_cndmask_b32_e64 v2, v9, v2, s[6:7]
	v_cvt_f16_f32_e32 v2, v2
	v_cvt_f16_f32_sdwa v8, v8 dst_sel:WORD_1 dst_unused:UNUSED_PAD src0_sel:DWORD
	v_cndmask_b32_e32 v3, v3, v6, vcc
	v_cndmask_b32_e64 v6, v10, v6, s[6:7]
	v_cndmask_b32_e32 v4, v4, v7, vcc
	v_cndmask_b32_e64 v5, v5, v7, s[6:7]
	v_cvt_f16_f32_e32 v6, v6
	v_cvt_f16_f32_sdwa v7, v3 dst_sel:WORD_1 dst_unused:UNUSED_PAD src0_sel:DWORD
	v_cvt_f16_f32_e32 v5, v5
	v_cvt_f16_f32_sdwa v4, v4 dst_sel:WORD_1 dst_unused:UNUSED_PAD src0_sel:DWORD
	v_lshl_add_u64 v[0:1], s[28:29], 2, v[0:1]
	v_or_b32_e32 v2, v8, v2
	;;#ASMSTART
	global_atomic_pk_add_f16 v[0:1], v2, off
	
	;;#ASMEND
	v_lshl_add_u64 v[2:3], v[0:1], 0, 32
	v_or_b32_e32 v6, v7, v6
	;;#ASMSTART
	global_atomic_pk_add_f16 v[2:3], v6, off
	
	;;#ASMEND
	;; [unrolled: 6-line block ×3, first 2 shown]
.LBB277_39:                             ;   in Loop: Header=BB277_7 Depth=1
	s_or_b64 exec, exec, s[18:19]
	v_subrev_u32_e32 v110, s66, v110
.LBB277_40:                             ;   in Loop: Header=BB277_7 Depth=1
	s_or_b64 exec, exec, s[46:47]
.LBB277_41:                             ;   in Loop: Header=BB277_7 Depth=1
	s_andn2_saveexec_b64 s[6:7], s[44:45]
	s_cbranch_execz .LBB277_50
; %bb.42:                               ;   in Loop: Header=BB277_7 Depth=1
	s_mul_i32 s16, s66, 3
	v_cmp_gt_i32_e32 vcc, s16, v110
	s_and_saveexec_b64 s[8:9], vcc
	s_cbranch_execz .LBB277_49
; %bb.43:                               ;   in Loop: Header=BB277_7 Depth=1
	s_mul_i32 s10, s34, s23
	s_ashr_i32 s11, s10, 31
	s_waitcnt lgkmcnt(0)
	s_add_u32 s10, s38, s10
	s_addc_u32 s11, s39, s11
	s_ashr_i32 s12, s64, 31
	s_add_u32 s10, s10, s64
	s_addc_u32 s11, s11, s12
	v_lshl_add_u64 v[0:1], s[10:11], 0, v[46:47]
	v_lshl_add_u64 v[16:17], v[0:1], 0, v[44:45]
	s_mov_b64 s[10:11], 0
	s_branch .LBB277_45
.LBB277_44:                             ;   in Loop: Header=BB277_45 Depth=2
	s_or_b64 exec, exec, s[12:13]
	v_or_b32_e32 v20, 0x6000, v108
	v_lshl_add_u32 v20, v18, 12, v20
	;;#ASMSTART
	s_waitcnt vmcnt(3)
	;;#ASMEND
	ds_write2_b32 v20, v12, v13 offset1:32
	ds_write2_b32 v20, v14, v15 offset0:64 offset1:96
	v_add_u32_e32 v12, 0x400, v20
	;;#ASMSTART
	s_waitcnt vmcnt(2)
	;;#ASMEND
	ds_write2_b32 v12, v8, v9 offset1:32
	ds_write2_b32 v12, v10, v11 offset0:64 offset1:96
	v_add_u32_e32 v8, 0x800, v20
	;; [unrolled: 6-line block ×3, first 2 shown]
	v_add_u32_e32 v110, s26, v110
	;;#ASMSTART
	s_waitcnt vmcnt(0)
	;;#ASMEND
	ds_write2_b32 v4, v0, v1 offset1:32
	ds_write2_b32 v4, v2, v3 offset0:64 offset1:96
	v_add_u32_e32 v0, 1, v102
	v_add_u32_e32 v50, s26, v18
	v_cmp_le_i32_e32 vcc, s16, v110
	ds_write_b32 v19, v0 offset:24
	v_add_u32_e32 v0, 2, v102
	s_or_b64 s[10:11], vcc, s[10:11]
	v_cmp_lt_i32_e32 vcc, 5, v50
	s_nop 1
	v_cndmask_b32_e32 v102, v102, v0, vcc
	s_andn2_b64 exec, exec, s[10:11]
	s_cbranch_execz .LBB277_48
.LBB277_45:                             ;   Parent Loop BB277_7 Depth=1
                                        ; =>  This Loop Header: Depth=2
                                        ;       Child Loop BB277_47 Depth 3
	v_cmp_gt_i32_e32 vcc, 6, v50
	s_nop 1
	v_cndmask_b32_e64 v0, -6, 0, vcc
	v_add_u32_e32 v18, v0, v50
	v_mul_hi_i32 v0, v110, s62
	v_lshrrev_b32_e32 v1, 31, v0
	v_add_u32_e32 v0, v0, v1
	v_lshl_add_u32 v1, v0, 1, v0
	v_sub_u32_e32 v2, v110, v1
	v_lshlrev_b32_e32 v0, 8, v0
	v_ashrrev_i32_e32 v1, 31, v0
	v_mul_lo_u32 v2, s55, v2
	v_lshl_add_u64 v[0:1], v[16:17], 0, v[0:1]
	v_ashrrev_i32_e32 v3, 31, v2
	v_lshl_add_u64 v[0:1], v[0:1], 0, v[2:3]
	v_lshlrev_b32_e32 v19, 2, v18
	;;#ASMSTART
	global_load_dwordx4 v[12:15], v[0:1], off offset:0    sc0 sc1 nt  
	global_load_dwordx4 v[8:11], v[0:1], off offset:64   sc0 sc1 nt  
	global_load_dwordx4 v[4:7], v[0:1], off offset:128  sc0 sc1 nt  
	global_load_dwordx4 v[0:3], v[0:1], off offset:192  sc0 sc1 nt  
	
	;;#ASMEND
	ds_read_b32 v20, v19 offset:49176
	v_add_u32_e32 v19, 0xc000, v19
	s_waitcnt lgkmcnt(0)
	v_cmp_ne_u32_e32 vcc, v20, v102
	s_and_saveexec_b64 s[12:13], vcc
	s_cbranch_execz .LBB277_44
; %bb.46:                               ;   in Loop: Header=BB277_45 Depth=2
	s_mov_b64 s[14:15], 0
.LBB277_47:                             ;   Parent Loop BB277_7 Depth=1
                                        ;     Parent Loop BB277_45 Depth=2
                                        ; =>    This Inner Loop Header: Depth=3
	;;#ASMSTART
	s_sleep 0
	;;#ASMEND
	ds_read_b32 v20, v19 offset:24
	s_waitcnt lgkmcnt(0)
	v_cmp_eq_u32_e32 vcc, v20, v102
	s_or_b64 s[14:15], vcc, s[14:15]
	s_andn2_b64 exec, exec, s[14:15]
	s_cbranch_execnz .LBB277_47
	s_branch .LBB277_44
.LBB277_48:                             ;   in Loop: Header=BB277_7 Depth=1
	s_or_b64 exec, exec, s[10:11]
.LBB277_49:                             ;   in Loop: Header=BB277_7 Depth=1
	s_or_b64 exec, exec, s[8:9]
	v_subrev_u32_e32 v110, s16, v110
.LBB277_50:                             ;   in Loop: Header=BB277_7 Depth=1
	s_or_b64 exec, exec, s[6:7]
.LBB277_51:                             ;   in Loop: Header=BB277_7 Depth=1
	s_andn2_saveexec_b64 s[6:7], s[30:31]
	s_cbranch_execz .LBB277_6
; %bb.52:                               ;   in Loop: Header=BB277_7 Depth=1
	s_mul_i32 s66, s66, 3
	v_cmp_gt_i32_e32 vcc, s66, v110
	s_and_saveexec_b64 s[8:9], vcc
	s_cbranch_execz .LBB277_5
; %bb.53:                               ;   in Loop: Header=BB277_7 Depth=1
	s_mul_i32 s63, s63, s22
	s_ashr_i32 s10, s63, 31
	s_waitcnt lgkmcnt(0)
	s_add_u32 s11, s36, s63
	v_add_u32_e32 v2, s65, v107
	s_addc_u32 s12, s37, s10
	s_ashr_i32 s13, s64, 31
	v_mul_lo_u32 v0, s22, v107
	v_cmp_gt_u32_e32 vcc, 48, v2
	s_add_u32 s10, s11, s64
	s_addc_u32 s11, s12, s13
	v_cndmask_b32_e32 v0, 0, v0, vcc
	v_ashrrev_i32_e32 v1, 31, v0
	v_lshl_add_u64 v[0:1], s[10:11], 0, v[0:1]
	v_lshl_add_u64 v[16:17], v[0:1], 0, v[44:45]
	v_sub_u32_e32 v18, 47, v2
	s_mov_b64 s[10:11], 0
	s_branch .LBB277_55
.LBB277_54:                             ;   in Loop: Header=BB277_55 Depth=2
	s_or_b64 exec, exec, s[12:13]
	v_lshl_or_b32 v21, v19, 12, v108
	;;#ASMSTART
	s_waitcnt vmcnt(3)
	;;#ASMEND
	ds_write2_b32 v21, v12, v13 offset1:32
	ds_write2_b32 v21, v14, v15 offset0:64 offset1:96
	v_add_u32_e32 v12, 0x400, v21
	;;#ASMSTART
	s_waitcnt vmcnt(2)
	;;#ASMEND
	ds_write2_b32 v12, v8, v9 offset1:32
	ds_write2_b32 v12, v10, v11 offset0:64 offset1:96
	v_add_u32_e32 v8, 0x800, v21
	;; [unrolled: 6-line block ×3, first 2 shown]
	v_add_u32_e32 v110, s25, v110
	;;#ASMSTART
	s_waitcnt vmcnt(0)
	;;#ASMEND
	ds_write2_b32 v4, v0, v1 offset1:32
	ds_write2_b32 v4, v2, v3 offset0:64 offset1:96
	v_add_u32_e32 v0, 1, v102
	v_add_u32_e32 v50, s25, v19
	v_cmp_le_i32_e32 vcc, s66, v110
	ds_write_b32 v20, v0
	v_add_u32_e32 v0, 2, v102
	s_or_b64 s[10:11], vcc, s[10:11]
	v_cmp_lt_i32_e32 vcc, 5, v50
	s_nop 1
	v_cndmask_b32_e32 v102, v102, v0, vcc
	s_andn2_b64 exec, exec, s[10:11]
	s_cbranch_execz .LBB277_4
.LBB277_55:                             ;   Parent Loop BB277_7 Depth=1
                                        ; =>  This Loop Header: Depth=2
                                        ;       Child Loop BB277_57 Depth 3
	v_cmp_gt_i32_e32 vcc, 6, v50
	s_nop 1
	v_cndmask_b32_e64 v0, -6, 0, vcc
	v_add_u32_e32 v19, v0, v50
	v_mul_hi_i32 v0, v110, s62
	v_lshrrev_b32_e32 v1, 31, v0
	v_add_u32_e32 v0, v0, v1
	v_lshl_add_u32 v1, v0, 1, v0
	v_sub_u32_e32 v1, v110, v1
	v_lshlrev_b32_e32 v1, 4, v1
	v_cmp_le_i32_e32 vcc, v1, v18
	v_lshlrev_b32_e32 v0, 8, v0
	v_lshlrev_b32_e32 v20, 2, v19
	v_cndmask_b32_e32 v2, 0, v1, vcc
	v_ashrrev_i32_e32 v1, 31, v0
	v_mul_lo_u32 v2, v2, s22
	v_lshl_add_u64 v[0:1], v[16:17], 0, v[0:1]
	v_ashrrev_i32_e32 v3, 31, v2
	v_lshl_add_u64 v[0:1], v[0:1], 0, v[2:3]
	;;#ASMSTART
	global_load_dwordx4 v[12:15], v[0:1], off offset:0    
	global_load_dwordx4 v[8:11], v[0:1], off offset:64   
	;; [unrolled: 1-line block ×4, first 2 shown]
	
	;;#ASMEND
	ds_read_b32 v21, v20 offset:49152
	v_add_u32_e32 v20, 0xc000, v20
	s_waitcnt lgkmcnt(0)
	v_cmp_ne_u32_e32 vcc, v21, v102
	s_and_saveexec_b64 s[12:13], vcc
	s_cbranch_execz .LBB277_54
; %bb.56:                               ;   in Loop: Header=BB277_55 Depth=2
	s_mov_b64 s[14:15], 0
.LBB277_57:                             ;   Parent Loop BB277_7 Depth=1
                                        ;     Parent Loop BB277_55 Depth=2
                                        ; =>    This Inner Loop Header: Depth=3
	;;#ASMSTART
	s_sleep 0
	;;#ASMEND
	ds_read_b32 v21, v20
	s_waitcnt lgkmcnt(0)
	v_cmp_eq_u32_e32 vcc, v21, v102
	s_or_b64 s[14:15], vcc, s[14:15]
	s_andn2_b64 exec, exec, s[14:15]
	s_cbranch_execnz .LBB277_57
	s_branch .LBB277_54
.LBB277_58:
	s_endpgm
	.section	.rodata,"a",@progbits
	.p2align	6, 0x0
	.amdhsa_kernel _Z19_skinny_gemm_kernelILi3ELi3ELi2ELi16ELi8EEvPKhS1_P6__halfPKfiiiiiiii
		.amdhsa_group_segment_fixed_size 49200
		.amdhsa_private_segment_fixed_size 0
		.amdhsa_kernarg_size 64
		.amdhsa_user_sgpr_count 2
		.amdhsa_user_sgpr_dispatch_ptr 0
		.amdhsa_user_sgpr_queue_ptr 0
		.amdhsa_user_sgpr_kernarg_segment_ptr 1
		.amdhsa_user_sgpr_dispatch_id 0
		.amdhsa_user_sgpr_kernarg_preload_length 0
		.amdhsa_user_sgpr_kernarg_preload_offset 0
		.amdhsa_user_sgpr_private_segment_size 0
		.amdhsa_uses_dynamic_stack 0
		.amdhsa_enable_private_segment 0
		.amdhsa_system_sgpr_workgroup_id_x 1
		.amdhsa_system_sgpr_workgroup_id_y 0
		.amdhsa_system_sgpr_workgroup_id_z 0
		.amdhsa_system_sgpr_workgroup_info 0
		.amdhsa_system_vgpr_workitem_id 0
		.amdhsa_next_free_vgpr 126
		.amdhsa_next_free_sgpr 67
		.amdhsa_accum_offset 128
		.amdhsa_reserve_vcc 1
		.amdhsa_float_round_mode_32 0
		.amdhsa_float_round_mode_16_64 0
		.amdhsa_float_denorm_mode_32 3
		.amdhsa_float_denorm_mode_16_64 3
		.amdhsa_dx10_clamp 1
		.amdhsa_ieee_mode 1
		.amdhsa_fp16_overflow 0
		.amdhsa_tg_split 0
		.amdhsa_exception_fp_ieee_invalid_op 0
		.amdhsa_exception_fp_denorm_src 0
		.amdhsa_exception_fp_ieee_div_zero 0
		.amdhsa_exception_fp_ieee_overflow 0
		.amdhsa_exception_fp_ieee_underflow 0
		.amdhsa_exception_fp_ieee_inexact 0
		.amdhsa_exception_int_div_zero 0
	.end_amdhsa_kernel
	.section	.text._Z19_skinny_gemm_kernelILi3ELi3ELi2ELi16ELi8EEvPKhS1_P6__halfPKfiiiiiiii,"axG",@progbits,_Z19_skinny_gemm_kernelILi3ELi3ELi2ELi16ELi8EEvPKhS1_P6__halfPKfiiiiiiii,comdat
.Lfunc_end277:
	.size	_Z19_skinny_gemm_kernelILi3ELi3ELi2ELi16ELi8EEvPKhS1_P6__halfPKfiiiiiiii, .Lfunc_end277-_Z19_skinny_gemm_kernelILi3ELi3ELi2ELi16ELi8EEvPKhS1_P6__halfPKfiiiiiiii
                                        ; -- End function
	.set _Z19_skinny_gemm_kernelILi3ELi3ELi2ELi16ELi8EEvPKhS1_P6__halfPKfiiiiiiii.num_vgpr, 126
	.set _Z19_skinny_gemm_kernelILi3ELi3ELi2ELi16ELi8EEvPKhS1_P6__halfPKfiiiiiiii.num_agpr, 0
	.set _Z19_skinny_gemm_kernelILi3ELi3ELi2ELi16ELi8EEvPKhS1_P6__halfPKfiiiiiiii.numbered_sgpr, 67
	.set _Z19_skinny_gemm_kernelILi3ELi3ELi2ELi16ELi8EEvPKhS1_P6__halfPKfiiiiiiii.num_named_barrier, 0
	.set _Z19_skinny_gemm_kernelILi3ELi3ELi2ELi16ELi8EEvPKhS1_P6__halfPKfiiiiiiii.private_seg_size, 0
	.set _Z19_skinny_gemm_kernelILi3ELi3ELi2ELi16ELi8EEvPKhS1_P6__halfPKfiiiiiiii.uses_vcc, 1
	.set _Z19_skinny_gemm_kernelILi3ELi3ELi2ELi16ELi8EEvPKhS1_P6__halfPKfiiiiiiii.uses_flat_scratch, 0
	.set _Z19_skinny_gemm_kernelILi3ELi3ELi2ELi16ELi8EEvPKhS1_P6__halfPKfiiiiiiii.has_dyn_sized_stack, 0
	.set _Z19_skinny_gemm_kernelILi3ELi3ELi2ELi16ELi8EEvPKhS1_P6__halfPKfiiiiiiii.has_recursion, 0
	.set _Z19_skinny_gemm_kernelILi3ELi3ELi2ELi16ELi8EEvPKhS1_P6__halfPKfiiiiiiii.has_indirect_call, 0
	.section	.AMDGPU.csdata,"",@progbits
; Kernel info:
; codeLenInByte = 6792
; TotalNumSgprs: 73
; NumVgprs: 126
; NumAgprs: 0
; TotalNumVgprs: 126
; ScratchSize: 0
; MemoryBound: 0
; FloatMode: 240
; IeeeMode: 1
; LDSByteSize: 49200 bytes/workgroup (compile time only)
; SGPRBlocks: 9
; VGPRBlocks: 15
; NumSGPRsForWavesPerEU: 73
; NumVGPRsForWavesPerEU: 126
; AccumOffset: 128
; Occupancy: 4
; WaveLimiterHint : 0
; COMPUTE_PGM_RSRC2:SCRATCH_EN: 0
; COMPUTE_PGM_RSRC2:USER_SGPR: 2
; COMPUTE_PGM_RSRC2:TRAP_HANDLER: 0
; COMPUTE_PGM_RSRC2:TGID_X_EN: 1
; COMPUTE_PGM_RSRC2:TGID_Y_EN: 0
; COMPUTE_PGM_RSRC2:TGID_Z_EN: 0
; COMPUTE_PGM_RSRC2:TIDIG_COMP_CNT: 0
; COMPUTE_PGM_RSRC3_GFX90A:ACCUM_OFFSET: 31
; COMPUTE_PGM_RSRC3_GFX90A:TG_SPLIT: 0
	.section	.text._Z19_skinny_gemm_kernelILi3ELi3ELi2ELi32ELi4EEvPKhS1_P6__halfPKfiiiiiiii,"axG",@progbits,_Z19_skinny_gemm_kernelILi3ELi3ELi2ELi32ELi4EEvPKhS1_P6__halfPKfiiiiiiii,comdat
	.protected	_Z19_skinny_gemm_kernelILi3ELi3ELi2ELi32ELi4EEvPKhS1_P6__halfPKfiiiiiiii ; -- Begin function _Z19_skinny_gemm_kernelILi3ELi3ELi2ELi32ELi4EEvPKhS1_P6__halfPKfiiiiiiii
	.globl	_Z19_skinny_gemm_kernelILi3ELi3ELi2ELi32ELi4EEvPKhS1_P6__halfPKfiiiiiiii
	.p2align	8
	.type	_Z19_skinny_gemm_kernelILi3ELi3ELi2ELi32ELi4EEvPKhS1_P6__halfPKfiiiiiiii,@function
_Z19_skinny_gemm_kernelILi3ELi3ELi2ELi32ELi4EEvPKhS1_P6__halfPKfiiiiiiii: ; @_Z19_skinny_gemm_kernelILi3ELi3ELi2ELi32ELi4EEvPKhS1_P6__halfPKfiiiiiiii
; %bb.0:
	v_cmp_gt_u32_e32 vcc, 12, v0
	s_and_saveexec_b64 s[4:5], vcc
; %bb.1:
	v_lshlrev_b32_e32 v1, 2, v0
	v_mov_b32_e32 v2, 0
	ds_write_b32 v1, v2 offset:24576
; %bb.2:
	s_or_b64 exec, exec, s[4:5]
	s_load_dwordx8 s[92:99], s[0:1], 0x20
	s_waitcnt lgkmcnt(0)
	s_barrier
	s_add_i32 s3, s92, 0x5f
	s_mul_hi_i32 s3, s3, 0x2aaaaaab
	s_add_i32 s4, s93, 0x5f
	s_lshr_b32 s5, s3, 31
	s_ashr_i32 s3, s3, 4
	s_add_i32 s14, s3, s5
	s_mul_hi_i32 s3, s4, 0x2aaaaaab
	s_lshr_b32 s4, s3, 31
	s_ashr_i32 s3, s3, 4
	s_add_i32 s15, s3, s4
	s_mul_i32 s3, s15, s14
	s_mul_i32 s3, s3, s96
	s_add_i32 s4, s3, 0x12f
	s_mul_hi_i32 s4, s4, 0x6bca1af3
	s_lshr_b32 s5, s4, 31
	s_ashr_i32 s4, s4, 7
	s_add_i32 s4, s4, s5
	s_add_i32 s5, s2, 1
	s_mul_i32 s5, s4, s5
	v_cvt_f64_i32_e32 v[2:3], s3
	v_cvt_f64_u32_e32 v[4:5], s5
	v_min_f64 v[2:3], v[2:3], v[4:5]
	v_cvt_i32_f64_e32 v62, v[2:3]
	s_mul_i32 s33, s4, s2
	v_cmp_ge_i32_e32 vcc, s33, v62
	s_cbranch_vccnz .LBB278_51
; %bb.3:
	s_load_dwordx8 s[16:23], s[0:1], 0x0
	v_lshrrev_b32_e32 v1, 6, v0
	s_add_i32 s0, s98, s97
	v_cmp_le_i32_e64 s[24:25], s0, v1
	v_mov_b32_e32 v2, s97
	v_cmp_le_i32_e64 s[26:27], s97, v1
	v_mov_b32_e32 v3, s98
	v_cndmask_b32_e64 v3, 0, v3, s[24:25]
	v_cndmask_b32_e64 v2, 0, v2, s[26:27]
	s_abs_i32 s1, s96
	v_add_u32_e32 v2, v2, v3
	v_cvt_f32_u32_e32 v3, s1
	v_sub_u32_e32 v56, v1, v2
	s_ashr_i32 s2, s94, 31
	s_lshr_b32 s2, s2, 26
	v_rcp_iflag_f32_e32 v2, v3
	s_sub_i32 s5, 0, s1
	s_add_i32 s2, s94, s2
	s_ashr_i32 s2, s2, 6
	v_mul_f32_e32 v2, 0x4f7ffffe, v2
	v_cvt_u32_f32_e32 v2, v2
	s_abs_i32 s4, s2
	s_xor_b32 s3, s2, s96
	s_ashr_i32 s3, s3, 31
	v_readfirstlane_b32 s6, v2
	s_mul_i32 s5, s5, s6
	s_mul_hi_u32 s5, s6, s5
	s_add_i32 s6, s6, s5
	s_mul_hi_u32 s5, s4, s6
	s_mul_i32 s6, s5, s1
	s_sub_i32 s4, s4, s6
	s_add_i32 s6, s5, 1
	s_sub_i32 s7, s4, s1
	s_cmp_ge_u32 s4, s1
	s_cselect_b32 s5, s6, s5
	s_cselect_b32 s4, s7, s4
	s_add_i32 s6, s5, 1
	s_cmp_ge_u32 s4, s1
	s_cselect_b32 s1, s6, s5
	s_add_i32 s0, s0, s99
	v_and_b32_e32 v64, 31, v0
	v_lshrrev_b32_e32 v2, 3, v0
	v_cmp_gt_i32_e64 s[34:35], s0, v1
	v_lshlrev_b32_e32 v1, 2, v64
	v_and_b32_e32 v3, 4, v2
	v_lshlrev_b32_e32 v2, 6, v3
	v_or_b32_e32 v4, 0x3000, v1
	v_and_b32_e32 v5, 1, v0
                                        ; implicit-def: $vgpr93 : SGPR spill to VGPR lane
	s_add_i32 s29, s96, -1
	v_or_b32_e32 v65, v1, v2
	v_or_b32_e32 v66, v4, v2
	v_lshlrev_b32_e32 v2, 1, v5
	v_lshrrev_b32_e32 v7, 1, v0
	s_abs_i32 s96, s14
	v_writelane_b32 v93, s14, 0
	v_sub_u32_e32 v2, v0, v2
	v_and_b32_e32 v50, 16, v7
	v_cvt_f32_u32_e32 v7, s96
	v_writelane_b32 v93, s15, 1
	v_add_u32_e32 v2, 1, v2
	s_waitcnt lgkmcnt(0)
	v_writelane_b32 v93, s16, 2
	v_and_b32_e32 v6, 63, v2
	v_bitop3_b32 v67, v0, 1, v0 bitop3:0xc
	v_bitop3_b32 v68, v0, 3, 1 bitop3:0x6c
	;; [unrolled: 1-line block ×8, first 2 shown]
	v_and_b32_e32 v2, 30, v0
	v_lshlrev_b32_e32 v0, 4, v0
	v_writelane_b32 v93, s17, 3
	v_and_b32_e32 v0, 0x200, v0
	v_writelane_b32 v93, s18, 4
	v_or_b32_e32 v77, v4, v0
	v_rcp_iflag_f32_e32 v4, v7
	s_abs_i32 s90, s15
	v_writelane_b32 v93, s19, 5
	v_or_b32_e32 v79, v1, v0
	v_cvt_f32_u32_e32 v1, s90
	v_writelane_b32 v93, s20, 6
	v_writelane_b32 v93, s21, 7
	v_writelane_b32 v93, s22, 8
	v_mul_f32_e32 v0, 0x4f7ffffe, v4
	v_writelane_b32 v93, s23, 9
	v_cndmask_b32_e64 v63, 0, 1, s[24:25]
	v_cvt_u32_f32_e32 v0, v0
	v_rcp_iflag_f32_e32 v1, v1
	v_writelane_b32 v93, s24, 10
	s_xor_b32 s1, s1, s3
	s_sub_i32 s28, s1, s3
	v_writelane_b32 v93, s25, 11
	v_writelane_b32 v93, s26, 12
	s_mul_i32 s1, s28, s29
	s_sub_i32 s30, s2, s1
	v_writelane_b32 v93, s27, 13
	v_readfirstlane_b32 s1, v0
	v_mul_f32_e32 v0, 0x4f7ffffe, v1
	v_writelane_b32 v93, s28, 14
	v_cvt_u32_f32_e32 v0, v0
	v_writelane_b32 v93, s29, 15
	s_sub_i32 s0, 0, s96
	v_writelane_b32 v93, s30, 16
	s_mul_i32 s0, s0, s1
	v_writelane_b32 v93, s34, 17
	s_lshl_b32 s31, s95, 5
	s_mul_hi_u32 s0, s1, s0
	v_writelane_b32 v93, s35, 18
	s_ashr_i32 s36, s14, 31
	s_add_i32 s37, s1, s0
	s_sub_i32 s0, 0, s90
	v_readfirstlane_b32 s1, v0
	v_mbcnt_lo_u32_b32 v0, -1, 0
	v_writelane_b32 v93, s31, 19
	s_mul_i32 s0, s0, s1
	v_mbcnt_hi_u32_b32 v0, -1, v0
	v_writelane_b32 v93, s36, 20
	v_mov_b32_e32 v49, 0
	v_mul_lo_u32 v52, s95, v64
	v_or_b32_e32 v80, v5, v3
	s_ashr_i32 s38, s15, 31
	s_mul_hi_u32 s0, s1, s0
	v_and_or_b32 v0, v0, 64, v6
	v_writelane_b32 v93, s37, 21
	v_or_b32_e32 v75, 32, v64
	v_or_b32_e32 v76, 64, v64
	v_ashrrev_i32_e32 v53, 31, v52
	v_mov_b32_e32 v51, v49
	v_mul_lo_u32 v78, s94, v64
	v_or_b32_e32 v81, 2, v80
	s_add_i32 s39, s1, s0
	v_lshlrev_b32_e32 v48, 1, v2
	s_mov_b32 s91, 0x55555556
	v_lshlrev_b32_e32 v82, 2, v0
	v_mov_b32_e32 v83, v56
	v_writelane_b32 v93, s38, 22
	v_writelane_b32 v93, s39, 23
	s_branch .LBB278_7
.LBB278_4:                              ;   in Loop: Header=BB278_7 Depth=1
	s_or_b64 exec, exec, s[4:5]
.LBB278_5:                              ;   in Loop: Header=BB278_7 Depth=1
	s_or_b64 exec, exec, s[2:3]
	v_subrev_u32_e32 v83, s10, v83
.LBB278_6:                              ;   in Loop: Header=BB278_7 Depth=1
	s_or_b64 exec, exec, s[0:1]
	s_add_i32 s33, s33, 1
	v_cmp_ge_i32_e32 vcc, s33, v62
	s_cbranch_vccnz .LBB278_51
.LBB278_7:                              ; =>This Loop Header: Depth=1
                                        ;     Child Loop BB278_13 Depth 2
                                        ;       Child Loop BB278_15 Depth 3
                                        ;       Child Loop BB278_18 Depth 3
	;; [unrolled: 1-line block ×4, first 2 shown]
                                        ;     Child Loop BB278_29 Depth 2
                                        ;     Child Loop BB278_38 Depth 2
                                        ;       Child Loop BB278_40 Depth 3
                                        ;     Child Loop BB278_48 Depth 2
                                        ;       Child Loop BB278_50 Depth 3
	s_abs_i32 s1, s33
	s_mul_hi_u32 s2, s1, s37
	s_mul_i32 s3, s2, s96
	s_ashr_i32 s0, s33, 31
	s_sub_i32 s1, s1, s3
	s_xor_b32 s0, s0, s36
	s_add_i32 s3, s2, 1
	s_sub_i32 s4, s1, s96
	s_cmp_ge_u32 s1, s96
	s_cselect_b32 s2, s3, s2
	s_cselect_b32 s1, s4, s1
	s_add_i32 s3, s2, 1
	s_cmp_ge_u32 s1, s96
	s_cselect_b32 s1, s3, s2
	s_xor_b32 s1, s1, s0
	s_sub_i32 s0, s1, s0
	s_abs_i32 s2, s0
	s_mul_i32 s1, s0, s14
	s_mul_hi_u32 s3, s2, s39
	s_sub_i32 s1, s33, s1
	s_mul_i32 s4, s3, s90
	s_mul_i32 s40, s1, 0x60
	s_ashr_i32 s1, s0, 31
	s_sub_i32 s2, s2, s4
	s_xor_b32 s1, s1, s38
	s_add_i32 s4, s3, 1
	s_sub_i32 s5, s2, s90
	s_cmp_ge_u32 s2, s90
	s_cselect_b32 s3, s4, s3
	s_cselect_b32 s2, s5, s2
	s_add_i32 s4, s3, 1
	s_cmp_ge_u32 s2, s90
	s_cselect_b32 s2, s4, s3
	s_xor_b32 s2, s2, s1
	s_sub_i32 s1, s2, s1
	s_mul_i32 s2, s1, s28
	s_lshl_b32 s13, s2, 6
	s_cmp_eq_u32 s1, s29
	s_cselect_b32 s4, s30, s28
	s_sub_i32 s2, s40, s92
	s_addk_i32 s2, 0x60
	s_max_i32 s5, s2, 0
	s_and_saveexec_b64 s[2:3], s[26:27]
	s_xor_b64 s[2:3], exec, s[2:3]
	v_writelane_b32 v93, s2, 24
	s_nop 1
	v_writelane_b32 v93, s3, 25
	s_cbranch_execz .LBB278_44
; %bb.8:                                ;   in Loop: Header=BB278_7 Depth=1
	s_mul_i32 s1, s1, s15
	s_sub_i32 s0, s0, s1
	s_mulk_i32 s0, 0x60
	s_sub_i32 s70, s0, s93
	s_addk_i32 s70, 0x60
	s_max_i32 s1, s70, 0
	s_sub_i32 s0, s0, s1
	v_writelane_b32 v93, s13, 26
	s_and_saveexec_b64 s[2:3], s[24:25]
	s_xor_b64 s[2:3], exec, s[2:3]
	s_cbranch_execz .LBB278_34
; %bb.9:                                ;   in Loop: Header=BB278_7 Depth=1
	s_mov_b64 s[6:7], exec
	v_writelane_b32 v93, s6, 27
	s_nop 1
	v_writelane_b32 v93, s7, 28
	s_and_b64 s[6:7], s[6:7], s[34:35]
	s_mov_b64 exec, s[6:7]
	s_cbranch_execz .LBB278_33
; %bb.10:                               ;   in Loop: Header=BB278_7 Depth=1
	global_load_dword v84, v49, s[22:23]
	v_mov_b32_e32 v47, 0
	v_cmp_gt_i32_e32 vcc, s4, v83
	v_mov_b32_e32 v46, v47
	v_mov_b32_e32 v45, v47
	;; [unrolled: 1-line block ×47, first 2 shown]
	s_and_saveexec_b64 s[6:7], vcc
	s_cbranch_execz .LBB278_26
; %bb.11:                               ;   in Loop: Header=BB278_7 Depth=1
	v_mov_b32_e32 v0, 0
	s_mov_b64 s[8:9], 0
	v_mov_b32_e32 v1, v0
	v_mov_b32_e32 v2, v0
	;; [unrolled: 1-line block ×47, first 2 shown]
	s_branch .LBB278_13
.LBB278_12:                             ;   in Loop: Header=BB278_13 Depth=2
	s_or_b64 exec, exec, s[10:11]
	v_add_u32_e32 v89, 0x1000, v88
	ds_read2_b32 v[90:91], v89 offset1:32
	v_add_u32_e32 v83, s99, v83
	s_waitcnt lgkmcnt(0)
	v_mfma_f32_32x32x16_fp8_fp8 v[0:15], v[60:61], v[90:91], v[0:15]
	ds_read2_b32 v[60:61], v89 offset0:128 offset1:160
	s_waitcnt lgkmcnt(0)
	v_mfma_f32_32x32x16_fp8_fp8 v[0:15], v[58:59], v[60:61], v[0:15]
	v_add_u32_e32 v60, 0x1400, v88
	ds_read2_b32 v[58:59], v60 offset1:32
	ds_read2_b32 v[60:61], v60 offset0:128 offset1:160
	ds_write_b32 v86, v87 offset:24596
	s_waitcnt lgkmcnt(2)
	v_mfma_f32_32x32x16_fp8_fp8 v[0:15], v[56:57], v[58:59], v[0:15]
	v_add_u32_e32 v56, s99, v85
	v_add_u32_e32 v57, 2, v63
	v_cmp_lt_i32_e32 vcc, 1, v56
	s_nop 1
	v_cndmask_b32_e32 v63, v63, v57, vcc
	v_cmp_le_i32_e32 vcc, s4, v83
	s_waitcnt lgkmcnt(1)
	v_mfma_f32_32x32x16_fp8_fp8 v[0:15], v[54:55], v[60:61], v[0:15]
	s_or_b64 s[8:9], vcc, s[8:9]
	s_andn2_b64 exec, exec, s[8:9]
	s_cbranch_execz .LBB278_25
.LBB278_13:                             ;   Parent Loop BB278_7 Depth=1
                                        ; =>  This Loop Header: Depth=2
                                        ;       Child Loop BB278_15 Depth 3
                                        ;       Child Loop BB278_18 Depth 3
                                        ;       Child Loop BB278_21 Depth 3
                                        ;       Child Loop BB278_24 Depth 3
	v_cmp_gt_i32_e32 vcc, 2, v56
	s_nop 1
	v_cndmask_b32_e64 v54, -2, 0, vcc
	v_add_u32_e32 v85, v54, v56
	v_mul_lo_u32 v86, v85, 24
	ds_read_b32 v54, v86 offset:24576
	s_waitcnt lgkmcnt(0)
	v_cmp_ne_u32_e32 vcc, v54, v63
	s_and_saveexec_b64 s[10:11], vcc
	s_cbranch_execz .LBB278_16
; %bb.14:                               ;   in Loop: Header=BB278_13 Depth=2
	s_mov_b64 s[12:13], 0
.LBB278_15:                             ;   Parent Loop BB278_7 Depth=1
                                        ;     Parent Loop BB278_13 Depth=2
                                        ; =>    This Inner Loop Header: Depth=3
	;;#ASMSTART
	s_sleep 0
	;;#ASMEND
	ds_read_b32 v54, v86 offset:24576
	s_waitcnt lgkmcnt(0)
	v_cmp_eq_u32_e32 vcc, v54, v63
	s_or_b64 s[12:13], vcc, s[12:13]
	s_andn2_b64 exec, exec, s[12:13]
	s_cbranch_execnz .LBB278_15
.LBB278_16:                             ;   in Loop: Header=BB278_13 Depth=2
	s_or_b64 exec, exec, s[10:11]
	v_lshl_or_b32 v54, v85, 11, v65
	ds_read2_b32 v[60:61], v54 offset1:32
	ds_read2_b32 v[58:59], v54 offset0:128 offset1:160
	v_add_u32_e32 v54, 0x400, v54
	ds_read2_b32 v[56:57], v54 offset1:32
	ds_read_b32 v88, v86 offset:24580
	ds_read2_b32 v[54:55], v54 offset0:128 offset1:160
	v_add_u32_e32 v87, 1, v63
	ds_write_b32 v86, v87 offset:24576
	s_waitcnt lgkmcnt(2)
	v_cmp_ne_u32_e32 vcc, v88, v63
	s_and_saveexec_b64 s[10:11], vcc
	s_cbranch_execz .LBB278_19
; %bb.17:                               ;   in Loop: Header=BB278_13 Depth=2
	s_mov_b64 s[12:13], 0
.LBB278_18:                             ;   Parent Loop BB278_7 Depth=1
                                        ;     Parent Loop BB278_13 Depth=2
                                        ; =>    This Inner Loop Header: Depth=3
	;;#ASMSTART
	s_sleep 0
	;;#ASMEND
	ds_read_b32 v88, v86 offset:24580
	s_waitcnt lgkmcnt(0)
	v_cmp_eq_u32_e32 vcc, v88, v63
	s_or_b64 s[12:13], vcc, s[12:13]
	s_andn2_b64 exec, exec, s[12:13]
	s_cbranch_execnz .LBB278_18
.LBB278_19:                             ;   in Loop: Header=BB278_13 Depth=2
	s_or_b64 exec, exec, s[10:11]
	s_movk_i32 s1, 0x1800
	v_mul_lo_u32 v88, v85, s1
	v_add_u32_e32 v88, v66, v88
	ds_read2_b32 v[90:91], v88 offset1:32
	v_add_u32_e32 v89, 0x400, v88
	ds_write_b32 v86, v87 offset:24580
	s_waitcnt lgkmcnt(1)
	v_mfma_f32_32x32x16_fp8_fp8 v[32:47], v[60:61], v[90:91], v[32:47]
	ds_read2_b32 v[90:91], v88 offset0:128 offset1:160
	s_waitcnt lgkmcnt(0)
	v_mfma_f32_32x32x16_fp8_fp8 v[32:47], v[58:59], v[90:91], v[32:47]
	ds_read2_b32 v[90:91], v89 offset1:32
	s_waitcnt lgkmcnt(0)
	v_mfma_f32_32x32x16_fp8_fp8 v[32:47], v[56:57], v[90:91], v[32:47]
	ds_read2_b32 v[90:91], v89 offset0:128 offset1:160
	ds_read_b32 v89, v86 offset:24588
	s_waitcnt lgkmcnt(0)
	v_cmp_ne_u32_e32 vcc, v89, v63
	v_mfma_f32_32x32x16_fp8_fp8 v[32:47], v[54:55], v[90:91], v[32:47]
	s_and_saveexec_b64 s[10:11], vcc
	s_cbranch_execz .LBB278_22
; %bb.20:                               ;   in Loop: Header=BB278_13 Depth=2
	s_mov_b64 s[12:13], 0
.LBB278_21:                             ;   Parent Loop BB278_7 Depth=1
                                        ;     Parent Loop BB278_13 Depth=2
                                        ; =>    This Inner Loop Header: Depth=3
	;;#ASMSTART
	s_sleep 0
	;;#ASMEND
	ds_read_b32 v89, v86 offset:24588
	s_waitcnt lgkmcnt(0)
	v_cmp_eq_u32_e32 vcc, v89, v63
	s_or_b64 s[12:13], vcc, s[12:13]
	s_andn2_b64 exec, exec, s[12:13]
	s_cbranch_execnz .LBB278_21
.LBB278_22:                             ;   in Loop: Header=BB278_13 Depth=2
	s_or_b64 exec, exec, s[10:11]
	v_add_u32_e32 v89, 0x800, v88
	ds_read2_b32 v[90:91], v89 offset1:32
	s_waitcnt lgkmcnt(0)
	v_mfma_f32_32x32x16_fp8_fp8 v[16:31], v[60:61], v[90:91], v[16:31]
	ds_read2_b32 v[90:91], v89 offset0:128 offset1:160
	v_add_u32_e32 v89, 0xc00, v88
	s_waitcnt lgkmcnt(0)
	v_mfma_f32_32x32x16_fp8_fp8 v[16:31], v[58:59], v[90:91], v[16:31]
	ds_read2_b32 v[90:91], v89 offset1:32
	s_waitcnt lgkmcnt(0)
	v_mfma_f32_32x32x16_fp8_fp8 v[16:31], v[56:57], v[90:91], v[16:31]
	ds_read_b32 v92, v86 offset:24596
	ds_read2_b32 v[90:91], v89 offset0:128 offset1:160
	ds_write_b32 v86, v87 offset:24588
	s_waitcnt lgkmcnt(2)
	v_cmp_ne_u32_e32 vcc, v92, v63
	s_waitcnt lgkmcnt(1)
	v_mfma_f32_32x32x16_fp8_fp8 v[16:31], v[54:55], v[90:91], v[16:31]
	s_and_saveexec_b64 s[10:11], vcc
	s_cbranch_execz .LBB278_12
; %bb.23:                               ;   in Loop: Header=BB278_13 Depth=2
	s_mov_b64 s[12:13], 0
.LBB278_24:                             ;   Parent Loop BB278_7 Depth=1
                                        ;     Parent Loop BB278_13 Depth=2
                                        ; =>    This Inner Loop Header: Depth=3
	;;#ASMSTART
	s_sleep 0
	;;#ASMEND
	ds_read_b32 v89, v86 offset:24596
	s_waitcnt lgkmcnt(0)
	v_cmp_eq_u32_e32 vcc, v89, v63
	s_or_b64 s[12:13], vcc, s[12:13]
	s_andn2_b64 exec, exec, s[12:13]
	s_cbranch_execnz .LBB278_24
	s_branch .LBB278_12
.LBB278_25:                             ;   in Loop: Header=BB278_7 Depth=1
	s_or_b64 exec, exec, s[8:9]
.LBB278_26:                             ;   in Loop: Header=BB278_7 Depth=1
	s_or_b64 exec, exec, s[6:7]
	v_cmp_le_i32_e32 vcc, s70, v64
	v_cmp_eq_u32_e64 s[60:61], 1, v67
	v_cmp_eq_u32_e64 s[26:27], 2, v67
	s_waitcnt vmcnt(0)
	v_cndmask_b32_e32 v54, 0, v84, vcc
	v_pk_mul_f32 v[32:33], v[54:55], v[32:33] op_sel_hi:[0,1]
	v_pk_mul_f32 v[46:47], v[54:55], v[46:47] op_sel_hi:[0,1]
	;; [unrolled: 1-line block ×8, first 2 shown]
	v_cndmask_b32_e64 v54, v32, v33, s[60:61]
	v_writelane_b32 v93, s40, 29
	s_mul_i32 s6, s40, s93
	v_cndmask_b32_e64 v54, v54, v34, s[26:27]
	v_cmp_eq_u32_e64 s[40:41], 3, v67
	v_cmp_eq_u32_e64 s[42:43], 4, v67
	v_cmp_eq_u32_e64 s[44:45], 5, v67
	v_cndmask_b32_e64 v54, v54, v35, s[40:41]
	v_cndmask_b32_e64 v54, v54, v36, s[42:43]
	v_cndmask_b32_e64 v54, v54, v37, s[44:45]
	v_cmp_eq_u32_e64 s[46:47], 6, v67
	v_cmp_eq_u32_e64 s[48:49], 7, v67
	v_cmp_eq_u32_e64 s[50:51], 8, v67
	v_cndmask_b32_e64 v54, v54, v38, s[46:47]
	v_cndmask_b32_e64 v54, v54, v39, s[48:49]
	;; [unrolled: 6-line block ×4, first 2 shown]
	v_cndmask_b32_e64 v54, v54, v46, s[64:65]
	v_cmp_eq_u32_e64 s[66:67], 15, v67
	s_ashr_i32 s7, s6, 31
	s_lshl_b64 s[6:7], s[6:7], 1
	v_cndmask_b32_e64 v54, v54, v47, s[66:67]
	ds_bpermute_b32 v54, v82, v54
	v_cmp_eq_u32_e64 s[36:37], 0, v67
	s_add_u32 s71, s20, s6
	v_cmp_eq_u32_e32 vcc, 1, v68
	s_addc_u32 s72, s21, s7
	s_waitcnt lgkmcnt(0)
	v_cndmask_b32_e64 v47, v47, v54, s[66:67]
	v_cndmask_b32_e64 v46, v46, v54, s[64:65]
	;; [unrolled: 1-line block ×16, first 2 shown]
	v_cndmask_b32_e32 v32, v54, v86, vcc
	v_cmp_eq_u32_e64 s[6:7], 2, v68
	v_cmp_eq_u32_e64 s[8:9], 3, v68
	v_cmp_eq_u32_e64 s[10:11], 4, v68
	v_cndmask_b32_e64 v32, v32, v85, s[6:7]
	v_cndmask_b32_e64 v32, v32, v61, s[8:9]
	v_cndmask_b32_e64 v32, v32, v60, s[10:11]
	v_cmp_eq_u32_e64 s[12:13], 5, v68
	v_cmp_eq_u32_e64 s[14:15], 6, v68
	v_cmp_eq_u32_e64 s[16:17], 7, v68
	v_cndmask_b32_e64 v32, v32, v59, s[12:13]
	v_cndmask_b32_e64 v32, v32, v58, s[14:15]
	v_cndmask_b32_e64 v32, v32, v57, s[16:17]
	v_cmp_eq_u32_e64 s[18:19], 8, v68
	v_cmp_eq_u32_e64 s[20:21], 9, v68
	v_cmp_eq_u32_e64 s[22:23], 10, v68
	v_cndmask_b32_e64 v32, v32, v40, s[18:19]
	v_cndmask_b32_e64 v32, v32, v41, s[20:21]
	v_cndmask_b32_e64 v32, v32, v42, s[22:23]
	v_cmp_eq_u32_e64 s[24:25], 11, v68
	v_cmp_eq_u32_e64 s[28:29], 12, v68
	v_cmp_eq_u32_e64 s[30:31], 13, v68
	v_cndmask_b32_e64 v32, v32, v43, s[24:25]
	v_cndmask_b32_e64 v32, v32, v44, s[28:29]
	v_cndmask_b32_e64 v32, v32, v45, s[30:31]
	v_cmp_eq_u32_e64 s[34:35], 14, v68
	v_cmp_eq_u32_e64 s[38:39], 15, v68
	s_ashr_i32 s1, s0, 31
	v_cndmask_b32_e64 v32, v32, v46, s[34:35]
	v_cndmask_b32_e64 v32, v32, v47, s[38:39]
	ds_bpermute_b32 v55, v82, v32
	s_lshl_b64 s[68:69], s[0:1], 1
	s_add_u32 s68, s71, s68
	s_addc_u32 s69, s72, s69
	v_writelane_b32 v93, s68, 30
	s_waitcnt lgkmcnt(0)
	v_cndmask_b32_e64 v33, v47, v55, s[38:39]
	v_cndmask_b32_e64 v38, v42, v55, s[22:23]
	v_writelane_b32 v93, s69, 31
	v_cmp_le_i32_e64 s[68:69], s70, v75
	v_cmp_le_i32_e64 s[70:71], s70, v76
	v_cndmask_b32_e64 v42, v58, v55, s[14:15]
	v_cndmask_b32_e64 v32, 0, v84, s[68:69]
	;; [unrolled: 1-line block ×3, first 2 shown]
	v_pk_mul_f32 v[16:17], v[32:33], v[16:17] op_sel_hi:[0,1]
	v_pk_mul_f32 v[0:1], v[58:59], v[0:1] op_sel_hi:[0,1]
	v_cndmask_b32_e64 v35, v45, v55, s[30:31]
	v_cndmask_b32_e64 v36, v44, v55, s[28:29]
	;; [unrolled: 1-line block ×4, first 2 shown]
	v_pk_mul_f32 v[30:31], v[32:33], v[30:31] op_sel_hi:[0,1]
	v_pk_mul_f32 v[28:29], v[32:33], v[28:29] op_sel_hi:[0,1]
	;; [unrolled: 1-line block ×7, first 2 shown]
	v_cndmask_b32_e64 v32, v16, v17, s[60:61]
	v_pk_mul_f32 v[60:61], v[58:59], v[4:5] op_sel_hi:[0,1]
	v_pk_mul_f32 v[2:3], v[58:59], v[2:3] op_sel_hi:[0,1]
	v_cndmask_b32_e64 v4, v0, v1, s[60:61]
	v_cndmask_b32_e64 v32, v32, v18, s[26:27]
	;; [unrolled: 1-line block ×8, first 2 shown]
	v_pk_mul_f32 v[6:7], v[58:59], v[6:7] op_sel_hi:[0,1]
	v_cndmask_b32_e64 v4, v4, v61, s[44:45]
	v_cndmask_b32_e64 v32, v32, v22, s[46:47]
	v_cndmask_b32_e64 v4, v4, v6, s[46:47]
	v_cndmask_b32_e64 v32, v32, v23, s[48:49]
	v_pk_mul_f32 v[8:9], v[58:59], v[8:9] op_sel_hi:[0,1]
	v_cndmask_b32_e64 v4, v4, v7, s[48:49]
	v_cndmask_b32_e64 v32, v32, v24, s[50:51]
	v_cndmask_b32_e64 v4, v4, v8, s[50:51]
	v_cndmask_b32_e64 v32, v32, v25, s[52:53]
	;; [unrolled: 5-line block ×5, first 2 shown]
	v_cndmask_b32_e64 v4, v4, v15, s[66:67]
	ds_bpermute_b32 v32, v82, v32
	ds_bpermute_b32 v5, v82, v4
	v_cmp_eq_u32_e64 s[68:69], 0, v68
	v_cndmask_b32_e32 v47, v86, v55, vcc
	v_cmp_eq_u32_e64 s[70:71], 1, v69
	v_cndmask_b32_e64 v54, v54, v55, s[68:69]
	v_cndmask_b32_e64 v34, v46, v55, s[34:35]
	;; [unrolled: 1-line block ×9, first 2 shown]
	s_waitcnt lgkmcnt(1)
	v_cndmask_b32_e64 v4, v17, v32, s[60:61]
	v_cmp_eq_u32_e64 s[60:61], 2, v69
	v_cndmask_b32_e64 v18, v18, v32, s[26:27]
	s_waitcnt lgkmcnt(0)
	v_cndmask_b32_e64 v2, v2, v5, s[26:27]
	v_cmp_ne_u32_e64 s[26:27], 0, v67
	v_cndmask_b32_e64 v17, v55, v46, s[60:61]
	v_cndmask_b32_e64 v31, v31, v32, s[66:67]
	;; [unrolled: 1-line block ×3, first 2 shown]
	v_cmp_eq_u32_e64 s[66:67], 3, v69
	v_cndmask_b32_e64 v1, v1, v5, s[26:27]
	v_cndmask_b32_e64 v16, v16, v32, s[36:37]
	;; [unrolled: 1-line block ×6, first 2 shown]
	v_cmp_eq_u32_e64 s[64:65], 4, v69
	v_cndmask_b32_e64 v29, v29, v32, s[62:63]
	v_cndmask_b32_e64 v13, v13, v5, s[62:63]
	;; [unrolled: 1-line block ×22, first 2 shown]
	v_cndmask_b32_e32 v32, v16, v4, vcc
	v_cndmask_b32_e32 v5, v0, v1, vcc
	v_cndmask_b32_e64 v17, v17, v44, s[64:65]
	v_cmp_eq_u32_e64 s[62:63], 5, v69
	v_cndmask_b32_e64 v32, v32, v18, s[6:7]
	v_cndmask_b32_e64 v5, v5, v2, s[6:7]
	v_cndmask_b32_e64 v17, v17, v43, s[62:63]
	v_cmp_eq_u32_e64 s[58:59], 6, v69
	v_cndmask_b32_e64 v32, v32, v19, s[8:9]
	v_cndmask_b32_e64 v5, v5, v3, s[8:9]
	;; [unrolled: 4-line block ×11, first 2 shown]
	v_cndmask_b32_e64 v17, v17, v33, s[82:83]
	v_cndmask_b32_e64 v32, v32, v29, s[30:31]
	;; [unrolled: 1-line block ×3, first 2 shown]
	ds_bpermute_b32 v17, v82, v17
	v_cndmask_b32_e64 v32, v32, v30, s[34:35]
	v_cndmask_b32_e64 v5, v5, v14, s[34:35]
	;; [unrolled: 1-line block ×4, first 2 shown]
	ds_bpermute_b32 v32, v82, v32
	ds_bpermute_b32 v5, v82, v5
	v_cmp_eq_u32_e64 s[42:43], 0, v69
	s_waitcnt lgkmcnt(2)
	v_cndmask_b32_e64 v33, v33, v17, s[82:83]
	v_cndmask_b32_e64 v34, v34, v17, s[76:77]
	;; [unrolled: 1-line block ×16, first 2 shown]
	v_cmp_eq_u32_e64 s[26:27], 1, v70
	v_cmp_eq_u32_e64 s[36:37], 2, v70
	s_waitcnt lgkmcnt(1)
	v_cndmask_b32_e64 v30, v30, v32, s[34:35]
	v_cndmask_b32_e64 v54, v17, v47, s[26:27]
	;; [unrolled: 1-line block ×3, first 2 shown]
	s_waitcnt lgkmcnt(0)
	v_cndmask_b32_e64 v14, v14, v5, s[34:35]
	v_cmp_eq_u32_e64 s[34:35], 3, v70
	v_cndmask_b32_e32 v4, v4, v32, vcc
	v_cndmask_b32_e32 v1, v1, v5, vcc
	v_cndmask_b32_e64 v16, v16, v32, s[68:69]
	v_cndmask_b32_e64 v0, v0, v5, s[68:69]
	;; [unrolled: 1-line block ×7, first 2 shown]
	v_cmp_eq_u32_e64 s[30:31], 4, v70
	v_cndmask_b32_e64 v28, v28, v32, s[28:29]
	v_cndmask_b32_e64 v12, v12, v5, s[28:29]
	;; [unrolled: 1-line block ×25, first 2 shown]
	v_cmp_eq_u32_e64 s[38:39], 5, v70
	v_cndmask_b32_e64 v32, v32, v18, s[60:61]
	v_cndmask_b32_e64 v5, v5, v2, s[60:61]
	v_cndmask_b32_e64 v54, v54, v43, s[38:39]
	v_cmp_eq_u32_e64 s[24:25], 6, v70
	v_cndmask_b32_e64 v32, v32, v19, s[66:67]
	v_cndmask_b32_e64 v5, v5, v3, s[66:67]
	v_cndmask_b32_e64 v54, v54, v42, s[24:25]
	;; [unrolled: 4-line block ×11, first 2 shown]
	v_cndmask_b32_e64 v32, v32, v29, s[44:45]
	v_cndmask_b32_e64 v5, v5, v13, s[44:45]
	ds_bpermute_b32 v54, v82, v54
	v_cndmask_b32_e64 v32, v32, v30, s[76:77]
	v_cndmask_b32_e64 v5, v5, v14, s[76:77]
	;; [unrolled: 1-line block ×4, first 2 shown]
	ds_bpermute_b32 v32, v82, v32
	ds_bpermute_b32 v5, v82, v5
	v_cmp_eq_u32_e64 s[16:17], 0, v70
	s_waitcnt lgkmcnt(2)
	v_cndmask_b32_e64 v47, v47, v54, s[26:27]
	v_cmp_eq_u32_e64 s[8:9], 1, v71
	v_cndmask_b32_e64 v17, v17, v54, s[16:17]
	v_cndmask_b32_e64 v33, v33, v54, s[86:87]
	;; [unrolled: 1-line block ×16, first 2 shown]
	v_cmp_eq_u32_e64 s[14:15], 2, v71
	v_cmp_eq_u32_e64 s[18:19], 3, v71
	s_waitcnt lgkmcnt(1)
	v_cndmask_b32_e64 v4, v4, v32, s[70:71]
	v_cndmask_b32_e64 v54, v54, v46, s[14:15]
	s_waitcnt lgkmcnt(0)
	v_cndmask_b32_e64 v1, v1, v5, s[70:71]
	v_cndmask_b32_e64 v16, v16, v32, s[42:43]
	;; [unrolled: 1-line block ×10, first 2 shown]
	v_cmp_eq_u32_e64 s[28:29], 4, v71
	v_cndmask_b32_e64 v28, v28, v32, s[46:47]
	v_cndmask_b32_e64 v12, v12, v5, s[46:47]
	;; [unrolled: 1-line block ×25, first 2 shown]
	v_cmp_eq_u32_e64 s[40:41], 5, v71
	v_cndmask_b32_e64 v32, v32, v18, s[36:37]
	v_cndmask_b32_e64 v5, v5, v2, s[36:37]
	v_cndmask_b32_e64 v54, v54, v43, s[40:41]
	v_cmp_eq_u32_e64 s[48:49], 6, v71
	v_cndmask_b32_e64 v32, v32, v19, s[34:35]
	v_cndmask_b32_e64 v5, v5, v3, s[34:35]
	v_cndmask_b32_e64 v54, v54, v42, s[48:49]
	;; [unrolled: 4-line block ×11, first 2 shown]
	v_cndmask_b32_e64 v32, v32, v29, s[12:13]
	v_cndmask_b32_e64 v5, v5, v13, s[12:13]
	ds_bpermute_b32 v54, v82, v54
	v_cndmask_b32_e64 v32, v32, v30, s[10:11]
	v_cndmask_b32_e64 v5, v5, v14, s[10:11]
	;; [unrolled: 1-line block ×4, first 2 shown]
	ds_bpermute_b32 v32, v82, v32
	ds_bpermute_b32 v5, v82, v5
	v_cmp_eq_u32_e64 s[60:61], 0, v71
	s_waitcnt lgkmcnt(2)
	v_cndmask_b32_e64 v47, v47, v54, s[8:9]
	v_cmp_eq_u32_e32 vcc, 1, v72
	v_cndmask_b32_e64 v17, v17, v54, s[60:61]
	v_cndmask_b32_e64 v33, v33, v54, s[88:89]
	;; [unrolled: 1-line block ×15, first 2 shown]
	v_cndmask_b32_e32 v54, v17, v47, vcc
	v_cmp_eq_u32_e64 s[6:7], 2, v72
	s_waitcnt lgkmcnt(1)
	v_cndmask_b32_e64 v30, v30, v32, s[10:11]
	s_waitcnt lgkmcnt(0)
	v_cndmask_b32_e64 v14, v14, v5, s[10:11]
	v_cndmask_b32_e64 v54, v54, v46, s[6:7]
	v_cmp_eq_u32_e64 s[10:11], 3, v72
	v_cndmask_b32_e64 v29, v29, v32, s[12:13]
	v_cndmask_b32_e64 v13, v13, v5, s[12:13]
	;; [unrolled: 1-line block ×3, first 2 shown]
	v_cmp_eq_u32_e64 s[12:13], 4, v72
	v_cmp_eq_u32_e64 s[42:43], 5, v72
	;; [unrolled: 1-line block ×3, first 2 shown]
	v_cndmask_b32_e64 v54, v54, v44, s[12:13]
	v_cndmask_b32_e64 v54, v54, v43, s[42:43]
	;; [unrolled: 1-line block ×7, first 2 shown]
	v_cmp_eq_u32_e64 s[52:53], 7, v72
	v_cndmask_b32_e64 v9, v9, v5, s[72:73]
	v_cndmask_b32_e64 v8, v8, v5, s[20:21]
	;; [unrolled: 1-line block ×11, first 2 shown]
	v_cmp_eq_u32_e64 s[54:55], 8, v72
	v_cndmask_b32_e64 v0, v5, v58, s[8:9]
	v_cndmask_b32_e64 v31, v31, v32, s[86:87]
	;; [unrolled: 1-line block ×8, first 2 shown]
	v_cmp_eq_u32_e64 s[56:57], 9, v72
	v_cndmask_b32_e64 v23, v23, v32, s[22:23]
	v_cndmask_b32_e64 v22, v22, v32, s[24:25]
	;; [unrolled: 1-line block ×10, first 2 shown]
	v_cmp_eq_u32_e64 s[62:63], 10, v72
	v_cndmask_b32_e64 v1, v32, v4, s[8:9]
	v_cndmask_b32_e64 v0, v0, v3, s[18:19]
	v_cndmask_b32_e64 v54, v54, v38, s[62:63]
	v_cmp_eq_u32_e64 s[66:67], 11, v72
	v_cndmask_b32_e64 v1, v1, v18, s[14:15]
	v_cndmask_b32_e64 v0, v0, v57, s[28:29]
	v_cndmask_b32_e64 v54, v54, v37, s[66:67]
	v_cmp_eq_u32_e64 s[70:71], 12, v72
	v_cndmask_b32_e64 v1, v1, v19, s[18:19]
	v_cndmask_b32_e64 v0, v0, v55, s[40:41]
	v_cndmask_b32_e64 v54, v54, v36, s[70:71]
	v_cmp_eq_u32_e64 s[72:73], 13, v72
	v_cndmask_b32_e64 v1, v1, v20, s[28:29]
	v_cndmask_b32_e64 v0, v0, v6, s[48:49]
	v_cndmask_b32_e64 v54, v54, v35, s[72:73]
	v_cmp_eq_u32_e64 s[74:75], 14, v72
	v_cndmask_b32_e64 v1, v1, v21, s[40:41]
	v_cndmask_b32_e64 v0, v0, v7, s[46:47]
	v_cndmask_b32_e64 v54, v54, v34, s[74:75]
	v_cmp_eq_u32_e64 s[78:79], 15, v72
	v_cndmask_b32_e64 v1, v1, v22, s[48:49]
	v_cndmask_b32_e64 v0, v0, v8, s[44:45]
	v_cndmask_b32_e64 v54, v54, v33, s[78:79]
	v_cndmask_b32_e64 v1, v1, v23, s[46:47]
	v_cndmask_b32_e64 v0, v0, v9, s[68:69]
	ds_bpermute_b32 v54, v82, v54
	v_cndmask_b32_e64 v1, v1, v24, s[44:45]
	v_cndmask_b32_e64 v0, v0, v10, s[76:77]
	;; [unrolled: 1-line block ×10, first 2 shown]
	v_cmp_eq_u32_e64 s[34:35], 0, v72
	s_waitcnt lgkmcnt(0)
	v_cndmask_b32_e32 v47, v47, v54, vcc
	v_cndmask_b32_e64 v1, v1, v29, s[64:65]
	v_cndmask_b32_e64 v0, v0, v15, s[88:89]
	;; [unrolled: 1-line block ×3, first 2 shown]
	v_cmp_eq_u32_e64 s[16:17], 1, v73
	v_cndmask_b32_e64 v46, v46, v54, s[6:7]
	v_cndmask_b32_e64 v1, v1, v30, s[84:85]
	ds_bpermute_b32 v60, v82, v0
	v_cndmask_b32_e64 v0, v17, v47, s[16:17]
	v_cmp_eq_u32_e64 s[20:21], 2, v73
	v_cndmask_b32_e64 v45, v45, v54, s[10:11]
	v_cndmask_b32_e64 v1, v1, v31, s[88:89]
	;; [unrolled: 1-line block ×3, first 2 shown]
	v_cmp_eq_u32_e64 s[22:23], 3, v73
	v_cndmask_b32_e64 v44, v44, v54, s[12:13]
	ds_bpermute_b32 v59, v82, v1
	v_cndmask_b32_e64 v0, v0, v45, s[22:23]
	v_cmp_eq_u32_e64 s[24:25], 4, v73
	v_cndmask_b32_e64 v43, v43, v54, s[42:43]
	v_cmp_eq_u32_e64 s[26:27], 5, v73
	v_cndmask_b32_e64 v0, v0, v44, s[24:25]
	v_cndmask_b32_e64 v42, v42, v54, s[50:51]
	;; [unrolled: 1-line block ×3, first 2 shown]
	v_cmp_eq_u32_e64 s[30:31], 6, v73
	v_cndmask_b32_e64 v41, v41, v54, s[52:53]
	v_cmp_eq_u32_e64 s[36:37], 7, v73
	v_cndmask_b32_e64 v0, v0, v42, s[30:31]
	v_cndmask_b32_e64 v40, v40, v54, s[54:55]
	;; [unrolled: 1-line block ×3, first 2 shown]
	v_cmp_eq_u32_e64 s[38:39], 8, v73
	v_cndmask_b32_e64 v39, v39, v54, s[56:57]
	s_waitcnt lgkmcnt(0)
	v_cndmask_b32_e64 v24, v24, v59, s[44:45]
	v_cndmask_b32_e64 v0, v0, v40, s[38:39]
	v_cndmask_b32_e64 v8, v8, v60, s[44:45]
	v_cmp_eq_u32_e64 s[44:45], 9, v73
	v_cndmask_b32_e64 v38, v38, v54, s[62:63]
	v_cndmask_b32_e64 v23, v23, v59, s[46:47]
	v_cndmask_b32_e64 v0, v0, v39, s[44:45]
	v_cndmask_b32_e64 v7, v7, v60, s[46:47]
	v_cmp_eq_u32_e64 s[46:47], 10, v73
	v_cndmask_b32_e64 v37, v37, v54, s[66:67]
	;; [unrolled: 5-line block ×3, first 2 shown]
	v_cndmask_b32_e64 v34, v34, v54, s[74:75]
	v_cndmask_b32_e64 v35, v35, v54, s[72:73]
	;; [unrolled: 1-line block ×6, first 2 shown]
	v_cmp_eq_u32_e64 s[40:41], 12, v73
	v_cndmask_b32_e64 v20, v20, v59, s[28:29]
	v_cndmask_b32_e64 v55, v57, v60, s[28:29]
	v_cndmask_b32_e64 v0, v0, v36, s[40:41]
	v_cmp_eq_u32_e64 s[28:29], 13, v73
	v_cndmask_b32_e64 v27, v27, v59, s[58:59]
	v_cndmask_b32_e64 v11, v11, v60, s[58:59]
	v_cndmask_b32_e64 v0, v0, v35, s[28:29]
	;; [unrolled: 4-line block ×4, first 2 shown]
	ds_bpermute_b32 v57, v82, v0
	v_cndmask_b32_e64 v32, v32, v59, s[60:61]
	v_cndmask_b32_e64 v18, v18, v59, s[14:15]
	;; [unrolled: 1-line block ×4, first 2 shown]
	s_waitcnt lgkmcnt(0)
	v_cndmask_b32_e64 v1, v43, v57, s[26:27]
	v_cndmask_b32_e64 v3, v45, v57, s[22:23]
	;; [unrolled: 1-line block ×5, first 2 shown]
	v_cndmask_b32_e32 v44, v32, v4, vcc
	v_cndmask_b32_e32 v5, v45, v43, vcc
	v_cndmask_b32_e64 v44, v44, v18, s[6:7]
	v_cndmask_b32_e64 v5, v5, v84, s[6:7]
	v_cndmask_b32_e64 v44, v44, v19, s[10:11]
	v_cndmask_b32_e64 v5, v5, v61, s[10:11]
	v_cndmask_b32_e64 v44, v44, v20, s[12:13]
	v_cndmask_b32_e64 v5, v5, v55, s[12:13]
	v_cndmask_b32_e64 v44, v44, v21, s[42:43]
	v_cndmask_b32_e64 v5, v5, v54, s[42:43]
	v_cndmask_b32_e64 v44, v44, v22, s[50:51]
	v_cndmask_b32_e64 v5, v5, v6, s[50:51]
	v_cndmask_b32_e64 v44, v44, v23, s[52:53]
	v_cndmask_b32_e64 v5, v5, v7, s[52:53]
	v_cndmask_b32_e64 v25, v25, v59, s[68:69]
	v_cndmask_b32_e64 v9, v9, v60, s[68:69]
	v_cndmask_b32_e64 v44, v44, v24, s[54:55]
	v_cndmask_b32_e64 v5, v5, v8, s[54:55]
	v_cndmask_b32_e64 v26, v26, v59, s[76:77]
	v_cndmask_b32_e64 v10, v10, v60, s[76:77]
	v_cndmask_b32_e64 v44, v44, v25, s[56:57]
	v_cndmask_b32_e64 v5, v5, v9, s[56:57]
	v_cndmask_b32_e64 v44, v44, v26, s[62:63]
	v_cndmask_b32_e64 v5, v5, v10, s[62:63]
	v_cndmask_b32_e64 v28, v28, v59, s[82:83]
	v_cndmask_b32_e64 v12, v12, v60, s[82:83]
	v_cndmask_b32_e64 v44, v44, v27, s[66:67]
	v_cndmask_b32_e64 v5, v5, v11, s[66:67]
	v_cndmask_b32_e64 v44, v44, v28, s[70:71]
	v_cndmask_b32_e64 v5, v5, v12, s[70:71]
	v_cndmask_b32_e64 v30, v30, v59, s[84:85]
	v_cndmask_b32_e64 v14, v14, v60, s[84:85]
	v_cndmask_b32_e64 v44, v44, v29, s[72:73]
	v_cndmask_b32_e64 v5, v5, v13, s[72:73]
	v_cndmask_b32_e64 v31, v31, v59, s[88:89]
	v_cndmask_b32_e64 v15, v15, v60, s[88:89]
	v_cndmask_b32_e64 v44, v44, v30, s[74:75]
	v_cndmask_b32_e64 v5, v5, v14, s[74:75]
	v_cndmask_b32_e64 v44, v44, v31, s[78:79]
	v_cndmask_b32_e64 v5, v5, v15, s[78:79]
	v_cmp_eq_u32_e64 s[76:77], 0, v73
	v_cndmask_b32_e64 v16, v46, v57, s[20:21]
	v_cndmask_b32_e64 v0, v47, v57, s[16:17]
	ds_bpermute_b32 v44, v82, v44
	ds_bpermute_b32 v46, v82, v5
	v_cndmask_b32_e64 v47, v17, v57, s[76:77]
	v_cmp_eq_u32_e64 s[8:9], 1, v74
	v_cmp_eq_u32_e64 s[14:15], 2, v74
	;; [unrolled: 1-line block ×3, first 2 shown]
	v_cndmask_b32_e64 v5, v47, v0, s[8:9]
	v_cndmask_b32_e64 v5, v5, v16, s[14:15]
	;; [unrolled: 1-line block ×3, first 2 shown]
	v_cmp_eq_u32_e64 s[60:61], 4, v74
	v_cmp_eq_u32_e64 s[68:69], 5, v74
	v_cndmask_b32_e64 v42, v42, v57, s[30:31]
	v_cndmask_b32_e64 v5, v5, v2, s[60:61]
	;; [unrolled: 1-line block ×3, first 2 shown]
	s_waitcnt lgkmcnt(1)
	v_cndmask_b32_e64 v27, v27, v44, s[66:67]
	s_waitcnt lgkmcnt(0)
	v_cndmask_b32_e64 v60, v11, v46, s[66:67]
	v_cmp_eq_u32_e64 s[66:67], 6, v74
	v_cndmask_b32_e32 v91, v4, v44, vcc
	v_cndmask_b32_e64 v32, v32, v44, s[34:35]
	v_cndmask_b32_e64 v41, v41, v57, s[36:37]
	v_cndmask_b32_e64 v5, v5, v42, s[66:67]
	v_cndmask_b32_e64 v26, v26, v44, s[62:63]
	v_cndmask_b32_e64 v85, v10, v46, s[62:63]
	v_cmp_eq_u32_e64 s[62:63], 7, v74
	v_cndmask_b32_e64 v18, v18, v44, s[6:7]
	v_cndmask_b32_e64 v4, v32, v91, s[16:17]
	v_cndmask_b32_e64 v40, v40, v57, s[38:39]
	v_cndmask_b32_e64 v5, v5, v41, s[62:63]
	v_cndmask_b32_e64 v25, v25, v44, s[56:57]
	v_cndmask_b32_e64 v86, v9, v46, s[56:57]
	v_cmp_eq_u32_e64 s[56:57], 8, v74
	v_cndmask_b32_e64 v19, v19, v44, s[10:11]
	;; [unrolled: 7-line block ×5, first 2 shown]
	v_cndmask_b32_e64 v36, v36, v57, s[40:41]
	v_cndmask_b32_e64 v5, v5, v37, s[50:51]
	v_cndmask_b32_e64 v54, v54, v46, s[42:43]
	v_cmp_eq_u32_e64 s[42:43], 12, v74
	v_cndmask_b32_e64 v4, v4, v22, s[30:31]
	v_cndmask_b32_e64 v35, v35, v57, s[28:29]
	v_cndmask_b32_e64 v5, v5, v36, s[42:43]
	v_cndmask_b32_e64 v55, v55, v46, s[12:13]
	v_cmp_eq_u32_e64 s[12:13], 13, v74
	v_cndmask_b32_e64 v4, v4, v23, s[36:37]
	;; [unrolled: 5-line block ×4, first 2 shown]
	v_cndmask_b32_e64 v4, v4, v26, s[46:47]
	v_cndmask_b32_e64 v5, v5, v33, s[6:7]
	;; [unrolled: 1-line block ×3, first 2 shown]
	ds_bpermute_b32 v90, v82, v5
	v_cndmask_b32_e64 v4, v4, v27, s[48:49]
	v_cndmask_b32_e64 v29, v29, v44, s[72:73]
	v_cndmask_b32_e64 v4, v4, v28, s[40:41]
	v_cndmask_b32_e64 v30, v30, v44, s[74:75]
	v_cndmask_b32_e64 v4, v4, v29, s[28:29]
	v_cndmask_b32_e64 v31, v31, v44, s[78:79]
	v_cndmask_b32_e64 v4, v4, v30, s[58:59]
	v_cndmask_b32_e64 v4, v4, v31, s[64:65]
	v_cndmask_b32_e64 v17, v15, v46, s[78:79]
	s_waitcnt lgkmcnt(0)
	v_cndmask_b32_e64 v15, v33, v90, s[6:7]
	ds_bpermute_b32 v33, v82, v4
	v_cndmask_b32_e64 v57, v14, v46, s[74:75]
	v_cndmask_b32_e64 v14, v34, v90, s[10:11]
	;; [unrolled: 1-line block ×4, first 2 shown]
	s_waitcnt lgkmcnt(0)
	v_cndmask_b32_e64 v34, v91, v33, s[16:17]
	v_cndmask_b32_e64 v32, v32, v33, s[76:77]
	;; [unrolled: 1-line block ×32, first 2 shown]
	ds_bpermute_b32 v33, v82, v1
	v_cndmask_b32_e64 v58, v13, v46, s[72:73]
	v_cndmask_b32_e32 v43, v43, v46, vcc
	v_cndmask_b32_e64 v13, v35, v90, s[12:13]
	v_cndmask_b32_e64 v35, v45, v46, s[34:35]
	s_waitcnt lgkmcnt(0)
	v_cndmask_b32_e64 v31, v16, v33, s[6:7]
	v_cndmask_b32_e64 v16, v35, v43, s[16:17]
	;; [unrolled: 1-line block ×17, first 2 shown]
	ds_bpermute_b32 v16, v82, v16
	v_cndmask_b32_e64 v11, v37, v90, s[50:51]
	v_cndmask_b32_e64 v7, v41, v90, s[62:63]
	;; [unrolled: 1-line block ×4, first 2 shown]
	s_waitcnt lgkmcnt(0)
	v_cndmask_b32_e64 v37, v57, v16, s[58:59]
	v_cndmask_b32_e64 v41, v85, v16, s[46:47]
	;; [unrolled: 1-line block ×33, first 2 shown]
	ds_bpermute_b32 v87, v82, v16
	v_cmp_eq_u32_e32 vcc, 0, v74
	v_cndmask_b32_e64 v1, v0, v90, s[8:9]
	v_readlane_b32 s24, v93, 10
	v_cndmask_b32_e32 v0, v47, v90, vcc
	s_waitcnt lgkmcnt(0)
	v_cndmask_b32_e64 v47, v36, v87, s[6:7]
	v_readlane_b32 s6, v93, 30
	v_readlane_b32 s7, v93, 31
	;; [unrolled: 1-line block ×4, first 2 shown]
	v_subrev_u32_e32 v83, s4, v83
	s_mov_b32 s1, 0
	v_cndmask_b32_e64 v6, v42, v90, s[66:67]
	v_cndmask_b32_e64 v3, v3, v90, s[18:19]
	;; [unrolled: 1-line block ×16, first 2 shown]
	v_cndmask_b32_e32 v16, v32, v33, vcc
	v_cndmask_b32_e64 v46, v37, v87, s[10:11]
	v_cndmask_b32_e64 v45, v38, v87, s[12:13]
	;; [unrolled: 1-line block ×14, first 2 shown]
	v_cndmask_b32_e32 v32, v86, v87, vcc
	v_lshl_add_u64 v[54:55], s[6:7], 0, v[48:49]
	s_mov_b64 s[6:7], 0
	s_mov_b32 s16, 0
	v_readlane_b32 s25, v93, 11
	v_readlane_b32 s27, v93, 13
	;; [unrolled: 1-line block ×11, first 2 shown]
	s_mov_b64 s[20:21], 0x80
                                        ; implicit-def: $sgpr8_sgpr9
	s_branch .LBB278_29
.LBB278_27:                             ;   in Loop: Header=BB278_29 Depth=2
	s_or_b64 exec, exec, s[12:13]
	s_andn2_b64 s[8:9], s[8:9], exec
	s_and_b64 s[12:13], s[14:15], exec
	s_or_b64 s[8:9], s[8:9], s[12:13]
.LBB278_28:                             ;   in Loop: Header=BB278_29 Depth=2
	s_or_b64 exec, exec, s[10:11]
	s_and_b64 s[10:11], exec, s[8:9]
	s_or_b64 s[6:7], s[10:11], s[6:7]
	s_andn2_b64 exec, exec, s[6:7]
	s_cbranch_execz .LBB278_32
.LBB278_29:                             ;   Parent Loop BB278_7 Depth=1
                                        ; =>  This Inner Loop Header: Depth=2
	s_and_b32 s12, s1, 24
	v_or_b32_e32 v57, s12, v80
	v_add_u32_e32 v58, s5, v57
	v_cmp_gt_u32_e32 vcc, 32, v58
	s_or_b64 s[8:9], s[8:9], exec
	s_and_saveexec_b64 s[10:11], vcc
	s_cbranch_execz .LBB278_28
; %bb.30:                               ;   in Loop: Header=BB278_29 Depth=2
	s_add_i32 s13, s16, 1
	s_set_gpr_idx_on s16, gpr_idx(SRC0)
	v_mov_b32_e32 v58, v0
	s_set_gpr_idx_off
	v_cvt_f16_f32_e32 v60, v58
	s_set_gpr_idx_on s13, gpr_idx(SRC0)
	v_mov_b32_e32 v58, v0
	s_set_gpr_idx_off
	v_cvt_f16_f32_sdwa v61, v58 dst_sel:WORD_1 dst_unused:UNUSED_PAD src0_sel:DWORD
	v_mul_lo_u32 v58, v57, s93
	v_ashrrev_i32_e32 v59, 31, v58
	v_lshl_add_u64 v[58:59], v[58:59], 1, v[54:55]
	v_or_b32_e32 v57, v61, v60
	;;#ASMSTART
	global_atomic_pk_add_f16 v[58:59], v57, off
	
	;;#ASMEND
	s_set_gpr_idx_on s16, gpr_idx(SRC0)
	v_mov_b32_e32 v57, v16
	s_set_gpr_idx_off
	v_cvt_f16_f32_e32 v57, v57
	s_set_gpr_idx_on s13, gpr_idx(SRC0)
	v_mov_b32_e32 v60, v16
	s_set_gpr_idx_off
	v_cvt_f16_f32_sdwa v84, v60 dst_sel:WORD_1 dst_unused:UNUSED_PAD src0_sel:DWORD
	v_lshl_add_u64 v[60:61], v[58:59], 0, 64
	v_lshl_add_u64 v[58:59], v[58:59], 0, s[20:21]
	s_mov_b64 s[14:15], -1
	v_or_b32_e32 v57, v84, v57
	;;#ASMSTART
	global_atomic_pk_add_f16 v[60:61], v57, off
	
	;;#ASMEND
	s_set_gpr_idx_on s16, gpr_idx(SRC0)
	v_mov_b32_e32 v57, v32
	s_set_gpr_idx_off
	v_cvt_f16_f32_e32 v57, v57
	s_set_gpr_idx_on s13, gpr_idx(SRC0)
	v_mov_b32_e32 v60, v32
	s_set_gpr_idx_off
	v_cvt_f16_f32_sdwa v60, v60 dst_sel:WORD_1 dst_unused:UNUSED_PAD src0_sel:DWORD
	s_nop 0
	v_or_b32_e32 v57, v60, v57
	;;#ASMSTART
	global_atomic_pk_add_f16 v[58:59], v57, off
	
	;;#ASMEND
	v_or_b32_e32 v57, s12, v81
	v_add_u32_e32 v58, s5, v57
	v_cmp_gt_u32_e32 vcc, 32, v58
	s_and_saveexec_b64 s[12:13], vcc
	s_cbranch_execz .LBB278_27
; %bb.31:                               ;   in Loop: Header=BB278_29 Depth=2
	s_add_i32 s14, s16, 2
	s_add_i32 s15, s16, 3
	s_set_gpr_idx_on s14, gpr_idx(SRC0)
	v_mov_b32_e32 v58, v0
	s_set_gpr_idx_off
	v_cvt_f16_f32_e32 v60, v58
	s_set_gpr_idx_on s15, gpr_idx(SRC0)
	v_mov_b32_e32 v58, v0
	s_set_gpr_idx_off
	v_cvt_f16_f32_sdwa v61, v58 dst_sel:WORD_1 dst_unused:UNUSED_PAD src0_sel:DWORD
	v_mul_lo_u32 v58, v57, s93
	v_ashrrev_i32_e32 v59, 31, v58
	v_lshl_add_u64 v[58:59], v[58:59], 1, v[54:55]
	v_or_b32_e32 v57, v61, v60
	;;#ASMSTART
	global_atomic_pk_add_f16 v[58:59], v57, off
	
	;;#ASMEND
	s_set_gpr_idx_on s14, gpr_idx(SRC0)
	v_mov_b32_e32 v57, v16
	s_set_gpr_idx_off
	v_cvt_f16_f32_e32 v57, v57
	s_set_gpr_idx_on s15, gpr_idx(SRC0)
	v_mov_b32_e32 v60, v16
	s_set_gpr_idx_off
	v_cvt_f16_f32_sdwa v84, v60 dst_sel:WORD_1 dst_unused:UNUSED_PAD src0_sel:DWORD
	v_lshl_add_u64 v[60:61], v[58:59], 0, 64
	s_add_i32 s16, s16, 4
	s_add_i32 s1, s1, 8
	v_or_b32_e32 v57, v84, v57
	;;#ASMSTART
	global_atomic_pk_add_f16 v[60:61], v57, off
	
	;;#ASMEND
	s_set_gpr_idx_on s14, gpr_idx(SRC0)
	v_mov_b32_e32 v57, v32
	s_set_gpr_idx_off
	v_cvt_f16_f32_e32 v57, v57
	s_set_gpr_idx_on s15, gpr_idx(SRC0)
	v_mov_b32_e32 v60, v32
	s_set_gpr_idx_off
	v_cvt_f16_f32_sdwa v60, v60 dst_sel:WORD_1 dst_unused:UNUSED_PAD src0_sel:DWORD
	s_cmp_eq_u32 s16, 16
	s_cselect_b64 s[14:15], -1, 0
	s_orn2_b64 s[14:15], s[14:15], exec
	v_lshl_add_u64 v[58:59], v[58:59], 0, s[20:21]
	v_or_b32_e32 v57, v60, v57
	;;#ASMSTART
	global_atomic_pk_add_f16 v[58:59], v57, off
	
	;;#ASMEND
	s_branch .LBB278_27
.LBB278_32:                             ;   in Loop: Header=BB278_7 Depth=1
	s_or_b64 exec, exec, s[6:7]
	v_readlane_b32 s16, v93, 2
	v_readlane_b32 s14, v93, 0
	;; [unrolled: 1-line block ×11, first 2 shown]
.LBB278_33:                             ;   in Loop: Header=BB278_7 Depth=1
	v_readlane_b32 s6, v93, 27
	v_readlane_b32 s7, v93, 28
	s_or_b64 exec, exec, s[6:7]
.LBB278_34:                             ;   in Loop: Header=BB278_7 Depth=1
	s_or_saveexec_b64 s[2:3], s[2:3]
	v_readlane_b32 s13, v93, 26
	s_xor_b64 exec, exec, s[2:3]
	s_cbranch_execz .LBB278_43
; %bb.35:                               ;   in Loop: Header=BB278_7 Depth=1
	s_mul_i32 s12, s4, 3
	v_cmp_gt_i32_e32 vcc, s12, v83
	s_and_saveexec_b64 s[6:7], vcc
	s_cbranch_execz .LBB278_42
; %bb.36:                               ;   in Loop: Header=BB278_7 Depth=1
	s_mul_i32 s0, s0, s95
	s_ashr_i32 s1, s0, 31
	s_add_u32 s0, s18, s0
	s_addc_u32 s1, s19, s1
	s_ashr_i32 s8, s13, 31
	s_add_u32 s0, s0, s13
	s_addc_u32 s1, s1, s8
	v_lshl_add_u64 v[0:1], s[0:1], 0, v[52:53]
	v_lshl_add_u64 v[8:9], v[0:1], 0, v[50:51]
	s_mov_b64 s[0:1], 0
	s_branch .LBB278_38
.LBB278_37:                             ;   in Loop: Header=BB278_38 Depth=2
	s_or_b64 exec, exec, s[8:9]
	v_lshl_add_u32 v12, v10, 11, v77
	;;#ASMSTART
	s_waitcnt vmcnt(1)
	;;#ASMEND
	ds_write2_b32 v12, v4, v5 offset1:32
	ds_write2_b32 v12, v6, v7 offset0:64 offset1:96
	v_add_u32_e32 v4, 0x400, v12
	v_add_u32_e32 v83, s98, v83
	;;#ASMSTART
	s_waitcnt vmcnt(0)
	;;#ASMEND
	ds_write2_b32 v4, v0, v1 offset1:32
	ds_write2_b32 v4, v2, v3 offset0:64 offset1:96
	v_add_u32_e32 v0, 1, v63
	v_add_u32_e32 v56, s98, v10
	v_cmp_le_i32_e32 vcc, s12, v83
	ds_write_b32 v11, v0 offset:24
	v_add_u32_e32 v0, 2, v63
	s_or_b64 s[0:1], vcc, s[0:1]
	v_cmp_lt_i32_e32 vcc, 5, v56
	s_nop 1
	v_cndmask_b32_e32 v63, v63, v0, vcc
	s_andn2_b64 exec, exec, s[0:1]
	s_cbranch_execz .LBB278_41
.LBB278_38:                             ;   Parent Loop BB278_7 Depth=1
                                        ; =>  This Loop Header: Depth=2
                                        ;       Child Loop BB278_40 Depth 3
	v_cmp_gt_i32_e32 vcc, 6, v56
	s_nop 1
	v_cndmask_b32_e64 v0, -6, 0, vcc
	v_add_u32_e32 v10, v0, v56
	v_mul_hi_i32 v0, v83, s91
	v_lshrrev_b32_e32 v1, 31, v0
	v_add_u32_e32 v0, v0, v1
	v_lshl_add_u32 v1, v0, 1, v0
	v_sub_u32_e32 v2, v83, v1
	v_lshlrev_b32_e32 v0, 6, v0
	v_ashrrev_i32_e32 v1, 31, v0
	v_mul_lo_u32 v2, s31, v2
	v_lshl_add_u64 v[0:1], v[8:9], 0, v[0:1]
	v_ashrrev_i32_e32 v3, 31, v2
	v_lshl_add_u64 v[0:1], v[0:1], 0, v[2:3]
	v_lshlrev_b32_e32 v11, 2, v10
	;;#ASMSTART
	global_load_dwordx4 v[4:7], v[0:1], off offset:0   sc0 sc1 nt  
	global_load_dwordx4 v[0:3], v[0:1], off offset:32  sc0 sc1 nt  
	
	;;#ASMEND
	ds_read_b32 v12, v11 offset:24600
	v_add_u32_e32 v11, 0x6000, v11
	s_waitcnt lgkmcnt(0)
	v_cmp_ne_u32_e32 vcc, v12, v63
	s_and_saveexec_b64 s[8:9], vcc
	s_cbranch_execz .LBB278_37
; %bb.39:                               ;   in Loop: Header=BB278_38 Depth=2
	s_mov_b64 s[10:11], 0
.LBB278_40:                             ;   Parent Loop BB278_7 Depth=1
                                        ;     Parent Loop BB278_38 Depth=2
                                        ; =>    This Inner Loop Header: Depth=3
	;;#ASMSTART
	s_sleep 0
	;;#ASMEND
	ds_read_b32 v12, v11 offset:24
	s_waitcnt lgkmcnt(0)
	v_cmp_eq_u32_e32 vcc, v12, v63
	s_or_b64 s[10:11], vcc, s[10:11]
	s_andn2_b64 exec, exec, s[10:11]
	s_cbranch_execnz .LBB278_40
	s_branch .LBB278_37
.LBB278_41:                             ;   in Loop: Header=BB278_7 Depth=1
	s_or_b64 exec, exec, s[0:1]
.LBB278_42:                             ;   in Loop: Header=BB278_7 Depth=1
	s_or_b64 exec, exec, s[6:7]
	v_subrev_u32_e32 v83, s12, v83
.LBB278_43:                             ;   in Loop: Header=BB278_7 Depth=1
	s_or_b64 exec, exec, s[2:3]
.LBB278_44:                             ;   in Loop: Header=BB278_7 Depth=1
	v_readlane_b32 s0, v93, 24
	v_readlane_b32 s1, v93, 25
	s_andn2_saveexec_b64 s[0:1], s[0:1]
	s_cbranch_execz .LBB278_6
; %bb.45:                               ;   in Loop: Header=BB278_7 Depth=1
	s_mul_i32 s10, s4, 3
	v_cmp_gt_i32_e32 vcc, s10, v83
	s_and_saveexec_b64 s[2:3], vcc
	s_cbranch_execz .LBB278_5
; %bb.46:                               ;   in Loop: Header=BB278_7 Depth=1
	s_mul_i32 s4, s40, s94
	s_ashr_i32 s6, s4, 31
	s_add_u32 s4, s16, s4
	s_addc_u32 s7, s17, s6
	s_ashr_i32 s8, s13, 31
	s_add_u32 s6, s4, s13
	v_add_u32_e32 v2, s5, v64
	s_movk_i32 s4, 0x60
	v_cmp_gt_u32_e32 vcc, s4, v2
	s_addc_u32 s7, s7, s8
	v_sub_u32_e32 v10, 0x5f, v2
	v_cndmask_b32_e32 v0, 0, v78, vcc
	v_ashrrev_i32_e32 v1, 31, v0
	v_lshl_add_u64 v[0:1], s[6:7], 0, v[0:1]
	v_lshl_add_u64 v[8:9], v[0:1], 0, v[50:51]
	s_mov_b64 s[4:5], 0
	s_branch .LBB278_48
.LBB278_47:                             ;   in Loop: Header=BB278_48 Depth=2
	s_or_b64 exec, exec, s[6:7]
	v_lshl_or_b32 v13, v11, 11, v79
	;;#ASMSTART
	s_waitcnt vmcnt(1)
	;;#ASMEND
	ds_write2_b32 v13, v4, v5 offset1:32
	ds_write2_b32 v13, v6, v7 offset0:64 offset1:96
	v_add_u32_e32 v4, 0x400, v13
	v_add_u32_e32 v83, s97, v83
	;;#ASMSTART
	s_waitcnt vmcnt(0)
	;;#ASMEND
	ds_write2_b32 v4, v0, v1 offset1:32
	ds_write2_b32 v4, v2, v3 offset0:64 offset1:96
	v_add_u32_e32 v0, 1, v63
	v_add_u32_e32 v56, s97, v11
	v_cmp_le_i32_e32 vcc, s10, v83
	ds_write_b32 v12, v0
	v_add_u32_e32 v0, 2, v63
	s_or_b64 s[4:5], vcc, s[4:5]
	v_cmp_lt_i32_e32 vcc, 5, v56
	s_nop 1
	v_cndmask_b32_e32 v63, v63, v0, vcc
	s_andn2_b64 exec, exec, s[4:5]
	s_cbranch_execz .LBB278_4
.LBB278_48:                             ;   Parent Loop BB278_7 Depth=1
                                        ; =>  This Loop Header: Depth=2
                                        ;       Child Loop BB278_50 Depth 3
	v_cmp_gt_i32_e32 vcc, 6, v56
	s_nop 1
	v_cndmask_b32_e64 v0, -6, 0, vcc
	v_add_u32_e32 v11, v0, v56
	v_mul_hi_i32 v0, v83, s91
	v_lshrrev_b32_e32 v1, 31, v0
	v_add_u32_e32 v0, v0, v1
	v_lshl_add_u32 v1, v0, 1, v0
	v_sub_u32_e32 v1, v83, v1
	v_lshlrev_b32_e32 v1, 5, v1
	v_cmp_le_i32_e32 vcc, v1, v10
	v_lshlrev_b32_e32 v0, 6, v0
	v_lshlrev_b32_e32 v12, 2, v11
	v_cndmask_b32_e32 v2, 0, v1, vcc
	v_ashrrev_i32_e32 v1, 31, v0
	v_mul_lo_u32 v2, v2, s94
	v_lshl_add_u64 v[0:1], v[8:9], 0, v[0:1]
	v_ashrrev_i32_e32 v3, 31, v2
	v_lshl_add_u64 v[0:1], v[0:1], 0, v[2:3]
	;;#ASMSTART
	global_load_dwordx4 v[4:7], v[0:1], off offset:0   
	global_load_dwordx4 v[0:3], v[0:1], off offset:32  
	
	;;#ASMEND
	ds_read_b32 v13, v12 offset:24576
	v_add_u32_e32 v12, 0x6000, v12
	s_waitcnt lgkmcnt(0)
	v_cmp_ne_u32_e32 vcc, v13, v63
	s_and_saveexec_b64 s[6:7], vcc
	s_cbranch_execz .LBB278_47
; %bb.49:                               ;   in Loop: Header=BB278_48 Depth=2
	s_mov_b64 s[8:9], 0
.LBB278_50:                             ;   Parent Loop BB278_7 Depth=1
                                        ;     Parent Loop BB278_48 Depth=2
                                        ; =>    This Inner Loop Header: Depth=3
	;;#ASMSTART
	s_sleep 0
	;;#ASMEND
	ds_read_b32 v13, v12
	s_waitcnt lgkmcnt(0)
	v_cmp_eq_u32_e32 vcc, v13, v63
	s_or_b64 s[8:9], vcc, s[8:9]
	s_andn2_b64 exec, exec, s[8:9]
	s_cbranch_execnz .LBB278_50
	s_branch .LBB278_47
.LBB278_51:
	s_endpgm
	.section	.rodata,"a",@progbits
	.p2align	6, 0x0
	.amdhsa_kernel _Z19_skinny_gemm_kernelILi3ELi3ELi2ELi32ELi4EEvPKhS1_P6__halfPKfiiiiiiii
		.amdhsa_group_segment_fixed_size 24624
		.amdhsa_private_segment_fixed_size 0
		.amdhsa_kernarg_size 64
		.amdhsa_user_sgpr_count 2
		.amdhsa_user_sgpr_dispatch_ptr 0
		.amdhsa_user_sgpr_queue_ptr 0
		.amdhsa_user_sgpr_kernarg_segment_ptr 1
		.amdhsa_user_sgpr_dispatch_id 0
		.amdhsa_user_sgpr_kernarg_preload_length 0
		.amdhsa_user_sgpr_kernarg_preload_offset 0
		.amdhsa_user_sgpr_private_segment_size 0
		.amdhsa_uses_dynamic_stack 0
		.amdhsa_enable_private_segment 0
		.amdhsa_system_sgpr_workgroup_id_x 1
		.amdhsa_system_sgpr_workgroup_id_y 0
		.amdhsa_system_sgpr_workgroup_id_z 0
		.amdhsa_system_sgpr_workgroup_info 0
		.amdhsa_system_vgpr_workitem_id 0
		.amdhsa_next_free_vgpr 94
		.amdhsa_next_free_sgpr 100
		.amdhsa_accum_offset 96
		.amdhsa_reserve_vcc 1
		.amdhsa_float_round_mode_32 0
		.amdhsa_float_round_mode_16_64 0
		.amdhsa_float_denorm_mode_32 3
		.amdhsa_float_denorm_mode_16_64 3
		.amdhsa_dx10_clamp 1
		.amdhsa_ieee_mode 1
		.amdhsa_fp16_overflow 0
		.amdhsa_tg_split 0
		.amdhsa_exception_fp_ieee_invalid_op 0
		.amdhsa_exception_fp_denorm_src 0
		.amdhsa_exception_fp_ieee_div_zero 0
		.amdhsa_exception_fp_ieee_overflow 0
		.amdhsa_exception_fp_ieee_underflow 0
		.amdhsa_exception_fp_ieee_inexact 0
		.amdhsa_exception_int_div_zero 0
	.end_amdhsa_kernel
	.section	.text._Z19_skinny_gemm_kernelILi3ELi3ELi2ELi32ELi4EEvPKhS1_P6__halfPKfiiiiiiii,"axG",@progbits,_Z19_skinny_gemm_kernelILi3ELi3ELi2ELi32ELi4EEvPKhS1_P6__halfPKfiiiiiiii,comdat
.Lfunc_end278:
	.size	_Z19_skinny_gemm_kernelILi3ELi3ELi2ELi32ELi4EEvPKhS1_P6__halfPKfiiiiiiii, .Lfunc_end278-_Z19_skinny_gemm_kernelILi3ELi3ELi2ELi32ELi4EEvPKhS1_P6__halfPKfiiiiiiii
                                        ; -- End function
	.set _Z19_skinny_gemm_kernelILi3ELi3ELi2ELi32ELi4EEvPKhS1_P6__halfPKfiiiiiiii.num_vgpr, 94
	.set _Z19_skinny_gemm_kernelILi3ELi3ELi2ELi32ELi4EEvPKhS1_P6__halfPKfiiiiiiii.num_agpr, 0
	.set _Z19_skinny_gemm_kernelILi3ELi3ELi2ELi32ELi4EEvPKhS1_P6__halfPKfiiiiiiii.numbered_sgpr, 100
	.set _Z19_skinny_gemm_kernelILi3ELi3ELi2ELi32ELi4EEvPKhS1_P6__halfPKfiiiiiiii.num_named_barrier, 0
	.set _Z19_skinny_gemm_kernelILi3ELi3ELi2ELi32ELi4EEvPKhS1_P6__halfPKfiiiiiiii.private_seg_size, 0
	.set _Z19_skinny_gemm_kernelILi3ELi3ELi2ELi32ELi4EEvPKhS1_P6__halfPKfiiiiiiii.uses_vcc, 1
	.set _Z19_skinny_gemm_kernelILi3ELi3ELi2ELi32ELi4EEvPKhS1_P6__halfPKfiiiiiiii.uses_flat_scratch, 0
	.set _Z19_skinny_gemm_kernelILi3ELi3ELi2ELi32ELi4EEvPKhS1_P6__halfPKfiiiiiiii.has_dyn_sized_stack, 0
	.set _Z19_skinny_gemm_kernelILi3ELi3ELi2ELi32ELi4EEvPKhS1_P6__halfPKfiiiiiiii.has_recursion, 0
	.set _Z19_skinny_gemm_kernelILi3ELi3ELi2ELi32ELi4EEvPKhS1_P6__halfPKfiiiiiiii.has_indirect_call, 0
	.section	.AMDGPU.csdata,"",@progbits
; Kernel info:
; codeLenInByte = 11648
; TotalNumSgprs: 106
; NumVgprs: 94
; NumAgprs: 0
; TotalNumVgprs: 94
; ScratchSize: 0
; MemoryBound: 0
; FloatMode: 240
; IeeeMode: 1
; LDSByteSize: 24624 bytes/workgroup (compile time only)
; SGPRBlocks: 13
; VGPRBlocks: 11
; NumSGPRsForWavesPerEU: 106
; NumVGPRsForWavesPerEU: 94
; AccumOffset: 96
; Occupancy: 5
; WaveLimiterHint : 0
; COMPUTE_PGM_RSRC2:SCRATCH_EN: 0
; COMPUTE_PGM_RSRC2:USER_SGPR: 2
; COMPUTE_PGM_RSRC2:TRAP_HANDLER: 0
; COMPUTE_PGM_RSRC2:TGID_X_EN: 1
; COMPUTE_PGM_RSRC2:TGID_Y_EN: 0
; COMPUTE_PGM_RSRC2:TGID_Z_EN: 0
; COMPUTE_PGM_RSRC2:TIDIG_COMP_CNT: 0
; COMPUTE_PGM_RSRC3_GFX90A:ACCUM_OFFSET: 23
; COMPUTE_PGM_RSRC3_GFX90A:TG_SPLIT: 0
	.section	.text._Z19_skinny_gemm_kernelILi3ELi3ELi2ELi32ELi8EEvPKhS1_P6__halfPKfiiiiiiii,"axG",@progbits,_Z19_skinny_gemm_kernelILi3ELi3ELi2ELi32ELi8EEvPKhS1_P6__halfPKfiiiiiiii,comdat
	.protected	_Z19_skinny_gemm_kernelILi3ELi3ELi2ELi32ELi8EEvPKhS1_P6__halfPKfiiiiiiii ; -- Begin function _Z19_skinny_gemm_kernelILi3ELi3ELi2ELi32ELi8EEvPKhS1_P6__halfPKfiiiiiiii
	.globl	_Z19_skinny_gemm_kernelILi3ELi3ELi2ELi32ELi8EEvPKhS1_P6__halfPKfiiiiiiii
	.p2align	8
	.type	_Z19_skinny_gemm_kernelILi3ELi3ELi2ELi32ELi8EEvPKhS1_P6__halfPKfiiiiiiii,@function
_Z19_skinny_gemm_kernelILi3ELi3ELi2ELi32ELi8EEvPKhS1_P6__halfPKfiiiiiiii: ; @_Z19_skinny_gemm_kernelILi3ELi3ELi2ELi32ELi8EEvPKhS1_P6__halfPKfiiiiiiii
; %bb.0:
	v_cmp_gt_u32_e32 vcc, 12, v0
	s_and_saveexec_b64 s[4:5], vcc
; %bb.1:
	v_lshlrev_b32_e32 v1, 2, v0
	v_mov_b32_e32 v2, 0
	ds_write_b32 v1, v2 offset:49152
; %bb.2:
	s_or_b64 exec, exec, s[4:5]
	s_load_dwordx8 s[92:99], s[0:1], 0x20
	s_waitcnt lgkmcnt(0)
	s_barrier
	s_add_i32 s3, s92, 0x5f
	s_mul_hi_i32 s3, s3, 0x2aaaaaab
	s_add_i32 s4, s93, 0x5f
	s_lshr_b32 s5, s3, 31
	s_ashr_i32 s3, s3, 4
	s_add_i32 s14, s3, s5
	s_mul_hi_i32 s3, s4, 0x2aaaaaab
	s_lshr_b32 s4, s3, 31
	s_ashr_i32 s3, s3, 4
	s_add_i32 s15, s3, s4
	s_mul_i32 s3, s15, s14
	s_mul_i32 s3, s3, s96
	s_add_i32 s4, s3, 0x12f
	s_mul_hi_i32 s4, s4, 0x6bca1af3
	s_lshr_b32 s5, s4, 31
	s_ashr_i32 s4, s4, 7
	s_add_i32 s4, s4, s5
	s_add_i32 s5, s2, 1
	s_mul_i32 s5, s4, s5
	v_cvt_f64_i32_e32 v[2:3], s3
	v_cvt_f64_u32_e32 v[4:5], s5
	v_min_f64 v[2:3], v[2:3], v[4:5]
	v_cvt_i32_f64_e32 v70, v[2:3]
	s_mul_i32 s33, s4, s2
	v_cmp_ge_i32_e32 vcc, s33, v70
	s_cbranch_vccnz .LBB279_51
; %bb.3:
	s_load_dwordx8 s[16:23], s[0:1], 0x0
	v_lshrrev_b32_e32 v1, 6, v0
	s_add_i32 s0, s98, s97
	v_cmp_le_i32_e64 s[24:25], s0, v1
	v_mov_b32_e32 v2, s97
	v_cmp_le_i32_e64 s[26:27], s97, v1
	v_mov_b32_e32 v3, s98
	v_cndmask_b32_e64 v3, 0, v3, s[24:25]
	v_cndmask_b32_e64 v2, 0, v2, s[26:27]
	s_abs_i32 s1, s96
	v_add_u32_e32 v2, v2, v3
	v_cvt_f32_u32_e32 v3, s1
	v_sub_u32_e32 v56, v1, v2
	s_ashr_i32 s2, s94, 31
	s_lshr_b32 s2, s2, 25
	v_rcp_iflag_f32_e32 v2, v3
	s_sub_i32 s5, 0, s1
	s_add_i32 s2, s94, s2
	s_ashr_i32 s2, s2, 7
	v_mul_f32_e32 v2, 0x4f7ffffe, v2
	v_cvt_u32_f32_e32 v2, v2
	s_abs_i32 s4, s2
	s_xor_b32 s3, s2, s96
	s_ashr_i32 s3, s3, 31
	v_readfirstlane_b32 s6, v2
	s_mul_i32 s5, s5, s6
	s_mul_hi_u32 s5, s6, s5
	s_add_i32 s6, s6, s5
	s_mul_hi_u32 s5, s4, s6
	s_mul_i32 s6, s5, s1
	s_sub_i32 s4, s4, s6
	s_add_i32 s6, s5, 1
	s_sub_i32 s7, s4, s1
	s_cmp_ge_u32 s4, s1
	s_cselect_b32 s5, s6, s5
	s_cselect_b32 s4, s7, s4
	s_add_i32 s6, s5, 1
	s_cmp_ge_u32 s4, s1
	s_cselect_b32 s1, s6, s5
	s_add_i32 s0, s0, s99
	v_and_b32_e32 v72, 31, v0
	v_lshrrev_b32_e32 v2, 3, v0
	v_cmp_gt_i32_e64 s[34:35], s0, v1
	v_lshlrev_b32_e32 v1, 2, v72
	v_and_b32_e32 v3, 4, v2
	v_lshlrev_b32_e32 v2, 6, v3
	v_or_b32_e32 v4, 0x6000, v1
	v_and_b32_e32 v5, 1, v0
                                        ; implicit-def: $vgpr101 : SGPR spill to VGPR lane
	s_add_i32 s29, s96, -1
	v_or_b32_e32 v73, v1, v2
	v_or_b32_e32 v74, v4, v2
	v_lshlrev_b32_e32 v2, 1, v5
	v_lshrrev_b32_e32 v7, 1, v0
	s_abs_i32 s96, s14
	v_writelane_b32 v101, s14, 0
	v_sub_u32_e32 v2, v0, v2
	v_and_b32_e32 v50, 16, v7
	v_cvt_f32_u32_e32 v7, s96
	v_writelane_b32 v101, s15, 1
	v_add_u32_e32 v2, 1, v2
	s_waitcnt lgkmcnt(0)
	v_writelane_b32 v101, s16, 2
	v_and_b32_e32 v6, 63, v2
	v_bitop3_b32 v75, v0, 1, v0 bitop3:0xc
	v_bitop3_b32 v76, v0, 3, 1 bitop3:0x6c
	;; [unrolled: 1-line block ×8, first 2 shown]
	v_and_b32_e32 v2, 30, v0
	v_lshlrev_b32_e32 v0, 4, v0
	v_writelane_b32 v101, s17, 3
	v_and_b32_e32 v0, 0x200, v0
	v_writelane_b32 v101, s18, 4
	v_or_b32_e32 v85, v4, v0
	v_rcp_iflag_f32_e32 v4, v7
	s_abs_i32 s90, s15
	v_writelane_b32 v101, s19, 5
	v_or_b32_e32 v87, v1, v0
	v_cvt_f32_u32_e32 v1, s90
	v_writelane_b32 v101, s20, 6
	v_writelane_b32 v101, s21, 7
	v_writelane_b32 v101, s22, 8
	v_mul_f32_e32 v0, 0x4f7ffffe, v4
	v_writelane_b32 v101, s23, 9
	v_cndmask_b32_e64 v71, 0, 1, s[24:25]
	v_cvt_u32_f32_e32 v0, v0
	v_rcp_iflag_f32_e32 v1, v1
	v_writelane_b32 v101, s24, 10
	s_xor_b32 s1, s1, s3
	s_sub_i32 s28, s1, s3
	v_writelane_b32 v101, s25, 11
	v_writelane_b32 v101, s26, 12
	s_mul_i32 s1, s28, s29
	s_sub_i32 s30, s2, s1
	v_writelane_b32 v101, s27, 13
	v_readfirstlane_b32 s1, v0
	v_mul_f32_e32 v0, 0x4f7ffffe, v1
	v_writelane_b32 v101, s28, 14
	v_cvt_u32_f32_e32 v0, v0
	v_writelane_b32 v101, s29, 15
	s_sub_i32 s0, 0, s96
	v_writelane_b32 v101, s30, 16
	s_mul_i32 s0, s0, s1
	v_writelane_b32 v101, s34, 17
	s_lshl_b32 s31, s95, 5
	s_mul_hi_u32 s0, s1, s0
	v_writelane_b32 v101, s35, 18
	s_ashr_i32 s36, s14, 31
	s_add_i32 s37, s1, s0
	s_sub_i32 s0, 0, s90
	v_readfirstlane_b32 s1, v0
	v_mbcnt_lo_u32_b32 v0, -1, 0
	v_writelane_b32 v101, s31, 19
	s_mul_i32 s0, s0, s1
	v_mbcnt_hi_u32_b32 v0, -1, v0
	v_writelane_b32 v101, s36, 20
	v_mov_b32_e32 v49, 0
	v_mul_lo_u32 v52, s95, v72
	v_or_b32_e32 v88, v5, v3
	s_ashr_i32 s38, s15, 31
	s_mul_hi_u32 s0, s1, s0
	v_and_or_b32 v0, v0, 64, v6
	v_writelane_b32 v101, s37, 21
	v_or_b32_e32 v83, 32, v72
	v_or_b32_e32 v84, 64, v72
	v_ashrrev_i32_e32 v53, 31, v52
	v_mov_b32_e32 v51, v49
	v_mul_lo_u32 v86, s94, v72
	v_or_b32_e32 v89, 2, v88
	s_add_i32 s39, s1, s0
	v_lshlrev_b32_e32 v48, 1, v2
	s_mov_b32 s91, 0x55555556
	v_lshlrev_b32_e32 v90, 2, v0
	v_mov_b32_e32 v91, v56
	v_writelane_b32 v101, s38, 22
	v_writelane_b32 v101, s39, 23
	s_branch .LBB279_7
.LBB279_4:                              ;   in Loop: Header=BB279_7 Depth=1
	s_or_b64 exec, exec, s[4:5]
.LBB279_5:                              ;   in Loop: Header=BB279_7 Depth=1
	s_or_b64 exec, exec, s[2:3]
	v_subrev_u32_e32 v91, s10, v91
.LBB279_6:                              ;   in Loop: Header=BB279_7 Depth=1
	s_or_b64 exec, exec, s[0:1]
	s_add_i32 s33, s33, 1
	v_cmp_ge_i32_e32 vcc, s33, v70
	s_cbranch_vccnz .LBB279_51
.LBB279_7:                              ; =>This Loop Header: Depth=1
                                        ;     Child Loop BB279_13 Depth 2
                                        ;       Child Loop BB279_15 Depth 3
                                        ;       Child Loop BB279_18 Depth 3
	;; [unrolled: 1-line block ×4, first 2 shown]
                                        ;     Child Loop BB279_29 Depth 2
                                        ;     Child Loop BB279_38 Depth 2
                                        ;       Child Loop BB279_40 Depth 3
                                        ;     Child Loop BB279_48 Depth 2
                                        ;       Child Loop BB279_50 Depth 3
	s_abs_i32 s1, s33
	s_mul_hi_u32 s2, s1, s37
	s_mul_i32 s3, s2, s96
	s_ashr_i32 s0, s33, 31
	s_sub_i32 s1, s1, s3
	s_xor_b32 s0, s0, s36
	s_add_i32 s3, s2, 1
	s_sub_i32 s4, s1, s96
	s_cmp_ge_u32 s1, s96
	s_cselect_b32 s2, s3, s2
	s_cselect_b32 s1, s4, s1
	s_add_i32 s3, s2, 1
	s_cmp_ge_u32 s1, s96
	s_cselect_b32 s1, s3, s2
	s_xor_b32 s1, s1, s0
	s_sub_i32 s0, s1, s0
	s_abs_i32 s2, s0
	s_mul_i32 s1, s0, s14
	s_mul_hi_u32 s3, s2, s39
	s_sub_i32 s1, s33, s1
	s_mul_i32 s4, s3, s90
	s_mul_i32 s40, s1, 0x60
	s_ashr_i32 s1, s0, 31
	s_sub_i32 s2, s2, s4
	s_xor_b32 s1, s1, s38
	s_add_i32 s4, s3, 1
	s_sub_i32 s5, s2, s90
	s_cmp_ge_u32 s2, s90
	s_cselect_b32 s3, s4, s3
	s_cselect_b32 s2, s5, s2
	s_add_i32 s4, s3, 1
	s_cmp_ge_u32 s2, s90
	s_cselect_b32 s2, s4, s3
	s_xor_b32 s2, s2, s1
	s_sub_i32 s1, s2, s1
	s_mul_i32 s2, s1, s28
	s_lshl_b32 s13, s2, 7
	s_cmp_eq_u32 s1, s29
	s_cselect_b32 s4, s30, s28
	s_sub_i32 s2, s40, s92
	s_addk_i32 s2, 0x60
	s_max_i32 s5, s2, 0
	s_and_saveexec_b64 s[2:3], s[26:27]
	s_xor_b64 s[2:3], exec, s[2:3]
	v_writelane_b32 v101, s2, 24
	s_nop 1
	v_writelane_b32 v101, s3, 25
	s_cbranch_execz .LBB279_44
; %bb.8:                                ;   in Loop: Header=BB279_7 Depth=1
	s_mul_i32 s1, s1, s15
	s_sub_i32 s0, s0, s1
	s_mulk_i32 s0, 0x60
	s_sub_i32 s70, s0, s93
	s_addk_i32 s70, 0x60
	s_max_i32 s1, s70, 0
	s_sub_i32 s0, s0, s1
	v_writelane_b32 v101, s13, 26
	s_and_saveexec_b64 s[2:3], s[24:25]
	s_xor_b64 s[2:3], exec, s[2:3]
	s_cbranch_execz .LBB279_34
; %bb.9:                                ;   in Loop: Header=BB279_7 Depth=1
	s_mov_b64 s[6:7], exec
	v_writelane_b32 v101, s6, 27
	s_nop 1
	v_writelane_b32 v101, s7, 28
	s_and_b64 s[6:7], s[6:7], s[34:35]
	s_mov_b64 exec, s[6:7]
	s_cbranch_execz .LBB279_33
; %bb.10:                               ;   in Loop: Header=BB279_7 Depth=1
	global_load_dword v92, v49, s[22:23]
	v_mov_b32_e32 v47, 0
	v_cmp_gt_i32_e32 vcc, s4, v91
	v_mov_b32_e32 v46, v47
	v_mov_b32_e32 v45, v47
	;; [unrolled: 1-line block ×47, first 2 shown]
	s_and_saveexec_b64 s[6:7], vcc
	s_cbranch_execz .LBB279_26
; %bb.11:                               ;   in Loop: Header=BB279_7 Depth=1
	v_mov_b32_e32 v0, 0
	s_mov_b64 s[8:9], 0
	v_mov_b32_e32 v1, v0
	v_mov_b32_e32 v2, v0
	;; [unrolled: 1-line block ×47, first 2 shown]
	s_branch .LBB279_13
.LBB279_12:                             ;   in Loop: Header=BB279_13 Depth=2
	s_or_b64 exec, exec, s[10:11]
	v_add_u32_e32 v97, 0x2000, v96
	ds_read2_b32 v[98:99], v97 offset1:32
	v_add_u32_e32 v91, s99, v91
	s_waitcnt lgkmcnt(0)
	v_mfma_f32_32x32x16_fp8_fp8 v[0:15], v[68:69], v[98:99], v[0:15]
	ds_read2_b32 v[68:69], v97 offset0:128 offset1:160
	s_waitcnt lgkmcnt(0)
	v_mfma_f32_32x32x16_fp8_fp8 v[0:15], v[66:67], v[68:69], v[0:15]
	v_add_u32_e32 v68, 0x2400, v96
	ds_read2_b32 v[66:67], v68 offset1:32
	s_waitcnt lgkmcnt(0)
	v_mfma_f32_32x32x16_fp8_fp8 v[0:15], v[64:65], v[66:67], v[0:15]
	ds_read2_b32 v[64:65], v68 offset0:128 offset1:160
	s_waitcnt lgkmcnt(0)
	v_mfma_f32_32x32x16_fp8_fp8 v[0:15], v[62:63], v[64:65], v[0:15]
	v_add_u32_e32 v64, 0x2800, v96
	ds_read2_b32 v[62:63], v64 offset1:32
	;; [unrolled: 7-line block ×3, first 2 shown]
	ds_read2_b32 v[60:61], v60 offset0:128 offset1:160
	ds_write_b32 v94, v95 offset:49172
	s_waitcnt lgkmcnt(2)
	v_mfma_f32_32x32x16_fp8_fp8 v[0:15], v[56:57], v[58:59], v[0:15]
	v_add_u32_e32 v56, s99, v93
	v_add_u32_e32 v57, 2, v71
	v_cmp_lt_i32_e32 vcc, 1, v56
	s_nop 1
	v_cndmask_b32_e32 v71, v71, v57, vcc
	v_cmp_le_i32_e32 vcc, s4, v91
	s_waitcnt lgkmcnt(1)
	v_mfma_f32_32x32x16_fp8_fp8 v[0:15], v[54:55], v[60:61], v[0:15]
	s_or_b64 s[8:9], vcc, s[8:9]
	s_andn2_b64 exec, exec, s[8:9]
	s_cbranch_execz .LBB279_25
.LBB279_13:                             ;   Parent Loop BB279_7 Depth=1
                                        ; =>  This Loop Header: Depth=2
                                        ;       Child Loop BB279_15 Depth 3
                                        ;       Child Loop BB279_18 Depth 3
	;; [unrolled: 1-line block ×4, first 2 shown]
	v_cmp_gt_i32_e32 vcc, 2, v56
	s_nop 1
	v_cndmask_b32_e64 v54, -2, 0, vcc
	v_add_u32_e32 v93, v54, v56
	v_mul_lo_u32 v94, v93, 24
	ds_read_b32 v54, v94 offset:49152
	s_waitcnt lgkmcnt(0)
	v_cmp_ne_u32_e32 vcc, v54, v71
	s_and_saveexec_b64 s[10:11], vcc
	s_cbranch_execz .LBB279_16
; %bb.14:                               ;   in Loop: Header=BB279_13 Depth=2
	s_mov_b64 s[12:13], 0
.LBB279_15:                             ;   Parent Loop BB279_7 Depth=1
                                        ;     Parent Loop BB279_13 Depth=2
                                        ; =>    This Inner Loop Header: Depth=3
	;;#ASMSTART
	s_sleep 0
	;;#ASMEND
	ds_read_b32 v54, v94 offset:49152
	s_waitcnt lgkmcnt(0)
	v_cmp_eq_u32_e32 vcc, v54, v71
	s_or_b64 s[12:13], vcc, s[12:13]
	s_andn2_b64 exec, exec, s[12:13]
	s_cbranch_execnz .LBB279_15
.LBB279_16:                             ;   in Loop: Header=BB279_13 Depth=2
	s_or_b64 exec, exec, s[10:11]
	v_lshl_or_b32 v54, v93, 12, v73
	v_add_u32_e32 v55, 0x400, v54
	ds_read2_b32 v[68:69], v54 offset1:32
	ds_read2_b32 v[66:67], v54 offset0:128 offset1:160
	ds_read2_b32 v[64:65], v55 offset1:32
	ds_read2_b32 v[62:63], v55 offset0:128 offset1:160
	v_add_u32_e32 v55, 0x800, v54
	v_add_u32_e32 v54, 0xc00, v54
	ds_read2_b32 v[60:61], v55 offset1:32
	ds_read2_b32 v[58:59], v55 offset0:128 offset1:160
	ds_read2_b32 v[56:57], v54 offset1:32
	ds_read_b32 v96, v94 offset:49156
	ds_read2_b32 v[54:55], v54 offset0:128 offset1:160
	v_add_u32_e32 v95, 1, v71
	ds_write_b32 v94, v95 offset:49152
	s_waitcnt lgkmcnt(2)
	v_cmp_ne_u32_e32 vcc, v96, v71
	s_and_saveexec_b64 s[10:11], vcc
	s_cbranch_execz .LBB279_19
; %bb.17:                               ;   in Loop: Header=BB279_13 Depth=2
	s_mov_b64 s[12:13], 0
.LBB279_18:                             ;   Parent Loop BB279_7 Depth=1
                                        ;     Parent Loop BB279_13 Depth=2
                                        ; =>    This Inner Loop Header: Depth=3
	;;#ASMSTART
	s_sleep 0
	;;#ASMEND
	ds_read_b32 v96, v94 offset:49156
	s_waitcnt lgkmcnt(0)
	v_cmp_eq_u32_e32 vcc, v96, v71
	s_or_b64 s[12:13], vcc, s[12:13]
	s_andn2_b64 exec, exec, s[12:13]
	s_cbranch_execnz .LBB279_18
.LBB279_19:                             ;   in Loop: Header=BB279_13 Depth=2
	s_or_b64 exec, exec, s[10:11]
	s_movk_i32 s1, 0x3000
	v_mul_lo_u32 v96, v93, s1
	v_add_u32_e32 v96, v74, v96
	ds_read2_b32 v[98:99], v96 offset1:32
	v_add_u32_e32 v97, 0x400, v96
	ds_write_b32 v94, v95 offset:49156
	s_waitcnt lgkmcnt(1)
	v_mfma_f32_32x32x16_fp8_fp8 v[32:47], v[68:69], v[98:99], v[32:47]
	ds_read2_b32 v[98:99], v96 offset0:128 offset1:160
	s_waitcnt lgkmcnt(0)
	v_mfma_f32_32x32x16_fp8_fp8 v[32:47], v[66:67], v[98:99], v[32:47]
	ds_read2_b32 v[98:99], v97 offset1:32
	s_waitcnt lgkmcnt(0)
	v_mfma_f32_32x32x16_fp8_fp8 v[32:47], v[64:65], v[98:99], v[32:47]
	ds_read2_b32 v[98:99], v97 offset0:128 offset1:160
	v_add_u32_e32 v97, 0x800, v96
	s_waitcnt lgkmcnt(0)
	v_mfma_f32_32x32x16_fp8_fp8 v[32:47], v[62:63], v[98:99], v[32:47]
	ds_read2_b32 v[98:99], v97 offset1:32
	s_waitcnt lgkmcnt(0)
	v_mfma_f32_32x32x16_fp8_fp8 v[32:47], v[60:61], v[98:99], v[32:47]
	ds_read2_b32 v[98:99], v97 offset0:128 offset1:160
	v_add_u32_e32 v97, 0xc00, v96
	s_waitcnt lgkmcnt(0)
	v_mfma_f32_32x32x16_fp8_fp8 v[32:47], v[58:59], v[98:99], v[32:47]
	ds_read2_b32 v[98:99], v97 offset1:32
	s_waitcnt lgkmcnt(0)
	v_mfma_f32_32x32x16_fp8_fp8 v[32:47], v[56:57], v[98:99], v[32:47]
	ds_read2_b32 v[98:99], v97 offset0:128 offset1:160
	ds_read_b32 v97, v94 offset:49164
	s_waitcnt lgkmcnt(0)
	v_cmp_ne_u32_e32 vcc, v97, v71
	v_mfma_f32_32x32x16_fp8_fp8 v[32:47], v[54:55], v[98:99], v[32:47]
	s_and_saveexec_b64 s[10:11], vcc
	s_cbranch_execz .LBB279_22
; %bb.20:                               ;   in Loop: Header=BB279_13 Depth=2
	s_mov_b64 s[12:13], 0
.LBB279_21:                             ;   Parent Loop BB279_7 Depth=1
                                        ;     Parent Loop BB279_13 Depth=2
                                        ; =>    This Inner Loop Header: Depth=3
	;;#ASMSTART
	s_sleep 0
	;;#ASMEND
	ds_read_b32 v97, v94 offset:49164
	s_waitcnt lgkmcnt(0)
	v_cmp_eq_u32_e32 vcc, v97, v71
	s_or_b64 s[12:13], vcc, s[12:13]
	s_andn2_b64 exec, exec, s[12:13]
	s_cbranch_execnz .LBB279_21
.LBB279_22:                             ;   in Loop: Header=BB279_13 Depth=2
	s_or_b64 exec, exec, s[10:11]
	v_add_u32_e32 v97, 0x1000, v96
	ds_read2_b32 v[98:99], v97 offset1:32
	s_waitcnt lgkmcnt(0)
	v_mfma_f32_32x32x16_fp8_fp8 v[16:31], v[68:69], v[98:99], v[16:31]
	ds_read2_b32 v[98:99], v97 offset0:128 offset1:160
	v_add_u32_e32 v97, 0x1400, v96
	s_waitcnt lgkmcnt(0)
	v_mfma_f32_32x32x16_fp8_fp8 v[16:31], v[66:67], v[98:99], v[16:31]
	ds_read2_b32 v[98:99], v97 offset1:32
	s_waitcnt lgkmcnt(0)
	v_mfma_f32_32x32x16_fp8_fp8 v[16:31], v[64:65], v[98:99], v[16:31]
	ds_read2_b32 v[98:99], v97 offset0:128 offset1:160
	v_add_u32_e32 v97, 0x1800, v96
	s_waitcnt lgkmcnt(0)
	v_mfma_f32_32x32x16_fp8_fp8 v[16:31], v[62:63], v[98:99], v[16:31]
	;; [unrolled: 7-line block ×3, first 2 shown]
	ds_read2_b32 v[98:99], v97 offset1:32
	s_waitcnt lgkmcnt(0)
	v_mfma_f32_32x32x16_fp8_fp8 v[16:31], v[56:57], v[98:99], v[16:31]
	ds_read_b32 v100, v94 offset:49172
	ds_read2_b32 v[98:99], v97 offset0:128 offset1:160
	ds_write_b32 v94, v95 offset:49164
	s_waitcnt lgkmcnt(2)
	v_cmp_ne_u32_e32 vcc, v100, v71
	s_waitcnt lgkmcnt(1)
	v_mfma_f32_32x32x16_fp8_fp8 v[16:31], v[54:55], v[98:99], v[16:31]
	s_and_saveexec_b64 s[10:11], vcc
	s_cbranch_execz .LBB279_12
; %bb.23:                               ;   in Loop: Header=BB279_13 Depth=2
	s_mov_b64 s[12:13], 0
.LBB279_24:                             ;   Parent Loop BB279_7 Depth=1
                                        ;     Parent Loop BB279_13 Depth=2
                                        ; =>    This Inner Loop Header: Depth=3
	;;#ASMSTART
	s_sleep 0
	;;#ASMEND
	ds_read_b32 v97, v94 offset:49172
	s_waitcnt lgkmcnt(0)
	v_cmp_eq_u32_e32 vcc, v97, v71
	s_or_b64 s[12:13], vcc, s[12:13]
	s_andn2_b64 exec, exec, s[12:13]
	s_cbranch_execnz .LBB279_24
	s_branch .LBB279_12
.LBB279_25:                             ;   in Loop: Header=BB279_7 Depth=1
	s_or_b64 exec, exec, s[8:9]
.LBB279_26:                             ;   in Loop: Header=BB279_7 Depth=1
	s_or_b64 exec, exec, s[6:7]
	v_cmp_le_i32_e32 vcc, s70, v72
	v_cmp_eq_u32_e64 s[60:61], 1, v75
	v_cmp_eq_u32_e64 s[26:27], 2, v75
	s_waitcnt vmcnt(0)
	v_cndmask_b32_e32 v54, 0, v92, vcc
	v_pk_mul_f32 v[32:33], v[54:55], v[32:33] op_sel_hi:[0,1]
	v_pk_mul_f32 v[46:47], v[54:55], v[46:47] op_sel_hi:[0,1]
	;; [unrolled: 1-line block ×8, first 2 shown]
	v_cndmask_b32_e64 v54, v32, v33, s[60:61]
	v_writelane_b32 v101, s40, 29
	s_mul_i32 s6, s40, s93
	v_cndmask_b32_e64 v54, v54, v34, s[26:27]
	v_cmp_eq_u32_e64 s[40:41], 3, v75
	v_cmp_eq_u32_e64 s[42:43], 4, v75
	v_cmp_eq_u32_e64 s[44:45], 5, v75
	v_cndmask_b32_e64 v54, v54, v35, s[40:41]
	v_cndmask_b32_e64 v54, v54, v36, s[42:43]
	v_cndmask_b32_e64 v54, v54, v37, s[44:45]
	v_cmp_eq_u32_e64 s[46:47], 6, v75
	v_cmp_eq_u32_e64 s[48:49], 7, v75
	v_cmp_eq_u32_e64 s[50:51], 8, v75
	v_cndmask_b32_e64 v54, v54, v38, s[46:47]
	v_cndmask_b32_e64 v54, v54, v39, s[48:49]
	;; [unrolled: 6-line block ×4, first 2 shown]
	v_cndmask_b32_e64 v54, v54, v46, s[64:65]
	v_cmp_eq_u32_e64 s[66:67], 15, v75
	s_ashr_i32 s7, s6, 31
	s_lshl_b64 s[6:7], s[6:7], 1
	v_cndmask_b32_e64 v54, v54, v47, s[66:67]
	ds_bpermute_b32 v54, v90, v54
	v_cmp_eq_u32_e64 s[36:37], 0, v75
	s_add_u32 s71, s20, s6
	v_cmp_eq_u32_e32 vcc, 1, v76
	s_addc_u32 s72, s21, s7
	s_waitcnt lgkmcnt(0)
	v_cndmask_b32_e64 v47, v47, v54, s[66:67]
	v_cndmask_b32_e64 v46, v46, v54, s[64:65]
	;; [unrolled: 1-line block ×16, first 2 shown]
	v_cndmask_b32_e32 v32, v54, v63, vcc
	v_cmp_eq_u32_e64 s[6:7], 2, v76
	v_cmp_eq_u32_e64 s[8:9], 3, v76
	v_cmp_eq_u32_e64 s[10:11], 4, v76
	v_cndmask_b32_e64 v32, v32, v62, s[6:7]
	v_cndmask_b32_e64 v32, v32, v61, s[8:9]
	v_cndmask_b32_e64 v32, v32, v60, s[10:11]
	v_cmp_eq_u32_e64 s[12:13], 5, v76
	v_cmp_eq_u32_e64 s[14:15], 6, v76
	v_cmp_eq_u32_e64 s[16:17], 7, v76
	v_cndmask_b32_e64 v32, v32, v59, s[12:13]
	v_cndmask_b32_e64 v32, v32, v58, s[14:15]
	v_cndmask_b32_e64 v32, v32, v57, s[16:17]
	v_cmp_eq_u32_e64 s[18:19], 8, v76
	v_cmp_eq_u32_e64 s[20:21], 9, v76
	v_cmp_eq_u32_e64 s[22:23], 10, v76
	v_cndmask_b32_e64 v32, v32, v40, s[18:19]
	v_cndmask_b32_e64 v32, v32, v41, s[20:21]
	v_cndmask_b32_e64 v32, v32, v42, s[22:23]
	v_cmp_eq_u32_e64 s[24:25], 11, v76
	v_cmp_eq_u32_e64 s[28:29], 12, v76
	v_cmp_eq_u32_e64 s[30:31], 13, v76
	v_cndmask_b32_e64 v32, v32, v43, s[24:25]
	v_cndmask_b32_e64 v32, v32, v44, s[28:29]
	v_cndmask_b32_e64 v32, v32, v45, s[30:31]
	v_cmp_eq_u32_e64 s[34:35], 14, v76
	v_cmp_eq_u32_e64 s[38:39], 15, v76
	s_ashr_i32 s1, s0, 31
	v_cndmask_b32_e64 v32, v32, v46, s[34:35]
	v_cndmask_b32_e64 v32, v32, v47, s[38:39]
	ds_bpermute_b32 v55, v90, v32
	s_lshl_b64 s[68:69], s[0:1], 1
	s_add_u32 s68, s71, s68
	s_addc_u32 s69, s72, s69
	v_writelane_b32 v101, s68, 30
	s_waitcnt lgkmcnt(0)
	v_cndmask_b32_e64 v33, v47, v55, s[38:39]
	v_cndmask_b32_e64 v38, v42, v55, s[22:23]
	v_writelane_b32 v101, s69, 31
	v_cmp_le_i32_e64 s[68:69], s70, v83
	v_cmp_le_i32_e64 s[70:71], s70, v84
	v_cndmask_b32_e64 v42, v58, v55, s[14:15]
	v_cndmask_b32_e64 v32, 0, v92, s[68:69]
	;; [unrolled: 1-line block ×3, first 2 shown]
	v_pk_mul_f32 v[16:17], v[32:33], v[16:17] op_sel_hi:[0,1]
	v_pk_mul_f32 v[0:1], v[58:59], v[0:1] op_sel_hi:[0,1]
	v_cndmask_b32_e64 v35, v45, v55, s[30:31]
	v_cndmask_b32_e64 v36, v44, v55, s[28:29]
	;; [unrolled: 1-line block ×4, first 2 shown]
	v_pk_mul_f32 v[30:31], v[32:33], v[30:31] op_sel_hi:[0,1]
	v_pk_mul_f32 v[28:29], v[32:33], v[28:29] op_sel_hi:[0,1]
	;; [unrolled: 1-line block ×7, first 2 shown]
	v_cndmask_b32_e64 v32, v16, v17, s[60:61]
	v_pk_mul_f32 v[60:61], v[58:59], v[4:5] op_sel_hi:[0,1]
	v_pk_mul_f32 v[2:3], v[58:59], v[2:3] op_sel_hi:[0,1]
	v_cndmask_b32_e64 v4, v0, v1, s[60:61]
	v_cndmask_b32_e64 v32, v32, v18, s[26:27]
	;; [unrolled: 1-line block ×8, first 2 shown]
	v_pk_mul_f32 v[6:7], v[58:59], v[6:7] op_sel_hi:[0,1]
	v_cndmask_b32_e64 v4, v4, v61, s[44:45]
	v_cndmask_b32_e64 v32, v32, v22, s[46:47]
	v_cndmask_b32_e64 v4, v4, v6, s[46:47]
	v_cndmask_b32_e64 v32, v32, v23, s[48:49]
	v_pk_mul_f32 v[8:9], v[58:59], v[8:9] op_sel_hi:[0,1]
	v_cndmask_b32_e64 v4, v4, v7, s[48:49]
	v_cndmask_b32_e64 v32, v32, v24, s[50:51]
	v_cndmask_b32_e64 v4, v4, v8, s[50:51]
	v_cndmask_b32_e64 v32, v32, v25, s[52:53]
	;; [unrolled: 5-line block ×5, first 2 shown]
	v_cndmask_b32_e64 v4, v4, v15, s[66:67]
	ds_bpermute_b32 v32, v90, v32
	ds_bpermute_b32 v5, v90, v4
	v_cmp_eq_u32_e64 s[68:69], 0, v76
	v_cndmask_b32_e32 v47, v63, v55, vcc
	v_cmp_eq_u32_e64 s[70:71], 1, v77
	v_cndmask_b32_e64 v54, v54, v55, s[68:69]
	s_waitcnt lgkmcnt(1)
	v_cndmask_b32_e64 v18, v18, v32, s[26:27]
	s_waitcnt lgkmcnt(0)
	v_cndmask_b32_e64 v2, v2, v5, s[26:27]
	v_cmp_ne_u32_e64 s[26:27], 0, v75
	v_cndmask_b32_e64 v34, v46, v55, s[34:35]
	v_cndmask_b32_e64 v37, v43, v55, s[24:25]
	;; [unrolled: 1-line block ×9, first 2 shown]
	v_cmp_eq_u32_e64 s[60:61], 2, v77
	v_cndmask_b32_e64 v1, v1, v5, s[26:27]
	v_cndmask_b32_e64 v16, v16, v32, s[36:37]
	v_cndmask_b32_e64 v0, v0, v5, s[36:37]
	v_cndmask_b32_e64 v17, v55, v46, s[60:61]
	v_cndmask_b32_e64 v31, v31, v32, s[66:67]
	v_cndmask_b32_e64 v15, v15, v5, s[66:67]
	v_cmp_eq_u32_e64 s[66:67], 3, v77
	v_cndmask_b32_e64 v30, v30, v32, s[64:65]
	v_cndmask_b32_e64 v14, v14, v5, s[64:65]
	;; [unrolled: 1-line block ×24, first 2 shown]
	v_cndmask_b32_e32 v32, v16, v4, vcc
	v_cndmask_b32_e32 v5, v0, v1, vcc
	v_cndmask_b32_e64 v17, v17, v45, s[66:67]
	v_cmp_eq_u32_e64 s[64:65], 4, v77
	v_cndmask_b32_e64 v32, v32, v18, s[6:7]
	v_cndmask_b32_e64 v5, v5, v2, s[6:7]
	v_cndmask_b32_e64 v17, v17, v44, s[64:65]
	v_cmp_eq_u32_e64 s[62:63], 5, v77
	v_cndmask_b32_e64 v32, v32, v19, s[8:9]
	v_cndmask_b32_e64 v5, v5, v3, s[8:9]
	;; [unrolled: 4-line block ×12, first 2 shown]
	v_cndmask_b32_e64 v17, v17, v33, s[82:83]
	v_cndmask_b32_e64 v32, v32, v30, s[34:35]
	v_cndmask_b32_e64 v5, v5, v14, s[34:35]
	ds_bpermute_b32 v17, v90, v17
	v_cndmask_b32_e64 v32, v32, v31, s[38:39]
	v_cndmask_b32_e64 v5, v5, v15, s[38:39]
	ds_bpermute_b32 v32, v90, v32
	ds_bpermute_b32 v5, v90, v5
	v_cmp_eq_u32_e64 s[40:41], 0, v77
	s_waitcnt lgkmcnt(2)
	v_cndmask_b32_e64 v33, v33, v17, s[82:83]
	v_cndmask_b32_e64 v34, v34, v17, s[78:79]
	;; [unrolled: 1-line block ×16, first 2 shown]
	v_cmp_eq_u32_e64 s[26:27], 1, v78
	v_cmp_eq_u32_e64 s[36:37], 2, v78
	s_waitcnt lgkmcnt(1)
	v_cndmask_b32_e32 v4, v4, v32, vcc
	v_cndmask_b32_e64 v54, v17, v47, s[26:27]
	s_waitcnt lgkmcnt(0)
	v_cndmask_b32_e32 v1, v1, v5, vcc
	v_cndmask_b32_e64 v16, v16, v32, s[68:69]
	v_cndmask_b32_e64 v0, v0, v5, s[68:69]
	;; [unrolled: 1-line block ×7, first 2 shown]
	v_cmp_eq_u32_e64 s[34:35], 3, v78
	v_cndmask_b32_e64 v29, v29, v32, s[30:31]
	v_cndmask_b32_e64 v13, v13, v5, s[30:31]
	;; [unrolled: 1-line block ×27, first 2 shown]
	v_cmp_eq_u32_e64 s[30:31], 4, v78
	v_cndmask_b32_e64 v32, v32, v18, s[60:61]
	v_cndmask_b32_e64 v5, v5, v2, s[60:61]
	v_cndmask_b32_e64 v54, v54, v44, s[30:31]
	v_cmp_eq_u32_e64 s[28:29], 5, v78
	v_cndmask_b32_e64 v32, v32, v19, s[66:67]
	v_cndmask_b32_e64 v5, v5, v3, s[66:67]
	v_cndmask_b32_e64 v54, v54, v43, s[28:29]
	;; [unrolled: 4-line block ×12, first 2 shown]
	v_cndmask_b32_e64 v32, v32, v30, s[78:79]
	v_cndmask_b32_e64 v5, v5, v14, s[78:79]
	ds_bpermute_b32 v54, v90, v54
	v_cndmask_b32_e64 v32, v32, v31, s[82:83]
	v_cndmask_b32_e64 v5, v5, v15, s[82:83]
	ds_bpermute_b32 v32, v90, v32
	ds_bpermute_b32 v5, v90, v5
	v_cmp_eq_u32_e64 s[16:17], 0, v78
	s_waitcnt lgkmcnt(2)
	v_cndmask_b32_e64 v47, v47, v54, s[26:27]
	v_cmp_eq_u32_e64 s[6:7], 1, v79
	v_cndmask_b32_e64 v17, v17, v54, s[16:17]
	v_cndmask_b32_e64 v33, v33, v54, s[8:9]
	;; [unrolled: 1-line block ×16, first 2 shown]
	v_cmp_eq_u32_e64 s[14:15], 2, v79
	s_waitcnt lgkmcnt(1)
	v_cndmask_b32_e64 v4, v4, v32, s[70:71]
	s_waitcnt lgkmcnt(0)
	v_cndmask_b32_e64 v1, v1, v5, s[70:71]
	v_cndmask_b32_e64 v16, v16, v32, s[40:41]
	;; [unrolled: 1-line block ×8, first 2 shown]
	v_cmp_eq_u32_e64 s[18:19], 3, v79
	v_cndmask_b32_e64 v29, v29, v32, s[44:45]
	v_cndmask_b32_e64 v13, v13, v5, s[44:45]
	;; [unrolled: 1-line block ×27, first 2 shown]
	v_cmp_eq_u32_e64 s[24:25], 4, v79
	v_cndmask_b32_e64 v32, v32, v18, s[36:37]
	v_cndmask_b32_e64 v5, v5, v2, s[36:37]
	v_cndmask_b32_e64 v54, v54, v44, s[24:25]
	v_cmp_eq_u32_e64 s[38:39], 5, v79
	v_cndmask_b32_e64 v32, v32, v19, s[34:35]
	v_cndmask_b32_e64 v5, v5, v3, s[34:35]
	v_cndmask_b32_e64 v54, v54, v43, s[38:39]
	;; [unrolled: 4-line block ×12, first 2 shown]
	v_cndmask_b32_e64 v32, v32, v30, s[10:11]
	v_cndmask_b32_e64 v5, v5, v14, s[10:11]
	ds_bpermute_b32 v54, v90, v54
	v_cndmask_b32_e64 v32, v32, v31, s[8:9]
	v_cndmask_b32_e64 v5, v5, v15, s[8:9]
	ds_bpermute_b32 v32, v90, v32
	ds_bpermute_b32 v5, v90, v5
	v_cmp_eq_u32_e64 s[50:51], 0, v79
	s_waitcnt lgkmcnt(2)
	v_cndmask_b32_e64 v47, v47, v54, s[6:7]
	v_cmp_eq_u32_e32 vcc, 1, v80
	v_cndmask_b32_e64 v17, v17, v54, s[50:51]
	v_cndmask_b32_e64 v33, v33, v54, s[88:89]
	;; [unrolled: 1-line block ×15, first 2 shown]
	v_cndmask_b32_e32 v54, v17, v47, vcc
	s_waitcnt lgkmcnt(1)
	v_cndmask_b32_e64 v31, v31, v32, s[8:9]
	s_waitcnt lgkmcnt(0)
	v_cndmask_b32_e64 v15, v15, v5, s[8:9]
	v_cmp_eq_u32_e64 s[8:9], 2, v80
	v_cndmask_b32_e64 v30, v30, v32, s[10:11]
	v_cndmask_b32_e64 v14, v14, v5, s[10:11]
	;; [unrolled: 1-line block ×3, first 2 shown]
	v_cmp_eq_u32_e64 s[10:11], 3, v80
	v_cndmask_b32_e64 v29, v29, v32, s[12:13]
	v_cndmask_b32_e64 v13, v13, v5, s[12:13]
	v_cndmask_b32_e64 v54, v54, v45, s[10:11]
	v_cmp_eq_u32_e64 s[12:13], 4, v80
	v_cmp_eq_u32_e64 s[40:41], 5, v80
	v_cndmask_b32_e64 v27, v27, v32, s[46:47]
	v_cndmask_b32_e64 v54, v54, v44, s[12:13]
	;; [unrolled: 1-line block ×4, first 2 shown]
	v_cmp_eq_u32_e64 s[46:47], 6, v80
	v_cmp_eq_u32_e64 s[54:55], 7, v80
	v_cndmask_b32_e64 v59, v1, v5, s[26:27]
	v_cndmask_b32_e64 v54, v54, v42, s[46:47]
	;; [unrolled: 1-line block ×4, first 2 shown]
	v_cmp_eq_u32_e64 s[56:57], 8, v80
	v_cndmask_b32_e64 v2, v2, v5, s[36:37]
	v_cndmask_b32_e64 v0, v61, v59, s[6:7]
	;; [unrolled: 1-line block ×7, first 2 shown]
	v_cmp_eq_u32_e64 s[58:59], 9, v80
	v_cndmask_b32_e64 v23, v23, v32, s[22:23]
	v_cndmask_b32_e64 v22, v22, v32, s[42:43]
	;; [unrolled: 1-line block ×11, first 2 shown]
	v_cmp_eq_u32_e64 s[60:61], 10, v80
	v_cndmask_b32_e64 v57, v57, v5, s[30:31]
	v_cndmask_b32_e64 v1, v32, v58, s[6:7]
	;; [unrolled: 1-line block ×4, first 2 shown]
	v_cmp_eq_u32_e64 s[62:63], 11, v80
	v_cndmask_b32_e64 v55, v55, v5, s[28:29]
	v_cndmask_b32_e64 v1, v1, v18, s[14:15]
	;; [unrolled: 1-line block ×5, first 2 shown]
	v_cmp_eq_u32_e64 s[64:65], 12, v80
	v_cndmask_b32_e64 v1, v1, v19, s[18:19]
	v_cndmask_b32_e64 v0, v0, v55, s[38:39]
	v_cndmask_b32_e64 v7, v7, v5, s[22:23]
	v_cndmask_b32_e64 v54, v54, v36, s[64:65]
	v_cmp_eq_u32_e64 s[66:67], 13, v80
	v_cndmask_b32_e64 v1, v1, v20, s[24:25]
	v_cndmask_b32_e64 v0, v0, v6, s[44:45]
	v_cndmask_b32_e64 v8, v8, v5, s[20:21]
	v_cndmask_b32_e64 v54, v54, v35, s[66:67]
	;; [unrolled: 5-line block ×4, first 2 shown]
	v_cndmask_b32_e64 v1, v1, v23, s[52:53]
	v_cndmask_b32_e64 v0, v0, v9, s[68:69]
	ds_bpermute_b32 v54, v90, v54
	v_cndmask_b32_e64 v1, v1, v24, s[48:49]
	v_cndmask_b32_e64 v0, v0, v10, s[72:73]
	;; [unrolled: 1-line block ×9, first 2 shown]
	v_cmp_eq_u32_e64 s[20:21], 0, v80
	v_cndmask_b32_e64 v1, v1, v28, s[82:83]
	v_cndmask_b32_e64 v0, v0, v14, s[86:87]
	s_waitcnt lgkmcnt(0)
	v_cndmask_b32_e32 v47, v47, v54, vcc
	v_cndmask_b32_e64 v1, v1, v29, s[84:85]
	v_cndmask_b32_e64 v0, v0, v15, s[88:89]
	;; [unrolled: 1-line block ×3, first 2 shown]
	v_cmp_eq_u32_e64 s[16:17], 1, v81
	v_cndmask_b32_e64 v46, v46, v54, s[8:9]
	v_cndmask_b32_e64 v1, v1, v30, s[86:87]
	ds_bpermute_b32 v62, v90, v0
	v_cndmask_b32_e64 v0, v17, v47, s[16:17]
	v_cmp_eq_u32_e64 s[22:23], 2, v81
	v_cndmask_b32_e64 v45, v45, v54, s[10:11]
	v_cndmask_b32_e64 v1, v1, v31, s[88:89]
	;; [unrolled: 1-line block ×3, first 2 shown]
	v_cmp_eq_u32_e64 s[26:27], 3, v81
	v_cndmask_b32_e64 v44, v44, v54, s[12:13]
	ds_bpermute_b32 v60, v90, v1
	v_cndmask_b32_e64 v0, v0, v45, s[26:27]
	v_cmp_eq_u32_e64 s[28:29], 4, v81
	v_cndmask_b32_e64 v43, v43, v54, s[40:41]
	v_cmp_eq_u32_e64 s[30:31], 5, v81
	v_cndmask_b32_e64 v0, v0, v44, s[28:29]
	v_cndmask_b32_e64 v42, v42, v54, s[46:47]
	;; [unrolled: 1-line block ×3, first 2 shown]
	v_cmp_eq_u32_e64 s[34:35], 6, v81
	v_cndmask_b32_e64 v41, v41, v54, s[54:55]
	v_cmp_eq_u32_e64 s[36:37], 7, v81
	v_cndmask_b32_e64 v0, v0, v42, s[34:35]
	v_cndmask_b32_e64 v40, v40, v54, s[56:57]
	;; [unrolled: 1-line block ×3, first 2 shown]
	v_cmp_eq_u32_e64 s[42:43], 8, v81
	v_cndmask_b32_e64 v39, v39, v54, s[58:59]
	s_waitcnt lgkmcnt(0)
	v_cndmask_b32_e64 v24, v24, v60, s[48:49]
	v_cndmask_b32_e64 v0, v0, v40, s[42:43]
	;; [unrolled: 1-line block ×3, first 2 shown]
	v_cmp_eq_u32_e64 s[48:49], 9, v81
	v_cndmask_b32_e64 v38, v38, v54, s[60:61]
	v_cndmask_b32_e64 v23, v23, v60, s[52:53]
	;; [unrolled: 1-line block ×4, first 2 shown]
	v_cmp_eq_u32_e64 s[52:53], 10, v81
	v_cndmask_b32_e64 v33, v33, v54, s[74:75]
	v_cndmask_b32_e64 v34, v34, v54, s[70:71]
	;; [unrolled: 1-line block ×8, first 2 shown]
	v_cmp_eq_u32_e64 s[44:45], 11, v81
	v_cndmask_b32_e64 v21, v21, v60, s[38:39]
	v_cndmask_b32_e64 v55, v55, v62, s[38:39]
	v_cndmask_b32_e64 v0, v0, v37, s[44:45]
	v_cmp_eq_u32_e64 s[38:39], 12, v81
	v_cndmask_b32_e64 v20, v20, v60, s[24:25]
	v_cndmask_b32_e64 v57, v57, v62, s[24:25]
	v_cndmask_b32_e64 v0, v0, v36, s[38:39]
	;; [unrolled: 4-line block ×5, first 2 shown]
	ds_bpermute_b32 v18, v90, v0
	v_cndmask_b32_e64 v9, v9, v62, s[68:69]
	v_cndmask_b32_e64 v26, v26, v60, s[72:73]
	v_cndmask_b32_e64 v10, v10, v62, s[72:73]
	v_cndmask_b32_e64 v27, v27, v60, s[78:79]
	s_waitcnt lgkmcnt(0)
	v_cndmask_b32_e64 v1, v43, v18, s[30:31]
	v_cndmask_b32_e64 v2, v44, v18, s[28:29]
	;; [unrolled: 1-line block ×8, first 2 shown]
	v_cndmask_b32_e32 v45, v32, v43, vcc
	v_cndmask_b32_e32 v47, v46, v44, vcc
	v_cndmask_b32_e64 v45, v45, v5, s[8:9]
	v_cndmask_b32_e64 v47, v47, v6, s[8:9]
	;; [unrolled: 1-line block ×37, first 2 shown]
	ds_bpermute_b32 v45, v90, v45
	ds_bpermute_b32 v47, v90, v47
	v_cmp_eq_u32_e64 s[6:7], 0, v81
	v_cndmask_b32_e64 v33, v33, v18, s[14:15]
	v_cndmask_b32_e64 v34, v34, v18, s[18:19]
	;; [unrolled: 1-line block ×11, first 2 shown]
	v_cmp_eq_u32_e64 s[50:51], 1, v82
	v_cmp_eq_u32_e64 s[68:69], 2, v82
	s_waitcnt lgkmcnt(0)
	v_cndmask_b32_e64 v17, v15, v47, s[74:75]
	v_cndmask_b32_e64 v58, v18, v0, s[50:51]
	;; [unrolled: 1-line block ×5, first 2 shown]
	v_cmp_eq_u32_e64 s[70:71], 3, v82
	v_cndmask_b32_e64 v29, v29, v45, s[66:67]
	v_cndmask_b32_e64 v59, v13, v47, s[66:67]
	v_cndmask_b32_e64 v14, v15, v3, s[70:71]
	v_cmp_eq_u32_e64 s[66:67], 4, v82
	v_cndmask_b32_e64 v28, v28, v45, s[64:65]
	v_cndmask_b32_e64 v60, v12, v47, s[64:65]
	v_cndmask_b32_e64 v13, v14, v2, s[66:67]
	;; [unrolled: 4-line block ×12, first 2 shown]
	v_cmp_eq_u32_e64 s[8:9], 15, v82
	v_cndmask_b32_e32 v43, v43, v45, vcc
	v_cndmask_b32_e64 v32, v32, v45, s[20:21]
	v_cndmask_b32_e64 v4, v4, v33, s[8:9]
	ds_bpermute_b32 v69, v90, v4
	v_cndmask_b32_e64 v4, v32, v43, s[16:17]
	v_cndmask_b32_e64 v4, v4, v67, s[22:23]
	;; [unrolled: 1-line block ×16, first 2 shown]
	s_waitcnt lgkmcnt(0)
	v_cndmask_b32_e64 v15, v33, v69, s[8:9]
	ds_bpermute_b32 v33, v90, v4
	v_cndmask_b32_e64 v13, v35, v69, s[12:13]
	v_cndmask_b32_e64 v14, v34, v69, s[10:11]
	;; [unrolled: 1-line block ×4, first 2 shown]
	s_waitcnt lgkmcnt(0)
	v_cndmask_b32_e64 v35, v43, v33, s[16:17]
	v_cndmask_b32_e64 v32, v32, v33, s[6:7]
	;; [unrolled: 1-line block ×32, first 2 shown]
	ds_bpermute_b32 v33, v90, v1
	v_cndmask_b32_e32 v44, v44, v47, vcc
	v_cndmask_b32_e64 v12, v36, v69, s[40:41]
	v_cndmask_b32_e64 v36, v46, v47, s[20:21]
	;; [unrolled: 1-line block ×3, first 2 shown]
	s_waitcnt lgkmcnt(0)
	v_cndmask_b32_e64 v31, v16, v33, s[8:9]
	v_cndmask_b32_e64 v16, v36, v44, s[16:17]
	;; [unrolled: 1-line block ×16, first 2 shown]
	ds_bpermute_b32 v16, v90, v16
	v_cndmask_b32_e64 v9, v39, v69, s[56:57]
	v_cndmask_b32_e64 v11, v37, v69, s[46:47]
	;; [unrolled: 1-line block ×4, first 2 shown]
	s_waitcnt lgkmcnt(0)
	v_cndmask_b32_e64 v38, v58, v16, s[18:19]
	v_cndmask_b32_e64 v39, v59, v16, s[24:25]
	;; [unrolled: 1-line block ×32, first 2 shown]
	ds_bpermute_b32 v65, v90, v16
	v_readlane_b32 s6, v101, 30
	v_cmp_eq_u32_e32 vcc, 0, v82
	v_readlane_b32 s7, v101, 31
	v_readlane_b32 s24, v101, 10
	v_readlane_b32 s26, v101, 12
	v_readlane_b32 s34, v101, 17
	v_subrev_u32_e32 v91, s4, v91
	s_mov_b32 s1, 0
	v_cndmask_b32_e64 v3, v3, v69, s[70:71]
	v_cndmask_b32_e64 v1, v0, v69, s[50:51]
	v_cndmask_b32_e32 v0, v18, v69, vcc
	v_cndmask_b32_e64 v30, v30, v33, s[10:11]
	v_cndmask_b32_e64 v29, v29, v33, s[12:13]
	;; [unrolled: 1-line block ×14, first 2 shown]
	v_cndmask_b32_e32 v16, v32, v33, vcc
	s_waitcnt lgkmcnt(0)
	v_cndmask_b32_e64 v47, v37, v65, s[8:9]
	v_cndmask_b32_e64 v46, v38, v65, s[10:11]
	;; [unrolled: 1-line block ×15, first 2 shown]
	v_cndmask_b32_e32 v32, v64, v65, vcc
	v_lshl_add_u64 v[54:55], s[6:7], 0, v[48:49]
	s_mov_b64 s[6:7], 0
	s_mov_b32 s16, 0
	v_readlane_b32 s25, v101, 11
	v_readlane_b32 s27, v101, 13
	;; [unrolled: 1-line block ×11, first 2 shown]
	s_mov_b64 s[20:21], 0x80
                                        ; implicit-def: $sgpr8_sgpr9
	s_branch .LBB279_29
.LBB279_27:                             ;   in Loop: Header=BB279_29 Depth=2
	s_or_b64 exec, exec, s[12:13]
	s_andn2_b64 s[8:9], s[8:9], exec
	s_and_b64 s[12:13], s[14:15], exec
	s_or_b64 s[8:9], s[8:9], s[12:13]
.LBB279_28:                             ;   in Loop: Header=BB279_29 Depth=2
	s_or_b64 exec, exec, s[10:11]
	s_and_b64 s[10:11], exec, s[8:9]
	s_or_b64 s[6:7], s[10:11], s[6:7]
	s_andn2_b64 exec, exec, s[6:7]
	s_cbranch_execz .LBB279_32
.LBB279_29:                             ;   Parent Loop BB279_7 Depth=1
                                        ; =>  This Inner Loop Header: Depth=2
	s_and_b32 s12, s1, 24
	v_or_b32_e32 v57, s12, v88
	v_add_u32_e32 v58, s5, v57
	v_cmp_gt_u32_e32 vcc, 32, v58
	s_or_b64 s[8:9], s[8:9], exec
	s_and_saveexec_b64 s[10:11], vcc
	s_cbranch_execz .LBB279_28
; %bb.30:                               ;   in Loop: Header=BB279_29 Depth=2
	s_add_i32 s13, s16, 1
	s_set_gpr_idx_on s16, gpr_idx(SRC0)
	v_mov_b32_e32 v58, v0
	s_set_gpr_idx_off
	v_cvt_f16_f32_e32 v60, v58
	s_set_gpr_idx_on s13, gpr_idx(SRC0)
	v_mov_b32_e32 v58, v0
	s_set_gpr_idx_off
	v_cvt_f16_f32_sdwa v61, v58 dst_sel:WORD_1 dst_unused:UNUSED_PAD src0_sel:DWORD
	v_mul_lo_u32 v58, v57, s93
	v_ashrrev_i32_e32 v59, 31, v58
	v_lshl_add_u64 v[58:59], v[58:59], 1, v[54:55]
	v_or_b32_e32 v57, v61, v60
	;;#ASMSTART
	global_atomic_pk_add_f16 v[58:59], v57, off
	
	;;#ASMEND
	s_set_gpr_idx_on s16, gpr_idx(SRC0)
	v_mov_b32_e32 v57, v16
	s_set_gpr_idx_off
	v_cvt_f16_f32_e32 v57, v57
	s_set_gpr_idx_on s13, gpr_idx(SRC0)
	v_mov_b32_e32 v60, v16
	s_set_gpr_idx_off
	v_cvt_f16_f32_sdwa v62, v60 dst_sel:WORD_1 dst_unused:UNUSED_PAD src0_sel:DWORD
	v_lshl_add_u64 v[60:61], v[58:59], 0, 64
	v_lshl_add_u64 v[58:59], v[58:59], 0, s[20:21]
	s_mov_b64 s[14:15], -1
	v_or_b32_e32 v57, v62, v57
	;;#ASMSTART
	global_atomic_pk_add_f16 v[60:61], v57, off
	
	;;#ASMEND
	s_set_gpr_idx_on s16, gpr_idx(SRC0)
	v_mov_b32_e32 v57, v32
	s_set_gpr_idx_off
	v_cvt_f16_f32_e32 v57, v57
	s_set_gpr_idx_on s13, gpr_idx(SRC0)
	v_mov_b32_e32 v60, v32
	s_set_gpr_idx_off
	v_cvt_f16_f32_sdwa v60, v60 dst_sel:WORD_1 dst_unused:UNUSED_PAD src0_sel:DWORD
	s_nop 0
	v_or_b32_e32 v57, v60, v57
	;;#ASMSTART
	global_atomic_pk_add_f16 v[58:59], v57, off
	
	;;#ASMEND
	v_or_b32_e32 v57, s12, v89
	v_add_u32_e32 v58, s5, v57
	v_cmp_gt_u32_e32 vcc, 32, v58
	s_and_saveexec_b64 s[12:13], vcc
	s_cbranch_execz .LBB279_27
; %bb.31:                               ;   in Loop: Header=BB279_29 Depth=2
	s_add_i32 s14, s16, 2
	s_add_i32 s15, s16, 3
	s_set_gpr_idx_on s14, gpr_idx(SRC0)
	v_mov_b32_e32 v58, v0
	s_set_gpr_idx_off
	v_cvt_f16_f32_e32 v60, v58
	s_set_gpr_idx_on s15, gpr_idx(SRC0)
	v_mov_b32_e32 v58, v0
	s_set_gpr_idx_off
	v_cvt_f16_f32_sdwa v61, v58 dst_sel:WORD_1 dst_unused:UNUSED_PAD src0_sel:DWORD
	v_mul_lo_u32 v58, v57, s93
	v_ashrrev_i32_e32 v59, 31, v58
	v_lshl_add_u64 v[58:59], v[58:59], 1, v[54:55]
	v_or_b32_e32 v57, v61, v60
	;;#ASMSTART
	global_atomic_pk_add_f16 v[58:59], v57, off
	
	;;#ASMEND
	s_set_gpr_idx_on s14, gpr_idx(SRC0)
	v_mov_b32_e32 v57, v16
	s_set_gpr_idx_off
	v_cvt_f16_f32_e32 v57, v57
	s_set_gpr_idx_on s15, gpr_idx(SRC0)
	v_mov_b32_e32 v60, v16
	s_set_gpr_idx_off
	v_cvt_f16_f32_sdwa v62, v60 dst_sel:WORD_1 dst_unused:UNUSED_PAD src0_sel:DWORD
	v_lshl_add_u64 v[60:61], v[58:59], 0, 64
	s_add_i32 s16, s16, 4
	s_add_i32 s1, s1, 8
	v_or_b32_e32 v57, v62, v57
	;;#ASMSTART
	global_atomic_pk_add_f16 v[60:61], v57, off
	
	;;#ASMEND
	s_set_gpr_idx_on s14, gpr_idx(SRC0)
	v_mov_b32_e32 v57, v32
	s_set_gpr_idx_off
	v_cvt_f16_f32_e32 v57, v57
	s_set_gpr_idx_on s15, gpr_idx(SRC0)
	v_mov_b32_e32 v60, v32
	s_set_gpr_idx_off
	v_cvt_f16_f32_sdwa v60, v60 dst_sel:WORD_1 dst_unused:UNUSED_PAD src0_sel:DWORD
	s_cmp_eq_u32 s16, 16
	s_cselect_b64 s[14:15], -1, 0
	s_orn2_b64 s[14:15], s[14:15], exec
	v_lshl_add_u64 v[58:59], v[58:59], 0, s[20:21]
	v_or_b32_e32 v57, v60, v57
	;;#ASMSTART
	global_atomic_pk_add_f16 v[58:59], v57, off
	
	;;#ASMEND
	s_branch .LBB279_27
.LBB279_32:                             ;   in Loop: Header=BB279_7 Depth=1
	s_or_b64 exec, exec, s[6:7]
	v_readlane_b32 s16, v101, 2
	v_readlane_b32 s14, v101, 0
	;; [unrolled: 1-line block ×11, first 2 shown]
.LBB279_33:                             ;   in Loop: Header=BB279_7 Depth=1
	v_readlane_b32 s6, v101, 27
	v_readlane_b32 s7, v101, 28
	s_or_b64 exec, exec, s[6:7]
.LBB279_34:                             ;   in Loop: Header=BB279_7 Depth=1
	s_or_saveexec_b64 s[2:3], s[2:3]
	v_readlane_b32 s13, v101, 26
	s_xor_b64 exec, exec, s[2:3]
	s_cbranch_execz .LBB279_43
; %bb.35:                               ;   in Loop: Header=BB279_7 Depth=1
	s_mul_i32 s12, s4, 3
	v_cmp_gt_i32_e32 vcc, s12, v91
	s_and_saveexec_b64 s[6:7], vcc
	s_cbranch_execz .LBB279_42
; %bb.36:                               ;   in Loop: Header=BB279_7 Depth=1
	s_mul_i32 s0, s0, s95
	s_ashr_i32 s1, s0, 31
	s_add_u32 s0, s18, s0
	s_addc_u32 s1, s19, s1
	s_ashr_i32 s8, s13, 31
	s_add_u32 s0, s0, s13
	s_addc_u32 s1, s1, s8
	v_lshl_add_u64 v[0:1], s[0:1], 0, v[52:53]
	v_lshl_add_u64 v[16:17], v[0:1], 0, v[50:51]
	s_mov_b64 s[0:1], 0
	s_branch .LBB279_38
.LBB279_37:                             ;   in Loop: Header=BB279_38 Depth=2
	s_or_b64 exec, exec, s[8:9]
	v_lshl_add_u32 v20, v18, 12, v85
	;;#ASMSTART
	s_waitcnt vmcnt(3)
	;;#ASMEND
	ds_write2_b32 v20, v12, v13 offset1:32
	ds_write2_b32 v20, v14, v15 offset0:64 offset1:96
	v_add_u32_e32 v12, 0x400, v20
	;;#ASMSTART
	s_waitcnt vmcnt(2)
	;;#ASMEND
	ds_write2_b32 v12, v8, v9 offset1:32
	ds_write2_b32 v12, v10, v11 offset0:64 offset1:96
	v_add_u32_e32 v8, 0x800, v20
	;; [unrolled: 6-line block ×3, first 2 shown]
	v_add_u32_e32 v91, s98, v91
	;;#ASMSTART
	s_waitcnt vmcnt(0)
	;;#ASMEND
	ds_write2_b32 v4, v0, v1 offset1:32
	ds_write2_b32 v4, v2, v3 offset0:64 offset1:96
	v_add_u32_e32 v0, 1, v71
	v_add_u32_e32 v56, s98, v18
	v_cmp_le_i32_e32 vcc, s12, v91
	ds_write_b32 v19, v0 offset:24
	v_add_u32_e32 v0, 2, v71
	s_or_b64 s[0:1], vcc, s[0:1]
	v_cmp_lt_i32_e32 vcc, 5, v56
	s_nop 1
	v_cndmask_b32_e32 v71, v71, v0, vcc
	s_andn2_b64 exec, exec, s[0:1]
	s_cbranch_execz .LBB279_41
.LBB279_38:                             ;   Parent Loop BB279_7 Depth=1
                                        ; =>  This Loop Header: Depth=2
                                        ;       Child Loop BB279_40 Depth 3
	v_cmp_gt_i32_e32 vcc, 6, v56
	s_nop 1
	v_cndmask_b32_e64 v0, -6, 0, vcc
	v_add_u32_e32 v18, v0, v56
	v_mul_hi_i32 v0, v91, s91
	v_lshrrev_b32_e32 v1, 31, v0
	v_add_u32_e32 v0, v0, v1
	v_lshl_add_u32 v1, v0, 1, v0
	v_sub_u32_e32 v2, v91, v1
	v_lshlrev_b32_e32 v0, 7, v0
	v_ashrrev_i32_e32 v1, 31, v0
	v_mul_lo_u32 v2, s31, v2
	v_lshl_add_u64 v[0:1], v[16:17], 0, v[0:1]
	v_ashrrev_i32_e32 v3, 31, v2
	v_lshl_add_u64 v[0:1], v[0:1], 0, v[2:3]
	v_lshlrev_b32_e32 v19, 2, v18
	;;#ASMSTART
	global_load_dwordx4 v[12:15], v[0:1], off offset:0   sc0 sc1 nt  
	global_load_dwordx4 v[8:11], v[0:1], off offset:32  sc0 sc1 nt  
	global_load_dwordx4 v[4:7], v[0:1], off offset:64  sc0 sc1 nt  
	;; [unrolled: 1-line block ×3, first 2 shown]
	
	;;#ASMEND
	ds_read_b32 v20, v19 offset:49176
	v_add_u32_e32 v19, 0xc000, v19
	s_waitcnt lgkmcnt(0)
	v_cmp_ne_u32_e32 vcc, v20, v71
	s_and_saveexec_b64 s[8:9], vcc
	s_cbranch_execz .LBB279_37
; %bb.39:                               ;   in Loop: Header=BB279_38 Depth=2
	s_mov_b64 s[10:11], 0
.LBB279_40:                             ;   Parent Loop BB279_7 Depth=1
                                        ;     Parent Loop BB279_38 Depth=2
                                        ; =>    This Inner Loop Header: Depth=3
	;;#ASMSTART
	s_sleep 0
	;;#ASMEND
	ds_read_b32 v20, v19 offset:24
	s_waitcnt lgkmcnt(0)
	v_cmp_eq_u32_e32 vcc, v20, v71
	s_or_b64 s[10:11], vcc, s[10:11]
	s_andn2_b64 exec, exec, s[10:11]
	s_cbranch_execnz .LBB279_40
	s_branch .LBB279_37
.LBB279_41:                             ;   in Loop: Header=BB279_7 Depth=1
	s_or_b64 exec, exec, s[0:1]
.LBB279_42:                             ;   in Loop: Header=BB279_7 Depth=1
	s_or_b64 exec, exec, s[6:7]
	v_subrev_u32_e32 v91, s12, v91
.LBB279_43:                             ;   in Loop: Header=BB279_7 Depth=1
	s_or_b64 exec, exec, s[2:3]
.LBB279_44:                             ;   in Loop: Header=BB279_7 Depth=1
	v_readlane_b32 s0, v101, 24
	v_readlane_b32 s1, v101, 25
	s_andn2_saveexec_b64 s[0:1], s[0:1]
	s_cbranch_execz .LBB279_6
; %bb.45:                               ;   in Loop: Header=BB279_7 Depth=1
	s_mul_i32 s10, s4, 3
	v_cmp_gt_i32_e32 vcc, s10, v91
	s_and_saveexec_b64 s[2:3], vcc
	s_cbranch_execz .LBB279_5
; %bb.46:                               ;   in Loop: Header=BB279_7 Depth=1
	s_mul_i32 s4, s40, s94
	s_ashr_i32 s6, s4, 31
	s_add_u32 s4, s16, s4
	s_addc_u32 s7, s17, s6
	s_ashr_i32 s8, s13, 31
	s_add_u32 s6, s4, s13
	v_add_u32_e32 v2, s5, v72
	s_movk_i32 s4, 0x60
	v_cmp_gt_u32_e32 vcc, s4, v2
	s_addc_u32 s7, s7, s8
	v_sub_u32_e32 v18, 0x5f, v2
	v_cndmask_b32_e32 v0, 0, v86, vcc
	v_ashrrev_i32_e32 v1, 31, v0
	v_lshl_add_u64 v[0:1], s[6:7], 0, v[0:1]
	v_lshl_add_u64 v[16:17], v[0:1], 0, v[50:51]
	s_mov_b64 s[4:5], 0
	s_branch .LBB279_48
.LBB279_47:                             ;   in Loop: Header=BB279_48 Depth=2
	s_or_b64 exec, exec, s[6:7]
	v_lshl_or_b32 v21, v19, 12, v87
	;;#ASMSTART
	s_waitcnt vmcnt(3)
	;;#ASMEND
	ds_write2_b32 v21, v12, v13 offset1:32
	ds_write2_b32 v21, v14, v15 offset0:64 offset1:96
	v_add_u32_e32 v12, 0x400, v21
	;;#ASMSTART
	s_waitcnt vmcnt(2)
	;;#ASMEND
	ds_write2_b32 v12, v8, v9 offset1:32
	ds_write2_b32 v12, v10, v11 offset0:64 offset1:96
	v_add_u32_e32 v8, 0x800, v21
	;; [unrolled: 6-line block ×3, first 2 shown]
	v_add_u32_e32 v91, s97, v91
	;;#ASMSTART
	s_waitcnt vmcnt(0)
	;;#ASMEND
	ds_write2_b32 v4, v0, v1 offset1:32
	ds_write2_b32 v4, v2, v3 offset0:64 offset1:96
	v_add_u32_e32 v0, 1, v71
	v_add_u32_e32 v56, s97, v19
	v_cmp_le_i32_e32 vcc, s10, v91
	ds_write_b32 v20, v0
	v_add_u32_e32 v0, 2, v71
	s_or_b64 s[4:5], vcc, s[4:5]
	v_cmp_lt_i32_e32 vcc, 5, v56
	s_nop 1
	v_cndmask_b32_e32 v71, v71, v0, vcc
	s_andn2_b64 exec, exec, s[4:5]
	s_cbranch_execz .LBB279_4
.LBB279_48:                             ;   Parent Loop BB279_7 Depth=1
                                        ; =>  This Loop Header: Depth=2
                                        ;       Child Loop BB279_50 Depth 3
	v_cmp_gt_i32_e32 vcc, 6, v56
	s_nop 1
	v_cndmask_b32_e64 v0, -6, 0, vcc
	v_add_u32_e32 v19, v0, v56
	v_mul_hi_i32 v0, v91, s91
	v_lshrrev_b32_e32 v1, 31, v0
	v_add_u32_e32 v0, v0, v1
	v_lshl_add_u32 v1, v0, 1, v0
	v_sub_u32_e32 v1, v91, v1
	v_lshlrev_b32_e32 v1, 5, v1
	v_cmp_le_i32_e32 vcc, v1, v18
	v_lshlrev_b32_e32 v0, 7, v0
	v_lshlrev_b32_e32 v20, 2, v19
	v_cndmask_b32_e32 v2, 0, v1, vcc
	v_ashrrev_i32_e32 v1, 31, v0
	v_mul_lo_u32 v2, v2, s94
	v_lshl_add_u64 v[0:1], v[16:17], 0, v[0:1]
	v_ashrrev_i32_e32 v3, 31, v2
	v_lshl_add_u64 v[0:1], v[0:1], 0, v[2:3]
	;;#ASMSTART
	global_load_dwordx4 v[12:15], v[0:1], off offset:0   
	global_load_dwordx4 v[8:11], v[0:1], off offset:32  
	;; [unrolled: 1-line block ×4, first 2 shown]
	
	;;#ASMEND
	ds_read_b32 v21, v20 offset:49152
	v_add_u32_e32 v20, 0xc000, v20
	s_waitcnt lgkmcnt(0)
	v_cmp_ne_u32_e32 vcc, v21, v71
	s_and_saveexec_b64 s[6:7], vcc
	s_cbranch_execz .LBB279_47
; %bb.49:                               ;   in Loop: Header=BB279_48 Depth=2
	s_mov_b64 s[8:9], 0
.LBB279_50:                             ;   Parent Loop BB279_7 Depth=1
                                        ;     Parent Loop BB279_48 Depth=2
                                        ; =>    This Inner Loop Header: Depth=3
	;;#ASMSTART
	s_sleep 0
	;;#ASMEND
	ds_read_b32 v21, v20
	s_waitcnt lgkmcnt(0)
	v_cmp_eq_u32_e32 vcc, v21, v71
	s_or_b64 s[8:9], vcc, s[8:9]
	s_andn2_b64 exec, exec, s[8:9]
	s_cbranch_execnz .LBB279_50
	s_branch .LBB279_47
.LBB279_51:
	s_endpgm
	.section	.rodata,"a",@progbits
	.p2align	6, 0x0
	.amdhsa_kernel _Z19_skinny_gemm_kernelILi3ELi3ELi2ELi32ELi8EEvPKhS1_P6__halfPKfiiiiiiii
		.amdhsa_group_segment_fixed_size 49200
		.amdhsa_private_segment_fixed_size 0
		.amdhsa_kernarg_size 64
		.amdhsa_user_sgpr_count 2
		.amdhsa_user_sgpr_dispatch_ptr 0
		.amdhsa_user_sgpr_queue_ptr 0
		.amdhsa_user_sgpr_kernarg_segment_ptr 1
		.amdhsa_user_sgpr_dispatch_id 0
		.amdhsa_user_sgpr_kernarg_preload_length 0
		.amdhsa_user_sgpr_kernarg_preload_offset 0
		.amdhsa_user_sgpr_private_segment_size 0
		.amdhsa_uses_dynamic_stack 0
		.amdhsa_enable_private_segment 0
		.amdhsa_system_sgpr_workgroup_id_x 1
		.amdhsa_system_sgpr_workgroup_id_y 0
		.amdhsa_system_sgpr_workgroup_id_z 0
		.amdhsa_system_sgpr_workgroup_info 0
		.amdhsa_system_vgpr_workitem_id 0
		.amdhsa_next_free_vgpr 102
		.amdhsa_next_free_sgpr 100
		.amdhsa_accum_offset 104
		.amdhsa_reserve_vcc 1
		.amdhsa_float_round_mode_32 0
		.amdhsa_float_round_mode_16_64 0
		.amdhsa_float_denorm_mode_32 3
		.amdhsa_float_denorm_mode_16_64 3
		.amdhsa_dx10_clamp 1
		.amdhsa_ieee_mode 1
		.amdhsa_fp16_overflow 0
		.amdhsa_tg_split 0
		.amdhsa_exception_fp_ieee_invalid_op 0
		.amdhsa_exception_fp_denorm_src 0
		.amdhsa_exception_fp_ieee_div_zero 0
		.amdhsa_exception_fp_ieee_overflow 0
		.amdhsa_exception_fp_ieee_underflow 0
		.amdhsa_exception_fp_ieee_inexact 0
		.amdhsa_exception_int_div_zero 0
	.end_amdhsa_kernel
	.section	.text._Z19_skinny_gemm_kernelILi3ELi3ELi2ELi32ELi8EEvPKhS1_P6__halfPKfiiiiiiii,"axG",@progbits,_Z19_skinny_gemm_kernelILi3ELi3ELi2ELi32ELi8EEvPKhS1_P6__halfPKfiiiiiiii,comdat
.Lfunc_end279:
	.size	_Z19_skinny_gemm_kernelILi3ELi3ELi2ELi32ELi8EEvPKhS1_P6__halfPKfiiiiiiii, .Lfunc_end279-_Z19_skinny_gemm_kernelILi3ELi3ELi2ELi32ELi8EEvPKhS1_P6__halfPKfiiiiiiii
                                        ; -- End function
	.set _Z19_skinny_gemm_kernelILi3ELi3ELi2ELi32ELi8EEvPKhS1_P6__halfPKfiiiiiiii.num_vgpr, 102
	.set _Z19_skinny_gemm_kernelILi3ELi3ELi2ELi32ELi8EEvPKhS1_P6__halfPKfiiiiiiii.num_agpr, 0
	.set _Z19_skinny_gemm_kernelILi3ELi3ELi2ELi32ELi8EEvPKhS1_P6__halfPKfiiiiiiii.numbered_sgpr, 100
	.set _Z19_skinny_gemm_kernelILi3ELi3ELi2ELi32ELi8EEvPKhS1_P6__halfPKfiiiiiiii.num_named_barrier, 0
	.set _Z19_skinny_gemm_kernelILi3ELi3ELi2ELi32ELi8EEvPKhS1_P6__halfPKfiiiiiiii.private_seg_size, 0
	.set _Z19_skinny_gemm_kernelILi3ELi3ELi2ELi32ELi8EEvPKhS1_P6__halfPKfiiiiiiii.uses_vcc, 1
	.set _Z19_skinny_gemm_kernelILi3ELi3ELi2ELi32ELi8EEvPKhS1_P6__halfPKfiiiiiiii.uses_flat_scratch, 0
	.set _Z19_skinny_gemm_kernelILi3ELi3ELi2ELi32ELi8EEvPKhS1_P6__halfPKfiiiiiiii.has_dyn_sized_stack, 0
	.set _Z19_skinny_gemm_kernelILi3ELi3ELi2ELi32ELi8EEvPKhS1_P6__halfPKfiiiiiiii.has_recursion, 0
	.set _Z19_skinny_gemm_kernelILi3ELi3ELi2ELi32ELi8EEvPKhS1_P6__halfPKfiiiiiiii.has_indirect_call, 0
	.section	.AMDGPU.csdata,"",@progbits
; Kernel info:
; codeLenInByte = 12204
; TotalNumSgprs: 106
; NumVgprs: 102
; NumAgprs: 0
; TotalNumVgprs: 102
; ScratchSize: 0
; MemoryBound: 0
; FloatMode: 240
; IeeeMode: 1
; LDSByteSize: 49200 bytes/workgroup (compile time only)
; SGPRBlocks: 13
; VGPRBlocks: 12
; NumSGPRsForWavesPerEU: 106
; NumVGPRsForWavesPerEU: 102
; AccumOffset: 104
; Occupancy: 4
; WaveLimiterHint : 0
; COMPUTE_PGM_RSRC2:SCRATCH_EN: 0
; COMPUTE_PGM_RSRC2:USER_SGPR: 2
; COMPUTE_PGM_RSRC2:TRAP_HANDLER: 0
; COMPUTE_PGM_RSRC2:TGID_X_EN: 1
; COMPUTE_PGM_RSRC2:TGID_Y_EN: 0
; COMPUTE_PGM_RSRC2:TGID_Z_EN: 0
; COMPUTE_PGM_RSRC2:TIDIG_COMP_CNT: 0
; COMPUTE_PGM_RSRC3_GFX90A:ACCUM_OFFSET: 25
; COMPUTE_PGM_RSRC3_GFX90A:TG_SPLIT: 0
	.section	.text._Z19_skinny_gemm_kernelILi3ELi3ELi3ELi16ELi4EEvPKhS1_P6__halfPKfiiiiiiii,"axG",@progbits,_Z19_skinny_gemm_kernelILi3ELi3ELi3ELi16ELi4EEvPKhS1_P6__halfPKfiiiiiiii,comdat
	.protected	_Z19_skinny_gemm_kernelILi3ELi3ELi3ELi16ELi4EEvPKhS1_P6__halfPKfiiiiiiii ; -- Begin function _Z19_skinny_gemm_kernelILi3ELi3ELi3ELi16ELi4EEvPKhS1_P6__halfPKfiiiiiiii
	.globl	_Z19_skinny_gemm_kernelILi3ELi3ELi3ELi16ELi4EEvPKhS1_P6__halfPKfiiiiiiii
	.p2align	8
	.type	_Z19_skinny_gemm_kernelILi3ELi3ELi3ELi16ELi4EEvPKhS1_P6__halfPKfiiiiiiii,@function
_Z19_skinny_gemm_kernelILi3ELi3ELi3ELi16ELi4EEvPKhS1_P6__halfPKfiiiiiiii: ; @_Z19_skinny_gemm_kernelILi3ELi3ELi3ELi16ELi4EEvPKhS1_P6__halfPKfiiiiiiii
; %bb.0:
	v_cmp_gt_u32_e32 vcc, 18, v0
	v_lshlrev_b32_e32 v1, 2, v0
	s_and_saveexec_b64 s[4:5], vcc
; %bb.1:
	v_mov_b32_e32 v2, 0
	ds_write_b32 v1, v2 offset:36864
; %bb.2:
	s_or_b64 exec, exec, s[4:5]
	s_load_dwordx8 s[20:27], s[0:1], 0x20
	s_waitcnt lgkmcnt(0)
	s_barrier
	s_add_i32 s3, s20, 47
	s_add_i32 s4, s21, 47
	s_mul_hi_i32 s3, s3, 0x2aaaaaab
	s_lshr_b32 s5, s3, 31
	s_ashr_i32 s33, s3, 3
	s_mul_hi_i32 s3, s4, 0x2aaaaaab
	s_lshr_b32 s4, s3, 31
	s_ashr_i32 s50, s3, 3
	s_add_i32 s33, s33, s5
	s_add_i32 s50, s50, s4
	s_mul_i32 s3, s50, s33
	s_mul_i32 s3, s3, s24
	s_add_i32 s4, s3, 0x12f
	s_mul_hi_i32 s4, s4, 0x6bca1af3
	s_lshr_b32 s5, s4, 31
	s_ashr_i32 s4, s4, 7
	s_add_i32 s4, s4, s5
	s_add_i32 s5, s2, 1
	s_mul_i32 s5, s4, s5
	v_cvt_f64_i32_e32 v[2:3], s3
	v_cvt_f64_u32_e32 v[4:5], s5
	v_min_f64 v[2:3], v[2:3], v[4:5]
	v_cvt_i32_f64_e32 v37, v[2:3]
	s_mul_i32 s51, s4, s2
	v_cmp_ge_i32_e32 vcc, s51, v37
	s_cbranch_vccnz .LBB280_58
; %bb.3:
	v_lshrrev_b32_e32 v2, 6, v0
	s_add_i32 s4, s26, s25
	s_load_dwordx8 s[36:43], s[0:1], 0x0
	v_cmp_le_i32_e64 s[0:1], s4, v2
	v_mov_b32_e32 v3, s25
	v_cmp_le_i32_e64 s[2:3], s25, v2
	v_mov_b32_e32 v4, s26
	v_cndmask_b32_e64 v4, 0, v4, s[0:1]
	v_cndmask_b32_e64 v3, 0, v3, s[2:3]
	s_abs_i32 s5, s24
	v_add_u32_e32 v3, v3, v4
	v_cvt_f32_u32_e32 v4, s5
	v_sub_u32_e32 v50, v2, v3
	s_ashr_i32 s6, s22, 31
	s_lshr_b32 s6, s6, 25
	v_rcp_iflag_f32_e32 v3, v4
	s_sub_i32 s9, 0, s5
	s_add_i32 s6, s22, s6
	s_ashr_i32 s6, s6, 7
	v_mul_f32_e32 v3, 0x4f7ffffe, v3
	v_cvt_u32_f32_e32 v3, v3
	s_abs_i32 s8, s6
	s_xor_b32 s7, s6, s24
	s_ashr_i32 s7, s7, 31
	v_readfirstlane_b32 s10, v3
	s_mul_i32 s9, s9, s10
	s_mul_hi_u32 s9, s10, s9
	s_add_i32 s10, s10, s9
	s_mul_hi_u32 s9, s8, s10
	s_mul_i32 s10, s9, s5
	s_sub_i32 s8, s8, s10
	s_add_i32 s10, s9, 1
	s_sub_i32 s11, s8, s5
	s_cmp_ge_u32 s8, s5
	s_cselect_b32 s9, s10, s9
	s_cselect_b32 s8, s11, s8
	s_add_i32 s10, s9, 1
	s_cmp_ge_u32 s8, s5
	s_cselect_b32 s5, s10, s9
	s_xor_b32 s5, s5, s7
	s_sub_i32 s52, s5, s7
	s_add_i32 s24, s24, -1
	s_mul_i32 s5, s52, s24
	s_add_i32 s4, s4, s27
	s_sub_i32 s53, s6, s5
	v_cmp_gt_i32_e64 s[4:5], s4, v2
	v_lshlrev_b32_e32 v2, 1, v0
	v_lshlrev_b32_e32 v3, 4, v0
	v_and_b32_e32 v1, 60, v1
	v_and_b32_e32 v2, 64, v2
	v_and_b32_e32 v4, 0x100, v3
	v_or3_b32 v77, v1, v2, v4
	v_and_b32_e32 v1, 1, v0
	v_lshrrev_b32_e32 v4, 2, v0
	s_abs_i32 s54, s33
	v_and_or_b32 v83, v4, 12, v1
	v_cvt_f32_u32_e32 v4, s54
	v_lshlrev_b32_e32 v2, 1, v1
	v_and_b32_e32 v36, 14, v0
	v_sub_u32_e32 v2, v0, v2
	v_bitop3_b32 v79, v0, 1, v0 bitop3:0xc
	v_bitop3_b32 v80, v0, 3, 1 bitop3:0x6c
	v_and_b32_e32 v44, 48, v3
	v_bfe_u32 v86, v0, 2, 4
	v_and_b32_e32 v1, 60, v0
	v_lshlrev_b32_e32 v3, 8, v0
	v_lshlrev_b32_e32 v0, 6, v0
	v_and_b32_e32 v3, 0x200, v3
	v_and_b32_e32 v0, 64, v0
	v_or3_b32 v87, v1, v3, v0
	v_rcp_iflag_f32_e32 v0, v4
	s_abs_i32 s56, s50
	v_cvt_f32_u32_e32 v1, s56
	v_mad_u64_u32 v[38:39], s[6:7], s21, v83, v[36:37]
	v_mul_f32_e32 v0, 0x4f7ffffe, v0
	v_cvt_u32_f32_e32 v0, v0
	v_rcp_iflag_f32_e32 v1, v1
	s_lshl_b32 s6, s21, 4
	v_add_u32_e32 v40, s6, v38
	v_readfirstlane_b32 s7, v0
	v_mul_f32_e32 v0, 0x4f7ffffe, v1
	v_cvt_u32_f32_e32 v0, v0
	v_add_u32_e32 v42, s6, v40
	s_sub_i32 s6, 0, s54
	s_mul_i32 s6, s6, s7
	s_mul_hi_u32 s6, s7, s6
	v_add_u32_e32 v2, 1, v2
	s_add_i32 s58, s7, s6
	s_sub_i32 s6, 0, s56
	v_readfirstlane_b32 s7, v0
	v_mbcnt_lo_u32_b32 v0, -1, 0
	v_and_b32_e32 v2, 63, v2
	s_mul_i32 s6, s6, s7
	v_mbcnt_hi_u32_b32 v0, -1, v0
	v_mul_lo_u32 v46, s23, v86
	s_mul_hi_u32 s6, s7, s6
	v_and_or_b32 v0, v0, 64, v2
	v_cndmask_b32_e64 v76, 0, 1, s[0:1]
	v_or_b32_e32 v78, 0x4800, v77
	s_ashr_i32 s29, s21, 31
	s_mov_b32 s28, s21
	v_or_b32_e32 v81, 16, v36
	v_or_b32_e32 v82, 32, v36
	v_ashrrev_i32_e32 v39, 31, v38
	v_or_b32_e32 v84, 16, v83
	v_ashrrev_i32_e32 v41, 31, v40
	;; [unrolled: 2-line block ×3, first 2 shown]
	v_ashrrev_i32_e32 v47, 31, v46
	v_mov_b32_e32 v45, 0
	v_or_b32_e32 v88, 0x4800, v87
	s_lshl_b32 s55, s23, 4
	v_mul_lo_u32 v89, s22, v86
	s_ashr_i32 s57, s33, 31
	s_ashr_i32 s59, s50, 31
	s_add_i32 s60, s7, s6
	s_movk_i32 s61, 0x1800
	s_mov_b32 s62, 0x55555556
	v_lshlrev_b32_e32 v90, 2, v0
	v_mov_b32_e32 v91, v50
	s_branch .LBB280_7
.LBB280_4:                              ;   in Loop: Header=BB280_7 Depth=1
	s_or_b64 exec, exec, s[10:11]
.LBB280_5:                              ;   in Loop: Header=BB280_7 Depth=1
	s_or_b64 exec, exec, s[8:9]
	v_subrev_u32_e32 v91, s66, v91
.LBB280_6:                              ;   in Loop: Header=BB280_7 Depth=1
	s_or_b64 exec, exec, s[6:7]
	s_add_i32 s51, s51, 1
	v_cmp_ge_i32_e32 vcc, s51, v37
	s_cbranch_vccnz .LBB280_58
.LBB280_7:                              ; =>This Loop Header: Depth=1
                                        ;     Child Loop BB280_13 Depth 2
                                        ;       Child Loop BB280_15 Depth 3
                                        ;       Child Loop BB280_18 Depth 3
	;; [unrolled: 1-line block ×6, first 2 shown]
                                        ;     Child Loop BB280_45 Depth 2
                                        ;       Child Loop BB280_47 Depth 3
                                        ;     Child Loop BB280_55 Depth 2
                                        ;       Child Loop BB280_57 Depth 3
	s_abs_i32 s7, s51
	s_mul_hi_u32 s8, s7, s58
	s_mul_i32 s9, s8, s54
	s_ashr_i32 s6, s51, 31
	s_sub_i32 s7, s7, s9
	s_xor_b32 s6, s6, s57
	s_add_i32 s9, s8, 1
	s_sub_i32 s10, s7, s54
	s_cmp_ge_u32 s7, s54
	s_cselect_b32 s8, s9, s8
	s_cselect_b32 s7, s10, s7
	s_add_i32 s9, s8, 1
	s_cmp_ge_u32 s7, s54
	s_cselect_b32 s7, s9, s8
	s_xor_b32 s7, s7, s6
	s_sub_i32 s6, s7, s6
	s_abs_i32 s8, s6
	s_mul_hi_u32 s9, s8, s60
	s_mul_i32 s7, s6, s33
	s_mul_i32 s10, s9, s56
	s_sub_i32 s63, s51, s7
	s_ashr_i32 s7, s6, 31
	s_sub_i32 s8, s8, s10
	s_xor_b32 s7, s7, s59
	s_add_i32 s10, s9, 1
	s_sub_i32 s11, s8, s56
	s_cmp_ge_u32 s8, s56
	s_cselect_b32 s9, s10, s9
	s_cselect_b32 s8, s11, s8
	s_add_i32 s10, s9, 1
	s_cmp_ge_u32 s8, s56
	s_cselect_b32 s8, s10, s9
	s_xor_b32 s8, s8, s7
	s_sub_i32 s7, s8, s7
	s_mul_i32 s8, s7, s52
	s_lshl_b32 s64, s8, 7
	s_mul_i32 s63, s63, 48
	s_cmp_eq_u32 s7, s24
	s_cselect_b32 s66, s53, s52
	s_sub_i32 s8, s63, s20
	s_add_i32 s8, s8, 48
	s_max_i32 s65, s8, 0
	s_and_saveexec_b64 s[8:9], s[2:3]
	s_xor_b64 s[30:31], exec, s[8:9]
	s_cbranch_execz .LBB280_51
; %bb.8:                                ;   in Loop: Header=BB280_7 Depth=1
	s_mul_i32 s7, s7, s50
	s_sub_i32 s6, s6, s7
	s_mul_i32 s6, s6, 48
	s_sub_i32 s18, s6, s21
	s_add_i32 s18, s18, 48
	s_max_i32 s7, s18, 0
	s_sub_i32 s34, s6, s7
	s_and_saveexec_b64 s[6:7], s[0:1]
	s_xor_b64 s[44:45], exec, s[6:7]
	s_cbranch_execz .LBB280_41
; %bb.9:                                ;   in Loop: Header=BB280_7 Depth=1
	s_and_saveexec_b64 s[46:47], s[4:5]
	s_cbranch_execz .LBB280_40
; %bb.10:                               ;   in Loop: Header=BB280_7 Depth=1
	s_waitcnt lgkmcnt(0)
	global_load_dword v92, v45, s[42:43]
	v_mov_b32_e32 v35, 0
	v_cmp_gt_i32_e32 vcc, s66, v91
	v_mov_b32_e32 v34, v35
	v_mov_b32_e32 v33, v35
	;; [unrolled: 1-line block ×35, first 2 shown]
	s_and_saveexec_b64 s[6:7], vcc
	s_cbranch_execz .LBB280_32
; %bb.11:                               ;   in Loop: Header=BB280_7 Depth=1
	v_mov_b32_e32 v4, 0
	s_mov_b64 s[8:9], 0
	v_mov_b32_e32 v5, v4
	v_mov_b32_e32 v6, v4
	;; [unrolled: 1-line block ×35, first 2 shown]
	s_branch .LBB280_13
.LBB280_12:                             ;   in Loop: Header=BB280_13 Depth=2
	s_or_b64 exec, exec, s[10:11]
	v_add_u32_e32 v70, 0x1000, v95
	ds_read2_b32 v[66:67], v70 offset1:32
	v_add_u32_e32 v95, 0x1400, v95
	v_add_u32_e32 v91, s27, v91
	s_waitcnt lgkmcnt(0)
	v_mfma_f32_16x16x32_fp8_fp8 v[24:27], v[48:49], v[66:67], v[24:27]
	ds_read2_b32 v[48:49], v70 offset0:128 offset1:160
	ds_read2_b32 v[70:71], v95 offset1:32
	v_mfma_f32_16x16x32_fp8_fp8 v[12:15], v[56:57], v[66:67], v[12:15]
	v_mfma_f32_16x16x32_fp8_fp8 v[4:7], v[72:73], v[66:67], v[4:7]
	s_waitcnt lgkmcnt(1)
	v_mfma_f32_16x16x32_fp8_fp8 v[24:27], v[50:51], v[48:49], v[24:27]
	v_add_u32_e32 v50, s27, v93
	v_cmp_lt_i32_e32 vcc, 2, v50
	v_mfma_f32_16x16x32_fp8_fp8 v[12:15], v[58:59], v[48:49], v[12:15]
	v_mfma_f32_16x16x32_fp8_fp8 v[4:7], v[74:75], v[48:49], v[4:7]
	v_add_u32_e32 v48, 2, v76
	v_cndmask_b32_e32 v76, v76, v48, vcc
	v_cmp_le_i32_e32 vcc, s66, v91
	s_waitcnt lgkmcnt(0)
	v_mfma_f32_16x16x32_fp8_fp8 v[24:27], v[52:53], v[70:71], v[24:27]
	ds_read2_b32 v[52:53], v95 offset0:128 offset1:160
	s_or_b64 s[8:9], vcc, s[8:9]
	;;#ASMSTART
	s_waitcnt lgkmcnt(0)
	;;#ASMEND
	v_mfma_f32_16x16x32_fp8_fp8 v[12:15], v[60:61], v[70:71], v[12:15]
	ds_write_b32 v94, v96 offset:36908
	v_mfma_f32_16x16x32_fp8_fp8 v[4:7], v[68:69], v[70:71], v[4:7]
	s_waitcnt lgkmcnt(1)
	v_mfma_f32_16x16x32_fp8_fp8 v[24:27], v[54:55], v[52:53], v[24:27]
	v_mfma_f32_16x16x32_fp8_fp8 v[12:15], v[62:63], v[52:53], v[12:15]
	;; [unrolled: 1-line block ×3, first 2 shown]
	s_andn2_b64 exec, exec, s[8:9]
	s_cbranch_execz .LBB280_31
.LBB280_13:                             ;   Parent Loop BB280_7 Depth=1
                                        ; =>  This Loop Header: Depth=2
                                        ;       Child Loop BB280_15 Depth 3
                                        ;       Child Loop BB280_18 Depth 3
	;; [unrolled: 1-line block ×6, first 2 shown]
	v_cmp_gt_i32_e32 vcc, 3, v50
	s_nop 1
	v_cndmask_b32_e64 v48, -3, 0, vcc
	v_add_u32_e32 v93, v48, v50
	v_mul_lo_u32 v94, v93, 12
	ds_read_b32 v48, v94 offset:36900
	s_waitcnt lgkmcnt(0)
	v_cmp_ne_u32_e32 vcc, v48, v76
	s_and_saveexec_b64 s[10:11], vcc
	s_cbranch_execz .LBB280_16
; %bb.14:                               ;   in Loop: Header=BB280_13 Depth=2
	s_mov_b64 s[12:13], 0
.LBB280_15:                             ;   Parent Loop BB280_7 Depth=1
                                        ;     Parent Loop BB280_13 Depth=2
                                        ; =>    This Inner Loop Header: Depth=3
	;;#ASMSTART
	s_sleep 0
	;;#ASMEND
	ds_read_b32 v48, v94 offset:36900
	s_waitcnt lgkmcnt(0)
	v_cmp_eq_u32_e32 vcc, v48, v76
	s_or_b64 s[12:13], vcc, s[12:13]
	s_andn2_b64 exec, exec, s[12:13]
	s_cbranch_execnz .LBB280_15
.LBB280_16:                             ;   in Loop: Header=BB280_13 Depth=2
	s_or_b64 exec, exec, s[10:11]
	v_mul_lo_u32 v48, v93, s61
	v_add_u32_e32 v95, v78, v48
	v_add_u32_e32 v49, 0x400, v95
	ds_read2_b32 v[68:69], v95 offset1:32
	ds_read2_b32 v[64:65], v95 offset0:128 offset1:160
	ds_read2_b32 v[70:71], v49 offset1:32
	ds_read2_b32 v[66:67], v49 offset0:128 offset1:160
	;;#ASMSTART
	s_waitcnt lgkmcnt(0)
	;;#ASMEND
	ds_read_b32 v49, v94 offset:36864
	v_add_u32_e32 v96, 1, v76
	ds_write_b32 v94, v96 offset:36900
	s_waitcnt lgkmcnt(1)
	v_cmp_ne_u32_e32 vcc, v49, v76
	s_and_saveexec_b64 s[10:11], vcc
	s_cbranch_execz .LBB280_19
; %bb.17:                               ;   in Loop: Header=BB280_13 Depth=2
	s_mov_b64 s[12:13], 0
.LBB280_18:                             ;   Parent Loop BB280_7 Depth=1
                                        ;     Parent Loop BB280_13 Depth=2
                                        ; =>    This Inner Loop Header: Depth=3
	;;#ASMSTART
	s_sleep 0
	;;#ASMEND
	ds_read_b32 v49, v94 offset:36864
	s_waitcnt lgkmcnt(0)
	v_cmp_eq_u32_e32 vcc, v49, v76
	s_or_b64 s[12:13], vcc, s[12:13]
	s_andn2_b64 exec, exec, s[12:13]
	s_cbranch_execnz .LBB280_18
.LBB280_19:                             ;   in Loop: Header=BB280_13 Depth=2
	s_or_b64 exec, exec, s[10:11]
	v_add_u32_e32 v97, v77, v48
	ds_read2_b32 v[48:49], v97 offset1:32
	ds_read2_b32 v[50:51], v97 offset0:128 offset1:160
	v_add_u32_e32 v54, 0x400, v97
	ds_read2_b32 v[52:53], v54 offset1:32
	ds_read2_b32 v[54:55], v54 offset0:128 offset1:160
	ds_read_b32 v56, v94 offset:36868
	ds_write_b32 v94, v96 offset:36864
	s_waitcnt lgkmcnt(5)
	v_mfma_f32_16x16x32_fp8_fp8 v[32:35], v[48:49], v[68:69], v[32:35]
	s_waitcnt lgkmcnt(1)
	v_cmp_ne_u32_e32 vcc, v56, v76
	v_mfma_f32_16x16x32_fp8_fp8 v[32:35], v[50:51], v[64:65], v[32:35]
	v_mfma_f32_16x16x32_fp8_fp8 v[32:35], v[52:53], v[70:71], v[32:35]
	;; [unrolled: 1-line block ×3, first 2 shown]
	s_and_saveexec_b64 s[10:11], vcc
	s_cbranch_execz .LBB280_22
; %bb.20:                               ;   in Loop: Header=BB280_13 Depth=2
	s_mov_b64 s[12:13], 0
.LBB280_21:                             ;   Parent Loop BB280_7 Depth=1
                                        ;     Parent Loop BB280_13 Depth=2
                                        ; =>    This Inner Loop Header: Depth=3
	;;#ASMSTART
	s_sleep 0
	;;#ASMEND
	ds_read_b32 v56, v94 offset:36868
	s_waitcnt lgkmcnt(0)
	v_cmp_eq_u32_e32 vcc, v56, v76
	s_or_b64 s[12:13], vcc, s[12:13]
	s_andn2_b64 exec, exec, s[12:13]
	s_cbranch_execnz .LBB280_21
.LBB280_22:                             ;   in Loop: Header=BB280_13 Depth=2
	s_or_b64 exec, exec, s[10:11]
	v_add_u32_e32 v58, 0x800, v97
	ds_read2_b32 v[56:57], v58 offset1:32
	ds_read2_b32 v[58:59], v58 offset0:128 offset1:160
	v_add_u32_e32 v62, 0xc00, v97
	ds_read2_b32 v[60:61], v62 offset1:32
	ds_read2_b32 v[62:63], v62 offset0:128 offset1:160
	ds_read_b32 v72, v94 offset:36872
	ds_write_b32 v94, v96 offset:36868
	s_waitcnt lgkmcnt(5)
	v_mfma_f32_16x16x32_fp8_fp8 v[20:23], v[56:57], v[68:69], v[20:23]
	s_waitcnt lgkmcnt(1)
	v_cmp_ne_u32_e32 vcc, v72, v76
	v_mfma_f32_16x16x32_fp8_fp8 v[20:23], v[58:59], v[64:65], v[20:23]
	v_mfma_f32_16x16x32_fp8_fp8 v[20:23], v[60:61], v[70:71], v[20:23]
	v_mfma_f32_16x16x32_fp8_fp8 v[20:23], v[62:63], v[66:67], v[20:23]
	s_and_saveexec_b64 s[10:11], vcc
	s_cbranch_execz .LBB280_25
; %bb.23:                               ;   in Loop: Header=BB280_13 Depth=2
	s_mov_b64 s[12:13], 0
.LBB280_24:                             ;   Parent Loop BB280_7 Depth=1
                                        ;     Parent Loop BB280_13 Depth=2
                                        ; =>    This Inner Loop Header: Depth=3
	;;#ASMSTART
	s_sleep 0
	;;#ASMEND
	ds_read_b32 v72, v94 offset:36872
	s_waitcnt lgkmcnt(0)
	v_cmp_eq_u32_e32 vcc, v72, v76
	s_or_b64 s[12:13], vcc, s[12:13]
	s_andn2_b64 exec, exec, s[12:13]
	s_cbranch_execnz .LBB280_24
.LBB280_25:                             ;   in Loop: Header=BB280_13 Depth=2
	s_or_b64 exec, exec, s[10:11]
	v_add_u32_e32 v74, 0x1000, v97
	ds_read2_b32 v[72:73], v74 offset1:32
	ds_read2_b32 v[74:75], v74 offset0:128 offset1:160
	v_add_u32_e32 v97, 0x1400, v97
	s_waitcnt lgkmcnt(1)
	v_mfma_f32_16x16x32_fp8_fp8 v[8:11], v[72:73], v[68:69], v[8:11]
	ds_read2_b32 v[68:69], v97 offset1:32
	s_waitcnt lgkmcnt(1)
	v_mfma_f32_16x16x32_fp8_fp8 v[8:11], v[74:75], v[64:65], v[8:11]
	s_waitcnt lgkmcnt(0)
	v_mfma_f32_16x16x32_fp8_fp8 v[8:11], v[68:69], v[70:71], v[8:11]
	ds_read2_b32 v[64:65], v97 offset0:128 offset1:160
	ds_read_b32 v70, v94 offset:36904
	ds_write_b32 v94, v96 offset:36872
	s_waitcnt lgkmcnt(1)
	v_cmp_ne_u32_e32 vcc, v70, v76
	v_mfma_f32_16x16x32_fp8_fp8 v[8:11], v[64:65], v[66:67], v[8:11]
	s_and_saveexec_b64 s[10:11], vcc
	s_cbranch_execz .LBB280_28
; %bb.26:                               ;   in Loop: Header=BB280_13 Depth=2
	s_mov_b64 s[12:13], 0
.LBB280_27:                             ;   Parent Loop BB280_7 Depth=1
                                        ;     Parent Loop BB280_13 Depth=2
                                        ; =>    This Inner Loop Header: Depth=3
	;;#ASMSTART
	s_sleep 0
	;;#ASMEND
	ds_read_b32 v66, v94 offset:36904
	s_waitcnt lgkmcnt(0)
	v_cmp_eq_u32_e32 vcc, v66, v76
	s_or_b64 s[12:13], vcc, s[12:13]
	s_andn2_b64 exec, exec, s[12:13]
	s_cbranch_execnz .LBB280_27
.LBB280_28:                             ;   in Loop: Header=BB280_13 Depth=2
	s_or_b64 exec, exec, s[10:11]
	v_add_u32_e32 v70, 0x800, v95
	ds_read2_b32 v[66:67], v70 offset1:32
	ds_read2_b32 v[70:71], v70 offset0:128 offset1:160
	v_add_u32_e32 v97, 0xc00, v95
	ds_read2_b32 v[98:99], v97 offset1:32
	ds_read2_b32 v[100:101], v97 offset0:128 offset1:160
	s_waitcnt lgkmcnt(3)
	v_mfma_f32_16x16x32_fp8_fp8 v[28:31], v[48:49], v[66:67], v[28:31]
	;;#ASMSTART
	s_waitcnt lgkmcnt(0)
	;;#ASMEND
	ds_write_b32 v94, v96 offset:36904
	v_mfma_f32_16x16x32_fp8_fp8 v[16:19], v[56:57], v[66:67], v[16:19]
	v_mfma_f32_16x16x32_fp8_fp8 v[0:3], v[72:73], v[66:67], v[0:3]
	ds_read_b32 v66, v94 offset:36908
	s_waitcnt lgkmcnt(0)
	v_cmp_ne_u32_e32 vcc, v66, v76
	v_mfma_f32_16x16x32_fp8_fp8 v[28:31], v[50:51], v[70:71], v[28:31]
	v_mfma_f32_16x16x32_fp8_fp8 v[16:19], v[58:59], v[70:71], v[16:19]
	;; [unrolled: 1-line block ×9, first 2 shown]
	s_and_saveexec_b64 s[10:11], vcc
	s_cbranch_execz .LBB280_12
; %bb.29:                               ;   in Loop: Header=BB280_13 Depth=2
	s_mov_b64 s[12:13], 0
.LBB280_30:                             ;   Parent Loop BB280_7 Depth=1
                                        ;     Parent Loop BB280_13 Depth=2
                                        ; =>    This Inner Loop Header: Depth=3
	;;#ASMSTART
	s_sleep 0
	;;#ASMEND
	ds_read_b32 v66, v94 offset:36908
	s_waitcnt lgkmcnt(0)
	v_cmp_eq_u32_e32 vcc, v66, v76
	s_or_b64 s[12:13], vcc, s[12:13]
	s_andn2_b64 exec, exec, s[12:13]
	s_cbranch_execnz .LBB280_30
	s_branch .LBB280_12
.LBB280_31:                             ;   in Loop: Header=BB280_7 Depth=1
	s_or_b64 exec, exec, s[8:9]
.LBB280_32:                             ;   in Loop: Header=BB280_7 Depth=1
	s_or_b64 exec, exec, s[6:7]
	v_cmp_le_i32_e32 vcc, s18, v36
	v_cmp_eq_u32_e64 s[6:7], 2, v79
	v_cmp_eq_u32_e64 s[8:9], 3, v79
	s_waitcnt vmcnt(0)
	v_cndmask_b32_e32 v48, 0, v92, vcc
	v_pk_mul_f32 v[32:33], v[48:49], v[32:33] op_sel_hi:[0,1]
	v_cmp_eq_u32_e32 vcc, 1, v79
	v_pk_mul_f32 v[52:53], v[48:49], v[34:35] op_sel_hi:[0,1]
	v_cmp_eq_u32_e64 s[10:11], 0, v79
	v_cndmask_b32_e32 v34, v32, v33, vcc
	v_cndmask_b32_e64 v34, v34, v52, s[6:7]
	v_cndmask_b32_e64 v34, v34, v53, s[8:9]
	ds_bpermute_b32 v49, v90, v34
	v_cmp_le_i32_e64 s[14:15], s18, v81
	v_cmp_eq_u32_e64 s[12:13], 1, v80
	v_cmp_le_i32_e64 s[18:19], s18, v82
	v_cmp_eq_u32_e64 s[16:17], 3, v80
	s_waitcnt lgkmcnt(0)
	v_cndmask_b32_e64 v34, v53, v49, s[8:9]
	v_cndmask_b32_e64 v35, v52, v49, s[6:7]
	v_cndmask_b32_e32 v33, v33, v49, vcc
	v_cndmask_b32_e64 v49, v32, v49, s[10:11]
	v_cndmask_b32_e64 v32, 0, v92, s[14:15]
	v_pk_mul_f32 v[28:29], v[32:33], v[28:29] op_sel_hi:[0,1]
	v_pk_mul_f32 v[52:53], v[32:33], v[30:31] op_sel_hi:[0,1]
	v_cndmask_b32_e32 v30, v28, v29, vcc
	v_cndmask_b32_e64 v30, v30, v52, s[6:7]
	v_cndmask_b32_e64 v30, v30, v53, s[8:9]
	ds_bpermute_b32 v55, v90, v30
	v_cndmask_b32_e64 v51, v49, v33, s[12:13]
	v_cmp_eq_u32_e64 s[14:15], 2, v80
	s_waitcnt lgkmcnt(0)
	v_cndmask_b32_e64 v31, v53, v55, s[8:9]
	v_cndmask_b32_e64 v30, v51, v35, s[14:15]
	;; [unrolled: 1-line block ×3, first 2 shown]
	v_cndmask_b32_e32 v54, v29, v55, vcc
	v_cndmask_b32_e64 v55, v28, v55, s[10:11]
	v_cndmask_b32_e64 v28, 0, v92, s[18:19]
	v_pk_mul_f32 v[56:57], v[28:29], v[24:25] op_sel_hi:[0,1]
	v_pk_mul_f32 v[52:53], v[28:29], v[26:27] op_sel_hi:[0,1]
	v_cndmask_b32_e32 v24, v56, v57, vcc
	v_cndmask_b32_e64 v24, v24, v52, s[6:7]
	v_cndmask_b32_e64 v24, v24, v53, s[8:9]
	ds_bpermute_b32 v25, v90, v24
	v_cndmask_b32_e64 v24, v55, v54, s[12:13]
	v_cndmask_b32_e64 v24, v24, v51, s[14:15]
	;; [unrolled: 1-line block ×3, first 2 shown]
	v_cmp_ne_u32_e32 vcc, 0, v79
	ds_bpermute_b32 v26, v90, v24
	s_waitcnt lgkmcnt(1)
	v_cndmask_b32_e64 v27, v53, v25, s[8:9]
	v_cndmask_b32_e64 v52, v52, v25, s[6:7]
	v_cndmask_b32_e32 v24, v57, v25, vcc
	v_cndmask_b32_e64 v25, v56, v25, s[10:11]
	v_cndmask_b32_e64 v29, v25, v24, s[12:13]
	;; [unrolled: 1-line block ×5, first 2 shown]
	ds_bpermute_b32 v30, v90, v30
	ds_bpermute_b32 v53, v90, v29
	v_add_u32_e32 v29, s65, v83
	v_cmp_gt_u32_e32 vcc, 48, v29
	s_and_saveexec_b64 s[18:19], vcc
	s_cbranch_execz .LBB280_39
; %bb.33:                               ;   in Loop: Header=BB280_7 Depth=1
	v_cmp_eq_u32_e64 s[8:9], 1, v80
	v_cmp_eq_u32_e64 s[10:11], 0, v80
	v_cmp_eq_u32_e32 vcc, 3, v80
	s_waitcnt lgkmcnt(1)
	v_cndmask_b32_e64 v33, v33, v30, s[8:9]
	v_cndmask_b32_e64 v54, v54, v26, s[8:9]
	s_waitcnt lgkmcnt(0)
	v_cndmask_b32_e64 v56, v24, v53, s[8:9]
	s_mul_i32 s8, s63, s21
	s_ashr_i32 s9, s8, 31
	v_cndmask_b32_e64 v49, v49, v30, s[10:11]
	s_lshl_b64 s[8:9], s[8:9], 1
	v_cndmask_b32_e64 v55, v55, v26, s[10:11]
	v_cndmask_b32_e64 v57, v25, v53, s[10:11]
	s_add_u32 s10, s40, s8
	v_cvt_f16_f32_e32 v49, v49
	v_cvt_f16_f32_sdwa v33, v33 dst_sel:WORD_1 dst_unused:UNUSED_PAD src0_sel:DWORD
	s_addc_u32 s11, s41, s9
	s_ashr_i32 s35, s34, 31
	s_lshl_b64 s[8:9], s[34:35], 1
	s_add_u32 s48, s10, s8
	s_addc_u32 s49, s11, s9
	v_or_b32_e32 v33, v33, v49
	v_lshl_add_u64 v[24:25], v[38:39], 1, s[48:49]
	;;#ASMSTART
	global_atomic_pk_add_f16 v[24:25], v33, off
	
	;;#ASMEND
	v_cvt_f16_f32_e32 v33, v55
	v_cvt_f16_f32_sdwa v49, v54 dst_sel:WORD_1 dst_unused:UNUSED_PAD src0_sel:DWORD
	v_cvt_f16_f32_e32 v57, v57
	v_cvt_f16_f32_sdwa v56, v56 dst_sel:WORD_1 dst_unused:UNUSED_PAD src0_sel:DWORD
	v_cmp_eq_u32_e64 s[6:7], 2, v80
	v_lshl_add_u64 v[54:55], v[24:25], 0, 32
	v_or_b32_e32 v33, v49, v33
	v_cmp_gt_u32_e64 s[8:9], 46, v29
	;;#ASMSTART
	global_atomic_pk_add_f16 v[54:55], v33, off
	
	;;#ASMEND
	v_lshl_add_u64 v[54:55], v[24:25], 0, 64
	v_or_b32_e32 v33, v56, v57
	;;#ASMSTART
	global_atomic_pk_add_f16 v[54:55], v33, off
	
	;;#ASMEND
	s_and_b64 exec, exec, s[8:9]
	s_cbranch_execz .LBB280_39
; %bb.34:                               ;   in Loop: Header=BB280_7 Depth=1
	v_cndmask_b32_e32 v34, v34, v30, vcc
	v_cndmask_b32_e64 v30, v35, v30, s[6:7]
	v_cndmask_b32_e32 v31, v31, v26, vcc
	v_cndmask_b32_e64 v26, v51, v26, s[6:7]
	v_cndmask_b32_e32 v35, v27, v53, vcc
	v_cvt_f16_f32_e32 v27, v30
	v_cvt_f16_f32_sdwa v30, v34 dst_sel:WORD_1 dst_unused:UNUSED_PAD src0_sel:DWORD
	v_cvt_f16_f32_e32 v34, v26
	v_cvt_f16_f32_sdwa v31, v31 dst_sel:WORD_1 dst_unused:UNUSED_PAD src0_sel:DWORD
	v_mov_b32_e32 v49, v48
	v_or_b32_e32 v26, v30, v27
	v_mov_b32_e32 v30, v48
	v_or_b32_e32 v34, v31, v34
	v_mov_b32_e32 v31, v48
	v_pk_mul_f32 v[22:23], v[30:31], v[22:23]
	v_pk_mul_f32 v[30:31], v[48:49], v[20:21]
	v_cmp_eq_u32_e32 vcc, 1, v79
	v_cndmask_b32_e64 v51, v52, v53, s[6:7]
	v_cmp_eq_u32_e64 s[6:7], 2, v79
	v_cndmask_b32_e32 v20, v30, v31, vcc
	v_lshl_add_u64 v[24:25], s[28:29], 2, v[24:25]
	v_cndmask_b32_e64 v20, v20, v22, s[6:7]
	v_cmp_eq_u32_e64 s[8:9], 3, v79
	;;#ASMSTART
	global_atomic_pk_add_f16 v[24:25], v26, off
	
	;;#ASMEND
	v_lshl_add_u64 v[26:27], v[24:25], 0, 32
	v_mov_b32_e32 v33, v32
	v_cndmask_b32_e64 v20, v20, v23, s[8:9]
	ds_bpermute_b32 v52, v90, v20
	;;#ASMSTART
	global_atomic_pk_add_f16 v[26:27], v34, off
	
	;;#ASMEND
	v_cvt_f16_f32_e32 v27, v51
	v_cvt_f16_f32_sdwa v51, v35 dst_sel:WORD_1 dst_unused:UNUSED_PAD src0_sel:DWORD
	v_lshl_add_u64 v[34:35], v[24:25], 0, 64
	v_mov_b32_e32 v24, v32
	v_mov_b32_e32 v25, v32
	v_pk_mul_f32 v[18:19], v[24:25], v[18:19]
	v_pk_mul_f32 v[24:25], v[32:33], v[16:17]
	v_cmp_eq_u32_e64 s[10:11], 0, v79
	v_cndmask_b32_e32 v16, v24, v25, vcc
	v_cndmask_b32_e64 v16, v16, v18, s[6:7]
	v_cndmask_b32_e64 v16, v16, v19, s[8:9]
	s_waitcnt lgkmcnt(0)
	v_cndmask_b32_e64 v20, v23, v52, s[8:9]
	v_cndmask_b32_e64 v23, v30, v52, s[10:11]
	ds_bpermute_b32 v30, v90, v16
	v_cndmask_b32_e64 v21, v22, v52, s[6:7]
	v_cndmask_b32_e32 v22, v31, v52, vcc
	v_cmp_eq_u32_e64 s[12:13], 1, v80
	v_mov_b32_e32 v29, v28
	v_cmp_eq_u32_e64 s[14:15], 2, v80
	v_cndmask_b32_e64 v26, v23, v22, s[12:13]
	s_waitcnt lgkmcnt(0)
	v_cndmask_b32_e64 v17, v19, v30, s[8:9]
	v_cndmask_b32_e64 v16, v26, v21, s[14:15]
	;; [unrolled: 1-line block ×3, first 2 shown]
	v_cndmask_b32_e32 v25, v25, v30, vcc
	v_cndmask_b32_e64 v26, v24, v30, s[10:11]
	v_mov_b32_e32 v30, v28
	v_mov_b32_e32 v31, v28
	v_pk_mul_f32 v[52:53], v[28:29], v[12:13]
	v_pk_mul_f32 v[30:31], v[30:31], v[14:15]
	v_cndmask_b32_e32 v12, v52, v53, vcc
	v_cndmask_b32_e64 v12, v12, v30, s[6:7]
	v_cndmask_b32_e64 v12, v12, v31, s[8:9]
	ds_bpermute_b32 v13, v90, v12
	v_cndmask_b32_e64 v12, v26, v25, s[12:13]
	v_cmp_eq_u32_e64 s[16:17], 3, v80
	v_cndmask_b32_e64 v12, v12, v18, s[14:15]
	v_cmp_ne_u32_e32 vcc, 0, v79
	v_cndmask_b32_e64 v12, v12, v17, s[16:17]
	ds_bpermute_b32 v14, v90, v12
	s_waitcnt lgkmcnt(1)
	v_cndmask_b32_e64 v15, v31, v13, s[8:9]
	v_cndmask_b32_e64 v19, v30, v13, s[6:7]
	v_cndmask_b32_e32 v12, v53, v13, vcc
	v_cndmask_b32_e64 v13, v52, v13, s[10:11]
	v_cndmask_b32_e64 v24, v13, v12, s[12:13]
	;; [unrolled: 1-line block ×5, first 2 shown]
	ds_bpermute_b32 v16, v90, v16
	ds_bpermute_b32 v24, v90, v24
	v_or_b32_e32 v27, v51, v27
	;;#ASMSTART
	global_atomic_pk_add_f16 v[34:35], v27, off
	
	;;#ASMEND
	v_add_u32_e32 v27, s65, v84
	v_cmp_gt_u32_e32 vcc, 48, v27
	s_and_b64 exec, exec, vcc
	s_cbranch_execz .LBB280_39
; %bb.35:                               ;   in Loop: Header=BB280_7 Depth=1
	v_cmp_eq_u32_e64 s[8:9], 1, v80
	v_cmp_eq_u32_e64 s[10:11], 0, v80
	v_cmp_eq_u32_e32 vcc, 3, v80
	s_waitcnt lgkmcnt(1)
	v_cndmask_b32_e64 v22, v22, v16, s[8:9]
	v_cndmask_b32_e64 v23, v23, v16, s[10:11]
	;; [unrolled: 1-line block ×4, first 2 shown]
	v_cvt_f16_f32_e32 v23, v23
	v_cvt_f16_f32_sdwa v22, v22 dst_sel:WORD_1 dst_unused:UNUSED_PAD src0_sel:DWORD
	s_waitcnt lgkmcnt(0)
	v_cndmask_b32_e64 v30, v12, v24, s[8:9]
	v_cndmask_b32_e64 v31, v13, v24, s[10:11]
	v_cvt_f16_f32_e32 v26, v26
	v_cvt_f16_f32_sdwa v25, v25 dst_sel:WORD_1 dst_unused:UNUSED_PAD src0_sel:DWORD
	v_cvt_f16_f32_e32 v31, v31
	v_cvt_f16_f32_sdwa v30, v30 dst_sel:WORD_1 dst_unused:UNUSED_PAD src0_sel:DWORD
	v_lshl_add_u64 v[12:13], v[40:41], 1, s[48:49]
	v_or_b32_e32 v22, v22, v23
	v_cmp_eq_u32_e64 s[6:7], 2, v80
	;;#ASMSTART
	global_atomic_pk_add_f16 v[12:13], v22, off
	
	;;#ASMEND
	v_lshl_add_u64 v[22:23], v[12:13], 0, 32
	v_or_b32_e32 v25, v25, v26
	v_cmp_gt_u32_e64 s[8:9], 46, v27
	;;#ASMSTART
	global_atomic_pk_add_f16 v[22:23], v25, off
	
	;;#ASMEND
	v_lshl_add_u64 v[22:23], v[12:13], 0, 64
	v_or_b32_e32 v25, v30, v31
	;;#ASMSTART
	global_atomic_pk_add_f16 v[22:23], v25, off
	
	;;#ASMEND
	s_and_b64 exec, exec, s[8:9]
	s_cbranch_execz .LBB280_39
; %bb.36:                               ;   in Loop: Header=BB280_7 Depth=1
	v_cndmask_b32_e32 v20, v20, v16, vcc
	v_cndmask_b32_e64 v16, v21, v16, s[6:7]
	v_cndmask_b32_e32 v17, v17, v14, vcc
	v_cndmask_b32_e64 v14, v18, v14, s[6:7]
	v_cndmask_b32_e32 v18, v15, v24, vcc
	v_cvt_f16_f32_e32 v15, v16
	v_cvt_f16_f32_sdwa v16, v20 dst_sel:WORD_1 dst_unused:UNUSED_PAD src0_sel:DWORD
	v_cvt_f16_f32_e32 v20, v14
	v_cvt_f16_f32_sdwa v17, v17 dst_sel:WORD_1 dst_unused:UNUSED_PAD src0_sel:DWORD
	v_cmp_eq_u32_e32 vcc, 1, v79
	v_or_b32_e32 v14, v16, v15
	v_mov_b32_e32 v16, v48
	v_or_b32_e32 v20, v17, v20
	v_mov_b32_e32 v17, v48
	v_pk_mul_f32 v[10:11], v[16:17], v[10:11]
	v_pk_mul_f32 v[16:17], v[48:49], v[8:9]
	v_cndmask_b32_e64 v19, v19, v24, s[6:7]
	v_cndmask_b32_e32 v8, v16, v17, vcc
	v_cmp_eq_u32_e64 s[6:7], 2, v79
	v_cmp_eq_u32_e64 s[8:9], 3, v79
	v_lshl_add_u64 v[12:13], s[28:29], 2, v[12:13]
	v_cndmask_b32_e64 v8, v8, v10, s[6:7]
	v_cndmask_b32_e64 v8, v8, v11, s[8:9]
	ds_bpermute_b32 v21, v90, v8
	;;#ASMSTART
	global_atomic_pk_add_f16 v[12:13], v14, off
	
	;;#ASMEND
	v_lshl_add_u64 v[14:15], v[12:13], 0, 32
	v_cmp_eq_u32_e64 s[10:11], 0, v79
	;;#ASMSTART
	global_atomic_pk_add_f16 v[14:15], v20, off
	
	;;#ASMEND
	v_cvt_f16_f32_e32 v20, v19
	v_cvt_f16_f32_sdwa v22, v18 dst_sel:WORD_1 dst_unused:UNUSED_PAD src0_sel:DWORD
	v_lshl_add_u64 v[18:19], v[12:13], 0, 64
	s_waitcnt lgkmcnt(0)
	v_cndmask_b32_e64 v8, v11, v21, s[8:9]
	v_cndmask_b32_e32 v11, v17, v21, vcc
	v_cndmask_b32_e64 v12, v16, v21, s[10:11]
	v_mov_b32_e32 v14, v32
	v_mov_b32_e32 v15, v32
	v_pk_mul_f32 v[16:17], v[32:33], v[0:1]
	v_pk_mul_f32 v[14:15], v[14:15], v[2:3]
	v_cndmask_b32_e32 v0, v16, v17, vcc
	v_cndmask_b32_e64 v0, v0, v14, s[6:7]
	v_cndmask_b32_e64 v0, v0, v15, s[8:9]
	ds_bpermute_b32 v1, v90, v0
	v_cmp_eq_u32_e64 s[12:13], 1, v80
	v_cndmask_b32_e64 v9, v10, v21, s[6:7]
	v_cmp_eq_u32_e64 s[14:15], 2, v80
	v_cndmask_b32_e64 v10, v12, v11, s[12:13]
	;; [unrolled: 2-line block ×3, first 2 shown]
	s_waitcnt lgkmcnt(0)
	v_cndmask_b32_e64 v3, v15, v1, s[8:9]
	v_cndmask_b32_e64 v0, v0, v8, s[16:17]
	ds_bpermute_b32 v2, v90, v0
	v_cndmask_b32_e64 v10, v14, v1, s[6:7]
	v_cndmask_b32_e32 v0, v17, v1, vcc
	v_cndmask_b32_e64 v1, v16, v1, s[10:11]
	v_mov_b32_e32 v14, v28
	v_mov_b32_e32 v15, v28
	v_pk_mul_f32 v[16:17], v[28:29], v[4:5]
	v_pk_mul_f32 v[14:15], v[14:15], v[6:7]
	v_cndmask_b32_e32 v4, v16, v17, vcc
	v_cndmask_b32_e64 v4, v4, v14, s[6:7]
	v_cndmask_b32_e64 v4, v4, v15, s[8:9]
	ds_bpermute_b32 v7, v90, v4
	v_cndmask_b32_e64 v4, v1, v0, s[12:13]
	v_cndmask_b32_e64 v4, v4, v10, s[14:15]
	;; [unrolled: 1-line block ×3, first 2 shown]
	v_cmp_ne_u32_e32 vcc, 0, v79
	ds_bpermute_b32 v6, v90, v4
	s_waitcnt lgkmcnt(1)
	v_cndmask_b32_e64 v4, v15, v7, s[8:9]
	v_cndmask_b32_e64 v5, v14, v7, s[6:7]
	v_cndmask_b32_e32 v14, v17, v7, vcc
	v_cndmask_b32_e64 v15, v16, v7, s[10:11]
	v_cndmask_b32_e64 v7, v15, v14, s[12:13]
	;; [unrolled: 1-line block ×4, first 2 shown]
	ds_bpermute_b32 v7, v90, v7
	v_or_b32_e32 v13, v22, v20
	;;#ASMSTART
	global_atomic_pk_add_f16 v[18:19], v13, off
	
	;;#ASMEND
	v_add_u32_e32 v13, s65, v85
	v_cmp_gt_u32_e32 vcc, 48, v13
	s_and_b64 exec, exec, vcc
	s_cbranch_execz .LBB280_39
; %bb.37:                               ;   in Loop: Header=BB280_7 Depth=1
	v_cmp_eq_u32_e64 s[8:9], 1, v80
	v_cmp_eq_u32_e64 s[10:11], 0, v80
	v_cmp_eq_u32_e32 vcc, 3, v80
	v_cndmask_b32_e64 v11, v11, v2, s[8:9]
	v_cndmask_b32_e64 v12, v12, v2, s[10:11]
	v_cvt_f16_f32_e32 v12, v12
	v_cvt_f16_f32_sdwa v11, v11 dst_sel:WORD_1 dst_unused:UNUSED_PAD src0_sel:DWORD
	s_waitcnt lgkmcnt(1)
	v_cndmask_b32_e64 v16, v0, v6, s[8:9]
	v_cndmask_b32_e64 v17, v1, v6, s[10:11]
	s_waitcnt lgkmcnt(0)
	v_cndmask_b32_e64 v18, v14, v7, s[8:9]
	v_or_b32_e32 v11, v11, v12
	v_cndmask_b32_e64 v19, v15, v7, s[10:11]
	v_lshl_add_u64 v[0:1], v[42:43], 1, s[48:49]
	;;#ASMSTART
	global_atomic_pk_add_f16 v[0:1], v11, off
	
	;;#ASMEND
	v_cvt_f16_f32_e32 v11, v17
	v_cvt_f16_f32_sdwa v12, v16 dst_sel:WORD_1 dst_unused:UNUSED_PAD src0_sel:DWORD
	v_cvt_f16_f32_e32 v16, v19
	v_cvt_f16_f32_sdwa v17, v18 dst_sel:WORD_1 dst_unused:UNUSED_PAD src0_sel:DWORD
	v_cmp_eq_u32_e64 s[6:7], 2, v80
	v_lshl_add_u64 v[14:15], v[0:1], 0, 32
	v_or_b32_e32 v11, v12, v11
	v_cmp_gt_u32_e64 s[8:9], 46, v13
	;;#ASMSTART
	global_atomic_pk_add_f16 v[14:15], v11, off
	
	;;#ASMEND
	v_lshl_add_u64 v[14:15], v[0:1], 0, 64
	v_or_b32_e32 v11, v17, v16
	;;#ASMSTART
	global_atomic_pk_add_f16 v[14:15], v11, off
	
	;;#ASMEND
	s_and_b64 exec, exec, s[8:9]
	s_cbranch_execz .LBB280_39
; %bb.38:                               ;   in Loop: Header=BB280_7 Depth=1
	v_cndmask_b32_e32 v8, v8, v2, vcc
	v_cndmask_b32_e64 v2, v9, v2, s[6:7]
	v_cvt_f16_f32_e32 v2, v2
	v_cvt_f16_f32_sdwa v8, v8 dst_sel:WORD_1 dst_unused:UNUSED_PAD src0_sel:DWORD
	v_cndmask_b32_e32 v3, v3, v6, vcc
	v_cndmask_b32_e64 v6, v10, v6, s[6:7]
	v_cndmask_b32_e32 v4, v4, v7, vcc
	v_cndmask_b32_e64 v5, v5, v7, s[6:7]
	v_cvt_f16_f32_e32 v6, v6
	v_cvt_f16_f32_sdwa v7, v3 dst_sel:WORD_1 dst_unused:UNUSED_PAD src0_sel:DWORD
	v_cvt_f16_f32_e32 v5, v5
	v_cvt_f16_f32_sdwa v4, v4 dst_sel:WORD_1 dst_unused:UNUSED_PAD src0_sel:DWORD
	v_lshl_add_u64 v[0:1], s[28:29], 2, v[0:1]
	v_or_b32_e32 v2, v8, v2
	;;#ASMSTART
	global_atomic_pk_add_f16 v[0:1], v2, off
	
	;;#ASMEND
	v_lshl_add_u64 v[2:3], v[0:1], 0, 32
	v_or_b32_e32 v6, v7, v6
	;;#ASMSTART
	global_atomic_pk_add_f16 v[2:3], v6, off
	
	;;#ASMEND
	;; [unrolled: 6-line block ×3, first 2 shown]
.LBB280_39:                             ;   in Loop: Header=BB280_7 Depth=1
	s_or_b64 exec, exec, s[18:19]
	v_subrev_u32_e32 v91, s66, v91
.LBB280_40:                             ;   in Loop: Header=BB280_7 Depth=1
	s_or_b64 exec, exec, s[46:47]
.LBB280_41:                             ;   in Loop: Header=BB280_7 Depth=1
	s_andn2_saveexec_b64 s[6:7], s[44:45]
	s_cbranch_execz .LBB280_50
; %bb.42:                               ;   in Loop: Header=BB280_7 Depth=1
	s_mul_i32 s16, s66, 3
	v_cmp_gt_i32_e32 vcc, s16, v91
	s_and_saveexec_b64 s[8:9], vcc
	s_cbranch_execz .LBB280_49
; %bb.43:                               ;   in Loop: Header=BB280_7 Depth=1
	s_mul_i32 s10, s34, s23
	s_ashr_i32 s11, s10, 31
	s_waitcnt lgkmcnt(0)
	s_add_u32 s10, s38, s10
	s_addc_u32 s11, s39, s11
	s_ashr_i32 s12, s64, 31
	s_add_u32 s10, s10, s64
	s_addc_u32 s11, s11, s12
	v_lshl_add_u64 v[0:1], s[10:11], 0, v[46:47]
	v_lshl_add_u64 v[8:9], v[0:1], 0, v[44:45]
	s_mov_b64 s[10:11], 0
	s_branch .LBB280_45
.LBB280_44:                             ;   in Loop: Header=BB280_45 Depth=2
	s_or_b64 exec, exec, s[12:13]
	v_lshl_add_u32 v12, v10, 11, v88
	;;#ASMSTART
	s_waitcnt vmcnt(1)
	;;#ASMEND
	ds_write2_b32 v12, v4, v5 offset1:32
	ds_write2_b32 v12, v6, v7 offset0:64 offset1:96
	v_add_u32_e32 v4, 0x400, v12
	v_add_u32_e32 v91, s26, v91
	;;#ASMSTART
	s_waitcnt vmcnt(0)
	;;#ASMEND
	ds_write2_b32 v4, v0, v1 offset1:32
	ds_write2_b32 v4, v2, v3 offset0:64 offset1:96
	v_add_u32_e32 v0, 1, v76
	v_add_u32_e32 v50, s26, v10
	v_cmp_le_i32_e32 vcc, s16, v91
	ds_write_b32 v11, v0 offset:36
	v_add_u32_e32 v0, 2, v76
	s_or_b64 s[10:11], vcc, s[10:11]
	v_cmp_lt_i32_e32 vcc, 8, v50
	s_nop 1
	v_cndmask_b32_e32 v76, v76, v0, vcc
	s_andn2_b64 exec, exec, s[10:11]
	s_cbranch_execz .LBB280_48
.LBB280_45:                             ;   Parent Loop BB280_7 Depth=1
                                        ; =>  This Loop Header: Depth=2
                                        ;       Child Loop BB280_47 Depth 3
	v_cmp_gt_i32_e32 vcc, 9, v50
	s_nop 1
	v_cndmask_b32_e64 v0, -9, 0, vcc
	v_add_u32_e32 v10, v0, v50
	v_mul_hi_i32 v0, v91, s62
	v_lshrrev_b32_e32 v1, 31, v0
	v_add_u32_e32 v0, v0, v1
	v_lshl_add_u32 v1, v0, 1, v0
	v_sub_u32_e32 v2, v91, v1
	v_lshlrev_b32_e32 v0, 7, v0
	v_ashrrev_i32_e32 v1, 31, v0
	v_mul_lo_u32 v2, s55, v2
	v_lshl_add_u64 v[0:1], v[8:9], 0, v[0:1]
	v_ashrrev_i32_e32 v3, 31, v2
	v_lshl_add_u64 v[0:1], v[0:1], 0, v[2:3]
	v_lshlrev_b32_e32 v11, 2, v10
	;;#ASMSTART
	global_load_dwordx4 v[4:7], v[0:1], off offset:0   sc0 sc1 nt  
	global_load_dwordx4 v[0:3], v[0:1], off offset:64  sc0 sc1 nt  
	
	;;#ASMEND
	ds_read_b32 v12, v11 offset:36900
	v_add_u32_e32 v11, 0x9000, v11
	s_waitcnt lgkmcnt(0)
	v_cmp_ne_u32_e32 vcc, v12, v76
	s_and_saveexec_b64 s[12:13], vcc
	s_cbranch_execz .LBB280_44
; %bb.46:                               ;   in Loop: Header=BB280_45 Depth=2
	s_mov_b64 s[14:15], 0
.LBB280_47:                             ;   Parent Loop BB280_7 Depth=1
                                        ;     Parent Loop BB280_45 Depth=2
                                        ; =>    This Inner Loop Header: Depth=3
	;;#ASMSTART
	s_sleep 0
	;;#ASMEND
	ds_read_b32 v12, v11 offset:36
	s_waitcnt lgkmcnt(0)
	v_cmp_eq_u32_e32 vcc, v12, v76
	s_or_b64 s[14:15], vcc, s[14:15]
	s_andn2_b64 exec, exec, s[14:15]
	s_cbranch_execnz .LBB280_47
	s_branch .LBB280_44
.LBB280_48:                             ;   in Loop: Header=BB280_7 Depth=1
	s_or_b64 exec, exec, s[10:11]
.LBB280_49:                             ;   in Loop: Header=BB280_7 Depth=1
	s_or_b64 exec, exec, s[8:9]
	v_subrev_u32_e32 v91, s16, v91
.LBB280_50:                             ;   in Loop: Header=BB280_7 Depth=1
	s_or_b64 exec, exec, s[6:7]
.LBB280_51:                             ;   in Loop: Header=BB280_7 Depth=1
	s_andn2_saveexec_b64 s[6:7], s[30:31]
	s_cbranch_execz .LBB280_6
; %bb.52:                               ;   in Loop: Header=BB280_7 Depth=1
	s_mul_i32 s66, s66, 3
	v_cmp_gt_i32_e32 vcc, s66, v91
	s_and_saveexec_b64 s[8:9], vcc
	s_cbranch_execz .LBB280_5
; %bb.53:                               ;   in Loop: Header=BB280_7 Depth=1
	s_mul_i32 s63, s63, s22
	s_ashr_i32 s10, s63, 31
	s_waitcnt lgkmcnt(0)
	s_add_u32 s11, s36, s63
	v_add_u32_e32 v2, s65, v86
	s_addc_u32 s12, s37, s10
	s_ashr_i32 s13, s64, 31
	v_cmp_gt_u32_e32 vcc, 48, v2
	s_add_u32 s10, s11, s64
	s_addc_u32 s11, s12, s13
	v_cndmask_b32_e32 v0, 0, v89, vcc
	v_ashrrev_i32_e32 v1, 31, v0
	v_lshl_add_u64 v[0:1], s[10:11], 0, v[0:1]
	v_lshl_add_u64 v[8:9], v[0:1], 0, v[44:45]
	v_sub_u32_e32 v10, 47, v2
	s_mov_b64 s[10:11], 0
	s_branch .LBB280_55
.LBB280_54:                             ;   in Loop: Header=BB280_55 Depth=2
	s_or_b64 exec, exec, s[12:13]
	v_lshl_or_b32 v13, v11, 11, v87
	;;#ASMSTART
	s_waitcnt vmcnt(1)
	;;#ASMEND
	ds_write2_b32 v13, v4, v5 offset1:32
	ds_write2_b32 v13, v6, v7 offset0:64 offset1:96
	v_add_u32_e32 v4, 0x400, v13
	v_add_u32_e32 v91, s25, v91
	;;#ASMSTART
	s_waitcnt vmcnt(0)
	;;#ASMEND
	ds_write2_b32 v4, v0, v1 offset1:32
	ds_write2_b32 v4, v2, v3 offset0:64 offset1:96
	v_add_u32_e32 v0, 1, v76
	v_add_u32_e32 v50, s25, v11
	v_cmp_le_i32_e32 vcc, s66, v91
	ds_write_b32 v12, v0
	v_add_u32_e32 v0, 2, v76
	s_or_b64 s[10:11], vcc, s[10:11]
	v_cmp_lt_i32_e32 vcc, 8, v50
	s_nop 1
	v_cndmask_b32_e32 v76, v76, v0, vcc
	s_andn2_b64 exec, exec, s[10:11]
	s_cbranch_execz .LBB280_4
.LBB280_55:                             ;   Parent Loop BB280_7 Depth=1
                                        ; =>  This Loop Header: Depth=2
                                        ;       Child Loop BB280_57 Depth 3
	v_cmp_gt_i32_e32 vcc, 9, v50
	s_nop 1
	v_cndmask_b32_e64 v0, -9, 0, vcc
	v_add_u32_e32 v11, v0, v50
	v_mul_hi_i32 v0, v91, s62
	v_lshrrev_b32_e32 v1, 31, v0
	v_add_u32_e32 v0, v0, v1
	v_lshl_add_u32 v1, v0, 1, v0
	v_sub_u32_e32 v1, v91, v1
	v_lshlrev_b32_e32 v1, 4, v1
	v_cmp_le_i32_e32 vcc, v1, v10
	v_lshlrev_b32_e32 v0, 7, v0
	v_lshlrev_b32_e32 v12, 2, v11
	v_cndmask_b32_e32 v2, 0, v1, vcc
	v_ashrrev_i32_e32 v1, 31, v0
	v_mul_lo_u32 v2, v2, s22
	v_lshl_add_u64 v[0:1], v[8:9], 0, v[0:1]
	v_ashrrev_i32_e32 v3, 31, v2
	v_lshl_add_u64 v[0:1], v[0:1], 0, v[2:3]
	;;#ASMSTART
	global_load_dwordx4 v[4:7], v[0:1], off offset:0   
	global_load_dwordx4 v[0:3], v[0:1], off offset:64  
	
	;;#ASMEND
	ds_read_b32 v13, v12 offset:36864
	v_add_u32_e32 v12, 0x9000, v12
	s_waitcnt lgkmcnt(0)
	v_cmp_ne_u32_e32 vcc, v13, v76
	s_and_saveexec_b64 s[12:13], vcc
	s_cbranch_execz .LBB280_54
; %bb.56:                               ;   in Loop: Header=BB280_55 Depth=2
	s_mov_b64 s[14:15], 0
.LBB280_57:                             ;   Parent Loop BB280_7 Depth=1
                                        ;     Parent Loop BB280_55 Depth=2
                                        ; =>    This Inner Loop Header: Depth=3
	;;#ASMSTART
	s_sleep 0
	;;#ASMEND
	ds_read_b32 v13, v12
	s_waitcnt lgkmcnt(0)
	v_cmp_eq_u32_e32 vcc, v13, v76
	s_or_b64 s[14:15], vcc, s[14:15]
	s_andn2_b64 exec, exec, s[14:15]
	s_cbranch_execnz .LBB280_57
	s_branch .LBB280_54
.LBB280_58:
	s_endpgm
	.section	.rodata,"a",@progbits
	.p2align	6, 0x0
	.amdhsa_kernel _Z19_skinny_gemm_kernelILi3ELi3ELi3ELi16ELi4EEvPKhS1_P6__halfPKfiiiiiiii
		.amdhsa_group_segment_fixed_size 36936
		.amdhsa_private_segment_fixed_size 0
		.amdhsa_kernarg_size 64
		.amdhsa_user_sgpr_count 2
		.amdhsa_user_sgpr_dispatch_ptr 0
		.amdhsa_user_sgpr_queue_ptr 0
		.amdhsa_user_sgpr_kernarg_segment_ptr 1
		.amdhsa_user_sgpr_dispatch_id 0
		.amdhsa_user_sgpr_kernarg_preload_length 0
		.amdhsa_user_sgpr_kernarg_preload_offset 0
		.amdhsa_user_sgpr_private_segment_size 0
		.amdhsa_uses_dynamic_stack 0
		.amdhsa_enable_private_segment 0
		.amdhsa_system_sgpr_workgroup_id_x 1
		.amdhsa_system_sgpr_workgroup_id_y 0
		.amdhsa_system_sgpr_workgroup_id_z 0
		.amdhsa_system_sgpr_workgroup_info 0
		.amdhsa_system_vgpr_workitem_id 0
		.amdhsa_next_free_vgpr 102
		.amdhsa_next_free_sgpr 67
		.amdhsa_accum_offset 104
		.amdhsa_reserve_vcc 1
		.amdhsa_float_round_mode_32 0
		.amdhsa_float_round_mode_16_64 0
		.amdhsa_float_denorm_mode_32 3
		.amdhsa_float_denorm_mode_16_64 3
		.amdhsa_dx10_clamp 1
		.amdhsa_ieee_mode 1
		.amdhsa_fp16_overflow 0
		.amdhsa_tg_split 0
		.amdhsa_exception_fp_ieee_invalid_op 0
		.amdhsa_exception_fp_denorm_src 0
		.amdhsa_exception_fp_ieee_div_zero 0
		.amdhsa_exception_fp_ieee_overflow 0
		.amdhsa_exception_fp_ieee_underflow 0
		.amdhsa_exception_fp_ieee_inexact 0
		.amdhsa_exception_int_div_zero 0
	.end_amdhsa_kernel
	.section	.text._Z19_skinny_gemm_kernelILi3ELi3ELi3ELi16ELi4EEvPKhS1_P6__halfPKfiiiiiiii,"axG",@progbits,_Z19_skinny_gemm_kernelILi3ELi3ELi3ELi16ELi4EEvPKhS1_P6__halfPKfiiiiiiii,comdat
.Lfunc_end280:
	.size	_Z19_skinny_gemm_kernelILi3ELi3ELi3ELi16ELi4EEvPKhS1_P6__halfPKfiiiiiiii, .Lfunc_end280-_Z19_skinny_gemm_kernelILi3ELi3ELi3ELi16ELi4EEvPKhS1_P6__halfPKfiiiiiiii
                                        ; -- End function
	.set _Z19_skinny_gemm_kernelILi3ELi3ELi3ELi16ELi4EEvPKhS1_P6__halfPKfiiiiiiii.num_vgpr, 102
	.set _Z19_skinny_gemm_kernelILi3ELi3ELi3ELi16ELi4EEvPKhS1_P6__halfPKfiiiiiiii.num_agpr, 0
	.set _Z19_skinny_gemm_kernelILi3ELi3ELi3ELi16ELi4EEvPKhS1_P6__halfPKfiiiiiiii.numbered_sgpr, 67
	.set _Z19_skinny_gemm_kernelILi3ELi3ELi3ELi16ELi4EEvPKhS1_P6__halfPKfiiiiiiii.num_named_barrier, 0
	.set _Z19_skinny_gemm_kernelILi3ELi3ELi3ELi16ELi4EEvPKhS1_P6__halfPKfiiiiiiii.private_seg_size, 0
	.set _Z19_skinny_gemm_kernelILi3ELi3ELi3ELi16ELi4EEvPKhS1_P6__halfPKfiiiiiiii.uses_vcc, 1
	.set _Z19_skinny_gemm_kernelILi3ELi3ELi3ELi16ELi4EEvPKhS1_P6__halfPKfiiiiiiii.uses_flat_scratch, 0
	.set _Z19_skinny_gemm_kernelILi3ELi3ELi3ELi16ELi4EEvPKhS1_P6__halfPKfiiiiiiii.has_dyn_sized_stack, 0
	.set _Z19_skinny_gemm_kernelILi3ELi3ELi3ELi16ELi4EEvPKhS1_P6__halfPKfiiiiiiii.has_recursion, 0
	.set _Z19_skinny_gemm_kernelILi3ELi3ELi3ELi16ELi4EEvPKhS1_P6__halfPKfiiiiiiii.has_indirect_call, 0
	.section	.AMDGPU.csdata,"",@progbits
; Kernel info:
; codeLenInByte = 5944
; TotalNumSgprs: 73
; NumVgprs: 102
; NumAgprs: 0
; TotalNumVgprs: 102
; ScratchSize: 0
; MemoryBound: 0
; FloatMode: 240
; IeeeMode: 1
; LDSByteSize: 36936 bytes/workgroup (compile time only)
; SGPRBlocks: 9
; VGPRBlocks: 12
; NumSGPRsForWavesPerEU: 73
; NumVGPRsForWavesPerEU: 102
; AccumOffset: 104
; Occupancy: 4
; WaveLimiterHint : 0
; COMPUTE_PGM_RSRC2:SCRATCH_EN: 0
; COMPUTE_PGM_RSRC2:USER_SGPR: 2
; COMPUTE_PGM_RSRC2:TRAP_HANDLER: 0
; COMPUTE_PGM_RSRC2:TGID_X_EN: 1
; COMPUTE_PGM_RSRC2:TGID_Y_EN: 0
; COMPUTE_PGM_RSRC2:TGID_Z_EN: 0
; COMPUTE_PGM_RSRC2:TIDIG_COMP_CNT: 0
; COMPUTE_PGM_RSRC3_GFX90A:ACCUM_OFFSET: 25
; COMPUTE_PGM_RSRC3_GFX90A:TG_SPLIT: 0
	.section	.text._Z19_skinny_gemm_kernelILi3ELi3ELi3ELi32ELi4EEvPKhS1_P6__halfPKfiiiiiiii,"axG",@progbits,_Z19_skinny_gemm_kernelILi3ELi3ELi3ELi32ELi4EEvPKhS1_P6__halfPKfiiiiiiii,comdat
	.protected	_Z19_skinny_gemm_kernelILi3ELi3ELi3ELi32ELi4EEvPKhS1_P6__halfPKfiiiiiiii ; -- Begin function _Z19_skinny_gemm_kernelILi3ELi3ELi3ELi32ELi4EEvPKhS1_P6__halfPKfiiiiiiii
	.globl	_Z19_skinny_gemm_kernelILi3ELi3ELi3ELi32ELi4EEvPKhS1_P6__halfPKfiiiiiiii
	.p2align	8
	.type	_Z19_skinny_gemm_kernelILi3ELi3ELi3ELi32ELi4EEvPKhS1_P6__halfPKfiiiiiiii,@function
_Z19_skinny_gemm_kernelILi3ELi3ELi3ELi32ELi4EEvPKhS1_P6__halfPKfiiiiiiii: ; @_Z19_skinny_gemm_kernelILi3ELi3ELi3ELi32ELi4EEvPKhS1_P6__halfPKfiiiiiiii
; %bb.0:
	v_cmp_gt_u32_e32 vcc, 18, v0
	s_and_saveexec_b64 s[4:5], vcc
; %bb.1:
	v_lshlrev_b32_e32 v1, 2, v0
	v_mov_b32_e32 v2, 0
	ds_write_b32 v1, v2 offset:36864
; %bb.2:
	s_or_b64 exec, exec, s[4:5]
	s_load_dwordx8 s[92:99], s[0:1], 0x20
	s_waitcnt lgkmcnt(0)
	s_barrier
	s_add_i32 s3, s92, 0x5f
	s_mul_hi_i32 s3, s3, 0x2aaaaaab
	s_add_i32 s4, s93, 0x5f
	s_lshr_b32 s5, s3, 31
	s_ashr_i32 s3, s3, 4
	s_add_i32 s14, s3, s5
	s_mul_hi_i32 s3, s4, 0x2aaaaaab
	s_lshr_b32 s4, s3, 31
	s_ashr_i32 s3, s3, 4
	s_add_i32 s15, s3, s4
	s_mul_i32 s3, s15, s14
	s_mul_i32 s3, s3, s96
	s_add_i32 s4, s3, 0x12f
	s_mul_hi_i32 s4, s4, 0x6bca1af3
	s_lshr_b32 s5, s4, 31
	s_ashr_i32 s4, s4, 7
	s_add_i32 s4, s4, s5
	s_add_i32 s5, s2, 1
	s_mul_i32 s5, s4, s5
	v_cvt_f64_i32_e32 v[2:3], s3
	v_cvt_f64_u32_e32 v[4:5], s5
	v_min_f64 v[2:3], v[2:3], v[4:5]
	v_cvt_i32_f64_e32 v62, v[2:3]
	s_mul_i32 s33, s4, s2
	v_cmp_ge_i32_e32 vcc, s33, v62
	s_cbranch_vccnz .LBB281_51
; %bb.3:
	s_load_dwordx8 s[16:23], s[0:1], 0x0
	v_lshrrev_b32_e32 v1, 6, v0
	s_add_i32 s0, s98, s97
	v_cmp_le_i32_e64 s[24:25], s0, v1
	v_mov_b32_e32 v2, s97
	v_cmp_le_i32_e64 s[26:27], s97, v1
	v_mov_b32_e32 v3, s98
	v_cndmask_b32_e64 v3, 0, v3, s[24:25]
	v_cndmask_b32_e64 v2, 0, v2, s[26:27]
	s_abs_i32 s1, s96
	v_add_u32_e32 v2, v2, v3
	v_cvt_f32_u32_e32 v3, s1
	v_sub_u32_e32 v56, v1, v2
	s_ashr_i32 s2, s94, 31
	s_lshr_b32 s2, s2, 26
	v_rcp_iflag_f32_e32 v2, v3
	s_sub_i32 s5, 0, s1
	s_add_i32 s2, s94, s2
	s_ashr_i32 s2, s2, 6
	v_mul_f32_e32 v2, 0x4f7ffffe, v2
	v_cvt_u32_f32_e32 v2, v2
	s_abs_i32 s4, s2
	s_xor_b32 s3, s2, s96
	s_ashr_i32 s3, s3, 31
	v_readfirstlane_b32 s6, v2
	s_mul_i32 s5, s5, s6
	s_mul_hi_u32 s5, s6, s5
	s_add_i32 s6, s6, s5
	s_mul_hi_u32 s5, s4, s6
	s_mul_i32 s6, s5, s1
	s_sub_i32 s4, s4, s6
	s_add_i32 s6, s5, 1
	s_sub_i32 s7, s4, s1
	s_cmp_ge_u32 s4, s1
	s_cselect_b32 s5, s6, s5
	s_cselect_b32 s4, s7, s4
	s_add_i32 s6, s5, 1
	s_cmp_ge_u32 s4, s1
	s_cselect_b32 s1, s6, s5
	s_add_i32 s0, s0, s99
	v_and_b32_e32 v64, 31, v0
	v_lshrrev_b32_e32 v2, 3, v0
	v_cmp_gt_i32_e64 s[34:35], s0, v1
	v_lshlrev_b32_e32 v1, 2, v64
	v_and_b32_e32 v3, 4, v2
	v_lshlrev_b32_e32 v2, 6, v3
	v_or_b32_e32 v4, 0x4800, v1
	v_and_b32_e32 v5, 1, v0
                                        ; implicit-def: $vgpr93 : SGPR spill to VGPR lane
	s_add_i32 s29, s96, -1
	v_or_b32_e32 v65, v1, v2
	v_or_b32_e32 v66, v4, v2
	v_lshlrev_b32_e32 v2, 1, v5
	v_lshrrev_b32_e32 v7, 1, v0
	s_abs_i32 s96, s14
	v_writelane_b32 v93, s14, 0
	v_sub_u32_e32 v2, v0, v2
	v_and_b32_e32 v50, 16, v7
	v_cvt_f32_u32_e32 v7, s96
	v_writelane_b32 v93, s15, 1
	v_add_u32_e32 v2, 1, v2
	s_waitcnt lgkmcnt(0)
	v_writelane_b32 v93, s16, 2
	v_and_b32_e32 v6, 63, v2
	v_bitop3_b32 v67, v0, 1, v0 bitop3:0xc
	v_bitop3_b32 v68, v0, 3, 1 bitop3:0x6c
	;; [unrolled: 1-line block ×8, first 2 shown]
	v_and_b32_e32 v2, 30, v0
	v_lshlrev_b32_e32 v0, 4, v0
	v_writelane_b32 v93, s17, 3
	v_and_b32_e32 v0, 0x200, v0
	v_writelane_b32 v93, s18, 4
	v_or_b32_e32 v77, v4, v0
	v_rcp_iflag_f32_e32 v4, v7
	s_abs_i32 s90, s15
	v_writelane_b32 v93, s19, 5
	v_or_b32_e32 v79, v1, v0
	v_cvt_f32_u32_e32 v1, s90
	v_writelane_b32 v93, s20, 6
	v_writelane_b32 v93, s21, 7
	;; [unrolled: 1-line block ×3, first 2 shown]
	v_mul_f32_e32 v0, 0x4f7ffffe, v4
	v_writelane_b32 v93, s23, 9
	v_cndmask_b32_e64 v63, 0, 1, s[24:25]
	v_cvt_u32_f32_e32 v0, v0
	v_rcp_iflag_f32_e32 v1, v1
	v_writelane_b32 v93, s24, 10
	s_xor_b32 s1, s1, s3
	s_sub_i32 s28, s1, s3
	v_writelane_b32 v93, s25, 11
	v_writelane_b32 v93, s26, 12
	s_mul_i32 s1, s28, s29
	s_sub_i32 s30, s2, s1
	v_writelane_b32 v93, s27, 13
	v_readfirstlane_b32 s1, v0
	v_mul_f32_e32 v0, 0x4f7ffffe, v1
	v_writelane_b32 v93, s28, 14
	v_cvt_u32_f32_e32 v0, v0
	v_writelane_b32 v93, s29, 15
	s_sub_i32 s0, 0, s96
	v_writelane_b32 v93, s30, 16
	s_mul_i32 s0, s0, s1
	v_writelane_b32 v93, s34, 17
	s_lshl_b32 s31, s95, 5
	s_mul_hi_u32 s0, s1, s0
	v_writelane_b32 v93, s35, 18
	s_ashr_i32 s36, s14, 31
	s_add_i32 s37, s1, s0
	s_sub_i32 s0, 0, s90
	v_readfirstlane_b32 s1, v0
	v_mbcnt_lo_u32_b32 v0, -1, 0
	v_writelane_b32 v93, s31, 19
	s_mul_i32 s0, s0, s1
	v_mbcnt_hi_u32_b32 v0, -1, v0
	v_writelane_b32 v93, s36, 20
	v_mov_b32_e32 v49, 0
	v_mul_lo_u32 v52, s95, v64
	v_or_b32_e32 v80, v5, v3
	s_ashr_i32 s38, s15, 31
	s_mul_hi_u32 s0, s1, s0
	v_and_or_b32 v0, v0, 64, v6
	v_writelane_b32 v93, s37, 21
	v_or_b32_e32 v75, 32, v64
	v_or_b32_e32 v76, 64, v64
	v_ashrrev_i32_e32 v53, 31, v52
	v_mov_b32_e32 v51, v49
	v_mul_lo_u32 v78, s94, v64
	v_or_b32_e32 v81, 2, v80
	s_add_i32 s39, s1, s0
	v_lshlrev_b32_e32 v48, 1, v2
	s_mov_b32 s91, 0x55555556
	v_lshlrev_b32_e32 v82, 2, v0
	v_mov_b32_e32 v83, v56
	v_writelane_b32 v93, s38, 22
	v_writelane_b32 v93, s39, 23
	s_branch .LBB281_7
.LBB281_4:                              ;   in Loop: Header=BB281_7 Depth=1
	s_or_b64 exec, exec, s[4:5]
.LBB281_5:                              ;   in Loop: Header=BB281_7 Depth=1
	s_or_b64 exec, exec, s[2:3]
	v_subrev_u32_e32 v83, s10, v83
.LBB281_6:                              ;   in Loop: Header=BB281_7 Depth=1
	s_or_b64 exec, exec, s[0:1]
	s_add_i32 s33, s33, 1
	v_cmp_ge_i32_e32 vcc, s33, v62
	s_cbranch_vccnz .LBB281_51
.LBB281_7:                              ; =>This Loop Header: Depth=1
                                        ;     Child Loop BB281_13 Depth 2
                                        ;       Child Loop BB281_15 Depth 3
                                        ;       Child Loop BB281_18 Depth 3
	;; [unrolled: 1-line block ×4, first 2 shown]
                                        ;     Child Loop BB281_29 Depth 2
                                        ;     Child Loop BB281_38 Depth 2
                                        ;       Child Loop BB281_40 Depth 3
                                        ;     Child Loop BB281_48 Depth 2
                                        ;       Child Loop BB281_50 Depth 3
	s_abs_i32 s1, s33
	s_mul_hi_u32 s2, s1, s37
	s_mul_i32 s3, s2, s96
	s_ashr_i32 s0, s33, 31
	s_sub_i32 s1, s1, s3
	s_xor_b32 s0, s0, s36
	s_add_i32 s3, s2, 1
	s_sub_i32 s4, s1, s96
	s_cmp_ge_u32 s1, s96
	s_cselect_b32 s2, s3, s2
	s_cselect_b32 s1, s4, s1
	s_add_i32 s3, s2, 1
	s_cmp_ge_u32 s1, s96
	s_cselect_b32 s1, s3, s2
	s_xor_b32 s1, s1, s0
	s_sub_i32 s0, s1, s0
	s_abs_i32 s2, s0
	s_mul_i32 s1, s0, s14
	s_mul_hi_u32 s3, s2, s39
	s_sub_i32 s1, s33, s1
	s_mul_i32 s4, s3, s90
	s_mul_i32 s40, s1, 0x60
	s_ashr_i32 s1, s0, 31
	s_sub_i32 s2, s2, s4
	s_xor_b32 s1, s1, s38
	s_add_i32 s4, s3, 1
	s_sub_i32 s5, s2, s90
	s_cmp_ge_u32 s2, s90
	s_cselect_b32 s3, s4, s3
	s_cselect_b32 s2, s5, s2
	s_add_i32 s4, s3, 1
	s_cmp_ge_u32 s2, s90
	s_cselect_b32 s2, s4, s3
	s_xor_b32 s2, s2, s1
	s_sub_i32 s1, s2, s1
	s_mul_i32 s2, s1, s28
	s_lshl_b32 s13, s2, 6
	s_cmp_eq_u32 s1, s29
	s_cselect_b32 s4, s30, s28
	s_sub_i32 s2, s40, s92
	s_addk_i32 s2, 0x60
	s_max_i32 s5, s2, 0
	s_and_saveexec_b64 s[2:3], s[26:27]
	s_xor_b64 s[2:3], exec, s[2:3]
	v_writelane_b32 v93, s2, 24
	s_nop 1
	v_writelane_b32 v93, s3, 25
	s_cbranch_execz .LBB281_44
; %bb.8:                                ;   in Loop: Header=BB281_7 Depth=1
	s_mul_i32 s1, s1, s15
	s_sub_i32 s0, s0, s1
	s_mulk_i32 s0, 0x60
	s_sub_i32 s70, s0, s93
	s_addk_i32 s70, 0x60
	s_max_i32 s1, s70, 0
	s_sub_i32 s0, s0, s1
	v_writelane_b32 v93, s13, 26
	s_and_saveexec_b64 s[2:3], s[24:25]
	s_xor_b64 s[2:3], exec, s[2:3]
	s_cbranch_execz .LBB281_34
; %bb.9:                                ;   in Loop: Header=BB281_7 Depth=1
	s_mov_b64 s[6:7], exec
	v_writelane_b32 v93, s6, 27
	s_nop 1
	v_writelane_b32 v93, s7, 28
	s_and_b64 s[6:7], s[6:7], s[34:35]
	s_mov_b64 exec, s[6:7]
	s_cbranch_execz .LBB281_33
; %bb.10:                               ;   in Loop: Header=BB281_7 Depth=1
	global_load_dword v84, v49, s[22:23]
	v_mov_b32_e32 v47, 0
	v_cmp_gt_i32_e32 vcc, s4, v83
	v_mov_b32_e32 v46, v47
	v_mov_b32_e32 v45, v47
	;; [unrolled: 1-line block ×47, first 2 shown]
	s_and_saveexec_b64 s[6:7], vcc
	s_cbranch_execz .LBB281_26
; %bb.11:                               ;   in Loop: Header=BB281_7 Depth=1
	v_mov_b32_e32 v0, 0
	s_mov_b64 s[8:9], 0
	v_mov_b32_e32 v1, v0
	v_mov_b32_e32 v2, v0
	;; [unrolled: 1-line block ×47, first 2 shown]
	s_branch .LBB281_13
.LBB281_12:                             ;   in Loop: Header=BB281_13 Depth=2
	s_or_b64 exec, exec, s[10:11]
	v_add_u32_e32 v89, 0x1000, v88
	ds_read2_b32 v[90:91], v89 offset1:32
	v_add_u32_e32 v83, s99, v83
	s_waitcnt lgkmcnt(0)
	v_mfma_f32_32x32x16_fp8_fp8 v[0:15], v[60:61], v[90:91], v[0:15]
	ds_read2_b32 v[60:61], v89 offset0:128 offset1:160
	s_waitcnt lgkmcnt(0)
	v_mfma_f32_32x32x16_fp8_fp8 v[0:15], v[58:59], v[60:61], v[0:15]
	v_add_u32_e32 v60, 0x1400, v88
	ds_read2_b32 v[58:59], v60 offset1:32
	ds_read2_b32 v[60:61], v60 offset0:128 offset1:160
	ds_write_b32 v86, v87 offset:36884
	s_waitcnt lgkmcnt(2)
	v_mfma_f32_32x32x16_fp8_fp8 v[0:15], v[56:57], v[58:59], v[0:15]
	v_add_u32_e32 v56, s99, v85
	v_add_u32_e32 v57, 2, v63
	v_cmp_lt_i32_e32 vcc, 2, v56
	s_nop 1
	v_cndmask_b32_e32 v63, v63, v57, vcc
	v_cmp_le_i32_e32 vcc, s4, v83
	s_waitcnt lgkmcnt(1)
	v_mfma_f32_32x32x16_fp8_fp8 v[0:15], v[54:55], v[60:61], v[0:15]
	s_or_b64 s[8:9], vcc, s[8:9]
	s_andn2_b64 exec, exec, s[8:9]
	s_cbranch_execz .LBB281_25
.LBB281_13:                             ;   Parent Loop BB281_7 Depth=1
                                        ; =>  This Loop Header: Depth=2
                                        ;       Child Loop BB281_15 Depth 3
                                        ;       Child Loop BB281_18 Depth 3
	;; [unrolled: 1-line block ×4, first 2 shown]
	v_cmp_gt_i32_e32 vcc, 3, v56
	s_nop 1
	v_cndmask_b32_e64 v54, -3, 0, vcc
	v_add_u32_e32 v85, v54, v56
	v_mul_lo_u32 v86, v85, 24
	ds_read_b32 v54, v86 offset:36864
	s_waitcnt lgkmcnt(0)
	v_cmp_ne_u32_e32 vcc, v54, v63
	s_and_saveexec_b64 s[10:11], vcc
	s_cbranch_execz .LBB281_16
; %bb.14:                               ;   in Loop: Header=BB281_13 Depth=2
	s_mov_b64 s[12:13], 0
.LBB281_15:                             ;   Parent Loop BB281_7 Depth=1
                                        ;     Parent Loop BB281_13 Depth=2
                                        ; =>    This Inner Loop Header: Depth=3
	;;#ASMSTART
	s_sleep 0
	;;#ASMEND
	ds_read_b32 v54, v86 offset:36864
	s_waitcnt lgkmcnt(0)
	v_cmp_eq_u32_e32 vcc, v54, v63
	s_or_b64 s[12:13], vcc, s[12:13]
	s_andn2_b64 exec, exec, s[12:13]
	s_cbranch_execnz .LBB281_15
.LBB281_16:                             ;   in Loop: Header=BB281_13 Depth=2
	s_or_b64 exec, exec, s[10:11]
	v_lshl_or_b32 v54, v85, 11, v65
	ds_read2_b32 v[60:61], v54 offset1:32
	ds_read2_b32 v[58:59], v54 offset0:128 offset1:160
	v_add_u32_e32 v54, 0x400, v54
	ds_read2_b32 v[56:57], v54 offset1:32
	ds_read_b32 v88, v86 offset:36868
	ds_read2_b32 v[54:55], v54 offset0:128 offset1:160
	v_add_u32_e32 v87, 1, v63
	ds_write_b32 v86, v87 offset:36864
	s_waitcnt lgkmcnt(2)
	v_cmp_ne_u32_e32 vcc, v88, v63
	s_and_saveexec_b64 s[10:11], vcc
	s_cbranch_execz .LBB281_19
; %bb.17:                               ;   in Loop: Header=BB281_13 Depth=2
	s_mov_b64 s[12:13], 0
.LBB281_18:                             ;   Parent Loop BB281_7 Depth=1
                                        ;     Parent Loop BB281_13 Depth=2
                                        ; =>    This Inner Loop Header: Depth=3
	;;#ASMSTART
	s_sleep 0
	;;#ASMEND
	ds_read_b32 v88, v86 offset:36868
	s_waitcnt lgkmcnt(0)
	v_cmp_eq_u32_e32 vcc, v88, v63
	s_or_b64 s[12:13], vcc, s[12:13]
	s_andn2_b64 exec, exec, s[12:13]
	s_cbranch_execnz .LBB281_18
.LBB281_19:                             ;   in Loop: Header=BB281_13 Depth=2
	s_or_b64 exec, exec, s[10:11]
	s_movk_i32 s1, 0x1800
	v_mul_lo_u32 v88, v85, s1
	v_add_u32_e32 v88, v66, v88
	ds_read2_b32 v[90:91], v88 offset1:32
	v_add_u32_e32 v89, 0x400, v88
	ds_write_b32 v86, v87 offset:36868
	s_waitcnt lgkmcnt(1)
	v_mfma_f32_32x32x16_fp8_fp8 v[32:47], v[60:61], v[90:91], v[32:47]
	ds_read2_b32 v[90:91], v88 offset0:128 offset1:160
	s_waitcnt lgkmcnt(0)
	v_mfma_f32_32x32x16_fp8_fp8 v[32:47], v[58:59], v[90:91], v[32:47]
	ds_read2_b32 v[90:91], v89 offset1:32
	s_waitcnt lgkmcnt(0)
	v_mfma_f32_32x32x16_fp8_fp8 v[32:47], v[56:57], v[90:91], v[32:47]
	ds_read2_b32 v[90:91], v89 offset0:128 offset1:160
	ds_read_b32 v89, v86 offset:36876
	s_waitcnt lgkmcnt(0)
	v_cmp_ne_u32_e32 vcc, v89, v63
	v_mfma_f32_32x32x16_fp8_fp8 v[32:47], v[54:55], v[90:91], v[32:47]
	s_and_saveexec_b64 s[10:11], vcc
	s_cbranch_execz .LBB281_22
; %bb.20:                               ;   in Loop: Header=BB281_13 Depth=2
	s_mov_b64 s[12:13], 0
.LBB281_21:                             ;   Parent Loop BB281_7 Depth=1
                                        ;     Parent Loop BB281_13 Depth=2
                                        ; =>    This Inner Loop Header: Depth=3
	;;#ASMSTART
	s_sleep 0
	;;#ASMEND
	ds_read_b32 v89, v86 offset:36876
	s_waitcnt lgkmcnt(0)
	v_cmp_eq_u32_e32 vcc, v89, v63
	s_or_b64 s[12:13], vcc, s[12:13]
	s_andn2_b64 exec, exec, s[12:13]
	s_cbranch_execnz .LBB281_21
.LBB281_22:                             ;   in Loop: Header=BB281_13 Depth=2
	s_or_b64 exec, exec, s[10:11]
	v_add_u32_e32 v89, 0x800, v88
	ds_read2_b32 v[90:91], v89 offset1:32
	s_waitcnt lgkmcnt(0)
	v_mfma_f32_32x32x16_fp8_fp8 v[16:31], v[60:61], v[90:91], v[16:31]
	ds_read2_b32 v[90:91], v89 offset0:128 offset1:160
	v_add_u32_e32 v89, 0xc00, v88
	s_waitcnt lgkmcnt(0)
	v_mfma_f32_32x32x16_fp8_fp8 v[16:31], v[58:59], v[90:91], v[16:31]
	ds_read2_b32 v[90:91], v89 offset1:32
	s_waitcnt lgkmcnt(0)
	v_mfma_f32_32x32x16_fp8_fp8 v[16:31], v[56:57], v[90:91], v[16:31]
	ds_read_b32 v92, v86 offset:36884
	ds_read2_b32 v[90:91], v89 offset0:128 offset1:160
	ds_write_b32 v86, v87 offset:36876
	s_waitcnt lgkmcnt(2)
	v_cmp_ne_u32_e32 vcc, v92, v63
	s_waitcnt lgkmcnt(1)
	v_mfma_f32_32x32x16_fp8_fp8 v[16:31], v[54:55], v[90:91], v[16:31]
	s_and_saveexec_b64 s[10:11], vcc
	s_cbranch_execz .LBB281_12
; %bb.23:                               ;   in Loop: Header=BB281_13 Depth=2
	s_mov_b64 s[12:13], 0
.LBB281_24:                             ;   Parent Loop BB281_7 Depth=1
                                        ;     Parent Loop BB281_13 Depth=2
                                        ; =>    This Inner Loop Header: Depth=3
	;;#ASMSTART
	s_sleep 0
	;;#ASMEND
	ds_read_b32 v89, v86 offset:36884
	s_waitcnt lgkmcnt(0)
	v_cmp_eq_u32_e32 vcc, v89, v63
	s_or_b64 s[12:13], vcc, s[12:13]
	s_andn2_b64 exec, exec, s[12:13]
	s_cbranch_execnz .LBB281_24
	s_branch .LBB281_12
.LBB281_25:                             ;   in Loop: Header=BB281_7 Depth=1
	s_or_b64 exec, exec, s[8:9]
.LBB281_26:                             ;   in Loop: Header=BB281_7 Depth=1
	s_or_b64 exec, exec, s[6:7]
	v_cmp_le_i32_e32 vcc, s70, v64
	v_cmp_eq_u32_e64 s[60:61], 1, v67
	v_cmp_eq_u32_e64 s[26:27], 2, v67
	s_waitcnt vmcnt(0)
	v_cndmask_b32_e32 v54, 0, v84, vcc
	v_pk_mul_f32 v[32:33], v[54:55], v[32:33] op_sel_hi:[0,1]
	v_pk_mul_f32 v[46:47], v[54:55], v[46:47] op_sel_hi:[0,1]
	;; [unrolled: 1-line block ×8, first 2 shown]
	v_cndmask_b32_e64 v54, v32, v33, s[60:61]
	v_writelane_b32 v93, s40, 29
	s_mul_i32 s6, s40, s93
	v_cndmask_b32_e64 v54, v54, v34, s[26:27]
	v_cmp_eq_u32_e64 s[40:41], 3, v67
	v_cmp_eq_u32_e64 s[42:43], 4, v67
	v_cmp_eq_u32_e64 s[44:45], 5, v67
	v_cndmask_b32_e64 v54, v54, v35, s[40:41]
	v_cndmask_b32_e64 v54, v54, v36, s[42:43]
	v_cndmask_b32_e64 v54, v54, v37, s[44:45]
	v_cmp_eq_u32_e64 s[46:47], 6, v67
	v_cmp_eq_u32_e64 s[48:49], 7, v67
	v_cmp_eq_u32_e64 s[50:51], 8, v67
	v_cndmask_b32_e64 v54, v54, v38, s[46:47]
	v_cndmask_b32_e64 v54, v54, v39, s[48:49]
	;; [unrolled: 6-line block ×4, first 2 shown]
	v_cndmask_b32_e64 v54, v54, v46, s[64:65]
	v_cmp_eq_u32_e64 s[66:67], 15, v67
	s_ashr_i32 s7, s6, 31
	s_lshl_b64 s[6:7], s[6:7], 1
	v_cndmask_b32_e64 v54, v54, v47, s[66:67]
	ds_bpermute_b32 v54, v82, v54
	v_cmp_eq_u32_e64 s[36:37], 0, v67
	s_add_u32 s71, s20, s6
	v_cmp_eq_u32_e32 vcc, 1, v68
	s_addc_u32 s72, s21, s7
	s_waitcnt lgkmcnt(0)
	v_cndmask_b32_e64 v47, v47, v54, s[66:67]
	v_cndmask_b32_e64 v46, v46, v54, s[64:65]
	v_cndmask_b32_e64 v45, v45, v54, s[62:63]
	v_cndmask_b32_e64 v44, v44, v54, s[58:59]
	v_cndmask_b32_e64 v43, v43, v54, s[56:57]
	v_cndmask_b32_e64 v42, v42, v54, s[54:55]
	v_cndmask_b32_e64 v41, v41, v54, s[52:53]
	v_cndmask_b32_e64 v40, v40, v54, s[50:51]
	v_cndmask_b32_e64 v57, v39, v54, s[48:49]
	v_cndmask_b32_e64 v58, v38, v54, s[46:47]
	v_cndmask_b32_e64 v59, v37, v54, s[44:45]
	v_cndmask_b32_e64 v60, v36, v54, s[42:43]
	v_cndmask_b32_e64 v61, v35, v54, s[40:41]
	v_cndmask_b32_e64 v85, v34, v54, s[26:27]
	v_cndmask_b32_e64 v86, v33, v54, s[60:61]
	v_cndmask_b32_e64 v54, v32, v54, s[36:37]
	v_cndmask_b32_e32 v32, v54, v86, vcc
	v_cmp_eq_u32_e64 s[6:7], 2, v68
	v_cmp_eq_u32_e64 s[8:9], 3, v68
	v_cmp_eq_u32_e64 s[10:11], 4, v68
	v_cndmask_b32_e64 v32, v32, v85, s[6:7]
	v_cndmask_b32_e64 v32, v32, v61, s[8:9]
	v_cndmask_b32_e64 v32, v32, v60, s[10:11]
	v_cmp_eq_u32_e64 s[12:13], 5, v68
	v_cmp_eq_u32_e64 s[14:15], 6, v68
	v_cmp_eq_u32_e64 s[16:17], 7, v68
	v_cndmask_b32_e64 v32, v32, v59, s[12:13]
	v_cndmask_b32_e64 v32, v32, v58, s[14:15]
	v_cndmask_b32_e64 v32, v32, v57, s[16:17]
	;; [unrolled: 6-line block ×4, first 2 shown]
	v_cmp_eq_u32_e64 s[34:35], 14, v68
	v_cmp_eq_u32_e64 s[38:39], 15, v68
	s_ashr_i32 s1, s0, 31
	v_cndmask_b32_e64 v32, v32, v46, s[34:35]
	v_cndmask_b32_e64 v32, v32, v47, s[38:39]
	ds_bpermute_b32 v55, v82, v32
	s_lshl_b64 s[68:69], s[0:1], 1
	s_add_u32 s68, s71, s68
	s_addc_u32 s69, s72, s69
	v_writelane_b32 v93, s68, 30
	s_waitcnt lgkmcnt(0)
	v_cndmask_b32_e64 v33, v47, v55, s[38:39]
	v_cndmask_b32_e64 v38, v42, v55, s[22:23]
	v_writelane_b32 v93, s69, 31
	v_cmp_le_i32_e64 s[68:69], s70, v75
	v_cmp_le_i32_e64 s[70:71], s70, v76
	v_cndmask_b32_e64 v42, v58, v55, s[14:15]
	v_cndmask_b32_e64 v32, 0, v84, s[68:69]
	;; [unrolled: 1-line block ×3, first 2 shown]
	v_pk_mul_f32 v[16:17], v[32:33], v[16:17] op_sel_hi:[0,1]
	v_pk_mul_f32 v[0:1], v[58:59], v[0:1] op_sel_hi:[0,1]
	v_cndmask_b32_e64 v35, v45, v55, s[30:31]
	v_cndmask_b32_e64 v36, v44, v55, s[28:29]
	;; [unrolled: 1-line block ×4, first 2 shown]
	v_pk_mul_f32 v[30:31], v[32:33], v[30:31] op_sel_hi:[0,1]
	v_pk_mul_f32 v[28:29], v[32:33], v[28:29] op_sel_hi:[0,1]
	;; [unrolled: 1-line block ×7, first 2 shown]
	v_cndmask_b32_e64 v32, v16, v17, s[60:61]
	v_pk_mul_f32 v[60:61], v[58:59], v[4:5] op_sel_hi:[0,1]
	v_pk_mul_f32 v[2:3], v[58:59], v[2:3] op_sel_hi:[0,1]
	v_cndmask_b32_e64 v4, v0, v1, s[60:61]
	v_cndmask_b32_e64 v32, v32, v18, s[26:27]
	;; [unrolled: 1-line block ×8, first 2 shown]
	v_pk_mul_f32 v[6:7], v[58:59], v[6:7] op_sel_hi:[0,1]
	v_cndmask_b32_e64 v4, v4, v61, s[44:45]
	v_cndmask_b32_e64 v32, v32, v22, s[46:47]
	v_cndmask_b32_e64 v4, v4, v6, s[46:47]
	v_cndmask_b32_e64 v32, v32, v23, s[48:49]
	v_pk_mul_f32 v[8:9], v[58:59], v[8:9] op_sel_hi:[0,1]
	v_cndmask_b32_e64 v4, v4, v7, s[48:49]
	v_cndmask_b32_e64 v32, v32, v24, s[50:51]
	v_cndmask_b32_e64 v4, v4, v8, s[50:51]
	v_cndmask_b32_e64 v32, v32, v25, s[52:53]
	;; [unrolled: 5-line block ×5, first 2 shown]
	v_cndmask_b32_e64 v4, v4, v15, s[66:67]
	ds_bpermute_b32 v32, v82, v32
	ds_bpermute_b32 v5, v82, v4
	v_cmp_eq_u32_e64 s[68:69], 0, v68
	v_cndmask_b32_e32 v47, v86, v55, vcc
	v_cmp_eq_u32_e64 s[70:71], 1, v69
	v_cndmask_b32_e64 v54, v54, v55, s[68:69]
	v_cndmask_b32_e64 v34, v46, v55, s[34:35]
	;; [unrolled: 1-line block ×9, first 2 shown]
	s_waitcnt lgkmcnt(1)
	v_cndmask_b32_e64 v4, v17, v32, s[60:61]
	v_cmp_eq_u32_e64 s[60:61], 2, v69
	v_cndmask_b32_e64 v18, v18, v32, s[26:27]
	s_waitcnt lgkmcnt(0)
	v_cndmask_b32_e64 v2, v2, v5, s[26:27]
	v_cmp_ne_u32_e64 s[26:27], 0, v67
	v_cndmask_b32_e64 v17, v55, v46, s[60:61]
	v_cndmask_b32_e64 v31, v31, v32, s[66:67]
	v_cndmask_b32_e64 v15, v15, v5, s[66:67]
	v_cmp_eq_u32_e64 s[66:67], 3, v69
	v_cndmask_b32_e64 v1, v1, v5, s[26:27]
	v_cndmask_b32_e64 v16, v16, v32, s[36:37]
	;; [unrolled: 1-line block ×6, first 2 shown]
	v_cmp_eq_u32_e64 s[64:65], 4, v69
	v_cndmask_b32_e64 v29, v29, v32, s[62:63]
	v_cndmask_b32_e64 v13, v13, v5, s[62:63]
	;; [unrolled: 1-line block ×22, first 2 shown]
	v_cndmask_b32_e32 v32, v16, v4, vcc
	v_cndmask_b32_e32 v5, v0, v1, vcc
	v_cndmask_b32_e64 v17, v17, v44, s[64:65]
	v_cmp_eq_u32_e64 s[62:63], 5, v69
	v_cndmask_b32_e64 v32, v32, v18, s[6:7]
	v_cndmask_b32_e64 v5, v5, v2, s[6:7]
	v_cndmask_b32_e64 v17, v17, v43, s[62:63]
	v_cmp_eq_u32_e64 s[58:59], 6, v69
	v_cndmask_b32_e64 v32, v32, v19, s[8:9]
	v_cndmask_b32_e64 v5, v5, v3, s[8:9]
	;; [unrolled: 4-line block ×11, first 2 shown]
	v_cndmask_b32_e64 v17, v17, v33, s[82:83]
	v_cndmask_b32_e64 v32, v32, v29, s[30:31]
	;; [unrolled: 1-line block ×3, first 2 shown]
	ds_bpermute_b32 v17, v82, v17
	v_cndmask_b32_e64 v32, v32, v30, s[34:35]
	v_cndmask_b32_e64 v5, v5, v14, s[34:35]
	;; [unrolled: 1-line block ×4, first 2 shown]
	ds_bpermute_b32 v32, v82, v32
	ds_bpermute_b32 v5, v82, v5
	v_cmp_eq_u32_e64 s[42:43], 0, v69
	s_waitcnt lgkmcnt(2)
	v_cndmask_b32_e64 v33, v33, v17, s[82:83]
	v_cndmask_b32_e64 v34, v34, v17, s[76:77]
	;; [unrolled: 1-line block ×16, first 2 shown]
	v_cmp_eq_u32_e64 s[26:27], 1, v70
	v_cmp_eq_u32_e64 s[36:37], 2, v70
	s_waitcnt lgkmcnt(1)
	v_cndmask_b32_e64 v30, v30, v32, s[34:35]
	v_cndmask_b32_e64 v54, v17, v47, s[26:27]
	;; [unrolled: 1-line block ×3, first 2 shown]
	s_waitcnt lgkmcnt(0)
	v_cndmask_b32_e64 v14, v14, v5, s[34:35]
	v_cmp_eq_u32_e64 s[34:35], 3, v70
	v_cndmask_b32_e32 v4, v4, v32, vcc
	v_cndmask_b32_e32 v1, v1, v5, vcc
	v_cndmask_b32_e64 v16, v16, v32, s[68:69]
	v_cndmask_b32_e64 v0, v0, v5, s[68:69]
	v_cndmask_b32_e64 v31, v31, v32, s[38:39]
	v_cndmask_b32_e64 v15, v15, v5, s[38:39]
	v_cndmask_b32_e64 v54, v54, v45, s[34:35]
	v_cndmask_b32_e64 v29, v29, v32, s[30:31]
	v_cndmask_b32_e64 v13, v13, v5, s[30:31]
	v_cmp_eq_u32_e64 s[30:31], 4, v70
	v_cndmask_b32_e64 v28, v28, v32, s[28:29]
	v_cndmask_b32_e64 v12, v12, v5, s[28:29]
	;; [unrolled: 1-line block ×25, first 2 shown]
	v_cmp_eq_u32_e64 s[38:39], 5, v70
	v_cndmask_b32_e64 v32, v32, v18, s[60:61]
	v_cndmask_b32_e64 v5, v5, v2, s[60:61]
	v_cndmask_b32_e64 v54, v54, v43, s[38:39]
	v_cmp_eq_u32_e64 s[24:25], 6, v70
	v_cndmask_b32_e64 v32, v32, v19, s[66:67]
	v_cndmask_b32_e64 v5, v5, v3, s[66:67]
	v_cndmask_b32_e64 v54, v54, v42, s[24:25]
	;; [unrolled: 4-line block ×11, first 2 shown]
	v_cndmask_b32_e64 v32, v32, v29, s[44:45]
	v_cndmask_b32_e64 v5, v5, v13, s[44:45]
	ds_bpermute_b32 v54, v82, v54
	v_cndmask_b32_e64 v32, v32, v30, s[76:77]
	v_cndmask_b32_e64 v5, v5, v14, s[76:77]
	;; [unrolled: 1-line block ×4, first 2 shown]
	ds_bpermute_b32 v32, v82, v32
	ds_bpermute_b32 v5, v82, v5
	v_cmp_eq_u32_e64 s[16:17], 0, v70
	s_waitcnt lgkmcnt(2)
	v_cndmask_b32_e64 v47, v47, v54, s[26:27]
	v_cmp_eq_u32_e64 s[8:9], 1, v71
	v_cndmask_b32_e64 v17, v17, v54, s[16:17]
	v_cndmask_b32_e64 v33, v33, v54, s[86:87]
	;; [unrolled: 1-line block ×16, first 2 shown]
	v_cmp_eq_u32_e64 s[14:15], 2, v71
	v_cmp_eq_u32_e64 s[18:19], 3, v71
	s_waitcnt lgkmcnt(1)
	v_cndmask_b32_e64 v4, v4, v32, s[70:71]
	v_cndmask_b32_e64 v54, v54, v46, s[14:15]
	s_waitcnt lgkmcnt(0)
	v_cndmask_b32_e64 v1, v1, v5, s[70:71]
	v_cndmask_b32_e64 v16, v16, v32, s[42:43]
	;; [unrolled: 1-line block ×10, first 2 shown]
	v_cmp_eq_u32_e64 s[28:29], 4, v71
	v_cndmask_b32_e64 v28, v28, v32, s[46:47]
	v_cndmask_b32_e64 v12, v12, v5, s[46:47]
	v_cndmask_b32_e64 v27, v27, v32, s[48:49]
	v_cndmask_b32_e64 v11, v11, v5, s[48:49]
	v_cndmask_b32_e64 v26, v26, v32, s[50:51]
	v_cndmask_b32_e64 v10, v10, v5, s[50:51]
	v_cndmask_b32_e64 v25, v25, v32, s[52:53]
	v_cndmask_b32_e64 v9, v9, v5, s[52:53]
	v_cndmask_b32_e64 v24, v24, v32, s[54:55]
	v_cndmask_b32_e64 v8, v8, v5, s[54:55]
	v_cndmask_b32_e64 v23, v23, v32, s[56:57]
	v_cndmask_b32_e64 v7, v7, v5, s[56:57]
	v_cndmask_b32_e64 v22, v22, v32, s[58:59]
	v_cndmask_b32_e64 v6, v6, v5, s[58:59]
	v_cndmask_b32_e64 v21, v21, v32, s[62:63]
	v_cndmask_b32_e64 v55, v55, v5, s[62:63]
	v_cndmask_b32_e64 v20, v20, v32, s[64:65]
	v_cndmask_b32_e64 v57, v57, v5, s[64:65]
	v_cndmask_b32_e64 v19, v19, v32, s[66:67]
	v_cndmask_b32_e64 v3, v3, v5, s[66:67]
	v_cndmask_b32_e64 v18, v18, v32, s[60:61]
	v_cndmask_b32_e64 v2, v2, v5, s[60:61]
	v_cndmask_b32_e64 v32, v16, v4, s[26:27]
	v_cndmask_b32_e64 v5, v0, v1, s[26:27]
	v_cndmask_b32_e64 v54, v54, v44, s[28:29]
	v_cmp_eq_u32_e64 s[40:41], 5, v71
	v_cndmask_b32_e64 v32, v32, v18, s[36:37]
	v_cndmask_b32_e64 v5, v5, v2, s[36:37]
	v_cndmask_b32_e64 v54, v54, v43, s[40:41]
	v_cmp_eq_u32_e64 s[48:49], 6, v71
	v_cndmask_b32_e64 v32, v32, v19, s[34:35]
	v_cndmask_b32_e64 v5, v5, v3, s[34:35]
	v_cndmask_b32_e64 v54, v54, v42, s[48:49]
	;; [unrolled: 4-line block ×11, first 2 shown]
	v_cndmask_b32_e64 v32, v32, v29, s[12:13]
	v_cndmask_b32_e64 v5, v5, v13, s[12:13]
	ds_bpermute_b32 v54, v82, v54
	v_cndmask_b32_e64 v32, v32, v30, s[10:11]
	v_cndmask_b32_e64 v5, v5, v14, s[10:11]
	;; [unrolled: 1-line block ×4, first 2 shown]
	ds_bpermute_b32 v32, v82, v32
	ds_bpermute_b32 v5, v82, v5
	v_cmp_eq_u32_e64 s[60:61], 0, v71
	s_waitcnt lgkmcnt(2)
	v_cndmask_b32_e64 v47, v47, v54, s[8:9]
	v_cmp_eq_u32_e32 vcc, 1, v72
	v_cndmask_b32_e64 v17, v17, v54, s[60:61]
	v_cndmask_b32_e64 v33, v33, v54, s[88:89]
	;; [unrolled: 1-line block ×15, first 2 shown]
	v_cndmask_b32_e32 v54, v17, v47, vcc
	v_cmp_eq_u32_e64 s[6:7], 2, v72
	s_waitcnt lgkmcnt(1)
	v_cndmask_b32_e64 v30, v30, v32, s[10:11]
	s_waitcnt lgkmcnt(0)
	v_cndmask_b32_e64 v14, v14, v5, s[10:11]
	v_cndmask_b32_e64 v54, v54, v46, s[6:7]
	v_cmp_eq_u32_e64 s[10:11], 3, v72
	v_cndmask_b32_e64 v29, v29, v32, s[12:13]
	v_cndmask_b32_e64 v13, v13, v5, s[12:13]
	;; [unrolled: 1-line block ×3, first 2 shown]
	v_cmp_eq_u32_e64 s[12:13], 4, v72
	v_cmp_eq_u32_e64 s[42:43], 5, v72
	;; [unrolled: 1-line block ×3, first 2 shown]
	v_cndmask_b32_e64 v54, v54, v44, s[12:13]
	v_cndmask_b32_e64 v54, v54, v43, s[42:43]
	;; [unrolled: 1-line block ×7, first 2 shown]
	v_cmp_eq_u32_e64 s[52:53], 7, v72
	v_cndmask_b32_e64 v9, v9, v5, s[72:73]
	v_cndmask_b32_e64 v8, v8, v5, s[20:21]
	;; [unrolled: 1-line block ×11, first 2 shown]
	v_cmp_eq_u32_e64 s[54:55], 8, v72
	v_cndmask_b32_e64 v0, v5, v58, s[8:9]
	v_cndmask_b32_e64 v31, v31, v32, s[86:87]
	;; [unrolled: 1-line block ×8, first 2 shown]
	v_cmp_eq_u32_e64 s[56:57], 9, v72
	v_cndmask_b32_e64 v23, v23, v32, s[22:23]
	v_cndmask_b32_e64 v22, v22, v32, s[24:25]
	;; [unrolled: 1-line block ×10, first 2 shown]
	v_cmp_eq_u32_e64 s[62:63], 10, v72
	v_cndmask_b32_e64 v1, v32, v4, s[8:9]
	v_cndmask_b32_e64 v0, v0, v3, s[18:19]
	v_cndmask_b32_e64 v54, v54, v38, s[62:63]
	v_cmp_eq_u32_e64 s[66:67], 11, v72
	v_cndmask_b32_e64 v1, v1, v18, s[14:15]
	v_cndmask_b32_e64 v0, v0, v57, s[28:29]
	v_cndmask_b32_e64 v54, v54, v37, s[66:67]
	;; [unrolled: 4-line block ×6, first 2 shown]
	v_cndmask_b32_e64 v1, v1, v23, s[46:47]
	v_cndmask_b32_e64 v0, v0, v9, s[68:69]
	ds_bpermute_b32 v54, v82, v54
	v_cndmask_b32_e64 v1, v1, v24, s[44:45]
	v_cndmask_b32_e64 v0, v0, v10, s[76:77]
	;; [unrolled: 1-line block ×10, first 2 shown]
	v_cmp_eq_u32_e64 s[34:35], 0, v72
	s_waitcnt lgkmcnt(0)
	v_cndmask_b32_e32 v47, v47, v54, vcc
	v_cndmask_b32_e64 v1, v1, v29, s[64:65]
	v_cndmask_b32_e64 v0, v0, v15, s[88:89]
	;; [unrolled: 1-line block ×3, first 2 shown]
	v_cmp_eq_u32_e64 s[16:17], 1, v73
	v_cndmask_b32_e64 v46, v46, v54, s[6:7]
	v_cndmask_b32_e64 v1, v1, v30, s[84:85]
	ds_bpermute_b32 v60, v82, v0
	v_cndmask_b32_e64 v0, v17, v47, s[16:17]
	v_cmp_eq_u32_e64 s[20:21], 2, v73
	v_cndmask_b32_e64 v45, v45, v54, s[10:11]
	v_cndmask_b32_e64 v1, v1, v31, s[88:89]
	;; [unrolled: 1-line block ×3, first 2 shown]
	v_cmp_eq_u32_e64 s[22:23], 3, v73
	v_cndmask_b32_e64 v44, v44, v54, s[12:13]
	ds_bpermute_b32 v59, v82, v1
	v_cndmask_b32_e64 v0, v0, v45, s[22:23]
	v_cmp_eq_u32_e64 s[24:25], 4, v73
	v_cndmask_b32_e64 v43, v43, v54, s[42:43]
	v_cmp_eq_u32_e64 s[26:27], 5, v73
	v_cndmask_b32_e64 v0, v0, v44, s[24:25]
	v_cndmask_b32_e64 v42, v42, v54, s[50:51]
	;; [unrolled: 1-line block ×3, first 2 shown]
	v_cmp_eq_u32_e64 s[30:31], 6, v73
	v_cndmask_b32_e64 v41, v41, v54, s[52:53]
	v_cmp_eq_u32_e64 s[36:37], 7, v73
	v_cndmask_b32_e64 v0, v0, v42, s[30:31]
	v_cndmask_b32_e64 v40, v40, v54, s[54:55]
	;; [unrolled: 1-line block ×3, first 2 shown]
	v_cmp_eq_u32_e64 s[38:39], 8, v73
	v_cndmask_b32_e64 v39, v39, v54, s[56:57]
	s_waitcnt lgkmcnt(0)
	v_cndmask_b32_e64 v24, v24, v59, s[44:45]
	v_cndmask_b32_e64 v0, v0, v40, s[38:39]
	v_cndmask_b32_e64 v8, v8, v60, s[44:45]
	v_cmp_eq_u32_e64 s[44:45], 9, v73
	v_cndmask_b32_e64 v38, v38, v54, s[62:63]
	v_cndmask_b32_e64 v23, v23, v59, s[46:47]
	v_cndmask_b32_e64 v0, v0, v39, s[44:45]
	v_cndmask_b32_e64 v7, v7, v60, s[46:47]
	v_cmp_eq_u32_e64 s[46:47], 10, v73
	v_cndmask_b32_e64 v37, v37, v54, s[66:67]
	v_cndmask_b32_e64 v22, v22, v59, s[48:49]
	v_cndmask_b32_e64 v0, v0, v38, s[46:47]
	v_cndmask_b32_e64 v6, v6, v60, s[48:49]
	v_cmp_eq_u32_e64 s[48:49], 11, v73
	v_cndmask_b32_e64 v33, v33, v54, s[78:79]
	v_cndmask_b32_e64 v34, v34, v54, s[74:75]
	v_cndmask_b32_e64 v35, v35, v54, s[72:73]
	;; [unrolled: 1-line block ×6, first 2 shown]
	v_cmp_eq_u32_e64 s[40:41], 12, v73
	v_cndmask_b32_e64 v20, v20, v59, s[28:29]
	v_cndmask_b32_e64 v55, v57, v60, s[28:29]
	v_cndmask_b32_e64 v0, v0, v36, s[40:41]
	v_cmp_eq_u32_e64 s[28:29], 13, v73
	v_cndmask_b32_e64 v27, v27, v59, s[58:59]
	v_cndmask_b32_e64 v11, v11, v60, s[58:59]
	v_cndmask_b32_e64 v0, v0, v35, s[28:29]
	;; [unrolled: 4-line block ×4, first 2 shown]
	ds_bpermute_b32 v57, v82, v0
	v_cndmask_b32_e64 v32, v32, v59, s[60:61]
	v_cndmask_b32_e64 v18, v18, v59, s[14:15]
	;; [unrolled: 1-line block ×4, first 2 shown]
	s_waitcnt lgkmcnt(0)
	v_cndmask_b32_e64 v1, v43, v57, s[26:27]
	v_cndmask_b32_e64 v3, v45, v57, s[22:23]
	;; [unrolled: 1-line block ×5, first 2 shown]
	v_cndmask_b32_e32 v44, v32, v4, vcc
	v_cndmask_b32_e32 v5, v45, v43, vcc
	v_cndmask_b32_e64 v44, v44, v18, s[6:7]
	v_cndmask_b32_e64 v5, v5, v84, s[6:7]
	;; [unrolled: 1-line block ×38, first 2 shown]
	v_cmp_eq_u32_e64 s[76:77], 0, v73
	v_cndmask_b32_e64 v16, v46, v57, s[20:21]
	v_cndmask_b32_e64 v0, v47, v57, s[16:17]
	ds_bpermute_b32 v44, v82, v44
	ds_bpermute_b32 v46, v82, v5
	v_cndmask_b32_e64 v47, v17, v57, s[76:77]
	v_cmp_eq_u32_e64 s[8:9], 1, v74
	v_cmp_eq_u32_e64 s[14:15], 2, v74
	;; [unrolled: 1-line block ×3, first 2 shown]
	v_cndmask_b32_e64 v5, v47, v0, s[8:9]
	v_cndmask_b32_e64 v5, v5, v16, s[14:15]
	;; [unrolled: 1-line block ×3, first 2 shown]
	v_cmp_eq_u32_e64 s[60:61], 4, v74
	v_cmp_eq_u32_e64 s[68:69], 5, v74
	v_cndmask_b32_e64 v42, v42, v57, s[30:31]
	v_cndmask_b32_e64 v5, v5, v2, s[60:61]
	;; [unrolled: 1-line block ×3, first 2 shown]
	s_waitcnt lgkmcnt(1)
	v_cndmask_b32_e64 v27, v27, v44, s[66:67]
	s_waitcnt lgkmcnt(0)
	v_cndmask_b32_e64 v60, v11, v46, s[66:67]
	v_cmp_eq_u32_e64 s[66:67], 6, v74
	v_cndmask_b32_e32 v91, v4, v44, vcc
	v_cndmask_b32_e64 v32, v32, v44, s[34:35]
	v_cndmask_b32_e64 v41, v41, v57, s[36:37]
	v_cndmask_b32_e64 v5, v5, v42, s[66:67]
	v_cndmask_b32_e64 v26, v26, v44, s[62:63]
	v_cndmask_b32_e64 v85, v10, v46, s[62:63]
	v_cmp_eq_u32_e64 s[62:63], 7, v74
	v_cndmask_b32_e64 v18, v18, v44, s[6:7]
	v_cndmask_b32_e64 v4, v32, v91, s[16:17]
	v_cndmask_b32_e64 v40, v40, v57, s[38:39]
	v_cndmask_b32_e64 v5, v5, v41, s[62:63]
	v_cndmask_b32_e64 v25, v25, v44, s[56:57]
	v_cndmask_b32_e64 v86, v9, v46, s[56:57]
	v_cmp_eq_u32_e64 s[56:57], 8, v74
	v_cndmask_b32_e64 v19, v19, v44, s[10:11]
	;; [unrolled: 7-line block ×5, first 2 shown]
	v_cndmask_b32_e64 v36, v36, v57, s[40:41]
	v_cndmask_b32_e64 v5, v5, v37, s[50:51]
	v_cndmask_b32_e64 v54, v54, v46, s[42:43]
	v_cmp_eq_u32_e64 s[42:43], 12, v74
	v_cndmask_b32_e64 v4, v4, v22, s[30:31]
	v_cndmask_b32_e64 v35, v35, v57, s[28:29]
	v_cndmask_b32_e64 v5, v5, v36, s[42:43]
	v_cndmask_b32_e64 v55, v55, v46, s[12:13]
	v_cmp_eq_u32_e64 s[12:13], 13, v74
	v_cndmask_b32_e64 v4, v4, v23, s[36:37]
	;; [unrolled: 5-line block ×4, first 2 shown]
	v_cndmask_b32_e64 v4, v4, v26, s[46:47]
	v_cndmask_b32_e64 v5, v5, v33, s[6:7]
	;; [unrolled: 1-line block ×3, first 2 shown]
	ds_bpermute_b32 v90, v82, v5
	v_cndmask_b32_e64 v4, v4, v27, s[48:49]
	v_cndmask_b32_e64 v29, v29, v44, s[72:73]
	;; [unrolled: 1-line block ×9, first 2 shown]
	s_waitcnt lgkmcnt(0)
	v_cndmask_b32_e64 v15, v33, v90, s[6:7]
	ds_bpermute_b32 v33, v82, v4
	v_cndmask_b32_e64 v57, v14, v46, s[74:75]
	v_cndmask_b32_e64 v14, v34, v90, s[10:11]
	;; [unrolled: 1-line block ×4, first 2 shown]
	s_waitcnt lgkmcnt(0)
	v_cndmask_b32_e64 v34, v91, v33, s[16:17]
	v_cndmask_b32_e64 v32, v32, v33, s[76:77]
	;; [unrolled: 1-line block ×32, first 2 shown]
	ds_bpermute_b32 v33, v82, v1
	v_cndmask_b32_e64 v58, v13, v46, s[72:73]
	v_cndmask_b32_e32 v43, v43, v46, vcc
	v_cndmask_b32_e64 v13, v35, v90, s[12:13]
	v_cndmask_b32_e64 v35, v45, v46, s[34:35]
	s_waitcnt lgkmcnt(0)
	v_cndmask_b32_e64 v31, v16, v33, s[6:7]
	v_cndmask_b32_e64 v16, v35, v43, s[16:17]
	;; [unrolled: 1-line block ×17, first 2 shown]
	ds_bpermute_b32 v16, v82, v16
	v_cndmask_b32_e64 v11, v37, v90, s[50:51]
	v_cndmask_b32_e64 v7, v41, v90, s[62:63]
	;; [unrolled: 1-line block ×4, first 2 shown]
	s_waitcnt lgkmcnt(0)
	v_cndmask_b32_e64 v37, v57, v16, s[58:59]
	v_cndmask_b32_e64 v41, v85, v16, s[46:47]
	;; [unrolled: 1-line block ×33, first 2 shown]
	ds_bpermute_b32 v87, v82, v16
	v_cmp_eq_u32_e32 vcc, 0, v74
	v_cndmask_b32_e64 v1, v0, v90, s[8:9]
	v_readlane_b32 s24, v93, 10
	v_cndmask_b32_e32 v0, v47, v90, vcc
	s_waitcnt lgkmcnt(0)
	v_cndmask_b32_e64 v47, v36, v87, s[6:7]
	v_readlane_b32 s6, v93, 30
	v_readlane_b32 s7, v93, 31
	;; [unrolled: 1-line block ×4, first 2 shown]
	v_subrev_u32_e32 v83, s4, v83
	s_mov_b32 s1, 0
	v_cndmask_b32_e64 v6, v42, v90, s[66:67]
	v_cndmask_b32_e64 v3, v3, v90, s[18:19]
	;; [unrolled: 1-line block ×16, first 2 shown]
	v_cndmask_b32_e32 v16, v32, v33, vcc
	v_cndmask_b32_e64 v46, v37, v87, s[10:11]
	v_cndmask_b32_e64 v45, v38, v87, s[12:13]
	;; [unrolled: 1-line block ×14, first 2 shown]
	v_cndmask_b32_e32 v32, v86, v87, vcc
	v_lshl_add_u64 v[54:55], s[6:7], 0, v[48:49]
	s_mov_b64 s[6:7], 0
	s_mov_b32 s16, 0
	v_readlane_b32 s25, v93, 11
	v_readlane_b32 s27, v93, 13
	;; [unrolled: 1-line block ×11, first 2 shown]
	s_mov_b64 s[20:21], 0x80
                                        ; implicit-def: $sgpr8_sgpr9
	s_branch .LBB281_29
.LBB281_27:                             ;   in Loop: Header=BB281_29 Depth=2
	s_or_b64 exec, exec, s[12:13]
	s_andn2_b64 s[8:9], s[8:9], exec
	s_and_b64 s[12:13], s[14:15], exec
	s_or_b64 s[8:9], s[8:9], s[12:13]
.LBB281_28:                             ;   in Loop: Header=BB281_29 Depth=2
	s_or_b64 exec, exec, s[10:11]
	s_and_b64 s[10:11], exec, s[8:9]
	s_or_b64 s[6:7], s[10:11], s[6:7]
	s_andn2_b64 exec, exec, s[6:7]
	s_cbranch_execz .LBB281_32
.LBB281_29:                             ;   Parent Loop BB281_7 Depth=1
                                        ; =>  This Inner Loop Header: Depth=2
	s_and_b32 s12, s1, 24
	v_or_b32_e32 v57, s12, v80
	v_add_u32_e32 v58, s5, v57
	v_cmp_gt_u32_e32 vcc, 32, v58
	s_or_b64 s[8:9], s[8:9], exec
	s_and_saveexec_b64 s[10:11], vcc
	s_cbranch_execz .LBB281_28
; %bb.30:                               ;   in Loop: Header=BB281_29 Depth=2
	s_add_i32 s13, s16, 1
	s_set_gpr_idx_on s16, gpr_idx(SRC0)
	v_mov_b32_e32 v58, v0
	s_set_gpr_idx_off
	v_cvt_f16_f32_e32 v60, v58
	s_set_gpr_idx_on s13, gpr_idx(SRC0)
	v_mov_b32_e32 v58, v0
	s_set_gpr_idx_off
	v_cvt_f16_f32_sdwa v61, v58 dst_sel:WORD_1 dst_unused:UNUSED_PAD src0_sel:DWORD
	v_mul_lo_u32 v58, v57, s93
	v_ashrrev_i32_e32 v59, 31, v58
	v_lshl_add_u64 v[58:59], v[58:59], 1, v[54:55]
	v_or_b32_e32 v57, v61, v60
	;;#ASMSTART
	global_atomic_pk_add_f16 v[58:59], v57, off
	
	;;#ASMEND
	s_set_gpr_idx_on s16, gpr_idx(SRC0)
	v_mov_b32_e32 v57, v16
	s_set_gpr_idx_off
	v_cvt_f16_f32_e32 v57, v57
	s_set_gpr_idx_on s13, gpr_idx(SRC0)
	v_mov_b32_e32 v60, v16
	s_set_gpr_idx_off
	v_cvt_f16_f32_sdwa v84, v60 dst_sel:WORD_1 dst_unused:UNUSED_PAD src0_sel:DWORD
	v_lshl_add_u64 v[60:61], v[58:59], 0, 64
	v_lshl_add_u64 v[58:59], v[58:59], 0, s[20:21]
	s_mov_b64 s[14:15], -1
	v_or_b32_e32 v57, v84, v57
	;;#ASMSTART
	global_atomic_pk_add_f16 v[60:61], v57, off
	
	;;#ASMEND
	s_set_gpr_idx_on s16, gpr_idx(SRC0)
	v_mov_b32_e32 v57, v32
	s_set_gpr_idx_off
	v_cvt_f16_f32_e32 v57, v57
	s_set_gpr_idx_on s13, gpr_idx(SRC0)
	v_mov_b32_e32 v60, v32
	s_set_gpr_idx_off
	v_cvt_f16_f32_sdwa v60, v60 dst_sel:WORD_1 dst_unused:UNUSED_PAD src0_sel:DWORD
	s_nop 0
	v_or_b32_e32 v57, v60, v57
	;;#ASMSTART
	global_atomic_pk_add_f16 v[58:59], v57, off
	
	;;#ASMEND
	v_or_b32_e32 v57, s12, v81
	v_add_u32_e32 v58, s5, v57
	v_cmp_gt_u32_e32 vcc, 32, v58
	s_and_saveexec_b64 s[12:13], vcc
	s_cbranch_execz .LBB281_27
; %bb.31:                               ;   in Loop: Header=BB281_29 Depth=2
	s_add_i32 s14, s16, 2
	s_add_i32 s15, s16, 3
	s_set_gpr_idx_on s14, gpr_idx(SRC0)
	v_mov_b32_e32 v58, v0
	s_set_gpr_idx_off
	v_cvt_f16_f32_e32 v60, v58
	s_set_gpr_idx_on s15, gpr_idx(SRC0)
	v_mov_b32_e32 v58, v0
	s_set_gpr_idx_off
	v_cvt_f16_f32_sdwa v61, v58 dst_sel:WORD_1 dst_unused:UNUSED_PAD src0_sel:DWORD
	v_mul_lo_u32 v58, v57, s93
	v_ashrrev_i32_e32 v59, 31, v58
	v_lshl_add_u64 v[58:59], v[58:59], 1, v[54:55]
	v_or_b32_e32 v57, v61, v60
	;;#ASMSTART
	global_atomic_pk_add_f16 v[58:59], v57, off
	
	;;#ASMEND
	s_set_gpr_idx_on s14, gpr_idx(SRC0)
	v_mov_b32_e32 v57, v16
	s_set_gpr_idx_off
	v_cvt_f16_f32_e32 v57, v57
	s_set_gpr_idx_on s15, gpr_idx(SRC0)
	v_mov_b32_e32 v60, v16
	s_set_gpr_idx_off
	v_cvt_f16_f32_sdwa v84, v60 dst_sel:WORD_1 dst_unused:UNUSED_PAD src0_sel:DWORD
	v_lshl_add_u64 v[60:61], v[58:59], 0, 64
	s_add_i32 s16, s16, 4
	s_add_i32 s1, s1, 8
	v_or_b32_e32 v57, v84, v57
	;;#ASMSTART
	global_atomic_pk_add_f16 v[60:61], v57, off
	
	;;#ASMEND
	s_set_gpr_idx_on s14, gpr_idx(SRC0)
	v_mov_b32_e32 v57, v32
	s_set_gpr_idx_off
	v_cvt_f16_f32_e32 v57, v57
	s_set_gpr_idx_on s15, gpr_idx(SRC0)
	v_mov_b32_e32 v60, v32
	s_set_gpr_idx_off
	v_cvt_f16_f32_sdwa v60, v60 dst_sel:WORD_1 dst_unused:UNUSED_PAD src0_sel:DWORD
	s_cmp_eq_u32 s16, 16
	s_cselect_b64 s[14:15], -1, 0
	s_orn2_b64 s[14:15], s[14:15], exec
	v_lshl_add_u64 v[58:59], v[58:59], 0, s[20:21]
	v_or_b32_e32 v57, v60, v57
	;;#ASMSTART
	global_atomic_pk_add_f16 v[58:59], v57, off
	
	;;#ASMEND
	s_branch .LBB281_27
.LBB281_32:                             ;   in Loop: Header=BB281_7 Depth=1
	s_or_b64 exec, exec, s[6:7]
	v_readlane_b32 s16, v93, 2
	v_readlane_b32 s14, v93, 0
	;; [unrolled: 1-line block ×11, first 2 shown]
.LBB281_33:                             ;   in Loop: Header=BB281_7 Depth=1
	v_readlane_b32 s6, v93, 27
	v_readlane_b32 s7, v93, 28
	s_or_b64 exec, exec, s[6:7]
.LBB281_34:                             ;   in Loop: Header=BB281_7 Depth=1
	s_or_saveexec_b64 s[2:3], s[2:3]
	v_readlane_b32 s13, v93, 26
	s_xor_b64 exec, exec, s[2:3]
	s_cbranch_execz .LBB281_43
; %bb.35:                               ;   in Loop: Header=BB281_7 Depth=1
	s_mul_i32 s12, s4, 3
	v_cmp_gt_i32_e32 vcc, s12, v83
	s_and_saveexec_b64 s[6:7], vcc
	s_cbranch_execz .LBB281_42
; %bb.36:                               ;   in Loop: Header=BB281_7 Depth=1
	s_mul_i32 s0, s0, s95
	s_ashr_i32 s1, s0, 31
	s_add_u32 s0, s18, s0
	s_addc_u32 s1, s19, s1
	s_ashr_i32 s8, s13, 31
	s_add_u32 s0, s0, s13
	s_addc_u32 s1, s1, s8
	v_lshl_add_u64 v[0:1], s[0:1], 0, v[52:53]
	v_lshl_add_u64 v[8:9], v[0:1], 0, v[50:51]
	s_mov_b64 s[0:1], 0
	s_branch .LBB281_38
.LBB281_37:                             ;   in Loop: Header=BB281_38 Depth=2
	s_or_b64 exec, exec, s[8:9]
	v_lshl_add_u32 v12, v10, 11, v77
	;;#ASMSTART
	s_waitcnt vmcnt(1)
	;;#ASMEND
	ds_write2_b32 v12, v4, v5 offset1:32
	ds_write2_b32 v12, v6, v7 offset0:64 offset1:96
	v_add_u32_e32 v4, 0x400, v12
	v_add_u32_e32 v83, s98, v83
	;;#ASMSTART
	s_waitcnt vmcnt(0)
	;;#ASMEND
	ds_write2_b32 v4, v0, v1 offset1:32
	ds_write2_b32 v4, v2, v3 offset0:64 offset1:96
	v_add_u32_e32 v0, 1, v63
	v_add_u32_e32 v56, s98, v10
	v_cmp_le_i32_e32 vcc, s12, v83
	ds_write_b32 v11, v0 offset:36
	v_add_u32_e32 v0, 2, v63
	s_or_b64 s[0:1], vcc, s[0:1]
	v_cmp_lt_i32_e32 vcc, 8, v56
	s_nop 1
	v_cndmask_b32_e32 v63, v63, v0, vcc
	s_andn2_b64 exec, exec, s[0:1]
	s_cbranch_execz .LBB281_41
.LBB281_38:                             ;   Parent Loop BB281_7 Depth=1
                                        ; =>  This Loop Header: Depth=2
                                        ;       Child Loop BB281_40 Depth 3
	v_cmp_gt_i32_e32 vcc, 9, v56
	s_nop 1
	v_cndmask_b32_e64 v0, -9, 0, vcc
	v_add_u32_e32 v10, v0, v56
	v_mul_hi_i32 v0, v83, s91
	v_lshrrev_b32_e32 v1, 31, v0
	v_add_u32_e32 v0, v0, v1
	v_lshl_add_u32 v1, v0, 1, v0
	v_sub_u32_e32 v2, v83, v1
	v_lshlrev_b32_e32 v0, 6, v0
	v_ashrrev_i32_e32 v1, 31, v0
	v_mul_lo_u32 v2, s31, v2
	v_lshl_add_u64 v[0:1], v[8:9], 0, v[0:1]
	v_ashrrev_i32_e32 v3, 31, v2
	v_lshl_add_u64 v[0:1], v[0:1], 0, v[2:3]
	v_lshlrev_b32_e32 v11, 2, v10
	;;#ASMSTART
	global_load_dwordx4 v[4:7], v[0:1], off offset:0   sc0 sc1 nt  
	global_load_dwordx4 v[0:3], v[0:1], off offset:32  sc0 sc1 nt  
	
	;;#ASMEND
	ds_read_b32 v12, v11 offset:36900
	v_add_u32_e32 v11, 0x9000, v11
	s_waitcnt lgkmcnt(0)
	v_cmp_ne_u32_e32 vcc, v12, v63
	s_and_saveexec_b64 s[8:9], vcc
	s_cbranch_execz .LBB281_37
; %bb.39:                               ;   in Loop: Header=BB281_38 Depth=2
	s_mov_b64 s[10:11], 0
.LBB281_40:                             ;   Parent Loop BB281_7 Depth=1
                                        ;     Parent Loop BB281_38 Depth=2
                                        ; =>    This Inner Loop Header: Depth=3
	;;#ASMSTART
	s_sleep 0
	;;#ASMEND
	ds_read_b32 v12, v11 offset:36
	s_waitcnt lgkmcnt(0)
	v_cmp_eq_u32_e32 vcc, v12, v63
	s_or_b64 s[10:11], vcc, s[10:11]
	s_andn2_b64 exec, exec, s[10:11]
	s_cbranch_execnz .LBB281_40
	s_branch .LBB281_37
.LBB281_41:                             ;   in Loop: Header=BB281_7 Depth=1
	s_or_b64 exec, exec, s[0:1]
.LBB281_42:                             ;   in Loop: Header=BB281_7 Depth=1
	s_or_b64 exec, exec, s[6:7]
	v_subrev_u32_e32 v83, s12, v83
.LBB281_43:                             ;   in Loop: Header=BB281_7 Depth=1
	s_or_b64 exec, exec, s[2:3]
.LBB281_44:                             ;   in Loop: Header=BB281_7 Depth=1
	v_readlane_b32 s0, v93, 24
	v_readlane_b32 s1, v93, 25
	s_andn2_saveexec_b64 s[0:1], s[0:1]
	s_cbranch_execz .LBB281_6
; %bb.45:                               ;   in Loop: Header=BB281_7 Depth=1
	s_mul_i32 s10, s4, 3
	v_cmp_gt_i32_e32 vcc, s10, v83
	s_and_saveexec_b64 s[2:3], vcc
	s_cbranch_execz .LBB281_5
; %bb.46:                               ;   in Loop: Header=BB281_7 Depth=1
	s_mul_i32 s4, s40, s94
	s_ashr_i32 s6, s4, 31
	s_add_u32 s4, s16, s4
	s_addc_u32 s7, s17, s6
	s_ashr_i32 s8, s13, 31
	s_add_u32 s6, s4, s13
	v_add_u32_e32 v2, s5, v64
	s_movk_i32 s4, 0x60
	v_cmp_gt_u32_e32 vcc, s4, v2
	s_addc_u32 s7, s7, s8
	v_sub_u32_e32 v10, 0x5f, v2
	v_cndmask_b32_e32 v0, 0, v78, vcc
	v_ashrrev_i32_e32 v1, 31, v0
	v_lshl_add_u64 v[0:1], s[6:7], 0, v[0:1]
	v_lshl_add_u64 v[8:9], v[0:1], 0, v[50:51]
	s_mov_b64 s[4:5], 0
	s_branch .LBB281_48
.LBB281_47:                             ;   in Loop: Header=BB281_48 Depth=2
	s_or_b64 exec, exec, s[6:7]
	v_lshl_or_b32 v13, v11, 11, v79
	;;#ASMSTART
	s_waitcnt vmcnt(1)
	;;#ASMEND
	ds_write2_b32 v13, v4, v5 offset1:32
	ds_write2_b32 v13, v6, v7 offset0:64 offset1:96
	v_add_u32_e32 v4, 0x400, v13
	v_add_u32_e32 v83, s97, v83
	;;#ASMSTART
	s_waitcnt vmcnt(0)
	;;#ASMEND
	ds_write2_b32 v4, v0, v1 offset1:32
	ds_write2_b32 v4, v2, v3 offset0:64 offset1:96
	v_add_u32_e32 v0, 1, v63
	v_add_u32_e32 v56, s97, v11
	v_cmp_le_i32_e32 vcc, s10, v83
	ds_write_b32 v12, v0
	v_add_u32_e32 v0, 2, v63
	s_or_b64 s[4:5], vcc, s[4:5]
	v_cmp_lt_i32_e32 vcc, 8, v56
	s_nop 1
	v_cndmask_b32_e32 v63, v63, v0, vcc
	s_andn2_b64 exec, exec, s[4:5]
	s_cbranch_execz .LBB281_4
.LBB281_48:                             ;   Parent Loop BB281_7 Depth=1
                                        ; =>  This Loop Header: Depth=2
                                        ;       Child Loop BB281_50 Depth 3
	v_cmp_gt_i32_e32 vcc, 9, v56
	s_nop 1
	v_cndmask_b32_e64 v0, -9, 0, vcc
	v_add_u32_e32 v11, v0, v56
	v_mul_hi_i32 v0, v83, s91
	v_lshrrev_b32_e32 v1, 31, v0
	v_add_u32_e32 v0, v0, v1
	v_lshl_add_u32 v1, v0, 1, v0
	v_sub_u32_e32 v1, v83, v1
	v_lshlrev_b32_e32 v1, 5, v1
	v_cmp_le_i32_e32 vcc, v1, v10
	v_lshlrev_b32_e32 v0, 6, v0
	v_lshlrev_b32_e32 v12, 2, v11
	v_cndmask_b32_e32 v2, 0, v1, vcc
	v_ashrrev_i32_e32 v1, 31, v0
	v_mul_lo_u32 v2, v2, s94
	v_lshl_add_u64 v[0:1], v[8:9], 0, v[0:1]
	v_ashrrev_i32_e32 v3, 31, v2
	v_lshl_add_u64 v[0:1], v[0:1], 0, v[2:3]
	;;#ASMSTART
	global_load_dwordx4 v[4:7], v[0:1], off offset:0   
	global_load_dwordx4 v[0:3], v[0:1], off offset:32  
	
	;;#ASMEND
	ds_read_b32 v13, v12 offset:36864
	v_add_u32_e32 v12, 0x9000, v12
	s_waitcnt lgkmcnt(0)
	v_cmp_ne_u32_e32 vcc, v13, v63
	s_and_saveexec_b64 s[6:7], vcc
	s_cbranch_execz .LBB281_47
; %bb.49:                               ;   in Loop: Header=BB281_48 Depth=2
	s_mov_b64 s[8:9], 0
.LBB281_50:                             ;   Parent Loop BB281_7 Depth=1
                                        ;     Parent Loop BB281_48 Depth=2
                                        ; =>    This Inner Loop Header: Depth=3
	;;#ASMSTART
	s_sleep 0
	;;#ASMEND
	ds_read_b32 v13, v12
	s_waitcnt lgkmcnt(0)
	v_cmp_eq_u32_e32 vcc, v13, v63
	s_or_b64 s[8:9], vcc, s[8:9]
	s_andn2_b64 exec, exec, s[8:9]
	s_cbranch_execnz .LBB281_50
	s_branch .LBB281_47
.LBB281_51:
	s_endpgm
	.section	.rodata,"a",@progbits
	.p2align	6, 0x0
	.amdhsa_kernel _Z19_skinny_gemm_kernelILi3ELi3ELi3ELi32ELi4EEvPKhS1_P6__halfPKfiiiiiiii
		.amdhsa_group_segment_fixed_size 36936
		.amdhsa_private_segment_fixed_size 0
		.amdhsa_kernarg_size 64
		.amdhsa_user_sgpr_count 2
		.amdhsa_user_sgpr_dispatch_ptr 0
		.amdhsa_user_sgpr_queue_ptr 0
		.amdhsa_user_sgpr_kernarg_segment_ptr 1
		.amdhsa_user_sgpr_dispatch_id 0
		.amdhsa_user_sgpr_kernarg_preload_length 0
		.amdhsa_user_sgpr_kernarg_preload_offset 0
		.amdhsa_user_sgpr_private_segment_size 0
		.amdhsa_uses_dynamic_stack 0
		.amdhsa_enable_private_segment 0
		.amdhsa_system_sgpr_workgroup_id_x 1
		.amdhsa_system_sgpr_workgroup_id_y 0
		.amdhsa_system_sgpr_workgroup_id_z 0
		.amdhsa_system_sgpr_workgroup_info 0
		.amdhsa_system_vgpr_workitem_id 0
		.amdhsa_next_free_vgpr 94
		.amdhsa_next_free_sgpr 100
		.amdhsa_accum_offset 96
		.amdhsa_reserve_vcc 1
		.amdhsa_float_round_mode_32 0
		.amdhsa_float_round_mode_16_64 0
		.amdhsa_float_denorm_mode_32 3
		.amdhsa_float_denorm_mode_16_64 3
		.amdhsa_dx10_clamp 1
		.amdhsa_ieee_mode 1
		.amdhsa_fp16_overflow 0
		.amdhsa_tg_split 0
		.amdhsa_exception_fp_ieee_invalid_op 0
		.amdhsa_exception_fp_denorm_src 0
		.amdhsa_exception_fp_ieee_div_zero 0
		.amdhsa_exception_fp_ieee_overflow 0
		.amdhsa_exception_fp_ieee_underflow 0
		.amdhsa_exception_fp_ieee_inexact 0
		.amdhsa_exception_int_div_zero 0
	.end_amdhsa_kernel
	.section	.text._Z19_skinny_gemm_kernelILi3ELi3ELi3ELi32ELi4EEvPKhS1_P6__halfPKfiiiiiiii,"axG",@progbits,_Z19_skinny_gemm_kernelILi3ELi3ELi3ELi32ELi4EEvPKhS1_P6__halfPKfiiiiiiii,comdat
.Lfunc_end281:
	.size	_Z19_skinny_gemm_kernelILi3ELi3ELi3ELi32ELi4EEvPKhS1_P6__halfPKfiiiiiiii, .Lfunc_end281-_Z19_skinny_gemm_kernelILi3ELi3ELi3ELi32ELi4EEvPKhS1_P6__halfPKfiiiiiiii
                                        ; -- End function
	.set _Z19_skinny_gemm_kernelILi3ELi3ELi3ELi32ELi4EEvPKhS1_P6__halfPKfiiiiiiii.num_vgpr, 94
	.set _Z19_skinny_gemm_kernelILi3ELi3ELi3ELi32ELi4EEvPKhS1_P6__halfPKfiiiiiiii.num_agpr, 0
	.set _Z19_skinny_gemm_kernelILi3ELi3ELi3ELi32ELi4EEvPKhS1_P6__halfPKfiiiiiiii.numbered_sgpr, 100
	.set _Z19_skinny_gemm_kernelILi3ELi3ELi3ELi32ELi4EEvPKhS1_P6__halfPKfiiiiiiii.num_named_barrier, 0
	.set _Z19_skinny_gemm_kernelILi3ELi3ELi3ELi32ELi4EEvPKhS1_P6__halfPKfiiiiiiii.private_seg_size, 0
	.set _Z19_skinny_gemm_kernelILi3ELi3ELi3ELi32ELi4EEvPKhS1_P6__halfPKfiiiiiiii.uses_vcc, 1
	.set _Z19_skinny_gemm_kernelILi3ELi3ELi3ELi32ELi4EEvPKhS1_P6__halfPKfiiiiiiii.uses_flat_scratch, 0
	.set _Z19_skinny_gemm_kernelILi3ELi3ELi3ELi32ELi4EEvPKhS1_P6__halfPKfiiiiiiii.has_dyn_sized_stack, 0
	.set _Z19_skinny_gemm_kernelILi3ELi3ELi3ELi32ELi4EEvPKhS1_P6__halfPKfiiiiiiii.has_recursion, 0
	.set _Z19_skinny_gemm_kernelILi3ELi3ELi3ELi32ELi4EEvPKhS1_P6__halfPKfiiiiiiii.has_indirect_call, 0
	.section	.AMDGPU.csdata,"",@progbits
; Kernel info:
; codeLenInByte = 11648
; TotalNumSgprs: 106
; NumVgprs: 94
; NumAgprs: 0
; TotalNumVgprs: 94
; ScratchSize: 0
; MemoryBound: 0
; FloatMode: 240
; IeeeMode: 1
; LDSByteSize: 36936 bytes/workgroup (compile time only)
; SGPRBlocks: 13
; VGPRBlocks: 11
; NumSGPRsForWavesPerEU: 106
; NumVGPRsForWavesPerEU: 94
; AccumOffset: 96
; Occupancy: 5
; WaveLimiterHint : 0
; COMPUTE_PGM_RSRC2:SCRATCH_EN: 0
; COMPUTE_PGM_RSRC2:USER_SGPR: 2
; COMPUTE_PGM_RSRC2:TRAP_HANDLER: 0
; COMPUTE_PGM_RSRC2:TGID_X_EN: 1
; COMPUTE_PGM_RSRC2:TGID_Y_EN: 0
; COMPUTE_PGM_RSRC2:TGID_Z_EN: 0
; COMPUTE_PGM_RSRC2:TIDIG_COMP_CNT: 0
; COMPUTE_PGM_RSRC3_GFX90A:ACCUM_OFFSET: 23
; COMPUTE_PGM_RSRC3_GFX90A:TG_SPLIT: 0
	.section	.text._Z19_skinny_gemm_kernelILi3ELi3ELi4ELi16ELi4EEvPKhS1_P6__halfPKfiiiiiiii,"axG",@progbits,_Z19_skinny_gemm_kernelILi3ELi3ELi4ELi16ELi4EEvPKhS1_P6__halfPKfiiiiiiii,comdat
	.protected	_Z19_skinny_gemm_kernelILi3ELi3ELi4ELi16ELi4EEvPKhS1_P6__halfPKfiiiiiiii ; -- Begin function _Z19_skinny_gemm_kernelILi3ELi3ELi4ELi16ELi4EEvPKhS1_P6__halfPKfiiiiiiii
	.globl	_Z19_skinny_gemm_kernelILi3ELi3ELi4ELi16ELi4EEvPKhS1_P6__halfPKfiiiiiiii
	.p2align	8
	.type	_Z19_skinny_gemm_kernelILi3ELi3ELi4ELi16ELi4EEvPKhS1_P6__halfPKfiiiiiiii,@function
_Z19_skinny_gemm_kernelILi3ELi3ELi4ELi16ELi4EEvPKhS1_P6__halfPKfiiiiiiii: ; @_Z19_skinny_gemm_kernelILi3ELi3ELi4ELi16ELi4EEvPKhS1_P6__halfPKfiiiiiiii
; %bb.0:
	v_cmp_gt_u32_e32 vcc, 24, v0
	v_lshlrev_b32_e32 v1, 2, v0
	s_and_saveexec_b64 s[4:5], vcc
; %bb.1:
	v_mov_b32_e32 v2, 0
	ds_write_b32 v1, v2 offset:49152
; %bb.2:
	s_or_b64 exec, exec, s[4:5]
	s_load_dwordx8 s[20:27], s[0:1], 0x20
	s_waitcnt lgkmcnt(0)
	s_barrier
	s_add_i32 s3, s20, 47
	s_add_i32 s4, s21, 47
	s_mul_hi_i32 s3, s3, 0x2aaaaaab
	s_lshr_b32 s5, s3, 31
	s_ashr_i32 s33, s3, 3
	s_mul_hi_i32 s3, s4, 0x2aaaaaab
	s_lshr_b32 s4, s3, 31
	s_ashr_i32 s50, s3, 3
	s_add_i32 s33, s33, s5
	s_add_i32 s50, s50, s4
	s_mul_i32 s3, s50, s33
	s_mul_i32 s3, s3, s24
	s_add_i32 s4, s3, 0x12f
	s_mul_hi_i32 s4, s4, 0x6bca1af3
	s_lshr_b32 s5, s4, 31
	s_ashr_i32 s4, s4, 7
	s_add_i32 s4, s4, s5
	s_add_i32 s5, s2, 1
	s_mul_i32 s5, s4, s5
	v_cvt_f64_i32_e32 v[2:3], s3
	v_cvt_f64_u32_e32 v[4:5], s5
	v_min_f64 v[2:3], v[2:3], v[4:5]
	v_cvt_i32_f64_e32 v37, v[2:3]
	s_mul_i32 s51, s4, s2
	v_cmp_ge_i32_e32 vcc, s51, v37
	s_cbranch_vccnz .LBB282_58
; %bb.3:
	v_lshrrev_b32_e32 v2, 6, v0
	s_add_i32 s4, s26, s25
	s_load_dwordx8 s[36:43], s[0:1], 0x0
	v_cmp_le_i32_e64 s[0:1], s4, v2
	v_mov_b32_e32 v3, s25
	v_cmp_le_i32_e64 s[2:3], s25, v2
	v_mov_b32_e32 v4, s26
	v_cndmask_b32_e64 v4, 0, v4, s[0:1]
	v_cndmask_b32_e64 v3, 0, v3, s[2:3]
	s_abs_i32 s5, s24
	v_add_u32_e32 v3, v3, v4
	v_cvt_f32_u32_e32 v4, s5
	v_sub_u32_e32 v50, v2, v3
	s_ashr_i32 s6, s22, 31
	s_lshr_b32 s6, s6, 25
	v_rcp_iflag_f32_e32 v3, v4
	s_sub_i32 s9, 0, s5
	s_add_i32 s6, s22, s6
	s_ashr_i32 s6, s6, 7
	v_mul_f32_e32 v3, 0x4f7ffffe, v3
	v_cvt_u32_f32_e32 v3, v3
	s_abs_i32 s8, s6
	s_xor_b32 s7, s6, s24
	s_ashr_i32 s7, s7, 31
	v_readfirstlane_b32 s10, v3
	s_mul_i32 s9, s9, s10
	s_mul_hi_u32 s9, s10, s9
	s_add_i32 s10, s10, s9
	s_mul_hi_u32 s9, s8, s10
	s_mul_i32 s10, s9, s5
	s_sub_i32 s8, s8, s10
	s_add_i32 s10, s9, 1
	s_sub_i32 s11, s8, s5
	s_cmp_ge_u32 s8, s5
	s_cselect_b32 s9, s10, s9
	s_cselect_b32 s8, s11, s8
	s_add_i32 s10, s9, 1
	s_cmp_ge_u32 s8, s5
	s_cselect_b32 s5, s10, s9
	s_xor_b32 s5, s5, s7
	s_sub_i32 s52, s5, s7
	s_add_i32 s24, s24, -1
	s_mul_i32 s5, s52, s24
	s_add_i32 s4, s4, s27
	s_sub_i32 s53, s6, s5
	v_cmp_gt_i32_e64 s[4:5], s4, v2
	v_lshlrev_b32_e32 v2, 1, v0
	v_lshlrev_b32_e32 v3, 4, v0
	v_and_b32_e32 v1, 60, v1
	v_and_b32_e32 v2, 64, v2
	;; [unrolled: 1-line block ×3, first 2 shown]
	v_or3_b32 v77, v1, v2, v4
	v_and_b32_e32 v1, 1, v0
	v_lshrrev_b32_e32 v4, 2, v0
	s_abs_i32 s54, s33
	v_and_or_b32 v83, v4, 12, v1
	v_cvt_f32_u32_e32 v4, s54
	v_lshlrev_b32_e32 v2, 1, v1
	v_and_b32_e32 v36, 14, v0
	v_sub_u32_e32 v2, v0, v2
	v_bitop3_b32 v79, v0, 1, v0 bitop3:0xc
	v_bitop3_b32 v80, v0, 3, 1 bitop3:0x6c
	v_and_b32_e32 v44, 48, v3
	v_bfe_u32 v86, v0, 2, 4
	v_and_b32_e32 v1, 60, v0
	v_lshlrev_b32_e32 v3, 8, v0
	v_lshlrev_b32_e32 v0, 6, v0
	v_and_b32_e32 v3, 0x200, v3
	v_and_b32_e32 v0, 64, v0
	v_or3_b32 v87, v1, v3, v0
	v_rcp_iflag_f32_e32 v0, v4
	s_abs_i32 s56, s50
	v_cvt_f32_u32_e32 v1, s56
	v_mad_u64_u32 v[38:39], s[6:7], s21, v83, v[36:37]
	v_mul_f32_e32 v0, 0x4f7ffffe, v0
	v_cvt_u32_f32_e32 v0, v0
	v_rcp_iflag_f32_e32 v1, v1
	s_lshl_b32 s6, s21, 4
	v_add_u32_e32 v40, s6, v38
	v_readfirstlane_b32 s7, v0
	v_mul_f32_e32 v0, 0x4f7ffffe, v1
	v_cvt_u32_f32_e32 v0, v0
	v_add_u32_e32 v42, s6, v40
	s_sub_i32 s6, 0, s54
	s_mul_i32 s6, s6, s7
	s_mul_hi_u32 s6, s7, s6
	v_add_u32_e32 v2, 1, v2
	s_add_i32 s58, s7, s6
	s_sub_i32 s6, 0, s56
	v_readfirstlane_b32 s7, v0
	v_mbcnt_lo_u32_b32 v0, -1, 0
	v_and_b32_e32 v2, 63, v2
	s_mul_i32 s6, s6, s7
	v_mbcnt_hi_u32_b32 v0, -1, v0
	v_mul_lo_u32 v46, s23, v86
	s_mul_hi_u32 s6, s7, s6
	v_and_or_b32 v0, v0, 64, v2
	v_cndmask_b32_e64 v76, 0, 1, s[0:1]
	v_or_b32_e32 v78, 0x6000, v77
	s_ashr_i32 s29, s21, 31
	s_mov_b32 s28, s21
	v_or_b32_e32 v81, 16, v36
	v_or_b32_e32 v82, 32, v36
	v_ashrrev_i32_e32 v39, 31, v38
	v_or_b32_e32 v84, 16, v83
	v_ashrrev_i32_e32 v41, 31, v40
	;; [unrolled: 2-line block ×3, first 2 shown]
	v_ashrrev_i32_e32 v47, 31, v46
	v_mov_b32_e32 v45, 0
	v_or_b32_e32 v88, 0x6000, v87
	s_lshl_b32 s55, s23, 4
	v_mul_lo_u32 v89, s22, v86
	s_ashr_i32 s57, s33, 31
	s_ashr_i32 s59, s50, 31
	s_add_i32 s60, s7, s6
	s_movk_i32 s61, 0x1800
	s_mov_b32 s62, 0x55555556
	v_lshlrev_b32_e32 v90, 2, v0
	v_mov_b32_e32 v91, v50
	s_branch .LBB282_7
.LBB282_4:                              ;   in Loop: Header=BB282_7 Depth=1
	s_or_b64 exec, exec, s[10:11]
.LBB282_5:                              ;   in Loop: Header=BB282_7 Depth=1
	s_or_b64 exec, exec, s[8:9]
	v_subrev_u32_e32 v91, s66, v91
.LBB282_6:                              ;   in Loop: Header=BB282_7 Depth=1
	s_or_b64 exec, exec, s[6:7]
	s_add_i32 s51, s51, 1
	v_cmp_ge_i32_e32 vcc, s51, v37
	s_cbranch_vccnz .LBB282_58
.LBB282_7:                              ; =>This Loop Header: Depth=1
                                        ;     Child Loop BB282_13 Depth 2
                                        ;       Child Loop BB282_15 Depth 3
                                        ;       Child Loop BB282_18 Depth 3
	;; [unrolled: 1-line block ×6, first 2 shown]
                                        ;     Child Loop BB282_45 Depth 2
                                        ;       Child Loop BB282_47 Depth 3
                                        ;     Child Loop BB282_55 Depth 2
                                        ;       Child Loop BB282_57 Depth 3
	s_abs_i32 s7, s51
	s_mul_hi_u32 s8, s7, s58
	s_mul_i32 s9, s8, s54
	s_ashr_i32 s6, s51, 31
	s_sub_i32 s7, s7, s9
	s_xor_b32 s6, s6, s57
	s_add_i32 s9, s8, 1
	s_sub_i32 s10, s7, s54
	s_cmp_ge_u32 s7, s54
	s_cselect_b32 s8, s9, s8
	s_cselect_b32 s7, s10, s7
	s_add_i32 s9, s8, 1
	s_cmp_ge_u32 s7, s54
	s_cselect_b32 s7, s9, s8
	s_xor_b32 s7, s7, s6
	s_sub_i32 s6, s7, s6
	s_abs_i32 s8, s6
	s_mul_hi_u32 s9, s8, s60
	s_mul_i32 s7, s6, s33
	s_mul_i32 s10, s9, s56
	s_sub_i32 s63, s51, s7
	s_ashr_i32 s7, s6, 31
	s_sub_i32 s8, s8, s10
	s_xor_b32 s7, s7, s59
	s_add_i32 s10, s9, 1
	s_sub_i32 s11, s8, s56
	s_cmp_ge_u32 s8, s56
	s_cselect_b32 s9, s10, s9
	s_cselect_b32 s8, s11, s8
	s_add_i32 s10, s9, 1
	s_cmp_ge_u32 s8, s56
	s_cselect_b32 s8, s10, s9
	s_xor_b32 s8, s8, s7
	s_sub_i32 s7, s8, s7
	s_mul_i32 s8, s7, s52
	s_lshl_b32 s64, s8, 7
	s_mul_i32 s63, s63, 48
	s_cmp_eq_u32 s7, s24
	s_cselect_b32 s66, s53, s52
	s_sub_i32 s8, s63, s20
	s_add_i32 s8, s8, 48
	s_max_i32 s65, s8, 0
	s_and_saveexec_b64 s[8:9], s[2:3]
	s_xor_b64 s[30:31], exec, s[8:9]
	s_cbranch_execz .LBB282_51
; %bb.8:                                ;   in Loop: Header=BB282_7 Depth=1
	s_mul_i32 s7, s7, s50
	s_sub_i32 s6, s6, s7
	s_mul_i32 s6, s6, 48
	s_sub_i32 s18, s6, s21
	s_add_i32 s18, s18, 48
	s_max_i32 s7, s18, 0
	s_sub_i32 s34, s6, s7
	s_and_saveexec_b64 s[6:7], s[0:1]
	s_xor_b64 s[44:45], exec, s[6:7]
	s_cbranch_execz .LBB282_41
; %bb.9:                                ;   in Loop: Header=BB282_7 Depth=1
	s_and_saveexec_b64 s[46:47], s[4:5]
	s_cbranch_execz .LBB282_40
; %bb.10:                               ;   in Loop: Header=BB282_7 Depth=1
	s_waitcnt lgkmcnt(0)
	global_load_dword v92, v45, s[42:43]
	v_mov_b32_e32 v35, 0
	v_cmp_gt_i32_e32 vcc, s66, v91
	v_mov_b32_e32 v34, v35
	v_mov_b32_e32 v33, v35
	;; [unrolled: 1-line block ×35, first 2 shown]
	s_and_saveexec_b64 s[6:7], vcc
	s_cbranch_execz .LBB282_32
; %bb.11:                               ;   in Loop: Header=BB282_7 Depth=1
	v_mov_b32_e32 v4, 0
	s_mov_b64 s[8:9], 0
	v_mov_b32_e32 v5, v4
	v_mov_b32_e32 v6, v4
	;; [unrolled: 1-line block ×35, first 2 shown]
	s_branch .LBB282_13
.LBB282_12:                             ;   in Loop: Header=BB282_13 Depth=2
	s_or_b64 exec, exec, s[10:11]
	v_add_u32_e32 v70, 0x1000, v95
	ds_read2_b32 v[66:67], v70 offset1:32
	v_add_u32_e32 v95, 0x1400, v95
	v_add_u32_e32 v91, s27, v91
	s_waitcnt lgkmcnt(0)
	v_mfma_f32_16x16x32_fp8_fp8 v[24:27], v[48:49], v[66:67], v[24:27]
	ds_read2_b32 v[48:49], v70 offset0:128 offset1:160
	ds_read2_b32 v[70:71], v95 offset1:32
	v_mfma_f32_16x16x32_fp8_fp8 v[12:15], v[56:57], v[66:67], v[12:15]
	v_mfma_f32_16x16x32_fp8_fp8 v[4:7], v[72:73], v[66:67], v[4:7]
	s_waitcnt lgkmcnt(1)
	v_mfma_f32_16x16x32_fp8_fp8 v[24:27], v[50:51], v[48:49], v[24:27]
	v_add_u32_e32 v50, s27, v93
	v_cmp_lt_i32_e32 vcc, 3, v50
	v_mfma_f32_16x16x32_fp8_fp8 v[12:15], v[58:59], v[48:49], v[12:15]
	v_mfma_f32_16x16x32_fp8_fp8 v[4:7], v[74:75], v[48:49], v[4:7]
	v_add_u32_e32 v48, 2, v76
	v_cndmask_b32_e32 v76, v76, v48, vcc
	v_cmp_le_i32_e32 vcc, s66, v91
	s_waitcnt lgkmcnt(0)
	v_mfma_f32_16x16x32_fp8_fp8 v[24:27], v[52:53], v[70:71], v[24:27]
	ds_read2_b32 v[52:53], v95 offset0:128 offset1:160
	s_or_b64 s[8:9], vcc, s[8:9]
	;;#ASMSTART
	s_waitcnt lgkmcnt(0)
	;;#ASMEND
	v_mfma_f32_16x16x32_fp8_fp8 v[12:15], v[60:61], v[70:71], v[12:15]
	ds_write_b32 v94, v96 offset:49208
	v_mfma_f32_16x16x32_fp8_fp8 v[4:7], v[68:69], v[70:71], v[4:7]
	s_waitcnt lgkmcnt(1)
	v_mfma_f32_16x16x32_fp8_fp8 v[24:27], v[54:55], v[52:53], v[24:27]
	v_mfma_f32_16x16x32_fp8_fp8 v[12:15], v[62:63], v[52:53], v[12:15]
	;; [unrolled: 1-line block ×3, first 2 shown]
	s_andn2_b64 exec, exec, s[8:9]
	s_cbranch_execz .LBB282_31
.LBB282_13:                             ;   Parent Loop BB282_7 Depth=1
                                        ; =>  This Loop Header: Depth=2
                                        ;       Child Loop BB282_15 Depth 3
                                        ;       Child Loop BB282_18 Depth 3
	;; [unrolled: 1-line block ×6, first 2 shown]
	v_cmp_gt_i32_e32 vcc, 4, v50
	s_nop 1
	v_cndmask_b32_e64 v48, -4, 0, vcc
	v_add_u32_e32 v93, v48, v50
	v_mul_lo_u32 v94, v93, 12
	ds_read_b32 v48, v94 offset:49200
	s_waitcnt lgkmcnt(0)
	v_cmp_ne_u32_e32 vcc, v48, v76
	s_and_saveexec_b64 s[10:11], vcc
	s_cbranch_execz .LBB282_16
; %bb.14:                               ;   in Loop: Header=BB282_13 Depth=2
	s_mov_b64 s[12:13], 0
.LBB282_15:                             ;   Parent Loop BB282_7 Depth=1
                                        ;     Parent Loop BB282_13 Depth=2
                                        ; =>    This Inner Loop Header: Depth=3
	;;#ASMSTART
	s_sleep 0
	;;#ASMEND
	ds_read_b32 v48, v94 offset:49200
	s_waitcnt lgkmcnt(0)
	v_cmp_eq_u32_e32 vcc, v48, v76
	s_or_b64 s[12:13], vcc, s[12:13]
	s_andn2_b64 exec, exec, s[12:13]
	s_cbranch_execnz .LBB282_15
.LBB282_16:                             ;   in Loop: Header=BB282_13 Depth=2
	s_or_b64 exec, exec, s[10:11]
	v_mul_lo_u32 v48, v93, s61
	v_add_u32_e32 v95, v78, v48
	v_add_u32_e32 v49, 0x400, v95
	ds_read2_b32 v[68:69], v95 offset1:32
	ds_read2_b32 v[64:65], v95 offset0:128 offset1:160
	ds_read2_b32 v[70:71], v49 offset1:32
	ds_read2_b32 v[66:67], v49 offset0:128 offset1:160
	;;#ASMSTART
	s_waitcnt lgkmcnt(0)
	;;#ASMEND
	ds_read_b32 v49, v94 offset:49152
	v_add_u32_e32 v96, 1, v76
	ds_write_b32 v94, v96 offset:49200
	s_waitcnt lgkmcnt(1)
	v_cmp_ne_u32_e32 vcc, v49, v76
	s_and_saveexec_b64 s[10:11], vcc
	s_cbranch_execz .LBB282_19
; %bb.17:                               ;   in Loop: Header=BB282_13 Depth=2
	s_mov_b64 s[12:13], 0
.LBB282_18:                             ;   Parent Loop BB282_7 Depth=1
                                        ;     Parent Loop BB282_13 Depth=2
                                        ; =>    This Inner Loop Header: Depth=3
	;;#ASMSTART
	s_sleep 0
	;;#ASMEND
	ds_read_b32 v49, v94 offset:49152
	s_waitcnt lgkmcnt(0)
	v_cmp_eq_u32_e32 vcc, v49, v76
	s_or_b64 s[12:13], vcc, s[12:13]
	s_andn2_b64 exec, exec, s[12:13]
	s_cbranch_execnz .LBB282_18
.LBB282_19:                             ;   in Loop: Header=BB282_13 Depth=2
	s_or_b64 exec, exec, s[10:11]
	v_add_u32_e32 v97, v77, v48
	ds_read2_b32 v[48:49], v97 offset1:32
	ds_read2_b32 v[50:51], v97 offset0:128 offset1:160
	v_add_u32_e32 v54, 0x400, v97
	ds_read2_b32 v[52:53], v54 offset1:32
	ds_read2_b32 v[54:55], v54 offset0:128 offset1:160
	ds_read_b32 v56, v94 offset:49156
	ds_write_b32 v94, v96 offset:49152
	s_waitcnt lgkmcnt(5)
	v_mfma_f32_16x16x32_fp8_fp8 v[32:35], v[48:49], v[68:69], v[32:35]
	s_waitcnt lgkmcnt(1)
	v_cmp_ne_u32_e32 vcc, v56, v76
	v_mfma_f32_16x16x32_fp8_fp8 v[32:35], v[50:51], v[64:65], v[32:35]
	v_mfma_f32_16x16x32_fp8_fp8 v[32:35], v[52:53], v[70:71], v[32:35]
	;; [unrolled: 1-line block ×3, first 2 shown]
	s_and_saveexec_b64 s[10:11], vcc
	s_cbranch_execz .LBB282_22
; %bb.20:                               ;   in Loop: Header=BB282_13 Depth=2
	s_mov_b64 s[12:13], 0
.LBB282_21:                             ;   Parent Loop BB282_7 Depth=1
                                        ;     Parent Loop BB282_13 Depth=2
                                        ; =>    This Inner Loop Header: Depth=3
	;;#ASMSTART
	s_sleep 0
	;;#ASMEND
	ds_read_b32 v56, v94 offset:49156
	s_waitcnt lgkmcnt(0)
	v_cmp_eq_u32_e32 vcc, v56, v76
	s_or_b64 s[12:13], vcc, s[12:13]
	s_andn2_b64 exec, exec, s[12:13]
	s_cbranch_execnz .LBB282_21
.LBB282_22:                             ;   in Loop: Header=BB282_13 Depth=2
	s_or_b64 exec, exec, s[10:11]
	v_add_u32_e32 v58, 0x800, v97
	ds_read2_b32 v[56:57], v58 offset1:32
	ds_read2_b32 v[58:59], v58 offset0:128 offset1:160
	v_add_u32_e32 v62, 0xc00, v97
	ds_read2_b32 v[60:61], v62 offset1:32
	ds_read2_b32 v[62:63], v62 offset0:128 offset1:160
	ds_read_b32 v72, v94 offset:49160
	ds_write_b32 v94, v96 offset:49156
	s_waitcnt lgkmcnt(5)
	v_mfma_f32_16x16x32_fp8_fp8 v[20:23], v[56:57], v[68:69], v[20:23]
	s_waitcnt lgkmcnt(1)
	v_cmp_ne_u32_e32 vcc, v72, v76
	v_mfma_f32_16x16x32_fp8_fp8 v[20:23], v[58:59], v[64:65], v[20:23]
	v_mfma_f32_16x16x32_fp8_fp8 v[20:23], v[60:61], v[70:71], v[20:23]
	;; [unrolled: 1-line block ×3, first 2 shown]
	s_and_saveexec_b64 s[10:11], vcc
	s_cbranch_execz .LBB282_25
; %bb.23:                               ;   in Loop: Header=BB282_13 Depth=2
	s_mov_b64 s[12:13], 0
.LBB282_24:                             ;   Parent Loop BB282_7 Depth=1
                                        ;     Parent Loop BB282_13 Depth=2
                                        ; =>    This Inner Loop Header: Depth=3
	;;#ASMSTART
	s_sleep 0
	;;#ASMEND
	ds_read_b32 v72, v94 offset:49160
	s_waitcnt lgkmcnt(0)
	v_cmp_eq_u32_e32 vcc, v72, v76
	s_or_b64 s[12:13], vcc, s[12:13]
	s_andn2_b64 exec, exec, s[12:13]
	s_cbranch_execnz .LBB282_24
.LBB282_25:                             ;   in Loop: Header=BB282_13 Depth=2
	s_or_b64 exec, exec, s[10:11]
	v_add_u32_e32 v74, 0x1000, v97
	ds_read2_b32 v[72:73], v74 offset1:32
	ds_read2_b32 v[74:75], v74 offset0:128 offset1:160
	v_add_u32_e32 v97, 0x1400, v97
	s_waitcnt lgkmcnt(1)
	v_mfma_f32_16x16x32_fp8_fp8 v[8:11], v[72:73], v[68:69], v[8:11]
	ds_read2_b32 v[68:69], v97 offset1:32
	s_waitcnt lgkmcnt(1)
	v_mfma_f32_16x16x32_fp8_fp8 v[8:11], v[74:75], v[64:65], v[8:11]
	s_waitcnt lgkmcnt(0)
	v_mfma_f32_16x16x32_fp8_fp8 v[8:11], v[68:69], v[70:71], v[8:11]
	ds_read2_b32 v[64:65], v97 offset0:128 offset1:160
	ds_read_b32 v70, v94 offset:49204
	ds_write_b32 v94, v96 offset:49160
	s_waitcnt lgkmcnt(1)
	v_cmp_ne_u32_e32 vcc, v70, v76
	v_mfma_f32_16x16x32_fp8_fp8 v[8:11], v[64:65], v[66:67], v[8:11]
	s_and_saveexec_b64 s[10:11], vcc
	s_cbranch_execz .LBB282_28
; %bb.26:                               ;   in Loop: Header=BB282_13 Depth=2
	s_mov_b64 s[12:13], 0
.LBB282_27:                             ;   Parent Loop BB282_7 Depth=1
                                        ;     Parent Loop BB282_13 Depth=2
                                        ; =>    This Inner Loop Header: Depth=3
	;;#ASMSTART
	s_sleep 0
	;;#ASMEND
	ds_read_b32 v66, v94 offset:49204
	s_waitcnt lgkmcnt(0)
	v_cmp_eq_u32_e32 vcc, v66, v76
	s_or_b64 s[12:13], vcc, s[12:13]
	s_andn2_b64 exec, exec, s[12:13]
	s_cbranch_execnz .LBB282_27
.LBB282_28:                             ;   in Loop: Header=BB282_13 Depth=2
	s_or_b64 exec, exec, s[10:11]
	v_add_u32_e32 v70, 0x800, v95
	ds_read2_b32 v[66:67], v70 offset1:32
	ds_read2_b32 v[70:71], v70 offset0:128 offset1:160
	v_add_u32_e32 v97, 0xc00, v95
	ds_read2_b32 v[98:99], v97 offset1:32
	ds_read2_b32 v[100:101], v97 offset0:128 offset1:160
	s_waitcnt lgkmcnt(3)
	v_mfma_f32_16x16x32_fp8_fp8 v[28:31], v[48:49], v[66:67], v[28:31]
	;;#ASMSTART
	s_waitcnt lgkmcnt(0)
	;;#ASMEND
	ds_write_b32 v94, v96 offset:49204
	v_mfma_f32_16x16x32_fp8_fp8 v[16:19], v[56:57], v[66:67], v[16:19]
	v_mfma_f32_16x16x32_fp8_fp8 v[0:3], v[72:73], v[66:67], v[0:3]
	ds_read_b32 v66, v94 offset:49208
	s_waitcnt lgkmcnt(0)
	v_cmp_ne_u32_e32 vcc, v66, v76
	v_mfma_f32_16x16x32_fp8_fp8 v[28:31], v[50:51], v[70:71], v[28:31]
	v_mfma_f32_16x16x32_fp8_fp8 v[16:19], v[58:59], v[70:71], v[16:19]
	;; [unrolled: 1-line block ×9, first 2 shown]
	s_and_saveexec_b64 s[10:11], vcc
	s_cbranch_execz .LBB282_12
; %bb.29:                               ;   in Loop: Header=BB282_13 Depth=2
	s_mov_b64 s[12:13], 0
.LBB282_30:                             ;   Parent Loop BB282_7 Depth=1
                                        ;     Parent Loop BB282_13 Depth=2
                                        ; =>    This Inner Loop Header: Depth=3
	;;#ASMSTART
	s_sleep 0
	;;#ASMEND
	ds_read_b32 v66, v94 offset:49208
	s_waitcnt lgkmcnt(0)
	v_cmp_eq_u32_e32 vcc, v66, v76
	s_or_b64 s[12:13], vcc, s[12:13]
	s_andn2_b64 exec, exec, s[12:13]
	s_cbranch_execnz .LBB282_30
	s_branch .LBB282_12
.LBB282_31:                             ;   in Loop: Header=BB282_7 Depth=1
	s_or_b64 exec, exec, s[8:9]
.LBB282_32:                             ;   in Loop: Header=BB282_7 Depth=1
	s_or_b64 exec, exec, s[6:7]
	v_cmp_le_i32_e32 vcc, s18, v36
	v_cmp_eq_u32_e64 s[6:7], 2, v79
	v_cmp_eq_u32_e64 s[8:9], 3, v79
	s_waitcnt vmcnt(0)
	v_cndmask_b32_e32 v48, 0, v92, vcc
	v_pk_mul_f32 v[32:33], v[48:49], v[32:33] op_sel_hi:[0,1]
	v_cmp_eq_u32_e32 vcc, 1, v79
	v_pk_mul_f32 v[52:53], v[48:49], v[34:35] op_sel_hi:[0,1]
	v_cmp_eq_u32_e64 s[10:11], 0, v79
	v_cndmask_b32_e32 v34, v32, v33, vcc
	v_cndmask_b32_e64 v34, v34, v52, s[6:7]
	v_cndmask_b32_e64 v34, v34, v53, s[8:9]
	ds_bpermute_b32 v49, v90, v34
	v_cmp_le_i32_e64 s[14:15], s18, v81
	v_cmp_eq_u32_e64 s[12:13], 1, v80
	v_cmp_le_i32_e64 s[18:19], s18, v82
	v_cmp_eq_u32_e64 s[16:17], 3, v80
	s_waitcnt lgkmcnt(0)
	v_cndmask_b32_e64 v34, v53, v49, s[8:9]
	v_cndmask_b32_e64 v35, v52, v49, s[6:7]
	v_cndmask_b32_e32 v33, v33, v49, vcc
	v_cndmask_b32_e64 v49, v32, v49, s[10:11]
	v_cndmask_b32_e64 v32, 0, v92, s[14:15]
	v_pk_mul_f32 v[28:29], v[32:33], v[28:29] op_sel_hi:[0,1]
	v_pk_mul_f32 v[52:53], v[32:33], v[30:31] op_sel_hi:[0,1]
	v_cndmask_b32_e32 v30, v28, v29, vcc
	v_cndmask_b32_e64 v30, v30, v52, s[6:7]
	v_cndmask_b32_e64 v30, v30, v53, s[8:9]
	ds_bpermute_b32 v55, v90, v30
	v_cndmask_b32_e64 v51, v49, v33, s[12:13]
	v_cmp_eq_u32_e64 s[14:15], 2, v80
	s_waitcnt lgkmcnt(0)
	v_cndmask_b32_e64 v31, v53, v55, s[8:9]
	v_cndmask_b32_e64 v30, v51, v35, s[14:15]
	;; [unrolled: 1-line block ×3, first 2 shown]
	v_cndmask_b32_e32 v54, v29, v55, vcc
	v_cndmask_b32_e64 v55, v28, v55, s[10:11]
	v_cndmask_b32_e64 v28, 0, v92, s[18:19]
	v_pk_mul_f32 v[56:57], v[28:29], v[24:25] op_sel_hi:[0,1]
	v_pk_mul_f32 v[52:53], v[28:29], v[26:27] op_sel_hi:[0,1]
	v_cndmask_b32_e32 v24, v56, v57, vcc
	v_cndmask_b32_e64 v24, v24, v52, s[6:7]
	v_cndmask_b32_e64 v24, v24, v53, s[8:9]
	ds_bpermute_b32 v25, v90, v24
	v_cndmask_b32_e64 v24, v55, v54, s[12:13]
	v_cndmask_b32_e64 v24, v24, v51, s[14:15]
	;; [unrolled: 1-line block ×3, first 2 shown]
	v_cmp_ne_u32_e32 vcc, 0, v79
	ds_bpermute_b32 v26, v90, v24
	s_waitcnt lgkmcnt(1)
	v_cndmask_b32_e64 v27, v53, v25, s[8:9]
	v_cndmask_b32_e64 v52, v52, v25, s[6:7]
	v_cndmask_b32_e32 v24, v57, v25, vcc
	v_cndmask_b32_e64 v25, v56, v25, s[10:11]
	v_cndmask_b32_e64 v29, v25, v24, s[12:13]
	;; [unrolled: 1-line block ×5, first 2 shown]
	ds_bpermute_b32 v30, v90, v30
	ds_bpermute_b32 v53, v90, v29
	v_add_u32_e32 v29, s65, v83
	v_cmp_gt_u32_e32 vcc, 48, v29
	s_and_saveexec_b64 s[18:19], vcc
	s_cbranch_execz .LBB282_39
; %bb.33:                               ;   in Loop: Header=BB282_7 Depth=1
	v_cmp_eq_u32_e64 s[8:9], 1, v80
	v_cmp_eq_u32_e64 s[10:11], 0, v80
	v_cmp_eq_u32_e32 vcc, 3, v80
	s_waitcnt lgkmcnt(1)
	v_cndmask_b32_e64 v33, v33, v30, s[8:9]
	v_cndmask_b32_e64 v54, v54, v26, s[8:9]
	s_waitcnt lgkmcnt(0)
	v_cndmask_b32_e64 v56, v24, v53, s[8:9]
	s_mul_i32 s8, s63, s21
	s_ashr_i32 s9, s8, 31
	v_cndmask_b32_e64 v49, v49, v30, s[10:11]
	s_lshl_b64 s[8:9], s[8:9], 1
	v_cndmask_b32_e64 v55, v55, v26, s[10:11]
	v_cndmask_b32_e64 v57, v25, v53, s[10:11]
	s_add_u32 s10, s40, s8
	v_cvt_f16_f32_e32 v49, v49
	v_cvt_f16_f32_sdwa v33, v33 dst_sel:WORD_1 dst_unused:UNUSED_PAD src0_sel:DWORD
	s_addc_u32 s11, s41, s9
	s_ashr_i32 s35, s34, 31
	s_lshl_b64 s[8:9], s[34:35], 1
	s_add_u32 s48, s10, s8
	s_addc_u32 s49, s11, s9
	v_or_b32_e32 v33, v33, v49
	v_lshl_add_u64 v[24:25], v[38:39], 1, s[48:49]
	;;#ASMSTART
	global_atomic_pk_add_f16 v[24:25], v33, off
	
	;;#ASMEND
	v_cvt_f16_f32_e32 v33, v55
	v_cvt_f16_f32_sdwa v49, v54 dst_sel:WORD_1 dst_unused:UNUSED_PAD src0_sel:DWORD
	v_cvt_f16_f32_e32 v57, v57
	v_cvt_f16_f32_sdwa v56, v56 dst_sel:WORD_1 dst_unused:UNUSED_PAD src0_sel:DWORD
	v_cmp_eq_u32_e64 s[6:7], 2, v80
	v_lshl_add_u64 v[54:55], v[24:25], 0, 32
	v_or_b32_e32 v33, v49, v33
	v_cmp_gt_u32_e64 s[8:9], 46, v29
	;;#ASMSTART
	global_atomic_pk_add_f16 v[54:55], v33, off
	
	;;#ASMEND
	v_lshl_add_u64 v[54:55], v[24:25], 0, 64
	v_or_b32_e32 v33, v56, v57
	;;#ASMSTART
	global_atomic_pk_add_f16 v[54:55], v33, off
	
	;;#ASMEND
	s_and_b64 exec, exec, s[8:9]
	s_cbranch_execz .LBB282_39
; %bb.34:                               ;   in Loop: Header=BB282_7 Depth=1
	v_cndmask_b32_e32 v34, v34, v30, vcc
	v_cndmask_b32_e64 v30, v35, v30, s[6:7]
	v_cndmask_b32_e32 v31, v31, v26, vcc
	v_cndmask_b32_e64 v26, v51, v26, s[6:7]
	v_cndmask_b32_e32 v35, v27, v53, vcc
	v_cvt_f16_f32_e32 v27, v30
	v_cvt_f16_f32_sdwa v30, v34 dst_sel:WORD_1 dst_unused:UNUSED_PAD src0_sel:DWORD
	v_cvt_f16_f32_e32 v34, v26
	v_cvt_f16_f32_sdwa v31, v31 dst_sel:WORD_1 dst_unused:UNUSED_PAD src0_sel:DWORD
	v_mov_b32_e32 v49, v48
	v_or_b32_e32 v26, v30, v27
	v_mov_b32_e32 v30, v48
	v_or_b32_e32 v34, v31, v34
	v_mov_b32_e32 v31, v48
	v_pk_mul_f32 v[22:23], v[30:31], v[22:23]
	v_pk_mul_f32 v[30:31], v[48:49], v[20:21]
	v_cmp_eq_u32_e32 vcc, 1, v79
	v_cndmask_b32_e64 v51, v52, v53, s[6:7]
	v_cmp_eq_u32_e64 s[6:7], 2, v79
	v_cndmask_b32_e32 v20, v30, v31, vcc
	v_lshl_add_u64 v[24:25], s[28:29], 2, v[24:25]
	v_cndmask_b32_e64 v20, v20, v22, s[6:7]
	v_cmp_eq_u32_e64 s[8:9], 3, v79
	;;#ASMSTART
	global_atomic_pk_add_f16 v[24:25], v26, off
	
	;;#ASMEND
	v_lshl_add_u64 v[26:27], v[24:25], 0, 32
	v_mov_b32_e32 v33, v32
	v_cndmask_b32_e64 v20, v20, v23, s[8:9]
	ds_bpermute_b32 v52, v90, v20
	;;#ASMSTART
	global_atomic_pk_add_f16 v[26:27], v34, off
	
	;;#ASMEND
	v_cvt_f16_f32_e32 v27, v51
	v_cvt_f16_f32_sdwa v51, v35 dst_sel:WORD_1 dst_unused:UNUSED_PAD src0_sel:DWORD
	v_lshl_add_u64 v[34:35], v[24:25], 0, 64
	v_mov_b32_e32 v24, v32
	v_mov_b32_e32 v25, v32
	v_pk_mul_f32 v[18:19], v[24:25], v[18:19]
	v_pk_mul_f32 v[24:25], v[32:33], v[16:17]
	v_cmp_eq_u32_e64 s[10:11], 0, v79
	v_cndmask_b32_e32 v16, v24, v25, vcc
	v_cndmask_b32_e64 v16, v16, v18, s[6:7]
	v_cndmask_b32_e64 v16, v16, v19, s[8:9]
	s_waitcnt lgkmcnt(0)
	v_cndmask_b32_e64 v20, v23, v52, s[8:9]
	v_cndmask_b32_e64 v23, v30, v52, s[10:11]
	ds_bpermute_b32 v30, v90, v16
	v_cndmask_b32_e64 v21, v22, v52, s[6:7]
	v_cndmask_b32_e32 v22, v31, v52, vcc
	v_cmp_eq_u32_e64 s[12:13], 1, v80
	v_mov_b32_e32 v29, v28
	v_cmp_eq_u32_e64 s[14:15], 2, v80
	v_cndmask_b32_e64 v26, v23, v22, s[12:13]
	s_waitcnt lgkmcnt(0)
	v_cndmask_b32_e64 v17, v19, v30, s[8:9]
	v_cndmask_b32_e64 v16, v26, v21, s[14:15]
	v_cndmask_b32_e64 v18, v18, v30, s[6:7]
	v_cndmask_b32_e32 v25, v25, v30, vcc
	v_cndmask_b32_e64 v26, v24, v30, s[10:11]
	v_mov_b32_e32 v30, v28
	v_mov_b32_e32 v31, v28
	v_pk_mul_f32 v[52:53], v[28:29], v[12:13]
	v_pk_mul_f32 v[30:31], v[30:31], v[14:15]
	v_cndmask_b32_e32 v12, v52, v53, vcc
	v_cndmask_b32_e64 v12, v12, v30, s[6:7]
	v_cndmask_b32_e64 v12, v12, v31, s[8:9]
	ds_bpermute_b32 v13, v90, v12
	v_cndmask_b32_e64 v12, v26, v25, s[12:13]
	v_cmp_eq_u32_e64 s[16:17], 3, v80
	v_cndmask_b32_e64 v12, v12, v18, s[14:15]
	v_cmp_ne_u32_e32 vcc, 0, v79
	v_cndmask_b32_e64 v12, v12, v17, s[16:17]
	ds_bpermute_b32 v14, v90, v12
	s_waitcnt lgkmcnt(1)
	v_cndmask_b32_e64 v15, v31, v13, s[8:9]
	v_cndmask_b32_e64 v19, v30, v13, s[6:7]
	v_cndmask_b32_e32 v12, v53, v13, vcc
	v_cndmask_b32_e64 v13, v52, v13, s[10:11]
	v_cndmask_b32_e64 v24, v13, v12, s[12:13]
	;; [unrolled: 1-line block ×5, first 2 shown]
	ds_bpermute_b32 v16, v90, v16
	ds_bpermute_b32 v24, v90, v24
	v_or_b32_e32 v27, v51, v27
	;;#ASMSTART
	global_atomic_pk_add_f16 v[34:35], v27, off
	
	;;#ASMEND
	v_add_u32_e32 v27, s65, v84
	v_cmp_gt_u32_e32 vcc, 48, v27
	s_and_b64 exec, exec, vcc
	s_cbranch_execz .LBB282_39
; %bb.35:                               ;   in Loop: Header=BB282_7 Depth=1
	v_cmp_eq_u32_e64 s[8:9], 1, v80
	v_cmp_eq_u32_e64 s[10:11], 0, v80
	v_cmp_eq_u32_e32 vcc, 3, v80
	s_waitcnt lgkmcnt(1)
	v_cndmask_b32_e64 v22, v22, v16, s[8:9]
	v_cndmask_b32_e64 v23, v23, v16, s[10:11]
	;; [unrolled: 1-line block ×4, first 2 shown]
	v_cvt_f16_f32_e32 v23, v23
	v_cvt_f16_f32_sdwa v22, v22 dst_sel:WORD_1 dst_unused:UNUSED_PAD src0_sel:DWORD
	s_waitcnt lgkmcnt(0)
	v_cndmask_b32_e64 v30, v12, v24, s[8:9]
	v_cndmask_b32_e64 v31, v13, v24, s[10:11]
	v_cvt_f16_f32_e32 v26, v26
	v_cvt_f16_f32_sdwa v25, v25 dst_sel:WORD_1 dst_unused:UNUSED_PAD src0_sel:DWORD
	v_cvt_f16_f32_e32 v31, v31
	v_cvt_f16_f32_sdwa v30, v30 dst_sel:WORD_1 dst_unused:UNUSED_PAD src0_sel:DWORD
	v_lshl_add_u64 v[12:13], v[40:41], 1, s[48:49]
	v_or_b32_e32 v22, v22, v23
	v_cmp_eq_u32_e64 s[6:7], 2, v80
	;;#ASMSTART
	global_atomic_pk_add_f16 v[12:13], v22, off
	
	;;#ASMEND
	v_lshl_add_u64 v[22:23], v[12:13], 0, 32
	v_or_b32_e32 v25, v25, v26
	v_cmp_gt_u32_e64 s[8:9], 46, v27
	;;#ASMSTART
	global_atomic_pk_add_f16 v[22:23], v25, off
	
	;;#ASMEND
	v_lshl_add_u64 v[22:23], v[12:13], 0, 64
	v_or_b32_e32 v25, v30, v31
	;;#ASMSTART
	global_atomic_pk_add_f16 v[22:23], v25, off
	
	;;#ASMEND
	s_and_b64 exec, exec, s[8:9]
	s_cbranch_execz .LBB282_39
; %bb.36:                               ;   in Loop: Header=BB282_7 Depth=1
	v_cndmask_b32_e32 v20, v20, v16, vcc
	v_cndmask_b32_e64 v16, v21, v16, s[6:7]
	v_cndmask_b32_e32 v17, v17, v14, vcc
	v_cndmask_b32_e64 v14, v18, v14, s[6:7]
	v_cndmask_b32_e32 v18, v15, v24, vcc
	v_cvt_f16_f32_e32 v15, v16
	v_cvt_f16_f32_sdwa v16, v20 dst_sel:WORD_1 dst_unused:UNUSED_PAD src0_sel:DWORD
	v_cvt_f16_f32_e32 v20, v14
	v_cvt_f16_f32_sdwa v17, v17 dst_sel:WORD_1 dst_unused:UNUSED_PAD src0_sel:DWORD
	v_cmp_eq_u32_e32 vcc, 1, v79
	v_or_b32_e32 v14, v16, v15
	v_mov_b32_e32 v16, v48
	v_or_b32_e32 v20, v17, v20
	v_mov_b32_e32 v17, v48
	v_pk_mul_f32 v[10:11], v[16:17], v[10:11]
	v_pk_mul_f32 v[16:17], v[48:49], v[8:9]
	v_cndmask_b32_e64 v19, v19, v24, s[6:7]
	v_cndmask_b32_e32 v8, v16, v17, vcc
	v_cmp_eq_u32_e64 s[6:7], 2, v79
	v_cmp_eq_u32_e64 s[8:9], 3, v79
	v_lshl_add_u64 v[12:13], s[28:29], 2, v[12:13]
	v_cndmask_b32_e64 v8, v8, v10, s[6:7]
	v_cndmask_b32_e64 v8, v8, v11, s[8:9]
	ds_bpermute_b32 v21, v90, v8
	;;#ASMSTART
	global_atomic_pk_add_f16 v[12:13], v14, off
	
	;;#ASMEND
	v_lshl_add_u64 v[14:15], v[12:13], 0, 32
	v_cmp_eq_u32_e64 s[10:11], 0, v79
	;;#ASMSTART
	global_atomic_pk_add_f16 v[14:15], v20, off
	
	;;#ASMEND
	v_cvt_f16_f32_e32 v20, v19
	v_cvt_f16_f32_sdwa v22, v18 dst_sel:WORD_1 dst_unused:UNUSED_PAD src0_sel:DWORD
	v_lshl_add_u64 v[18:19], v[12:13], 0, 64
	s_waitcnt lgkmcnt(0)
	v_cndmask_b32_e64 v8, v11, v21, s[8:9]
	v_cndmask_b32_e32 v11, v17, v21, vcc
	v_cndmask_b32_e64 v12, v16, v21, s[10:11]
	v_mov_b32_e32 v14, v32
	v_mov_b32_e32 v15, v32
	v_pk_mul_f32 v[16:17], v[32:33], v[0:1]
	v_pk_mul_f32 v[14:15], v[14:15], v[2:3]
	v_cndmask_b32_e32 v0, v16, v17, vcc
	v_cndmask_b32_e64 v0, v0, v14, s[6:7]
	v_cndmask_b32_e64 v0, v0, v15, s[8:9]
	ds_bpermute_b32 v1, v90, v0
	v_cmp_eq_u32_e64 s[12:13], 1, v80
	v_cndmask_b32_e64 v9, v10, v21, s[6:7]
	v_cmp_eq_u32_e64 s[14:15], 2, v80
	v_cndmask_b32_e64 v10, v12, v11, s[12:13]
	;; [unrolled: 2-line block ×3, first 2 shown]
	s_waitcnt lgkmcnt(0)
	v_cndmask_b32_e64 v3, v15, v1, s[8:9]
	v_cndmask_b32_e64 v0, v0, v8, s[16:17]
	ds_bpermute_b32 v2, v90, v0
	v_cndmask_b32_e64 v10, v14, v1, s[6:7]
	v_cndmask_b32_e32 v0, v17, v1, vcc
	v_cndmask_b32_e64 v1, v16, v1, s[10:11]
	v_mov_b32_e32 v14, v28
	v_mov_b32_e32 v15, v28
	v_pk_mul_f32 v[16:17], v[28:29], v[4:5]
	v_pk_mul_f32 v[14:15], v[14:15], v[6:7]
	v_cndmask_b32_e32 v4, v16, v17, vcc
	v_cndmask_b32_e64 v4, v4, v14, s[6:7]
	v_cndmask_b32_e64 v4, v4, v15, s[8:9]
	ds_bpermute_b32 v7, v90, v4
	v_cndmask_b32_e64 v4, v1, v0, s[12:13]
	v_cndmask_b32_e64 v4, v4, v10, s[14:15]
	;; [unrolled: 1-line block ×3, first 2 shown]
	v_cmp_ne_u32_e32 vcc, 0, v79
	ds_bpermute_b32 v6, v90, v4
	s_waitcnt lgkmcnt(1)
	v_cndmask_b32_e64 v4, v15, v7, s[8:9]
	v_cndmask_b32_e64 v5, v14, v7, s[6:7]
	v_cndmask_b32_e32 v14, v17, v7, vcc
	v_cndmask_b32_e64 v15, v16, v7, s[10:11]
	v_cndmask_b32_e64 v7, v15, v14, s[12:13]
	;; [unrolled: 1-line block ×4, first 2 shown]
	ds_bpermute_b32 v7, v90, v7
	v_or_b32_e32 v13, v22, v20
	;;#ASMSTART
	global_atomic_pk_add_f16 v[18:19], v13, off
	
	;;#ASMEND
	v_add_u32_e32 v13, s65, v85
	v_cmp_gt_u32_e32 vcc, 48, v13
	s_and_b64 exec, exec, vcc
	s_cbranch_execz .LBB282_39
; %bb.37:                               ;   in Loop: Header=BB282_7 Depth=1
	v_cmp_eq_u32_e64 s[8:9], 1, v80
	v_cmp_eq_u32_e64 s[10:11], 0, v80
	v_cmp_eq_u32_e32 vcc, 3, v80
	v_cndmask_b32_e64 v11, v11, v2, s[8:9]
	v_cndmask_b32_e64 v12, v12, v2, s[10:11]
	v_cvt_f16_f32_e32 v12, v12
	v_cvt_f16_f32_sdwa v11, v11 dst_sel:WORD_1 dst_unused:UNUSED_PAD src0_sel:DWORD
	s_waitcnt lgkmcnt(1)
	v_cndmask_b32_e64 v16, v0, v6, s[8:9]
	v_cndmask_b32_e64 v17, v1, v6, s[10:11]
	s_waitcnt lgkmcnt(0)
	v_cndmask_b32_e64 v18, v14, v7, s[8:9]
	v_or_b32_e32 v11, v11, v12
	v_cndmask_b32_e64 v19, v15, v7, s[10:11]
	v_lshl_add_u64 v[0:1], v[42:43], 1, s[48:49]
	;;#ASMSTART
	global_atomic_pk_add_f16 v[0:1], v11, off
	
	;;#ASMEND
	v_cvt_f16_f32_e32 v11, v17
	v_cvt_f16_f32_sdwa v12, v16 dst_sel:WORD_1 dst_unused:UNUSED_PAD src0_sel:DWORD
	v_cvt_f16_f32_e32 v16, v19
	v_cvt_f16_f32_sdwa v17, v18 dst_sel:WORD_1 dst_unused:UNUSED_PAD src0_sel:DWORD
	v_cmp_eq_u32_e64 s[6:7], 2, v80
	v_lshl_add_u64 v[14:15], v[0:1], 0, 32
	v_or_b32_e32 v11, v12, v11
	v_cmp_gt_u32_e64 s[8:9], 46, v13
	;;#ASMSTART
	global_atomic_pk_add_f16 v[14:15], v11, off
	
	;;#ASMEND
	v_lshl_add_u64 v[14:15], v[0:1], 0, 64
	v_or_b32_e32 v11, v17, v16
	;;#ASMSTART
	global_atomic_pk_add_f16 v[14:15], v11, off
	
	;;#ASMEND
	s_and_b64 exec, exec, s[8:9]
	s_cbranch_execz .LBB282_39
; %bb.38:                               ;   in Loop: Header=BB282_7 Depth=1
	v_cndmask_b32_e32 v8, v8, v2, vcc
	v_cndmask_b32_e64 v2, v9, v2, s[6:7]
	v_cvt_f16_f32_e32 v2, v2
	v_cvt_f16_f32_sdwa v8, v8 dst_sel:WORD_1 dst_unused:UNUSED_PAD src0_sel:DWORD
	v_cndmask_b32_e32 v3, v3, v6, vcc
	v_cndmask_b32_e64 v6, v10, v6, s[6:7]
	v_cndmask_b32_e32 v4, v4, v7, vcc
	v_cndmask_b32_e64 v5, v5, v7, s[6:7]
	v_cvt_f16_f32_e32 v6, v6
	v_cvt_f16_f32_sdwa v7, v3 dst_sel:WORD_1 dst_unused:UNUSED_PAD src0_sel:DWORD
	v_cvt_f16_f32_e32 v5, v5
	v_cvt_f16_f32_sdwa v4, v4 dst_sel:WORD_1 dst_unused:UNUSED_PAD src0_sel:DWORD
	v_lshl_add_u64 v[0:1], s[28:29], 2, v[0:1]
	v_or_b32_e32 v2, v8, v2
	;;#ASMSTART
	global_atomic_pk_add_f16 v[0:1], v2, off
	
	;;#ASMEND
	v_lshl_add_u64 v[2:3], v[0:1], 0, 32
	v_or_b32_e32 v6, v7, v6
	;;#ASMSTART
	global_atomic_pk_add_f16 v[2:3], v6, off
	
	;;#ASMEND
	;; [unrolled: 6-line block ×3, first 2 shown]
.LBB282_39:                             ;   in Loop: Header=BB282_7 Depth=1
	s_or_b64 exec, exec, s[18:19]
	v_subrev_u32_e32 v91, s66, v91
.LBB282_40:                             ;   in Loop: Header=BB282_7 Depth=1
	s_or_b64 exec, exec, s[46:47]
.LBB282_41:                             ;   in Loop: Header=BB282_7 Depth=1
	s_andn2_saveexec_b64 s[6:7], s[44:45]
	s_cbranch_execz .LBB282_50
; %bb.42:                               ;   in Loop: Header=BB282_7 Depth=1
	s_mul_i32 s16, s66, 3
	v_cmp_gt_i32_e32 vcc, s16, v91
	s_and_saveexec_b64 s[8:9], vcc
	s_cbranch_execz .LBB282_49
; %bb.43:                               ;   in Loop: Header=BB282_7 Depth=1
	s_mul_i32 s10, s34, s23
	s_ashr_i32 s11, s10, 31
	s_waitcnt lgkmcnt(0)
	s_add_u32 s10, s38, s10
	s_addc_u32 s11, s39, s11
	s_ashr_i32 s12, s64, 31
	s_add_u32 s10, s10, s64
	s_addc_u32 s11, s11, s12
	v_lshl_add_u64 v[0:1], s[10:11], 0, v[46:47]
	v_lshl_add_u64 v[8:9], v[0:1], 0, v[44:45]
	s_mov_b64 s[10:11], 0
	s_branch .LBB282_45
.LBB282_44:                             ;   in Loop: Header=BB282_45 Depth=2
	s_or_b64 exec, exec, s[12:13]
	v_lshl_add_u32 v12, v10, 11, v88
	;;#ASMSTART
	s_waitcnt vmcnt(1)
	;;#ASMEND
	ds_write2_b32 v12, v4, v5 offset1:32
	ds_write2_b32 v12, v6, v7 offset0:64 offset1:96
	v_add_u32_e32 v4, 0x400, v12
	v_add_u32_e32 v91, s26, v91
	;;#ASMSTART
	s_waitcnt vmcnt(0)
	;;#ASMEND
	ds_write2_b32 v4, v0, v1 offset1:32
	ds_write2_b32 v4, v2, v3 offset0:64 offset1:96
	v_add_u32_e32 v0, 1, v76
	v_add_u32_e32 v50, s26, v10
	v_cmp_le_i32_e32 vcc, s16, v91
	ds_write_b32 v11, v0 offset:48
	v_add_u32_e32 v0, 2, v76
	s_or_b64 s[10:11], vcc, s[10:11]
	v_cmp_lt_i32_e32 vcc, 11, v50
	s_nop 1
	v_cndmask_b32_e32 v76, v76, v0, vcc
	s_andn2_b64 exec, exec, s[10:11]
	s_cbranch_execz .LBB282_48
.LBB282_45:                             ;   Parent Loop BB282_7 Depth=1
                                        ; =>  This Loop Header: Depth=2
                                        ;       Child Loop BB282_47 Depth 3
	v_cmp_gt_i32_e32 vcc, 12, v50
	s_nop 1
	v_cndmask_b32_e64 v0, -12, 0, vcc
	v_add_u32_e32 v10, v0, v50
	v_mul_hi_i32 v0, v91, s62
	v_lshrrev_b32_e32 v1, 31, v0
	v_add_u32_e32 v0, v0, v1
	v_lshl_add_u32 v1, v0, 1, v0
	v_sub_u32_e32 v2, v91, v1
	v_lshlrev_b32_e32 v0, 7, v0
	v_ashrrev_i32_e32 v1, 31, v0
	v_mul_lo_u32 v2, s55, v2
	v_lshl_add_u64 v[0:1], v[8:9], 0, v[0:1]
	v_ashrrev_i32_e32 v3, 31, v2
	v_lshl_add_u64 v[0:1], v[0:1], 0, v[2:3]
	v_lshlrev_b32_e32 v11, 2, v10
	;;#ASMSTART
	global_load_dwordx4 v[4:7], v[0:1], off offset:0   sc0 sc1 nt  
	global_load_dwordx4 v[0:3], v[0:1], off offset:64  sc0 sc1 nt  
	
	;;#ASMEND
	ds_read_b32 v12, v11 offset:49200
	v_add_u32_e32 v11, 0xc000, v11
	s_waitcnt lgkmcnt(0)
	v_cmp_ne_u32_e32 vcc, v12, v76
	s_and_saveexec_b64 s[12:13], vcc
	s_cbranch_execz .LBB282_44
; %bb.46:                               ;   in Loop: Header=BB282_45 Depth=2
	s_mov_b64 s[14:15], 0
.LBB282_47:                             ;   Parent Loop BB282_7 Depth=1
                                        ;     Parent Loop BB282_45 Depth=2
                                        ; =>    This Inner Loop Header: Depth=3
	;;#ASMSTART
	s_sleep 0
	;;#ASMEND
	ds_read_b32 v12, v11 offset:48
	s_waitcnt lgkmcnt(0)
	v_cmp_eq_u32_e32 vcc, v12, v76
	s_or_b64 s[14:15], vcc, s[14:15]
	s_andn2_b64 exec, exec, s[14:15]
	s_cbranch_execnz .LBB282_47
	s_branch .LBB282_44
.LBB282_48:                             ;   in Loop: Header=BB282_7 Depth=1
	s_or_b64 exec, exec, s[10:11]
.LBB282_49:                             ;   in Loop: Header=BB282_7 Depth=1
	s_or_b64 exec, exec, s[8:9]
	v_subrev_u32_e32 v91, s16, v91
.LBB282_50:                             ;   in Loop: Header=BB282_7 Depth=1
	s_or_b64 exec, exec, s[6:7]
.LBB282_51:                             ;   in Loop: Header=BB282_7 Depth=1
	s_andn2_saveexec_b64 s[6:7], s[30:31]
	s_cbranch_execz .LBB282_6
; %bb.52:                               ;   in Loop: Header=BB282_7 Depth=1
	s_mul_i32 s66, s66, 3
	v_cmp_gt_i32_e32 vcc, s66, v91
	s_and_saveexec_b64 s[8:9], vcc
	s_cbranch_execz .LBB282_5
; %bb.53:                               ;   in Loop: Header=BB282_7 Depth=1
	s_mul_i32 s63, s63, s22
	s_ashr_i32 s10, s63, 31
	s_waitcnt lgkmcnt(0)
	s_add_u32 s11, s36, s63
	v_add_u32_e32 v2, s65, v86
	s_addc_u32 s12, s37, s10
	s_ashr_i32 s13, s64, 31
	v_cmp_gt_u32_e32 vcc, 48, v2
	s_add_u32 s10, s11, s64
	s_addc_u32 s11, s12, s13
	v_cndmask_b32_e32 v0, 0, v89, vcc
	v_ashrrev_i32_e32 v1, 31, v0
	v_lshl_add_u64 v[0:1], s[10:11], 0, v[0:1]
	v_lshl_add_u64 v[8:9], v[0:1], 0, v[44:45]
	v_sub_u32_e32 v10, 47, v2
	s_mov_b64 s[10:11], 0
	s_branch .LBB282_55
.LBB282_54:                             ;   in Loop: Header=BB282_55 Depth=2
	s_or_b64 exec, exec, s[12:13]
	v_lshl_or_b32 v13, v11, 11, v87
	;;#ASMSTART
	s_waitcnt vmcnt(1)
	;;#ASMEND
	ds_write2_b32 v13, v4, v5 offset1:32
	ds_write2_b32 v13, v6, v7 offset0:64 offset1:96
	v_add_u32_e32 v4, 0x400, v13
	v_add_u32_e32 v91, s25, v91
	;;#ASMSTART
	s_waitcnt vmcnt(0)
	;;#ASMEND
	ds_write2_b32 v4, v0, v1 offset1:32
	ds_write2_b32 v4, v2, v3 offset0:64 offset1:96
	v_add_u32_e32 v0, 1, v76
	v_add_u32_e32 v50, s25, v11
	v_cmp_le_i32_e32 vcc, s66, v91
	ds_write_b32 v12, v0
	v_add_u32_e32 v0, 2, v76
	s_or_b64 s[10:11], vcc, s[10:11]
	v_cmp_lt_i32_e32 vcc, 11, v50
	s_nop 1
	v_cndmask_b32_e32 v76, v76, v0, vcc
	s_andn2_b64 exec, exec, s[10:11]
	s_cbranch_execz .LBB282_4
.LBB282_55:                             ;   Parent Loop BB282_7 Depth=1
                                        ; =>  This Loop Header: Depth=2
                                        ;       Child Loop BB282_57 Depth 3
	v_cmp_gt_i32_e32 vcc, 12, v50
	s_nop 1
	v_cndmask_b32_e64 v0, -12, 0, vcc
	v_add_u32_e32 v11, v0, v50
	v_mul_hi_i32 v0, v91, s62
	v_lshrrev_b32_e32 v1, 31, v0
	v_add_u32_e32 v0, v0, v1
	v_lshl_add_u32 v1, v0, 1, v0
	v_sub_u32_e32 v1, v91, v1
	v_lshlrev_b32_e32 v1, 4, v1
	v_cmp_le_i32_e32 vcc, v1, v10
	v_lshlrev_b32_e32 v0, 7, v0
	v_lshlrev_b32_e32 v12, 2, v11
	v_cndmask_b32_e32 v2, 0, v1, vcc
	v_ashrrev_i32_e32 v1, 31, v0
	v_mul_lo_u32 v2, v2, s22
	v_lshl_add_u64 v[0:1], v[8:9], 0, v[0:1]
	v_ashrrev_i32_e32 v3, 31, v2
	v_lshl_add_u64 v[0:1], v[0:1], 0, v[2:3]
	;;#ASMSTART
	global_load_dwordx4 v[4:7], v[0:1], off offset:0   
	global_load_dwordx4 v[0:3], v[0:1], off offset:64  
	
	;;#ASMEND
	ds_read_b32 v13, v12 offset:49152
	v_add_u32_e32 v12, 0xc000, v12
	s_waitcnt lgkmcnt(0)
	v_cmp_ne_u32_e32 vcc, v13, v76
	s_and_saveexec_b64 s[12:13], vcc
	s_cbranch_execz .LBB282_54
; %bb.56:                               ;   in Loop: Header=BB282_55 Depth=2
	s_mov_b64 s[14:15], 0
.LBB282_57:                             ;   Parent Loop BB282_7 Depth=1
                                        ;     Parent Loop BB282_55 Depth=2
                                        ; =>    This Inner Loop Header: Depth=3
	;;#ASMSTART
	s_sleep 0
	;;#ASMEND
	ds_read_b32 v13, v12
	s_waitcnt lgkmcnt(0)
	v_cmp_eq_u32_e32 vcc, v13, v76
	s_or_b64 s[14:15], vcc, s[14:15]
	s_andn2_b64 exec, exec, s[14:15]
	s_cbranch_execnz .LBB282_57
	s_branch .LBB282_54
.LBB282_58:
	s_endpgm
	.section	.rodata,"a",@progbits
	.p2align	6, 0x0
	.amdhsa_kernel _Z19_skinny_gemm_kernelILi3ELi3ELi4ELi16ELi4EEvPKhS1_P6__halfPKfiiiiiiii
		.amdhsa_group_segment_fixed_size 49248
		.amdhsa_private_segment_fixed_size 0
		.amdhsa_kernarg_size 64
		.amdhsa_user_sgpr_count 2
		.amdhsa_user_sgpr_dispatch_ptr 0
		.amdhsa_user_sgpr_queue_ptr 0
		.amdhsa_user_sgpr_kernarg_segment_ptr 1
		.amdhsa_user_sgpr_dispatch_id 0
		.amdhsa_user_sgpr_kernarg_preload_length 0
		.amdhsa_user_sgpr_kernarg_preload_offset 0
		.amdhsa_user_sgpr_private_segment_size 0
		.amdhsa_uses_dynamic_stack 0
		.amdhsa_enable_private_segment 0
		.amdhsa_system_sgpr_workgroup_id_x 1
		.amdhsa_system_sgpr_workgroup_id_y 0
		.amdhsa_system_sgpr_workgroup_id_z 0
		.amdhsa_system_sgpr_workgroup_info 0
		.amdhsa_system_vgpr_workitem_id 0
		.amdhsa_next_free_vgpr 102
		.amdhsa_next_free_sgpr 67
		.amdhsa_accum_offset 104
		.amdhsa_reserve_vcc 1
		.amdhsa_float_round_mode_32 0
		.amdhsa_float_round_mode_16_64 0
		.amdhsa_float_denorm_mode_32 3
		.amdhsa_float_denorm_mode_16_64 3
		.amdhsa_dx10_clamp 1
		.amdhsa_ieee_mode 1
		.amdhsa_fp16_overflow 0
		.amdhsa_tg_split 0
		.amdhsa_exception_fp_ieee_invalid_op 0
		.amdhsa_exception_fp_denorm_src 0
		.amdhsa_exception_fp_ieee_div_zero 0
		.amdhsa_exception_fp_ieee_overflow 0
		.amdhsa_exception_fp_ieee_underflow 0
		.amdhsa_exception_fp_ieee_inexact 0
		.amdhsa_exception_int_div_zero 0
	.end_amdhsa_kernel
	.section	.text._Z19_skinny_gemm_kernelILi3ELi3ELi4ELi16ELi4EEvPKhS1_P6__halfPKfiiiiiiii,"axG",@progbits,_Z19_skinny_gemm_kernelILi3ELi3ELi4ELi16ELi4EEvPKhS1_P6__halfPKfiiiiiiii,comdat
.Lfunc_end282:
	.size	_Z19_skinny_gemm_kernelILi3ELi3ELi4ELi16ELi4EEvPKhS1_P6__halfPKfiiiiiiii, .Lfunc_end282-_Z19_skinny_gemm_kernelILi3ELi3ELi4ELi16ELi4EEvPKhS1_P6__halfPKfiiiiiiii
                                        ; -- End function
	.set _Z19_skinny_gemm_kernelILi3ELi3ELi4ELi16ELi4EEvPKhS1_P6__halfPKfiiiiiiii.num_vgpr, 102
	.set _Z19_skinny_gemm_kernelILi3ELi3ELi4ELi16ELi4EEvPKhS1_P6__halfPKfiiiiiiii.num_agpr, 0
	.set _Z19_skinny_gemm_kernelILi3ELi3ELi4ELi16ELi4EEvPKhS1_P6__halfPKfiiiiiiii.numbered_sgpr, 67
	.set _Z19_skinny_gemm_kernelILi3ELi3ELi4ELi16ELi4EEvPKhS1_P6__halfPKfiiiiiiii.num_named_barrier, 0
	.set _Z19_skinny_gemm_kernelILi3ELi3ELi4ELi16ELi4EEvPKhS1_P6__halfPKfiiiiiiii.private_seg_size, 0
	.set _Z19_skinny_gemm_kernelILi3ELi3ELi4ELi16ELi4EEvPKhS1_P6__halfPKfiiiiiiii.uses_vcc, 1
	.set _Z19_skinny_gemm_kernelILi3ELi3ELi4ELi16ELi4EEvPKhS1_P6__halfPKfiiiiiiii.uses_flat_scratch, 0
	.set _Z19_skinny_gemm_kernelILi3ELi3ELi4ELi16ELi4EEvPKhS1_P6__halfPKfiiiiiiii.has_dyn_sized_stack, 0
	.set _Z19_skinny_gemm_kernelILi3ELi3ELi4ELi16ELi4EEvPKhS1_P6__halfPKfiiiiiiii.has_recursion, 0
	.set _Z19_skinny_gemm_kernelILi3ELi3ELi4ELi16ELi4EEvPKhS1_P6__halfPKfiiiiiiii.has_indirect_call, 0
	.section	.AMDGPU.csdata,"",@progbits
; Kernel info:
; codeLenInByte = 5944
; TotalNumSgprs: 73
; NumVgprs: 102
; NumAgprs: 0
; TotalNumVgprs: 102
; ScratchSize: 0
; MemoryBound: 0
; FloatMode: 240
; IeeeMode: 1
; LDSByteSize: 49248 bytes/workgroup (compile time only)
; SGPRBlocks: 9
; VGPRBlocks: 12
; NumSGPRsForWavesPerEU: 73
; NumVGPRsForWavesPerEU: 102
; AccumOffset: 104
; Occupancy: 4
; WaveLimiterHint : 0
; COMPUTE_PGM_RSRC2:SCRATCH_EN: 0
; COMPUTE_PGM_RSRC2:USER_SGPR: 2
; COMPUTE_PGM_RSRC2:TRAP_HANDLER: 0
; COMPUTE_PGM_RSRC2:TGID_X_EN: 1
; COMPUTE_PGM_RSRC2:TGID_Y_EN: 0
; COMPUTE_PGM_RSRC2:TGID_Z_EN: 0
; COMPUTE_PGM_RSRC2:TIDIG_COMP_CNT: 0
; COMPUTE_PGM_RSRC3_GFX90A:ACCUM_OFFSET: 25
; COMPUTE_PGM_RSRC3_GFX90A:TG_SPLIT: 0
	.section	.text._Z19_skinny_gemm_kernelILi3ELi3ELi4ELi32ELi4EEvPKhS1_P6__halfPKfiiiiiiii,"axG",@progbits,_Z19_skinny_gemm_kernelILi3ELi3ELi4ELi32ELi4EEvPKhS1_P6__halfPKfiiiiiiii,comdat
	.protected	_Z19_skinny_gemm_kernelILi3ELi3ELi4ELi32ELi4EEvPKhS1_P6__halfPKfiiiiiiii ; -- Begin function _Z19_skinny_gemm_kernelILi3ELi3ELi4ELi32ELi4EEvPKhS1_P6__halfPKfiiiiiiii
	.globl	_Z19_skinny_gemm_kernelILi3ELi3ELi4ELi32ELi4EEvPKhS1_P6__halfPKfiiiiiiii
	.p2align	8
	.type	_Z19_skinny_gemm_kernelILi3ELi3ELi4ELi32ELi4EEvPKhS1_P6__halfPKfiiiiiiii,@function
_Z19_skinny_gemm_kernelILi3ELi3ELi4ELi32ELi4EEvPKhS1_P6__halfPKfiiiiiiii: ; @_Z19_skinny_gemm_kernelILi3ELi3ELi4ELi32ELi4EEvPKhS1_P6__halfPKfiiiiiiii
; %bb.0:
	v_cmp_gt_u32_e32 vcc, 24, v0
	s_and_saveexec_b64 s[4:5], vcc
; %bb.1:
	v_lshlrev_b32_e32 v1, 2, v0
	v_mov_b32_e32 v2, 0
	ds_write_b32 v1, v2 offset:49152
; %bb.2:
	s_or_b64 exec, exec, s[4:5]
	s_load_dwordx8 s[92:99], s[0:1], 0x20
	s_waitcnt lgkmcnt(0)
	s_barrier
	s_add_i32 s3, s92, 0x5f
	s_mul_hi_i32 s3, s3, 0x2aaaaaab
	s_add_i32 s4, s93, 0x5f
	s_lshr_b32 s5, s3, 31
	s_ashr_i32 s3, s3, 4
	s_add_i32 s14, s3, s5
	s_mul_hi_i32 s3, s4, 0x2aaaaaab
	s_lshr_b32 s4, s3, 31
	s_ashr_i32 s3, s3, 4
	s_add_i32 s15, s3, s4
	s_mul_i32 s3, s15, s14
	s_mul_i32 s3, s3, s96
	s_add_i32 s4, s3, 0x12f
	s_mul_hi_i32 s4, s4, 0x6bca1af3
	s_lshr_b32 s5, s4, 31
	s_ashr_i32 s4, s4, 7
	s_add_i32 s4, s4, s5
	s_add_i32 s5, s2, 1
	s_mul_i32 s5, s4, s5
	v_cvt_f64_i32_e32 v[2:3], s3
	v_cvt_f64_u32_e32 v[4:5], s5
	v_min_f64 v[2:3], v[2:3], v[4:5]
	v_cvt_i32_f64_e32 v62, v[2:3]
	s_mul_i32 s33, s4, s2
	v_cmp_ge_i32_e32 vcc, s33, v62
	s_cbranch_vccnz .LBB283_51
; %bb.3:
	s_load_dwordx8 s[16:23], s[0:1], 0x0
	v_lshrrev_b32_e32 v1, 6, v0
	s_add_i32 s0, s98, s97
	v_cmp_le_i32_e64 s[24:25], s0, v1
	v_mov_b32_e32 v2, s97
	v_cmp_le_i32_e64 s[26:27], s97, v1
	v_mov_b32_e32 v3, s98
	v_cndmask_b32_e64 v3, 0, v3, s[24:25]
	v_cndmask_b32_e64 v2, 0, v2, s[26:27]
	s_abs_i32 s1, s96
	v_add_u32_e32 v2, v2, v3
	v_cvt_f32_u32_e32 v3, s1
	v_sub_u32_e32 v56, v1, v2
	s_ashr_i32 s2, s94, 31
	s_lshr_b32 s2, s2, 26
	v_rcp_iflag_f32_e32 v2, v3
	s_sub_i32 s5, 0, s1
	s_add_i32 s2, s94, s2
	s_ashr_i32 s2, s2, 6
	v_mul_f32_e32 v2, 0x4f7ffffe, v2
	v_cvt_u32_f32_e32 v2, v2
	s_abs_i32 s4, s2
	s_xor_b32 s3, s2, s96
	s_ashr_i32 s3, s3, 31
	v_readfirstlane_b32 s6, v2
	s_mul_i32 s5, s5, s6
	s_mul_hi_u32 s5, s6, s5
	s_add_i32 s6, s6, s5
	s_mul_hi_u32 s5, s4, s6
	s_mul_i32 s6, s5, s1
	s_sub_i32 s4, s4, s6
	s_add_i32 s6, s5, 1
	s_sub_i32 s7, s4, s1
	s_cmp_ge_u32 s4, s1
	s_cselect_b32 s5, s6, s5
	s_cselect_b32 s4, s7, s4
	s_add_i32 s6, s5, 1
	s_cmp_ge_u32 s4, s1
	s_cselect_b32 s1, s6, s5
	s_add_i32 s0, s0, s99
	v_and_b32_e32 v64, 31, v0
	v_lshrrev_b32_e32 v2, 3, v0
	v_cmp_gt_i32_e64 s[34:35], s0, v1
	v_lshlrev_b32_e32 v1, 2, v64
	v_and_b32_e32 v3, 4, v2
	v_lshlrev_b32_e32 v2, 6, v3
	v_or_b32_e32 v4, 0x6000, v1
	v_and_b32_e32 v5, 1, v0
                                        ; implicit-def: $vgpr93 : SGPR spill to VGPR lane
	s_add_i32 s29, s96, -1
	v_or_b32_e32 v65, v1, v2
	v_or_b32_e32 v66, v4, v2
	v_lshlrev_b32_e32 v2, 1, v5
	v_lshrrev_b32_e32 v7, 1, v0
	s_abs_i32 s96, s14
	v_writelane_b32 v93, s14, 0
	v_sub_u32_e32 v2, v0, v2
	v_and_b32_e32 v50, 16, v7
	v_cvt_f32_u32_e32 v7, s96
	v_writelane_b32 v93, s15, 1
	v_add_u32_e32 v2, 1, v2
	s_waitcnt lgkmcnt(0)
	v_writelane_b32 v93, s16, 2
	v_and_b32_e32 v6, 63, v2
	v_bitop3_b32 v67, v0, 1, v0 bitop3:0xc
	v_bitop3_b32 v68, v0, 3, 1 bitop3:0x6c
	;; [unrolled: 1-line block ×8, first 2 shown]
	v_and_b32_e32 v2, 30, v0
	v_lshlrev_b32_e32 v0, 4, v0
	v_writelane_b32 v93, s17, 3
	v_and_b32_e32 v0, 0x200, v0
	v_writelane_b32 v93, s18, 4
	v_or_b32_e32 v77, v4, v0
	v_rcp_iflag_f32_e32 v4, v7
	s_abs_i32 s90, s15
	v_writelane_b32 v93, s19, 5
	v_or_b32_e32 v79, v1, v0
	v_cvt_f32_u32_e32 v1, s90
	v_writelane_b32 v93, s20, 6
	v_writelane_b32 v93, s21, 7
	;; [unrolled: 1-line block ×3, first 2 shown]
	v_mul_f32_e32 v0, 0x4f7ffffe, v4
	v_writelane_b32 v93, s23, 9
	v_cndmask_b32_e64 v63, 0, 1, s[24:25]
	v_cvt_u32_f32_e32 v0, v0
	v_rcp_iflag_f32_e32 v1, v1
	v_writelane_b32 v93, s24, 10
	s_xor_b32 s1, s1, s3
	s_sub_i32 s28, s1, s3
	v_writelane_b32 v93, s25, 11
	v_writelane_b32 v93, s26, 12
	s_mul_i32 s1, s28, s29
	s_sub_i32 s30, s2, s1
	v_writelane_b32 v93, s27, 13
	v_readfirstlane_b32 s1, v0
	v_mul_f32_e32 v0, 0x4f7ffffe, v1
	v_writelane_b32 v93, s28, 14
	v_cvt_u32_f32_e32 v0, v0
	v_writelane_b32 v93, s29, 15
	s_sub_i32 s0, 0, s96
	v_writelane_b32 v93, s30, 16
	s_mul_i32 s0, s0, s1
	v_writelane_b32 v93, s34, 17
	s_lshl_b32 s31, s95, 5
	s_mul_hi_u32 s0, s1, s0
	v_writelane_b32 v93, s35, 18
	s_ashr_i32 s36, s14, 31
	s_add_i32 s37, s1, s0
	s_sub_i32 s0, 0, s90
	v_readfirstlane_b32 s1, v0
	v_mbcnt_lo_u32_b32 v0, -1, 0
	v_writelane_b32 v93, s31, 19
	s_mul_i32 s0, s0, s1
	v_mbcnt_hi_u32_b32 v0, -1, v0
	v_writelane_b32 v93, s36, 20
	v_mov_b32_e32 v49, 0
	v_mul_lo_u32 v52, s95, v64
	v_or_b32_e32 v80, v5, v3
	s_ashr_i32 s38, s15, 31
	s_mul_hi_u32 s0, s1, s0
	v_and_or_b32 v0, v0, 64, v6
	v_writelane_b32 v93, s37, 21
	v_or_b32_e32 v75, 32, v64
	v_or_b32_e32 v76, 64, v64
	v_ashrrev_i32_e32 v53, 31, v52
	v_mov_b32_e32 v51, v49
	v_mul_lo_u32 v78, s94, v64
	v_or_b32_e32 v81, 2, v80
	s_add_i32 s39, s1, s0
	v_lshlrev_b32_e32 v48, 1, v2
	s_mov_b32 s91, 0x55555556
	v_lshlrev_b32_e32 v82, 2, v0
	v_mov_b32_e32 v83, v56
	v_writelane_b32 v93, s38, 22
	v_writelane_b32 v93, s39, 23
	s_branch .LBB283_7
.LBB283_4:                              ;   in Loop: Header=BB283_7 Depth=1
	s_or_b64 exec, exec, s[4:5]
.LBB283_5:                              ;   in Loop: Header=BB283_7 Depth=1
	s_or_b64 exec, exec, s[2:3]
	v_subrev_u32_e32 v83, s10, v83
.LBB283_6:                              ;   in Loop: Header=BB283_7 Depth=1
	s_or_b64 exec, exec, s[0:1]
	s_add_i32 s33, s33, 1
	v_cmp_ge_i32_e32 vcc, s33, v62
	s_cbranch_vccnz .LBB283_51
.LBB283_7:                              ; =>This Loop Header: Depth=1
                                        ;     Child Loop BB283_13 Depth 2
                                        ;       Child Loop BB283_15 Depth 3
                                        ;       Child Loop BB283_18 Depth 3
                                        ;       Child Loop BB283_21 Depth 3
                                        ;       Child Loop BB283_24 Depth 3
                                        ;     Child Loop BB283_29 Depth 2
                                        ;     Child Loop BB283_38 Depth 2
                                        ;       Child Loop BB283_40 Depth 3
                                        ;     Child Loop BB283_48 Depth 2
                                        ;       Child Loop BB283_50 Depth 3
	s_abs_i32 s1, s33
	s_mul_hi_u32 s2, s1, s37
	s_mul_i32 s3, s2, s96
	s_ashr_i32 s0, s33, 31
	s_sub_i32 s1, s1, s3
	s_xor_b32 s0, s0, s36
	s_add_i32 s3, s2, 1
	s_sub_i32 s4, s1, s96
	s_cmp_ge_u32 s1, s96
	s_cselect_b32 s2, s3, s2
	s_cselect_b32 s1, s4, s1
	s_add_i32 s3, s2, 1
	s_cmp_ge_u32 s1, s96
	s_cselect_b32 s1, s3, s2
	s_xor_b32 s1, s1, s0
	s_sub_i32 s0, s1, s0
	s_abs_i32 s2, s0
	s_mul_i32 s1, s0, s14
	s_mul_hi_u32 s3, s2, s39
	s_sub_i32 s1, s33, s1
	s_mul_i32 s4, s3, s90
	s_mul_i32 s40, s1, 0x60
	s_ashr_i32 s1, s0, 31
	s_sub_i32 s2, s2, s4
	s_xor_b32 s1, s1, s38
	s_add_i32 s4, s3, 1
	s_sub_i32 s5, s2, s90
	s_cmp_ge_u32 s2, s90
	s_cselect_b32 s3, s4, s3
	s_cselect_b32 s2, s5, s2
	s_add_i32 s4, s3, 1
	s_cmp_ge_u32 s2, s90
	s_cselect_b32 s2, s4, s3
	s_xor_b32 s2, s2, s1
	s_sub_i32 s1, s2, s1
	s_mul_i32 s2, s1, s28
	s_lshl_b32 s13, s2, 6
	s_cmp_eq_u32 s1, s29
	s_cselect_b32 s4, s30, s28
	s_sub_i32 s2, s40, s92
	s_addk_i32 s2, 0x60
	s_max_i32 s5, s2, 0
	s_and_saveexec_b64 s[2:3], s[26:27]
	s_xor_b64 s[2:3], exec, s[2:3]
	v_writelane_b32 v93, s2, 24
	s_nop 1
	v_writelane_b32 v93, s3, 25
	s_cbranch_execz .LBB283_44
; %bb.8:                                ;   in Loop: Header=BB283_7 Depth=1
	s_mul_i32 s1, s1, s15
	s_sub_i32 s0, s0, s1
	s_mulk_i32 s0, 0x60
	s_sub_i32 s70, s0, s93
	s_addk_i32 s70, 0x60
	s_max_i32 s1, s70, 0
	s_sub_i32 s0, s0, s1
	v_writelane_b32 v93, s13, 26
	s_and_saveexec_b64 s[2:3], s[24:25]
	s_xor_b64 s[2:3], exec, s[2:3]
	s_cbranch_execz .LBB283_34
; %bb.9:                                ;   in Loop: Header=BB283_7 Depth=1
	s_mov_b64 s[6:7], exec
	v_writelane_b32 v93, s6, 27
	s_nop 1
	v_writelane_b32 v93, s7, 28
	s_and_b64 s[6:7], s[6:7], s[34:35]
	s_mov_b64 exec, s[6:7]
	s_cbranch_execz .LBB283_33
; %bb.10:                               ;   in Loop: Header=BB283_7 Depth=1
	global_load_dword v84, v49, s[22:23]
	v_mov_b32_e32 v47, 0
	v_cmp_gt_i32_e32 vcc, s4, v83
	v_mov_b32_e32 v46, v47
	v_mov_b32_e32 v45, v47
	;; [unrolled: 1-line block ×47, first 2 shown]
	s_and_saveexec_b64 s[6:7], vcc
	s_cbranch_execz .LBB283_26
; %bb.11:                               ;   in Loop: Header=BB283_7 Depth=1
	v_mov_b32_e32 v0, 0
	s_mov_b64 s[8:9], 0
	v_mov_b32_e32 v1, v0
	v_mov_b32_e32 v2, v0
	;; [unrolled: 1-line block ×47, first 2 shown]
	s_branch .LBB283_13
.LBB283_12:                             ;   in Loop: Header=BB283_13 Depth=2
	s_or_b64 exec, exec, s[10:11]
	v_add_u32_e32 v89, 0x1000, v88
	ds_read2_b32 v[90:91], v89 offset1:32
	v_add_u32_e32 v83, s99, v83
	s_waitcnt lgkmcnt(0)
	v_mfma_f32_32x32x16_fp8_fp8 v[0:15], v[60:61], v[90:91], v[0:15]
	ds_read2_b32 v[60:61], v89 offset0:128 offset1:160
	s_waitcnt lgkmcnt(0)
	v_mfma_f32_32x32x16_fp8_fp8 v[0:15], v[58:59], v[60:61], v[0:15]
	v_add_u32_e32 v60, 0x1400, v88
	ds_read2_b32 v[58:59], v60 offset1:32
	ds_read2_b32 v[60:61], v60 offset0:128 offset1:160
	ds_write_b32 v86, v87 offset:49172
	s_waitcnt lgkmcnt(2)
	v_mfma_f32_32x32x16_fp8_fp8 v[0:15], v[56:57], v[58:59], v[0:15]
	v_add_u32_e32 v56, s99, v85
	v_add_u32_e32 v57, 2, v63
	v_cmp_lt_i32_e32 vcc, 3, v56
	s_nop 1
	v_cndmask_b32_e32 v63, v63, v57, vcc
	v_cmp_le_i32_e32 vcc, s4, v83
	s_waitcnt lgkmcnt(1)
	v_mfma_f32_32x32x16_fp8_fp8 v[0:15], v[54:55], v[60:61], v[0:15]
	s_or_b64 s[8:9], vcc, s[8:9]
	s_andn2_b64 exec, exec, s[8:9]
	s_cbranch_execz .LBB283_25
.LBB283_13:                             ;   Parent Loop BB283_7 Depth=1
                                        ; =>  This Loop Header: Depth=2
                                        ;       Child Loop BB283_15 Depth 3
                                        ;       Child Loop BB283_18 Depth 3
	;; [unrolled: 1-line block ×4, first 2 shown]
	v_cmp_gt_i32_e32 vcc, 4, v56
	s_nop 1
	v_cndmask_b32_e64 v54, -4, 0, vcc
	v_add_u32_e32 v85, v54, v56
	v_mul_lo_u32 v86, v85, 24
	ds_read_b32 v54, v86 offset:49152
	s_waitcnt lgkmcnt(0)
	v_cmp_ne_u32_e32 vcc, v54, v63
	s_and_saveexec_b64 s[10:11], vcc
	s_cbranch_execz .LBB283_16
; %bb.14:                               ;   in Loop: Header=BB283_13 Depth=2
	s_mov_b64 s[12:13], 0
.LBB283_15:                             ;   Parent Loop BB283_7 Depth=1
                                        ;     Parent Loop BB283_13 Depth=2
                                        ; =>    This Inner Loop Header: Depth=3
	;;#ASMSTART
	s_sleep 0
	;;#ASMEND
	ds_read_b32 v54, v86 offset:49152
	s_waitcnt lgkmcnt(0)
	v_cmp_eq_u32_e32 vcc, v54, v63
	s_or_b64 s[12:13], vcc, s[12:13]
	s_andn2_b64 exec, exec, s[12:13]
	s_cbranch_execnz .LBB283_15
.LBB283_16:                             ;   in Loop: Header=BB283_13 Depth=2
	s_or_b64 exec, exec, s[10:11]
	v_lshl_or_b32 v54, v85, 11, v65
	ds_read2_b32 v[60:61], v54 offset1:32
	ds_read2_b32 v[58:59], v54 offset0:128 offset1:160
	v_add_u32_e32 v54, 0x400, v54
	ds_read2_b32 v[56:57], v54 offset1:32
	ds_read_b32 v88, v86 offset:49156
	ds_read2_b32 v[54:55], v54 offset0:128 offset1:160
	v_add_u32_e32 v87, 1, v63
	ds_write_b32 v86, v87 offset:49152
	s_waitcnt lgkmcnt(2)
	v_cmp_ne_u32_e32 vcc, v88, v63
	s_and_saveexec_b64 s[10:11], vcc
	s_cbranch_execz .LBB283_19
; %bb.17:                               ;   in Loop: Header=BB283_13 Depth=2
	s_mov_b64 s[12:13], 0
.LBB283_18:                             ;   Parent Loop BB283_7 Depth=1
                                        ;     Parent Loop BB283_13 Depth=2
                                        ; =>    This Inner Loop Header: Depth=3
	;;#ASMSTART
	s_sleep 0
	;;#ASMEND
	ds_read_b32 v88, v86 offset:49156
	s_waitcnt lgkmcnt(0)
	v_cmp_eq_u32_e32 vcc, v88, v63
	s_or_b64 s[12:13], vcc, s[12:13]
	s_andn2_b64 exec, exec, s[12:13]
	s_cbranch_execnz .LBB283_18
.LBB283_19:                             ;   in Loop: Header=BB283_13 Depth=2
	s_or_b64 exec, exec, s[10:11]
	s_movk_i32 s1, 0x1800
	v_mul_lo_u32 v88, v85, s1
	v_add_u32_e32 v88, v66, v88
	ds_read2_b32 v[90:91], v88 offset1:32
	v_add_u32_e32 v89, 0x400, v88
	ds_write_b32 v86, v87 offset:49156
	s_waitcnt lgkmcnt(1)
	v_mfma_f32_32x32x16_fp8_fp8 v[32:47], v[60:61], v[90:91], v[32:47]
	ds_read2_b32 v[90:91], v88 offset0:128 offset1:160
	s_waitcnt lgkmcnt(0)
	v_mfma_f32_32x32x16_fp8_fp8 v[32:47], v[58:59], v[90:91], v[32:47]
	ds_read2_b32 v[90:91], v89 offset1:32
	s_waitcnt lgkmcnt(0)
	v_mfma_f32_32x32x16_fp8_fp8 v[32:47], v[56:57], v[90:91], v[32:47]
	ds_read2_b32 v[90:91], v89 offset0:128 offset1:160
	ds_read_b32 v89, v86 offset:49164
	s_waitcnt lgkmcnt(0)
	v_cmp_ne_u32_e32 vcc, v89, v63
	v_mfma_f32_32x32x16_fp8_fp8 v[32:47], v[54:55], v[90:91], v[32:47]
	s_and_saveexec_b64 s[10:11], vcc
	s_cbranch_execz .LBB283_22
; %bb.20:                               ;   in Loop: Header=BB283_13 Depth=2
	s_mov_b64 s[12:13], 0
.LBB283_21:                             ;   Parent Loop BB283_7 Depth=1
                                        ;     Parent Loop BB283_13 Depth=2
                                        ; =>    This Inner Loop Header: Depth=3
	;;#ASMSTART
	s_sleep 0
	;;#ASMEND
	ds_read_b32 v89, v86 offset:49164
	s_waitcnt lgkmcnt(0)
	v_cmp_eq_u32_e32 vcc, v89, v63
	s_or_b64 s[12:13], vcc, s[12:13]
	s_andn2_b64 exec, exec, s[12:13]
	s_cbranch_execnz .LBB283_21
.LBB283_22:                             ;   in Loop: Header=BB283_13 Depth=2
	s_or_b64 exec, exec, s[10:11]
	v_add_u32_e32 v89, 0x800, v88
	ds_read2_b32 v[90:91], v89 offset1:32
	s_waitcnt lgkmcnt(0)
	v_mfma_f32_32x32x16_fp8_fp8 v[16:31], v[60:61], v[90:91], v[16:31]
	ds_read2_b32 v[90:91], v89 offset0:128 offset1:160
	v_add_u32_e32 v89, 0xc00, v88
	s_waitcnt lgkmcnt(0)
	v_mfma_f32_32x32x16_fp8_fp8 v[16:31], v[58:59], v[90:91], v[16:31]
	ds_read2_b32 v[90:91], v89 offset1:32
	s_waitcnt lgkmcnt(0)
	v_mfma_f32_32x32x16_fp8_fp8 v[16:31], v[56:57], v[90:91], v[16:31]
	ds_read_b32 v92, v86 offset:49172
	ds_read2_b32 v[90:91], v89 offset0:128 offset1:160
	ds_write_b32 v86, v87 offset:49164
	s_waitcnt lgkmcnt(2)
	v_cmp_ne_u32_e32 vcc, v92, v63
	s_waitcnt lgkmcnt(1)
	v_mfma_f32_32x32x16_fp8_fp8 v[16:31], v[54:55], v[90:91], v[16:31]
	s_and_saveexec_b64 s[10:11], vcc
	s_cbranch_execz .LBB283_12
; %bb.23:                               ;   in Loop: Header=BB283_13 Depth=2
	s_mov_b64 s[12:13], 0
.LBB283_24:                             ;   Parent Loop BB283_7 Depth=1
                                        ;     Parent Loop BB283_13 Depth=2
                                        ; =>    This Inner Loop Header: Depth=3
	;;#ASMSTART
	s_sleep 0
	;;#ASMEND
	ds_read_b32 v89, v86 offset:49172
	s_waitcnt lgkmcnt(0)
	v_cmp_eq_u32_e32 vcc, v89, v63
	s_or_b64 s[12:13], vcc, s[12:13]
	s_andn2_b64 exec, exec, s[12:13]
	s_cbranch_execnz .LBB283_24
	s_branch .LBB283_12
.LBB283_25:                             ;   in Loop: Header=BB283_7 Depth=1
	s_or_b64 exec, exec, s[8:9]
.LBB283_26:                             ;   in Loop: Header=BB283_7 Depth=1
	s_or_b64 exec, exec, s[6:7]
	v_cmp_le_i32_e32 vcc, s70, v64
	v_cmp_eq_u32_e64 s[60:61], 1, v67
	v_cmp_eq_u32_e64 s[26:27], 2, v67
	s_waitcnt vmcnt(0)
	v_cndmask_b32_e32 v54, 0, v84, vcc
	v_pk_mul_f32 v[32:33], v[54:55], v[32:33] op_sel_hi:[0,1]
	v_pk_mul_f32 v[46:47], v[54:55], v[46:47] op_sel_hi:[0,1]
	v_pk_mul_f32 v[44:45], v[54:55], v[44:45] op_sel_hi:[0,1]
	v_pk_mul_f32 v[42:43], v[54:55], v[42:43] op_sel_hi:[0,1]
	v_pk_mul_f32 v[40:41], v[54:55], v[40:41] op_sel_hi:[0,1]
	v_pk_mul_f32 v[38:39], v[54:55], v[38:39] op_sel_hi:[0,1]
	v_pk_mul_f32 v[36:37], v[54:55], v[36:37] op_sel_hi:[0,1]
	v_pk_mul_f32 v[34:35], v[54:55], v[34:35] op_sel_hi:[0,1]
	v_cndmask_b32_e64 v54, v32, v33, s[60:61]
	v_writelane_b32 v93, s40, 29
	s_mul_i32 s6, s40, s93
	v_cndmask_b32_e64 v54, v54, v34, s[26:27]
	v_cmp_eq_u32_e64 s[40:41], 3, v67
	v_cmp_eq_u32_e64 s[42:43], 4, v67
	v_cmp_eq_u32_e64 s[44:45], 5, v67
	v_cndmask_b32_e64 v54, v54, v35, s[40:41]
	v_cndmask_b32_e64 v54, v54, v36, s[42:43]
	v_cndmask_b32_e64 v54, v54, v37, s[44:45]
	v_cmp_eq_u32_e64 s[46:47], 6, v67
	v_cmp_eq_u32_e64 s[48:49], 7, v67
	v_cmp_eq_u32_e64 s[50:51], 8, v67
	v_cndmask_b32_e64 v54, v54, v38, s[46:47]
	v_cndmask_b32_e64 v54, v54, v39, s[48:49]
	;; [unrolled: 6-line block ×4, first 2 shown]
	v_cndmask_b32_e64 v54, v54, v46, s[64:65]
	v_cmp_eq_u32_e64 s[66:67], 15, v67
	s_ashr_i32 s7, s6, 31
	s_lshl_b64 s[6:7], s[6:7], 1
	v_cndmask_b32_e64 v54, v54, v47, s[66:67]
	ds_bpermute_b32 v54, v82, v54
	v_cmp_eq_u32_e64 s[36:37], 0, v67
	s_add_u32 s71, s20, s6
	v_cmp_eq_u32_e32 vcc, 1, v68
	s_addc_u32 s72, s21, s7
	s_waitcnt lgkmcnt(0)
	v_cndmask_b32_e64 v47, v47, v54, s[66:67]
	v_cndmask_b32_e64 v46, v46, v54, s[64:65]
	;; [unrolled: 1-line block ×16, first 2 shown]
	v_cndmask_b32_e32 v32, v54, v86, vcc
	v_cmp_eq_u32_e64 s[6:7], 2, v68
	v_cmp_eq_u32_e64 s[8:9], 3, v68
	v_cmp_eq_u32_e64 s[10:11], 4, v68
	v_cndmask_b32_e64 v32, v32, v85, s[6:7]
	v_cndmask_b32_e64 v32, v32, v61, s[8:9]
	v_cndmask_b32_e64 v32, v32, v60, s[10:11]
	v_cmp_eq_u32_e64 s[12:13], 5, v68
	v_cmp_eq_u32_e64 s[14:15], 6, v68
	v_cmp_eq_u32_e64 s[16:17], 7, v68
	v_cndmask_b32_e64 v32, v32, v59, s[12:13]
	v_cndmask_b32_e64 v32, v32, v58, s[14:15]
	v_cndmask_b32_e64 v32, v32, v57, s[16:17]
	;; [unrolled: 6-line block ×4, first 2 shown]
	v_cmp_eq_u32_e64 s[34:35], 14, v68
	v_cmp_eq_u32_e64 s[38:39], 15, v68
	s_ashr_i32 s1, s0, 31
	v_cndmask_b32_e64 v32, v32, v46, s[34:35]
	v_cndmask_b32_e64 v32, v32, v47, s[38:39]
	ds_bpermute_b32 v55, v82, v32
	s_lshl_b64 s[68:69], s[0:1], 1
	s_add_u32 s68, s71, s68
	s_addc_u32 s69, s72, s69
	v_writelane_b32 v93, s68, 30
	s_waitcnt lgkmcnt(0)
	v_cndmask_b32_e64 v33, v47, v55, s[38:39]
	v_cndmask_b32_e64 v38, v42, v55, s[22:23]
	v_writelane_b32 v93, s69, 31
	v_cmp_le_i32_e64 s[68:69], s70, v75
	v_cmp_le_i32_e64 s[70:71], s70, v76
	v_cndmask_b32_e64 v42, v58, v55, s[14:15]
	v_cndmask_b32_e64 v32, 0, v84, s[68:69]
	;; [unrolled: 1-line block ×3, first 2 shown]
	v_pk_mul_f32 v[16:17], v[32:33], v[16:17] op_sel_hi:[0,1]
	v_pk_mul_f32 v[0:1], v[58:59], v[0:1] op_sel_hi:[0,1]
	v_cndmask_b32_e64 v35, v45, v55, s[30:31]
	v_cndmask_b32_e64 v36, v44, v55, s[28:29]
	v_cndmask_b32_e64 v44, v60, v55, s[10:11]
	v_cndmask_b32_e64 v45, v61, v55, s[8:9]
	v_pk_mul_f32 v[30:31], v[32:33], v[30:31] op_sel_hi:[0,1]
	v_pk_mul_f32 v[28:29], v[32:33], v[28:29] op_sel_hi:[0,1]
	;; [unrolled: 1-line block ×7, first 2 shown]
	v_cndmask_b32_e64 v32, v16, v17, s[60:61]
	v_pk_mul_f32 v[60:61], v[58:59], v[4:5] op_sel_hi:[0,1]
	v_pk_mul_f32 v[2:3], v[58:59], v[2:3] op_sel_hi:[0,1]
	v_cndmask_b32_e64 v4, v0, v1, s[60:61]
	v_cndmask_b32_e64 v32, v32, v18, s[26:27]
	;; [unrolled: 1-line block ×8, first 2 shown]
	v_pk_mul_f32 v[6:7], v[58:59], v[6:7] op_sel_hi:[0,1]
	v_cndmask_b32_e64 v4, v4, v61, s[44:45]
	v_cndmask_b32_e64 v32, v32, v22, s[46:47]
	v_cndmask_b32_e64 v4, v4, v6, s[46:47]
	v_cndmask_b32_e64 v32, v32, v23, s[48:49]
	v_pk_mul_f32 v[8:9], v[58:59], v[8:9] op_sel_hi:[0,1]
	v_cndmask_b32_e64 v4, v4, v7, s[48:49]
	v_cndmask_b32_e64 v32, v32, v24, s[50:51]
	v_cndmask_b32_e64 v4, v4, v8, s[50:51]
	v_cndmask_b32_e64 v32, v32, v25, s[52:53]
	;; [unrolled: 5-line block ×5, first 2 shown]
	v_cndmask_b32_e64 v4, v4, v15, s[66:67]
	ds_bpermute_b32 v32, v82, v32
	ds_bpermute_b32 v5, v82, v4
	v_cmp_eq_u32_e64 s[68:69], 0, v68
	v_cndmask_b32_e32 v47, v86, v55, vcc
	v_cmp_eq_u32_e64 s[70:71], 1, v69
	v_cndmask_b32_e64 v54, v54, v55, s[68:69]
	v_cndmask_b32_e64 v34, v46, v55, s[34:35]
	;; [unrolled: 1-line block ×9, first 2 shown]
	s_waitcnt lgkmcnt(1)
	v_cndmask_b32_e64 v4, v17, v32, s[60:61]
	v_cmp_eq_u32_e64 s[60:61], 2, v69
	v_cndmask_b32_e64 v18, v18, v32, s[26:27]
	s_waitcnt lgkmcnt(0)
	v_cndmask_b32_e64 v2, v2, v5, s[26:27]
	v_cmp_ne_u32_e64 s[26:27], 0, v67
	v_cndmask_b32_e64 v17, v55, v46, s[60:61]
	v_cndmask_b32_e64 v31, v31, v32, s[66:67]
	;; [unrolled: 1-line block ×3, first 2 shown]
	v_cmp_eq_u32_e64 s[66:67], 3, v69
	v_cndmask_b32_e64 v1, v1, v5, s[26:27]
	v_cndmask_b32_e64 v16, v16, v32, s[36:37]
	;; [unrolled: 1-line block ×6, first 2 shown]
	v_cmp_eq_u32_e64 s[64:65], 4, v69
	v_cndmask_b32_e64 v29, v29, v32, s[62:63]
	v_cndmask_b32_e64 v13, v13, v5, s[62:63]
	;; [unrolled: 1-line block ×22, first 2 shown]
	v_cndmask_b32_e32 v32, v16, v4, vcc
	v_cndmask_b32_e32 v5, v0, v1, vcc
	v_cndmask_b32_e64 v17, v17, v44, s[64:65]
	v_cmp_eq_u32_e64 s[62:63], 5, v69
	v_cndmask_b32_e64 v32, v32, v18, s[6:7]
	v_cndmask_b32_e64 v5, v5, v2, s[6:7]
	v_cndmask_b32_e64 v17, v17, v43, s[62:63]
	v_cmp_eq_u32_e64 s[58:59], 6, v69
	v_cndmask_b32_e64 v32, v32, v19, s[8:9]
	v_cndmask_b32_e64 v5, v5, v3, s[8:9]
	;; [unrolled: 4-line block ×11, first 2 shown]
	v_cndmask_b32_e64 v17, v17, v33, s[82:83]
	v_cndmask_b32_e64 v32, v32, v29, s[30:31]
	;; [unrolled: 1-line block ×3, first 2 shown]
	ds_bpermute_b32 v17, v82, v17
	v_cndmask_b32_e64 v32, v32, v30, s[34:35]
	v_cndmask_b32_e64 v5, v5, v14, s[34:35]
	v_cndmask_b32_e64 v32, v32, v31, s[38:39]
	v_cndmask_b32_e64 v5, v5, v15, s[38:39]
	ds_bpermute_b32 v32, v82, v32
	ds_bpermute_b32 v5, v82, v5
	v_cmp_eq_u32_e64 s[42:43], 0, v69
	s_waitcnt lgkmcnt(2)
	v_cndmask_b32_e64 v33, v33, v17, s[82:83]
	v_cndmask_b32_e64 v34, v34, v17, s[76:77]
	;; [unrolled: 1-line block ×16, first 2 shown]
	v_cmp_eq_u32_e64 s[26:27], 1, v70
	v_cmp_eq_u32_e64 s[36:37], 2, v70
	s_waitcnt lgkmcnt(1)
	v_cndmask_b32_e64 v30, v30, v32, s[34:35]
	v_cndmask_b32_e64 v54, v17, v47, s[26:27]
	;; [unrolled: 1-line block ×3, first 2 shown]
	s_waitcnt lgkmcnt(0)
	v_cndmask_b32_e64 v14, v14, v5, s[34:35]
	v_cmp_eq_u32_e64 s[34:35], 3, v70
	v_cndmask_b32_e32 v4, v4, v32, vcc
	v_cndmask_b32_e32 v1, v1, v5, vcc
	v_cndmask_b32_e64 v16, v16, v32, s[68:69]
	v_cndmask_b32_e64 v0, v0, v5, s[68:69]
	;; [unrolled: 1-line block ×7, first 2 shown]
	v_cmp_eq_u32_e64 s[30:31], 4, v70
	v_cndmask_b32_e64 v28, v28, v32, s[28:29]
	v_cndmask_b32_e64 v12, v12, v5, s[28:29]
	;; [unrolled: 1-line block ×25, first 2 shown]
	v_cmp_eq_u32_e64 s[38:39], 5, v70
	v_cndmask_b32_e64 v32, v32, v18, s[60:61]
	v_cndmask_b32_e64 v5, v5, v2, s[60:61]
	v_cndmask_b32_e64 v54, v54, v43, s[38:39]
	v_cmp_eq_u32_e64 s[24:25], 6, v70
	v_cndmask_b32_e64 v32, v32, v19, s[66:67]
	v_cndmask_b32_e64 v5, v5, v3, s[66:67]
	v_cndmask_b32_e64 v54, v54, v42, s[24:25]
	;; [unrolled: 4-line block ×11, first 2 shown]
	v_cndmask_b32_e64 v32, v32, v29, s[44:45]
	v_cndmask_b32_e64 v5, v5, v13, s[44:45]
	ds_bpermute_b32 v54, v82, v54
	v_cndmask_b32_e64 v32, v32, v30, s[76:77]
	v_cndmask_b32_e64 v5, v5, v14, s[76:77]
	;; [unrolled: 1-line block ×4, first 2 shown]
	ds_bpermute_b32 v32, v82, v32
	ds_bpermute_b32 v5, v82, v5
	v_cmp_eq_u32_e64 s[16:17], 0, v70
	s_waitcnt lgkmcnt(2)
	v_cndmask_b32_e64 v47, v47, v54, s[26:27]
	v_cmp_eq_u32_e64 s[8:9], 1, v71
	v_cndmask_b32_e64 v17, v17, v54, s[16:17]
	v_cndmask_b32_e64 v33, v33, v54, s[86:87]
	;; [unrolled: 1-line block ×16, first 2 shown]
	v_cmp_eq_u32_e64 s[14:15], 2, v71
	v_cmp_eq_u32_e64 s[18:19], 3, v71
	s_waitcnt lgkmcnt(1)
	v_cndmask_b32_e64 v4, v4, v32, s[70:71]
	v_cndmask_b32_e64 v54, v54, v46, s[14:15]
	s_waitcnt lgkmcnt(0)
	v_cndmask_b32_e64 v1, v1, v5, s[70:71]
	v_cndmask_b32_e64 v16, v16, v32, s[42:43]
	;; [unrolled: 1-line block ×10, first 2 shown]
	v_cmp_eq_u32_e64 s[28:29], 4, v71
	v_cndmask_b32_e64 v28, v28, v32, s[46:47]
	v_cndmask_b32_e64 v12, v12, v5, s[46:47]
	;; [unrolled: 1-line block ×25, first 2 shown]
	v_cmp_eq_u32_e64 s[40:41], 5, v71
	v_cndmask_b32_e64 v32, v32, v18, s[36:37]
	v_cndmask_b32_e64 v5, v5, v2, s[36:37]
	v_cndmask_b32_e64 v54, v54, v43, s[40:41]
	v_cmp_eq_u32_e64 s[48:49], 6, v71
	v_cndmask_b32_e64 v32, v32, v19, s[34:35]
	v_cndmask_b32_e64 v5, v5, v3, s[34:35]
	v_cndmask_b32_e64 v54, v54, v42, s[48:49]
	v_cmp_eq_u32_e64 s[46:47], 7, v71
	v_cndmask_b32_e64 v32, v32, v20, s[30:31]
	v_cndmask_b32_e64 v5, v5, v57, s[30:31]
	v_cndmask_b32_e64 v54, v54, v41, s[46:47]
	v_cmp_eq_u32_e64 s[44:45], 8, v71
	v_cndmask_b32_e64 v32, v32, v21, s[38:39]
	v_cndmask_b32_e64 v5, v5, v55, s[38:39]
	v_cndmask_b32_e64 v54, v54, v40, s[44:45]
	v_cmp_eq_u32_e64 s[68:69], 9, v71
	v_cndmask_b32_e64 v32, v32, v22, s[24:25]
	v_cndmask_b32_e64 v5, v5, v6, s[24:25]
	v_cndmask_b32_e64 v54, v54, v39, s[68:69]
	v_cmp_eq_u32_e64 s[76:77], 10, v71
	v_cndmask_b32_e64 v32, v32, v23, s[22:23]
	v_cndmask_b32_e64 v5, v5, v7, s[22:23]
	v_cndmask_b32_e64 v54, v54, v38, s[76:77]
	v_cmp_eq_u32_e64 s[58:59], 11, v71
	v_cndmask_b32_e64 v32, v32, v24, s[20:21]
	v_cndmask_b32_e64 v5, v5, v8, s[20:21]
	v_cndmask_b32_e64 v54, v54, v37, s[58:59]
	v_cmp_eq_u32_e64 s[82:83], 12, v71
	v_cndmask_b32_e64 v32, v32, v25, s[72:73]
	v_cndmask_b32_e64 v5, v5, v9, s[72:73]
	v_cndmask_b32_e64 v54, v54, v36, s[82:83]
	v_cmp_eq_u32_e64 s[64:65], 13, v71
	v_cndmask_b32_e64 v32, v32, v26, s[74:75]
	v_cndmask_b32_e64 v5, v5, v10, s[74:75]
	v_cndmask_b32_e64 v54, v54, v35, s[64:65]
	v_cmp_eq_u32_e64 s[84:85], 14, v71
	v_cndmask_b32_e64 v32, v32, v27, s[78:79]
	v_cndmask_b32_e64 v5, v5, v11, s[78:79]
	v_cndmask_b32_e64 v54, v54, v34, s[84:85]
	v_cmp_eq_u32_e64 s[88:89], 15, v71
	v_cndmask_b32_e64 v32, v32, v28, s[80:81]
	v_cndmask_b32_e64 v5, v5, v12, s[80:81]
	v_cndmask_b32_e64 v54, v54, v33, s[88:89]
	v_cndmask_b32_e64 v32, v32, v29, s[12:13]
	v_cndmask_b32_e64 v5, v5, v13, s[12:13]
	ds_bpermute_b32 v54, v82, v54
	v_cndmask_b32_e64 v32, v32, v30, s[10:11]
	v_cndmask_b32_e64 v5, v5, v14, s[10:11]
	;; [unrolled: 1-line block ×4, first 2 shown]
	ds_bpermute_b32 v32, v82, v32
	ds_bpermute_b32 v5, v82, v5
	v_cmp_eq_u32_e64 s[60:61], 0, v71
	s_waitcnt lgkmcnt(2)
	v_cndmask_b32_e64 v47, v47, v54, s[8:9]
	v_cmp_eq_u32_e32 vcc, 1, v72
	v_cndmask_b32_e64 v17, v17, v54, s[60:61]
	v_cndmask_b32_e64 v33, v33, v54, s[88:89]
	;; [unrolled: 1-line block ×15, first 2 shown]
	v_cndmask_b32_e32 v54, v17, v47, vcc
	v_cmp_eq_u32_e64 s[6:7], 2, v72
	s_waitcnt lgkmcnt(1)
	v_cndmask_b32_e64 v30, v30, v32, s[10:11]
	s_waitcnt lgkmcnt(0)
	v_cndmask_b32_e64 v14, v14, v5, s[10:11]
	v_cndmask_b32_e64 v54, v54, v46, s[6:7]
	v_cmp_eq_u32_e64 s[10:11], 3, v72
	v_cndmask_b32_e64 v29, v29, v32, s[12:13]
	v_cndmask_b32_e64 v13, v13, v5, s[12:13]
	v_cndmask_b32_e64 v54, v54, v45, s[10:11]
	v_cmp_eq_u32_e64 s[12:13], 4, v72
	v_cmp_eq_u32_e64 s[42:43], 5, v72
	;; [unrolled: 1-line block ×3, first 2 shown]
	v_cndmask_b32_e64 v54, v54, v44, s[12:13]
	v_cndmask_b32_e64 v54, v54, v43, s[42:43]
	;; [unrolled: 1-line block ×7, first 2 shown]
	v_cmp_eq_u32_e64 s[52:53], 7, v72
	v_cndmask_b32_e64 v9, v9, v5, s[72:73]
	v_cndmask_b32_e64 v8, v8, v5, s[20:21]
	;; [unrolled: 1-line block ×11, first 2 shown]
	v_cmp_eq_u32_e64 s[54:55], 8, v72
	v_cndmask_b32_e64 v0, v5, v58, s[8:9]
	v_cndmask_b32_e64 v31, v31, v32, s[86:87]
	;; [unrolled: 1-line block ×8, first 2 shown]
	v_cmp_eq_u32_e64 s[56:57], 9, v72
	v_cndmask_b32_e64 v23, v23, v32, s[22:23]
	v_cndmask_b32_e64 v22, v22, v32, s[24:25]
	;; [unrolled: 1-line block ×10, first 2 shown]
	v_cmp_eq_u32_e64 s[62:63], 10, v72
	v_cndmask_b32_e64 v1, v32, v4, s[8:9]
	v_cndmask_b32_e64 v0, v0, v3, s[18:19]
	v_cndmask_b32_e64 v54, v54, v38, s[62:63]
	v_cmp_eq_u32_e64 s[66:67], 11, v72
	v_cndmask_b32_e64 v1, v1, v18, s[14:15]
	v_cndmask_b32_e64 v0, v0, v57, s[28:29]
	v_cndmask_b32_e64 v54, v54, v37, s[66:67]
	;; [unrolled: 4-line block ×6, first 2 shown]
	v_cndmask_b32_e64 v1, v1, v23, s[46:47]
	v_cndmask_b32_e64 v0, v0, v9, s[68:69]
	ds_bpermute_b32 v54, v82, v54
	v_cndmask_b32_e64 v1, v1, v24, s[44:45]
	v_cndmask_b32_e64 v0, v0, v10, s[76:77]
	;; [unrolled: 1-line block ×10, first 2 shown]
	v_cmp_eq_u32_e64 s[34:35], 0, v72
	s_waitcnt lgkmcnt(0)
	v_cndmask_b32_e32 v47, v47, v54, vcc
	v_cndmask_b32_e64 v1, v1, v29, s[64:65]
	v_cndmask_b32_e64 v0, v0, v15, s[88:89]
	;; [unrolled: 1-line block ×3, first 2 shown]
	v_cmp_eq_u32_e64 s[16:17], 1, v73
	v_cndmask_b32_e64 v46, v46, v54, s[6:7]
	v_cndmask_b32_e64 v1, v1, v30, s[84:85]
	ds_bpermute_b32 v60, v82, v0
	v_cndmask_b32_e64 v0, v17, v47, s[16:17]
	v_cmp_eq_u32_e64 s[20:21], 2, v73
	v_cndmask_b32_e64 v45, v45, v54, s[10:11]
	v_cndmask_b32_e64 v1, v1, v31, s[88:89]
	;; [unrolled: 1-line block ×3, first 2 shown]
	v_cmp_eq_u32_e64 s[22:23], 3, v73
	v_cndmask_b32_e64 v44, v44, v54, s[12:13]
	ds_bpermute_b32 v59, v82, v1
	v_cndmask_b32_e64 v0, v0, v45, s[22:23]
	v_cmp_eq_u32_e64 s[24:25], 4, v73
	v_cndmask_b32_e64 v43, v43, v54, s[42:43]
	v_cmp_eq_u32_e64 s[26:27], 5, v73
	v_cndmask_b32_e64 v0, v0, v44, s[24:25]
	v_cndmask_b32_e64 v42, v42, v54, s[50:51]
	;; [unrolled: 1-line block ×3, first 2 shown]
	v_cmp_eq_u32_e64 s[30:31], 6, v73
	v_cndmask_b32_e64 v41, v41, v54, s[52:53]
	v_cmp_eq_u32_e64 s[36:37], 7, v73
	v_cndmask_b32_e64 v0, v0, v42, s[30:31]
	v_cndmask_b32_e64 v40, v40, v54, s[54:55]
	;; [unrolled: 1-line block ×3, first 2 shown]
	v_cmp_eq_u32_e64 s[38:39], 8, v73
	v_cndmask_b32_e64 v39, v39, v54, s[56:57]
	s_waitcnt lgkmcnt(0)
	v_cndmask_b32_e64 v24, v24, v59, s[44:45]
	v_cndmask_b32_e64 v0, v0, v40, s[38:39]
	v_cndmask_b32_e64 v8, v8, v60, s[44:45]
	v_cmp_eq_u32_e64 s[44:45], 9, v73
	v_cndmask_b32_e64 v38, v38, v54, s[62:63]
	v_cndmask_b32_e64 v23, v23, v59, s[46:47]
	v_cndmask_b32_e64 v0, v0, v39, s[44:45]
	v_cndmask_b32_e64 v7, v7, v60, s[46:47]
	v_cmp_eq_u32_e64 s[46:47], 10, v73
	v_cndmask_b32_e64 v37, v37, v54, s[66:67]
	;; [unrolled: 5-line block ×3, first 2 shown]
	v_cndmask_b32_e64 v34, v34, v54, s[74:75]
	v_cndmask_b32_e64 v35, v35, v54, s[72:73]
	v_cndmask_b32_e64 v36, v36, v54, s[70:71]
	v_cndmask_b32_e64 v0, v0, v37, s[48:49]
	v_cndmask_b32_e64 v21, v21, v59, s[40:41]
	v_cndmask_b32_e64 v54, v55, v60, s[40:41]
	v_cmp_eq_u32_e64 s[40:41], 12, v73
	v_cndmask_b32_e64 v20, v20, v59, s[28:29]
	v_cndmask_b32_e64 v55, v57, v60, s[28:29]
	v_cndmask_b32_e64 v0, v0, v36, s[40:41]
	v_cmp_eq_u32_e64 s[28:29], 13, v73
	v_cndmask_b32_e64 v27, v27, v59, s[58:59]
	v_cndmask_b32_e64 v11, v11, v60, s[58:59]
	v_cndmask_b32_e64 v0, v0, v35, s[28:29]
	;; [unrolled: 4-line block ×4, first 2 shown]
	ds_bpermute_b32 v57, v82, v0
	v_cndmask_b32_e64 v32, v32, v59, s[60:61]
	v_cndmask_b32_e64 v18, v18, v59, s[14:15]
	v_cndmask_b32_e64 v84, v2, v60, s[14:15]
	v_cndmask_b32_e64 v19, v19, v59, s[18:19]
	s_waitcnt lgkmcnt(0)
	v_cndmask_b32_e64 v1, v43, v57, s[26:27]
	v_cndmask_b32_e64 v3, v45, v57, s[22:23]
	v_cndmask_b32_e64 v43, v58, v60, s[8:9]
	v_cndmask_b32_e64 v45, v5, v60, s[60:61]
	v_cndmask_b32_e64 v2, v44, v57, s[24:25]
	v_cndmask_b32_e32 v44, v32, v4, vcc
	v_cndmask_b32_e32 v5, v45, v43, vcc
	v_cndmask_b32_e64 v44, v44, v18, s[6:7]
	v_cndmask_b32_e64 v5, v5, v84, s[6:7]
	;; [unrolled: 1-line block ×38, first 2 shown]
	v_cmp_eq_u32_e64 s[76:77], 0, v73
	v_cndmask_b32_e64 v16, v46, v57, s[20:21]
	v_cndmask_b32_e64 v0, v47, v57, s[16:17]
	ds_bpermute_b32 v44, v82, v44
	ds_bpermute_b32 v46, v82, v5
	v_cndmask_b32_e64 v47, v17, v57, s[76:77]
	v_cmp_eq_u32_e64 s[8:9], 1, v74
	v_cmp_eq_u32_e64 s[14:15], 2, v74
	;; [unrolled: 1-line block ×3, first 2 shown]
	v_cndmask_b32_e64 v5, v47, v0, s[8:9]
	v_cndmask_b32_e64 v5, v5, v16, s[14:15]
	;; [unrolled: 1-line block ×3, first 2 shown]
	v_cmp_eq_u32_e64 s[60:61], 4, v74
	v_cmp_eq_u32_e64 s[68:69], 5, v74
	v_cndmask_b32_e64 v42, v42, v57, s[30:31]
	v_cndmask_b32_e64 v5, v5, v2, s[60:61]
	;; [unrolled: 1-line block ×3, first 2 shown]
	s_waitcnt lgkmcnt(1)
	v_cndmask_b32_e64 v27, v27, v44, s[66:67]
	s_waitcnt lgkmcnt(0)
	v_cndmask_b32_e64 v60, v11, v46, s[66:67]
	v_cmp_eq_u32_e64 s[66:67], 6, v74
	v_cndmask_b32_e32 v91, v4, v44, vcc
	v_cndmask_b32_e64 v32, v32, v44, s[34:35]
	v_cndmask_b32_e64 v41, v41, v57, s[36:37]
	v_cndmask_b32_e64 v5, v5, v42, s[66:67]
	v_cndmask_b32_e64 v26, v26, v44, s[62:63]
	v_cndmask_b32_e64 v85, v10, v46, s[62:63]
	v_cmp_eq_u32_e64 s[62:63], 7, v74
	v_cndmask_b32_e64 v18, v18, v44, s[6:7]
	v_cndmask_b32_e64 v4, v32, v91, s[16:17]
	v_cndmask_b32_e64 v40, v40, v57, s[38:39]
	v_cndmask_b32_e64 v5, v5, v41, s[62:63]
	v_cndmask_b32_e64 v25, v25, v44, s[56:57]
	v_cndmask_b32_e64 v86, v9, v46, s[56:57]
	v_cmp_eq_u32_e64 s[56:57], 8, v74
	v_cndmask_b32_e64 v19, v19, v44, s[10:11]
	;; [unrolled: 7-line block ×5, first 2 shown]
	v_cndmask_b32_e64 v36, v36, v57, s[40:41]
	v_cndmask_b32_e64 v5, v5, v37, s[50:51]
	v_cndmask_b32_e64 v54, v54, v46, s[42:43]
	v_cmp_eq_u32_e64 s[42:43], 12, v74
	v_cndmask_b32_e64 v4, v4, v22, s[30:31]
	v_cndmask_b32_e64 v35, v35, v57, s[28:29]
	v_cndmask_b32_e64 v5, v5, v36, s[42:43]
	v_cndmask_b32_e64 v55, v55, v46, s[12:13]
	v_cmp_eq_u32_e64 s[12:13], 13, v74
	v_cndmask_b32_e64 v4, v4, v23, s[36:37]
	;; [unrolled: 5-line block ×4, first 2 shown]
	v_cndmask_b32_e64 v4, v4, v26, s[46:47]
	v_cndmask_b32_e64 v5, v5, v33, s[6:7]
	;; [unrolled: 1-line block ×3, first 2 shown]
	ds_bpermute_b32 v90, v82, v5
	v_cndmask_b32_e64 v4, v4, v27, s[48:49]
	v_cndmask_b32_e64 v29, v29, v44, s[72:73]
	;; [unrolled: 1-line block ×9, first 2 shown]
	s_waitcnt lgkmcnt(0)
	v_cndmask_b32_e64 v15, v33, v90, s[6:7]
	ds_bpermute_b32 v33, v82, v4
	v_cndmask_b32_e64 v57, v14, v46, s[74:75]
	v_cndmask_b32_e64 v14, v34, v90, s[10:11]
	;; [unrolled: 1-line block ×4, first 2 shown]
	s_waitcnt lgkmcnt(0)
	v_cndmask_b32_e64 v34, v91, v33, s[16:17]
	v_cndmask_b32_e64 v32, v32, v33, s[76:77]
	v_cndmask_b32_e64 v18, v18, v33, s[20:21]
	v_cndmask_b32_e64 v1, v32, v34, s[8:9]
	v_cndmask_b32_e64 v19, v19, v33, s[22:23]
	v_cndmask_b32_e64 v1, v1, v18, s[14:15]
	v_cndmask_b32_e64 v20, v20, v33, s[24:25]
	v_cndmask_b32_e64 v1, v1, v19, s[18:19]
	v_cndmask_b32_e64 v21, v21, v33, s[26:27]
	v_cndmask_b32_e64 v1, v1, v20, s[60:61]
	v_cndmask_b32_e64 v22, v22, v33, s[30:31]
	v_cndmask_b32_e64 v1, v1, v21, s[68:69]
	v_cndmask_b32_e64 v23, v23, v33, s[36:37]
	v_cndmask_b32_e64 v1, v1, v22, s[66:67]
	v_cndmask_b32_e64 v24, v24, v33, s[38:39]
	v_cndmask_b32_e64 v1, v1, v23, s[62:63]
	v_cndmask_b32_e64 v25, v25, v33, s[44:45]
	v_cndmask_b32_e64 v1, v1, v24, s[56:57]
	v_cndmask_b32_e64 v26, v26, v33, s[46:47]
	v_cndmask_b32_e64 v1, v1, v25, s[54:55]
	v_cndmask_b32_e64 v27, v27, v33, s[48:49]
	v_cndmask_b32_e64 v1, v1, v26, s[52:53]
	v_cndmask_b32_e64 v28, v28, v33, s[40:41]
	v_cndmask_b32_e64 v1, v1, v27, s[50:51]
	v_cndmask_b32_e64 v29, v29, v33, s[28:29]
	v_cndmask_b32_e64 v1, v1, v28, s[42:43]
	v_cndmask_b32_e64 v30, v30, v33, s[58:59]
	v_cndmask_b32_e64 v1, v1, v29, s[12:13]
	v_cndmask_b32_e64 v2, v16, v90, s[14:15]
	v_cndmask_b32_e64 v16, v31, v33, s[64:65]
	v_cndmask_b32_e64 v1, v1, v30, s[10:11]
	v_cndmask_b32_e64 v1, v1, v16, s[6:7]
	ds_bpermute_b32 v33, v82, v1
	v_cndmask_b32_e64 v58, v13, v46, s[72:73]
	v_cndmask_b32_e32 v43, v43, v46, vcc
	v_cndmask_b32_e64 v13, v35, v90, s[12:13]
	v_cndmask_b32_e64 v35, v45, v46, s[34:35]
	s_waitcnt lgkmcnt(0)
	v_cndmask_b32_e64 v31, v16, v33, s[6:7]
	v_cndmask_b32_e64 v16, v35, v43, s[16:17]
	;; [unrolled: 1-line block ×17, first 2 shown]
	ds_bpermute_b32 v16, v82, v16
	v_cndmask_b32_e64 v11, v37, v90, s[50:51]
	v_cndmask_b32_e64 v7, v41, v90, s[62:63]
	;; [unrolled: 1-line block ×4, first 2 shown]
	s_waitcnt lgkmcnt(0)
	v_cndmask_b32_e64 v37, v57, v16, s[58:59]
	v_cndmask_b32_e64 v41, v85, v16, s[46:47]
	;; [unrolled: 1-line block ×33, first 2 shown]
	ds_bpermute_b32 v87, v82, v16
	v_cmp_eq_u32_e32 vcc, 0, v74
	v_cndmask_b32_e64 v1, v0, v90, s[8:9]
	v_readlane_b32 s24, v93, 10
	v_cndmask_b32_e32 v0, v47, v90, vcc
	s_waitcnt lgkmcnt(0)
	v_cndmask_b32_e64 v47, v36, v87, s[6:7]
	v_readlane_b32 s6, v93, 30
	v_readlane_b32 s7, v93, 31
	;; [unrolled: 1-line block ×4, first 2 shown]
	v_subrev_u32_e32 v83, s4, v83
	s_mov_b32 s1, 0
	v_cndmask_b32_e64 v6, v42, v90, s[66:67]
	v_cndmask_b32_e64 v3, v3, v90, s[18:19]
	;; [unrolled: 1-line block ×16, first 2 shown]
	v_cndmask_b32_e32 v16, v32, v33, vcc
	v_cndmask_b32_e64 v46, v37, v87, s[10:11]
	v_cndmask_b32_e64 v45, v38, v87, s[12:13]
	;; [unrolled: 1-line block ×14, first 2 shown]
	v_cndmask_b32_e32 v32, v86, v87, vcc
	v_lshl_add_u64 v[54:55], s[6:7], 0, v[48:49]
	s_mov_b64 s[6:7], 0
	s_mov_b32 s16, 0
	v_readlane_b32 s25, v93, 11
	v_readlane_b32 s27, v93, 13
	;; [unrolled: 1-line block ×11, first 2 shown]
	s_mov_b64 s[20:21], 0x80
                                        ; implicit-def: $sgpr8_sgpr9
	s_branch .LBB283_29
.LBB283_27:                             ;   in Loop: Header=BB283_29 Depth=2
	s_or_b64 exec, exec, s[12:13]
	s_andn2_b64 s[8:9], s[8:9], exec
	s_and_b64 s[12:13], s[14:15], exec
	s_or_b64 s[8:9], s[8:9], s[12:13]
.LBB283_28:                             ;   in Loop: Header=BB283_29 Depth=2
	s_or_b64 exec, exec, s[10:11]
	s_and_b64 s[10:11], exec, s[8:9]
	s_or_b64 s[6:7], s[10:11], s[6:7]
	s_andn2_b64 exec, exec, s[6:7]
	s_cbranch_execz .LBB283_32
.LBB283_29:                             ;   Parent Loop BB283_7 Depth=1
                                        ; =>  This Inner Loop Header: Depth=2
	s_and_b32 s12, s1, 24
	v_or_b32_e32 v57, s12, v80
	v_add_u32_e32 v58, s5, v57
	v_cmp_gt_u32_e32 vcc, 32, v58
	s_or_b64 s[8:9], s[8:9], exec
	s_and_saveexec_b64 s[10:11], vcc
	s_cbranch_execz .LBB283_28
; %bb.30:                               ;   in Loop: Header=BB283_29 Depth=2
	s_add_i32 s13, s16, 1
	s_set_gpr_idx_on s16, gpr_idx(SRC0)
	v_mov_b32_e32 v58, v0
	s_set_gpr_idx_off
	v_cvt_f16_f32_e32 v60, v58
	s_set_gpr_idx_on s13, gpr_idx(SRC0)
	v_mov_b32_e32 v58, v0
	s_set_gpr_idx_off
	v_cvt_f16_f32_sdwa v61, v58 dst_sel:WORD_1 dst_unused:UNUSED_PAD src0_sel:DWORD
	v_mul_lo_u32 v58, v57, s93
	v_ashrrev_i32_e32 v59, 31, v58
	v_lshl_add_u64 v[58:59], v[58:59], 1, v[54:55]
	v_or_b32_e32 v57, v61, v60
	;;#ASMSTART
	global_atomic_pk_add_f16 v[58:59], v57, off
	
	;;#ASMEND
	s_set_gpr_idx_on s16, gpr_idx(SRC0)
	v_mov_b32_e32 v57, v16
	s_set_gpr_idx_off
	v_cvt_f16_f32_e32 v57, v57
	s_set_gpr_idx_on s13, gpr_idx(SRC0)
	v_mov_b32_e32 v60, v16
	s_set_gpr_idx_off
	v_cvt_f16_f32_sdwa v84, v60 dst_sel:WORD_1 dst_unused:UNUSED_PAD src0_sel:DWORD
	v_lshl_add_u64 v[60:61], v[58:59], 0, 64
	v_lshl_add_u64 v[58:59], v[58:59], 0, s[20:21]
	s_mov_b64 s[14:15], -1
	v_or_b32_e32 v57, v84, v57
	;;#ASMSTART
	global_atomic_pk_add_f16 v[60:61], v57, off
	
	;;#ASMEND
	s_set_gpr_idx_on s16, gpr_idx(SRC0)
	v_mov_b32_e32 v57, v32
	s_set_gpr_idx_off
	v_cvt_f16_f32_e32 v57, v57
	s_set_gpr_idx_on s13, gpr_idx(SRC0)
	v_mov_b32_e32 v60, v32
	s_set_gpr_idx_off
	v_cvt_f16_f32_sdwa v60, v60 dst_sel:WORD_1 dst_unused:UNUSED_PAD src0_sel:DWORD
	s_nop 0
	v_or_b32_e32 v57, v60, v57
	;;#ASMSTART
	global_atomic_pk_add_f16 v[58:59], v57, off
	
	;;#ASMEND
	v_or_b32_e32 v57, s12, v81
	v_add_u32_e32 v58, s5, v57
	v_cmp_gt_u32_e32 vcc, 32, v58
	s_and_saveexec_b64 s[12:13], vcc
	s_cbranch_execz .LBB283_27
; %bb.31:                               ;   in Loop: Header=BB283_29 Depth=2
	s_add_i32 s14, s16, 2
	s_add_i32 s15, s16, 3
	s_set_gpr_idx_on s14, gpr_idx(SRC0)
	v_mov_b32_e32 v58, v0
	s_set_gpr_idx_off
	v_cvt_f16_f32_e32 v60, v58
	s_set_gpr_idx_on s15, gpr_idx(SRC0)
	v_mov_b32_e32 v58, v0
	s_set_gpr_idx_off
	v_cvt_f16_f32_sdwa v61, v58 dst_sel:WORD_1 dst_unused:UNUSED_PAD src0_sel:DWORD
	v_mul_lo_u32 v58, v57, s93
	v_ashrrev_i32_e32 v59, 31, v58
	v_lshl_add_u64 v[58:59], v[58:59], 1, v[54:55]
	v_or_b32_e32 v57, v61, v60
	;;#ASMSTART
	global_atomic_pk_add_f16 v[58:59], v57, off
	
	;;#ASMEND
	s_set_gpr_idx_on s14, gpr_idx(SRC0)
	v_mov_b32_e32 v57, v16
	s_set_gpr_idx_off
	v_cvt_f16_f32_e32 v57, v57
	s_set_gpr_idx_on s15, gpr_idx(SRC0)
	v_mov_b32_e32 v60, v16
	s_set_gpr_idx_off
	v_cvt_f16_f32_sdwa v84, v60 dst_sel:WORD_1 dst_unused:UNUSED_PAD src0_sel:DWORD
	v_lshl_add_u64 v[60:61], v[58:59], 0, 64
	s_add_i32 s16, s16, 4
	s_add_i32 s1, s1, 8
	v_or_b32_e32 v57, v84, v57
	;;#ASMSTART
	global_atomic_pk_add_f16 v[60:61], v57, off
	
	;;#ASMEND
	s_set_gpr_idx_on s14, gpr_idx(SRC0)
	v_mov_b32_e32 v57, v32
	s_set_gpr_idx_off
	v_cvt_f16_f32_e32 v57, v57
	s_set_gpr_idx_on s15, gpr_idx(SRC0)
	v_mov_b32_e32 v60, v32
	s_set_gpr_idx_off
	v_cvt_f16_f32_sdwa v60, v60 dst_sel:WORD_1 dst_unused:UNUSED_PAD src0_sel:DWORD
	s_cmp_eq_u32 s16, 16
	s_cselect_b64 s[14:15], -1, 0
	s_orn2_b64 s[14:15], s[14:15], exec
	v_lshl_add_u64 v[58:59], v[58:59], 0, s[20:21]
	v_or_b32_e32 v57, v60, v57
	;;#ASMSTART
	global_atomic_pk_add_f16 v[58:59], v57, off
	
	;;#ASMEND
	s_branch .LBB283_27
.LBB283_32:                             ;   in Loop: Header=BB283_7 Depth=1
	s_or_b64 exec, exec, s[6:7]
	v_readlane_b32 s16, v93, 2
	v_readlane_b32 s14, v93, 0
	;; [unrolled: 1-line block ×11, first 2 shown]
.LBB283_33:                             ;   in Loop: Header=BB283_7 Depth=1
	v_readlane_b32 s6, v93, 27
	v_readlane_b32 s7, v93, 28
	s_or_b64 exec, exec, s[6:7]
.LBB283_34:                             ;   in Loop: Header=BB283_7 Depth=1
	s_or_saveexec_b64 s[2:3], s[2:3]
	v_readlane_b32 s13, v93, 26
	s_xor_b64 exec, exec, s[2:3]
	s_cbranch_execz .LBB283_43
; %bb.35:                               ;   in Loop: Header=BB283_7 Depth=1
	s_mul_i32 s12, s4, 3
	v_cmp_gt_i32_e32 vcc, s12, v83
	s_and_saveexec_b64 s[6:7], vcc
	s_cbranch_execz .LBB283_42
; %bb.36:                               ;   in Loop: Header=BB283_7 Depth=1
	s_mul_i32 s0, s0, s95
	s_ashr_i32 s1, s0, 31
	s_add_u32 s0, s18, s0
	s_addc_u32 s1, s19, s1
	s_ashr_i32 s8, s13, 31
	s_add_u32 s0, s0, s13
	s_addc_u32 s1, s1, s8
	v_lshl_add_u64 v[0:1], s[0:1], 0, v[52:53]
	v_lshl_add_u64 v[8:9], v[0:1], 0, v[50:51]
	s_mov_b64 s[0:1], 0
	s_branch .LBB283_38
.LBB283_37:                             ;   in Loop: Header=BB283_38 Depth=2
	s_or_b64 exec, exec, s[8:9]
	v_lshl_add_u32 v12, v10, 11, v77
	;;#ASMSTART
	s_waitcnt vmcnt(1)
	;;#ASMEND
	ds_write2_b32 v12, v4, v5 offset1:32
	ds_write2_b32 v12, v6, v7 offset0:64 offset1:96
	v_add_u32_e32 v4, 0x400, v12
	v_add_u32_e32 v83, s98, v83
	;;#ASMSTART
	s_waitcnt vmcnt(0)
	;;#ASMEND
	ds_write2_b32 v4, v0, v1 offset1:32
	ds_write2_b32 v4, v2, v3 offset0:64 offset1:96
	v_add_u32_e32 v0, 1, v63
	v_add_u32_e32 v56, s98, v10
	v_cmp_le_i32_e32 vcc, s12, v83
	ds_write_b32 v11, v0 offset:48
	v_add_u32_e32 v0, 2, v63
	s_or_b64 s[0:1], vcc, s[0:1]
	v_cmp_lt_i32_e32 vcc, 11, v56
	s_nop 1
	v_cndmask_b32_e32 v63, v63, v0, vcc
	s_andn2_b64 exec, exec, s[0:1]
	s_cbranch_execz .LBB283_41
.LBB283_38:                             ;   Parent Loop BB283_7 Depth=1
                                        ; =>  This Loop Header: Depth=2
                                        ;       Child Loop BB283_40 Depth 3
	v_cmp_gt_i32_e32 vcc, 12, v56
	s_nop 1
	v_cndmask_b32_e64 v0, -12, 0, vcc
	v_add_u32_e32 v10, v0, v56
	v_mul_hi_i32 v0, v83, s91
	v_lshrrev_b32_e32 v1, 31, v0
	v_add_u32_e32 v0, v0, v1
	v_lshl_add_u32 v1, v0, 1, v0
	v_sub_u32_e32 v2, v83, v1
	v_lshlrev_b32_e32 v0, 6, v0
	v_ashrrev_i32_e32 v1, 31, v0
	v_mul_lo_u32 v2, s31, v2
	v_lshl_add_u64 v[0:1], v[8:9], 0, v[0:1]
	v_ashrrev_i32_e32 v3, 31, v2
	v_lshl_add_u64 v[0:1], v[0:1], 0, v[2:3]
	v_lshlrev_b32_e32 v11, 2, v10
	;;#ASMSTART
	global_load_dwordx4 v[4:7], v[0:1], off offset:0   sc0 sc1 nt  
	global_load_dwordx4 v[0:3], v[0:1], off offset:32  sc0 sc1 nt  
	
	;;#ASMEND
	ds_read_b32 v12, v11 offset:49200
	v_add_u32_e32 v11, 0xc000, v11
	s_waitcnt lgkmcnt(0)
	v_cmp_ne_u32_e32 vcc, v12, v63
	s_and_saveexec_b64 s[8:9], vcc
	s_cbranch_execz .LBB283_37
; %bb.39:                               ;   in Loop: Header=BB283_38 Depth=2
	s_mov_b64 s[10:11], 0
.LBB283_40:                             ;   Parent Loop BB283_7 Depth=1
                                        ;     Parent Loop BB283_38 Depth=2
                                        ; =>    This Inner Loop Header: Depth=3
	;;#ASMSTART
	s_sleep 0
	;;#ASMEND
	ds_read_b32 v12, v11 offset:48
	s_waitcnt lgkmcnt(0)
	v_cmp_eq_u32_e32 vcc, v12, v63
	s_or_b64 s[10:11], vcc, s[10:11]
	s_andn2_b64 exec, exec, s[10:11]
	s_cbranch_execnz .LBB283_40
	s_branch .LBB283_37
.LBB283_41:                             ;   in Loop: Header=BB283_7 Depth=1
	s_or_b64 exec, exec, s[0:1]
.LBB283_42:                             ;   in Loop: Header=BB283_7 Depth=1
	s_or_b64 exec, exec, s[6:7]
	v_subrev_u32_e32 v83, s12, v83
.LBB283_43:                             ;   in Loop: Header=BB283_7 Depth=1
	s_or_b64 exec, exec, s[2:3]
.LBB283_44:                             ;   in Loop: Header=BB283_7 Depth=1
	v_readlane_b32 s0, v93, 24
	v_readlane_b32 s1, v93, 25
	s_andn2_saveexec_b64 s[0:1], s[0:1]
	s_cbranch_execz .LBB283_6
; %bb.45:                               ;   in Loop: Header=BB283_7 Depth=1
	s_mul_i32 s10, s4, 3
	v_cmp_gt_i32_e32 vcc, s10, v83
	s_and_saveexec_b64 s[2:3], vcc
	s_cbranch_execz .LBB283_5
; %bb.46:                               ;   in Loop: Header=BB283_7 Depth=1
	s_mul_i32 s4, s40, s94
	s_ashr_i32 s6, s4, 31
	s_add_u32 s4, s16, s4
	s_addc_u32 s7, s17, s6
	s_ashr_i32 s8, s13, 31
	s_add_u32 s6, s4, s13
	v_add_u32_e32 v2, s5, v64
	s_movk_i32 s4, 0x60
	v_cmp_gt_u32_e32 vcc, s4, v2
	s_addc_u32 s7, s7, s8
	v_sub_u32_e32 v10, 0x5f, v2
	v_cndmask_b32_e32 v0, 0, v78, vcc
	v_ashrrev_i32_e32 v1, 31, v0
	v_lshl_add_u64 v[0:1], s[6:7], 0, v[0:1]
	v_lshl_add_u64 v[8:9], v[0:1], 0, v[50:51]
	s_mov_b64 s[4:5], 0
	s_branch .LBB283_48
.LBB283_47:                             ;   in Loop: Header=BB283_48 Depth=2
	s_or_b64 exec, exec, s[6:7]
	v_lshl_or_b32 v13, v11, 11, v79
	;;#ASMSTART
	s_waitcnt vmcnt(1)
	;;#ASMEND
	ds_write2_b32 v13, v4, v5 offset1:32
	ds_write2_b32 v13, v6, v7 offset0:64 offset1:96
	v_add_u32_e32 v4, 0x400, v13
	v_add_u32_e32 v83, s97, v83
	;;#ASMSTART
	s_waitcnt vmcnt(0)
	;;#ASMEND
	ds_write2_b32 v4, v0, v1 offset1:32
	ds_write2_b32 v4, v2, v3 offset0:64 offset1:96
	v_add_u32_e32 v0, 1, v63
	v_add_u32_e32 v56, s97, v11
	v_cmp_le_i32_e32 vcc, s10, v83
	ds_write_b32 v12, v0
	v_add_u32_e32 v0, 2, v63
	s_or_b64 s[4:5], vcc, s[4:5]
	v_cmp_lt_i32_e32 vcc, 11, v56
	s_nop 1
	v_cndmask_b32_e32 v63, v63, v0, vcc
	s_andn2_b64 exec, exec, s[4:5]
	s_cbranch_execz .LBB283_4
.LBB283_48:                             ;   Parent Loop BB283_7 Depth=1
                                        ; =>  This Loop Header: Depth=2
                                        ;       Child Loop BB283_50 Depth 3
	v_cmp_gt_i32_e32 vcc, 12, v56
	s_nop 1
	v_cndmask_b32_e64 v0, -12, 0, vcc
	v_add_u32_e32 v11, v0, v56
	v_mul_hi_i32 v0, v83, s91
	v_lshrrev_b32_e32 v1, 31, v0
	v_add_u32_e32 v0, v0, v1
	v_lshl_add_u32 v1, v0, 1, v0
	v_sub_u32_e32 v1, v83, v1
	v_lshlrev_b32_e32 v1, 5, v1
	v_cmp_le_i32_e32 vcc, v1, v10
	v_lshlrev_b32_e32 v0, 6, v0
	v_lshlrev_b32_e32 v12, 2, v11
	v_cndmask_b32_e32 v2, 0, v1, vcc
	v_ashrrev_i32_e32 v1, 31, v0
	v_mul_lo_u32 v2, v2, s94
	v_lshl_add_u64 v[0:1], v[8:9], 0, v[0:1]
	v_ashrrev_i32_e32 v3, 31, v2
	v_lshl_add_u64 v[0:1], v[0:1], 0, v[2:3]
	;;#ASMSTART
	global_load_dwordx4 v[4:7], v[0:1], off offset:0   
	global_load_dwordx4 v[0:3], v[0:1], off offset:32  
	
	;;#ASMEND
	ds_read_b32 v13, v12 offset:49152
	v_add_u32_e32 v12, 0xc000, v12
	s_waitcnt lgkmcnt(0)
	v_cmp_ne_u32_e32 vcc, v13, v63
	s_and_saveexec_b64 s[6:7], vcc
	s_cbranch_execz .LBB283_47
; %bb.49:                               ;   in Loop: Header=BB283_48 Depth=2
	s_mov_b64 s[8:9], 0
.LBB283_50:                             ;   Parent Loop BB283_7 Depth=1
                                        ;     Parent Loop BB283_48 Depth=2
                                        ; =>    This Inner Loop Header: Depth=3
	;;#ASMSTART
	s_sleep 0
	;;#ASMEND
	ds_read_b32 v13, v12
	s_waitcnt lgkmcnt(0)
	v_cmp_eq_u32_e32 vcc, v13, v63
	s_or_b64 s[8:9], vcc, s[8:9]
	s_andn2_b64 exec, exec, s[8:9]
	s_cbranch_execnz .LBB283_50
	s_branch .LBB283_47
.LBB283_51:
	s_endpgm
	.section	.rodata,"a",@progbits
	.p2align	6, 0x0
	.amdhsa_kernel _Z19_skinny_gemm_kernelILi3ELi3ELi4ELi32ELi4EEvPKhS1_P6__halfPKfiiiiiiii
		.amdhsa_group_segment_fixed_size 49248
		.amdhsa_private_segment_fixed_size 0
		.amdhsa_kernarg_size 64
		.amdhsa_user_sgpr_count 2
		.amdhsa_user_sgpr_dispatch_ptr 0
		.amdhsa_user_sgpr_queue_ptr 0
		.amdhsa_user_sgpr_kernarg_segment_ptr 1
		.amdhsa_user_sgpr_dispatch_id 0
		.amdhsa_user_sgpr_kernarg_preload_length 0
		.amdhsa_user_sgpr_kernarg_preload_offset 0
		.amdhsa_user_sgpr_private_segment_size 0
		.amdhsa_uses_dynamic_stack 0
		.amdhsa_enable_private_segment 0
		.amdhsa_system_sgpr_workgroup_id_x 1
		.amdhsa_system_sgpr_workgroup_id_y 0
		.amdhsa_system_sgpr_workgroup_id_z 0
		.amdhsa_system_sgpr_workgroup_info 0
		.amdhsa_system_vgpr_workitem_id 0
		.amdhsa_next_free_vgpr 94
		.amdhsa_next_free_sgpr 100
		.amdhsa_accum_offset 96
		.amdhsa_reserve_vcc 1
		.amdhsa_float_round_mode_32 0
		.amdhsa_float_round_mode_16_64 0
		.amdhsa_float_denorm_mode_32 3
		.amdhsa_float_denorm_mode_16_64 3
		.amdhsa_dx10_clamp 1
		.amdhsa_ieee_mode 1
		.amdhsa_fp16_overflow 0
		.amdhsa_tg_split 0
		.amdhsa_exception_fp_ieee_invalid_op 0
		.amdhsa_exception_fp_denorm_src 0
		.amdhsa_exception_fp_ieee_div_zero 0
		.amdhsa_exception_fp_ieee_overflow 0
		.amdhsa_exception_fp_ieee_underflow 0
		.amdhsa_exception_fp_ieee_inexact 0
		.amdhsa_exception_int_div_zero 0
	.end_amdhsa_kernel
	.section	.text._Z19_skinny_gemm_kernelILi3ELi3ELi4ELi32ELi4EEvPKhS1_P6__halfPKfiiiiiiii,"axG",@progbits,_Z19_skinny_gemm_kernelILi3ELi3ELi4ELi32ELi4EEvPKhS1_P6__halfPKfiiiiiiii,comdat
.Lfunc_end283:
	.size	_Z19_skinny_gemm_kernelILi3ELi3ELi4ELi32ELi4EEvPKhS1_P6__halfPKfiiiiiiii, .Lfunc_end283-_Z19_skinny_gemm_kernelILi3ELi3ELi4ELi32ELi4EEvPKhS1_P6__halfPKfiiiiiiii
                                        ; -- End function
	.set _Z19_skinny_gemm_kernelILi3ELi3ELi4ELi32ELi4EEvPKhS1_P6__halfPKfiiiiiiii.num_vgpr, 94
	.set _Z19_skinny_gemm_kernelILi3ELi3ELi4ELi32ELi4EEvPKhS1_P6__halfPKfiiiiiiii.num_agpr, 0
	.set _Z19_skinny_gemm_kernelILi3ELi3ELi4ELi32ELi4EEvPKhS1_P6__halfPKfiiiiiiii.numbered_sgpr, 100
	.set _Z19_skinny_gemm_kernelILi3ELi3ELi4ELi32ELi4EEvPKhS1_P6__halfPKfiiiiiiii.num_named_barrier, 0
	.set _Z19_skinny_gemm_kernelILi3ELi3ELi4ELi32ELi4EEvPKhS1_P6__halfPKfiiiiiiii.private_seg_size, 0
	.set _Z19_skinny_gemm_kernelILi3ELi3ELi4ELi32ELi4EEvPKhS1_P6__halfPKfiiiiiiii.uses_vcc, 1
	.set _Z19_skinny_gemm_kernelILi3ELi3ELi4ELi32ELi4EEvPKhS1_P6__halfPKfiiiiiiii.uses_flat_scratch, 0
	.set _Z19_skinny_gemm_kernelILi3ELi3ELi4ELi32ELi4EEvPKhS1_P6__halfPKfiiiiiiii.has_dyn_sized_stack, 0
	.set _Z19_skinny_gemm_kernelILi3ELi3ELi4ELi32ELi4EEvPKhS1_P6__halfPKfiiiiiiii.has_recursion, 0
	.set _Z19_skinny_gemm_kernelILi3ELi3ELi4ELi32ELi4EEvPKhS1_P6__halfPKfiiiiiiii.has_indirect_call, 0
	.section	.AMDGPU.csdata,"",@progbits
; Kernel info:
; codeLenInByte = 11648
; TotalNumSgprs: 106
; NumVgprs: 94
; NumAgprs: 0
; TotalNumVgprs: 94
; ScratchSize: 0
; MemoryBound: 0
; FloatMode: 240
; IeeeMode: 1
; LDSByteSize: 49248 bytes/workgroup (compile time only)
; SGPRBlocks: 13
; VGPRBlocks: 11
; NumSGPRsForWavesPerEU: 106
; NumVGPRsForWavesPerEU: 94
; AccumOffset: 96
; Occupancy: 5
; WaveLimiterHint : 0
; COMPUTE_PGM_RSRC2:SCRATCH_EN: 0
; COMPUTE_PGM_RSRC2:USER_SGPR: 2
; COMPUTE_PGM_RSRC2:TRAP_HANDLER: 0
; COMPUTE_PGM_RSRC2:TGID_X_EN: 1
; COMPUTE_PGM_RSRC2:TGID_Y_EN: 0
; COMPUTE_PGM_RSRC2:TGID_Z_EN: 0
; COMPUTE_PGM_RSRC2:TIDIG_COMP_CNT: 0
; COMPUTE_PGM_RSRC3_GFX90A:ACCUM_OFFSET: 23
; COMPUTE_PGM_RSRC3_GFX90A:TG_SPLIT: 0
	.section	.text._Z19_skinny_gemm_kernelILi3ELi3ELi5ELi16ELi4EEvPKhS1_P6__halfPKfiiiiiiii,"axG",@progbits,_Z19_skinny_gemm_kernelILi3ELi3ELi5ELi16ELi4EEvPKhS1_P6__halfPKfiiiiiiii,comdat
	.protected	_Z19_skinny_gemm_kernelILi3ELi3ELi5ELi16ELi4EEvPKhS1_P6__halfPKfiiiiiiii ; -- Begin function _Z19_skinny_gemm_kernelILi3ELi3ELi5ELi16ELi4EEvPKhS1_P6__halfPKfiiiiiiii
	.globl	_Z19_skinny_gemm_kernelILi3ELi3ELi5ELi16ELi4EEvPKhS1_P6__halfPKfiiiiiiii
	.p2align	8
	.type	_Z19_skinny_gemm_kernelILi3ELi3ELi5ELi16ELi4EEvPKhS1_P6__halfPKfiiiiiiii,@function
_Z19_skinny_gemm_kernelILi3ELi3ELi5ELi16ELi4EEvPKhS1_P6__halfPKfiiiiiiii: ; @_Z19_skinny_gemm_kernelILi3ELi3ELi5ELi16ELi4EEvPKhS1_P6__halfPKfiiiiiiii
; %bb.0:
	v_cmp_gt_u32_e32 vcc, 30, v0
	v_lshlrev_b32_e32 v1, 2, v0
	s_and_saveexec_b64 s[4:5], vcc
; %bb.1:
	v_mov_b32_e32 v2, 0
	ds_write_b32 v1, v2 offset:61440
; %bb.2:
	s_or_b64 exec, exec, s[4:5]
	s_load_dwordx8 s[20:27], s[0:1], 0x20
	s_waitcnt lgkmcnt(0)
	s_barrier
	s_add_i32 s3, s20, 47
	s_add_i32 s4, s21, 47
	s_mul_hi_i32 s3, s3, 0x2aaaaaab
	s_lshr_b32 s5, s3, 31
	s_ashr_i32 s33, s3, 3
	s_mul_hi_i32 s3, s4, 0x2aaaaaab
	s_lshr_b32 s4, s3, 31
	s_ashr_i32 s50, s3, 3
	s_add_i32 s33, s33, s5
	s_add_i32 s50, s50, s4
	s_mul_i32 s3, s50, s33
	s_mul_i32 s3, s3, s24
	s_add_i32 s4, s3, 0x12f
	s_mul_hi_i32 s4, s4, 0x6bca1af3
	s_lshr_b32 s5, s4, 31
	s_ashr_i32 s4, s4, 7
	s_add_i32 s4, s4, s5
	s_add_i32 s5, s2, 1
	s_mul_i32 s5, s4, s5
	v_cvt_f64_i32_e32 v[2:3], s3
	v_cvt_f64_u32_e32 v[4:5], s5
	v_min_f64 v[2:3], v[2:3], v[4:5]
	v_cvt_i32_f64_e32 v37, v[2:3]
	s_mul_i32 s51, s4, s2
	v_cmp_ge_i32_e32 vcc, s51, v37
	s_cbranch_vccnz .LBB284_58
; %bb.3:
	v_lshrrev_b32_e32 v2, 6, v0
	s_add_i32 s4, s26, s25
	s_load_dwordx8 s[36:43], s[0:1], 0x0
	v_cmp_le_i32_e64 s[0:1], s4, v2
	v_mov_b32_e32 v3, s25
	v_cmp_le_i32_e64 s[2:3], s25, v2
	v_mov_b32_e32 v4, s26
	v_cndmask_b32_e64 v4, 0, v4, s[0:1]
	v_cndmask_b32_e64 v3, 0, v3, s[2:3]
	s_abs_i32 s5, s24
	v_add_u32_e32 v3, v3, v4
	v_cvt_f32_u32_e32 v4, s5
	v_sub_u32_e32 v50, v2, v3
	s_ashr_i32 s6, s22, 31
	s_lshr_b32 s6, s6, 25
	v_rcp_iflag_f32_e32 v3, v4
	s_sub_i32 s9, 0, s5
	s_add_i32 s6, s22, s6
	s_ashr_i32 s6, s6, 7
	v_mul_f32_e32 v3, 0x4f7ffffe, v3
	v_cvt_u32_f32_e32 v3, v3
	s_abs_i32 s8, s6
	s_xor_b32 s7, s6, s24
	s_ashr_i32 s7, s7, 31
	v_readfirstlane_b32 s10, v3
	s_mul_i32 s9, s9, s10
	s_mul_hi_u32 s9, s10, s9
	s_add_i32 s10, s10, s9
	s_mul_hi_u32 s9, s8, s10
	s_mul_i32 s10, s9, s5
	s_sub_i32 s8, s8, s10
	s_add_i32 s10, s9, 1
	s_sub_i32 s11, s8, s5
	s_cmp_ge_u32 s8, s5
	s_cselect_b32 s9, s10, s9
	s_cselect_b32 s8, s11, s8
	s_add_i32 s10, s9, 1
	s_cmp_ge_u32 s8, s5
	s_cselect_b32 s5, s10, s9
	s_xor_b32 s5, s5, s7
	s_sub_i32 s52, s5, s7
	s_add_i32 s24, s24, -1
	s_mul_i32 s5, s52, s24
	s_add_i32 s4, s4, s27
	s_sub_i32 s53, s6, s5
	v_cmp_gt_i32_e64 s[4:5], s4, v2
	v_lshlrev_b32_e32 v2, 1, v0
	v_lshlrev_b32_e32 v3, 4, v0
	v_and_b32_e32 v1, 60, v1
	v_and_b32_e32 v2, 64, v2
	;; [unrolled: 1-line block ×3, first 2 shown]
	v_or3_b32 v77, v1, v2, v4
	v_and_b32_e32 v1, 1, v0
	v_lshrrev_b32_e32 v4, 2, v0
	s_abs_i32 s54, s33
	v_and_or_b32 v83, v4, 12, v1
	v_cvt_f32_u32_e32 v4, s54
	v_lshlrev_b32_e32 v2, 1, v1
	v_and_b32_e32 v36, 14, v0
	v_sub_u32_e32 v2, v0, v2
	v_bitop3_b32 v79, v0, 1, v0 bitop3:0xc
	v_bitop3_b32 v80, v0, 3, 1 bitop3:0x6c
	v_and_b32_e32 v44, 48, v3
	v_bfe_u32 v86, v0, 2, 4
	v_and_b32_e32 v1, 60, v0
	v_lshlrev_b32_e32 v3, 8, v0
	v_lshlrev_b32_e32 v0, 6, v0
	v_and_b32_e32 v3, 0x200, v3
	v_and_b32_e32 v0, 64, v0
	v_or3_b32 v87, v1, v3, v0
	v_rcp_iflag_f32_e32 v0, v4
	s_abs_i32 s56, s50
	v_cvt_f32_u32_e32 v1, s56
	v_mad_u64_u32 v[38:39], s[6:7], s21, v83, v[36:37]
	v_mul_f32_e32 v0, 0x4f7ffffe, v0
	v_cvt_u32_f32_e32 v0, v0
	v_rcp_iflag_f32_e32 v1, v1
	s_lshl_b32 s6, s21, 4
	v_add_u32_e32 v40, s6, v38
	v_readfirstlane_b32 s7, v0
	v_mul_f32_e32 v0, 0x4f7ffffe, v1
	v_cvt_u32_f32_e32 v0, v0
	v_add_u32_e32 v42, s6, v40
	s_sub_i32 s6, 0, s54
	s_mul_i32 s6, s6, s7
	s_mul_hi_u32 s6, s7, s6
	v_add_u32_e32 v2, 1, v2
	s_add_i32 s58, s7, s6
	s_sub_i32 s6, 0, s56
	v_readfirstlane_b32 s7, v0
	v_mbcnt_lo_u32_b32 v0, -1, 0
	v_and_b32_e32 v2, 63, v2
	s_mul_i32 s6, s6, s7
	v_mbcnt_hi_u32_b32 v0, -1, v0
	v_mul_lo_u32 v46, s23, v86
	s_mul_hi_u32 s6, s7, s6
	v_and_or_b32 v0, v0, 64, v2
	v_cndmask_b32_e64 v76, 0, 1, s[0:1]
	v_or_b32_e32 v78, 0x7800, v77
	s_ashr_i32 s29, s21, 31
	s_mov_b32 s28, s21
	v_or_b32_e32 v81, 16, v36
	v_or_b32_e32 v82, 32, v36
	v_ashrrev_i32_e32 v39, 31, v38
	v_or_b32_e32 v84, 16, v83
	v_ashrrev_i32_e32 v41, 31, v40
	;; [unrolled: 2-line block ×3, first 2 shown]
	v_ashrrev_i32_e32 v47, 31, v46
	v_mov_b32_e32 v45, 0
	v_or_b32_e32 v88, 0x7800, v87
	s_lshl_b32 s55, s23, 4
	v_mul_lo_u32 v89, s22, v86
	s_ashr_i32 s57, s33, 31
	s_ashr_i32 s59, s50, 31
	s_add_i32 s60, s7, s6
	s_movk_i32 s61, 0x1800
	s_mov_b32 s62, 0x55555556
	v_lshlrev_b32_e32 v90, 2, v0
	v_mov_b32_e32 v91, v50
	s_branch .LBB284_7
.LBB284_4:                              ;   in Loop: Header=BB284_7 Depth=1
	s_or_b64 exec, exec, s[10:11]
.LBB284_5:                              ;   in Loop: Header=BB284_7 Depth=1
	s_or_b64 exec, exec, s[8:9]
	v_subrev_u32_e32 v91, s66, v91
.LBB284_6:                              ;   in Loop: Header=BB284_7 Depth=1
	s_or_b64 exec, exec, s[6:7]
	s_add_i32 s51, s51, 1
	v_cmp_ge_i32_e32 vcc, s51, v37
	s_cbranch_vccnz .LBB284_58
.LBB284_7:                              ; =>This Loop Header: Depth=1
                                        ;     Child Loop BB284_13 Depth 2
                                        ;       Child Loop BB284_15 Depth 3
                                        ;       Child Loop BB284_18 Depth 3
	;; [unrolled: 1-line block ×6, first 2 shown]
                                        ;     Child Loop BB284_45 Depth 2
                                        ;       Child Loop BB284_47 Depth 3
                                        ;     Child Loop BB284_55 Depth 2
                                        ;       Child Loop BB284_57 Depth 3
	s_abs_i32 s7, s51
	s_mul_hi_u32 s8, s7, s58
	s_mul_i32 s9, s8, s54
	s_ashr_i32 s6, s51, 31
	s_sub_i32 s7, s7, s9
	s_xor_b32 s6, s6, s57
	s_add_i32 s9, s8, 1
	s_sub_i32 s10, s7, s54
	s_cmp_ge_u32 s7, s54
	s_cselect_b32 s8, s9, s8
	s_cselect_b32 s7, s10, s7
	s_add_i32 s9, s8, 1
	s_cmp_ge_u32 s7, s54
	s_cselect_b32 s7, s9, s8
	s_xor_b32 s7, s7, s6
	s_sub_i32 s6, s7, s6
	s_abs_i32 s8, s6
	s_mul_hi_u32 s9, s8, s60
	s_mul_i32 s7, s6, s33
	s_mul_i32 s10, s9, s56
	s_sub_i32 s63, s51, s7
	s_ashr_i32 s7, s6, 31
	s_sub_i32 s8, s8, s10
	s_xor_b32 s7, s7, s59
	s_add_i32 s10, s9, 1
	s_sub_i32 s11, s8, s56
	s_cmp_ge_u32 s8, s56
	s_cselect_b32 s9, s10, s9
	s_cselect_b32 s8, s11, s8
	s_add_i32 s10, s9, 1
	s_cmp_ge_u32 s8, s56
	s_cselect_b32 s8, s10, s9
	s_xor_b32 s8, s8, s7
	s_sub_i32 s7, s8, s7
	s_mul_i32 s8, s7, s52
	s_lshl_b32 s64, s8, 7
	s_mul_i32 s63, s63, 48
	s_cmp_eq_u32 s7, s24
	s_cselect_b32 s66, s53, s52
	s_sub_i32 s8, s63, s20
	s_add_i32 s8, s8, 48
	s_max_i32 s65, s8, 0
	s_and_saveexec_b64 s[8:9], s[2:3]
	s_xor_b64 s[30:31], exec, s[8:9]
	s_cbranch_execz .LBB284_51
; %bb.8:                                ;   in Loop: Header=BB284_7 Depth=1
	s_mul_i32 s7, s7, s50
	s_sub_i32 s6, s6, s7
	s_mul_i32 s6, s6, 48
	s_sub_i32 s18, s6, s21
	s_add_i32 s18, s18, 48
	s_max_i32 s7, s18, 0
	s_sub_i32 s34, s6, s7
	s_and_saveexec_b64 s[6:7], s[0:1]
	s_xor_b64 s[44:45], exec, s[6:7]
	s_cbranch_execz .LBB284_41
; %bb.9:                                ;   in Loop: Header=BB284_7 Depth=1
	s_and_saveexec_b64 s[46:47], s[4:5]
	s_cbranch_execz .LBB284_40
; %bb.10:                               ;   in Loop: Header=BB284_7 Depth=1
	s_waitcnt lgkmcnt(0)
	global_load_dword v92, v45, s[42:43]
	v_mov_b32_e32 v35, 0
	v_cmp_gt_i32_e32 vcc, s66, v91
	v_mov_b32_e32 v34, v35
	v_mov_b32_e32 v33, v35
	;; [unrolled: 1-line block ×35, first 2 shown]
	s_and_saveexec_b64 s[6:7], vcc
	s_cbranch_execz .LBB284_32
; %bb.11:                               ;   in Loop: Header=BB284_7 Depth=1
	v_mov_b32_e32 v4, 0
	s_mov_b64 s[8:9], 0
	v_mov_b32_e32 v5, v4
	v_mov_b32_e32 v6, v4
	;; [unrolled: 1-line block ×35, first 2 shown]
	s_branch .LBB284_13
.LBB284_12:                             ;   in Loop: Header=BB284_13 Depth=2
	s_or_b64 exec, exec, s[10:11]
	v_add_u32_e32 v70, 0x1000, v95
	ds_read2_b32 v[66:67], v70 offset1:32
	v_add_u32_e32 v95, 0x1400, v95
	v_add_u32_e32 v91, s27, v91
	s_waitcnt lgkmcnt(0)
	v_mfma_f32_16x16x32_fp8_fp8 v[24:27], v[48:49], v[66:67], v[24:27]
	ds_read2_b32 v[48:49], v70 offset0:128 offset1:160
	ds_read2_b32 v[70:71], v95 offset1:32
	v_mfma_f32_16x16x32_fp8_fp8 v[12:15], v[56:57], v[66:67], v[12:15]
	v_mfma_f32_16x16x32_fp8_fp8 v[4:7], v[72:73], v[66:67], v[4:7]
	s_waitcnt lgkmcnt(1)
	v_mfma_f32_16x16x32_fp8_fp8 v[24:27], v[50:51], v[48:49], v[24:27]
	v_add_u32_e32 v50, s27, v93
	v_cmp_lt_i32_e32 vcc, 4, v50
	v_mfma_f32_16x16x32_fp8_fp8 v[12:15], v[58:59], v[48:49], v[12:15]
	v_mfma_f32_16x16x32_fp8_fp8 v[4:7], v[74:75], v[48:49], v[4:7]
	v_add_u32_e32 v48, 2, v76
	v_cndmask_b32_e32 v76, v76, v48, vcc
	v_cmp_le_i32_e32 vcc, s66, v91
	s_waitcnt lgkmcnt(0)
	v_mfma_f32_16x16x32_fp8_fp8 v[24:27], v[52:53], v[70:71], v[24:27]
	ds_read2_b32 v[52:53], v95 offset0:128 offset1:160
	s_or_b64 s[8:9], vcc, s[8:9]
	;;#ASMSTART
	s_waitcnt lgkmcnt(0)
	;;#ASMEND
	v_mfma_f32_16x16x32_fp8_fp8 v[12:15], v[60:61], v[70:71], v[12:15]
	ds_write_b32 v94, v96 offset:61508
	v_mfma_f32_16x16x32_fp8_fp8 v[4:7], v[68:69], v[70:71], v[4:7]
	s_waitcnt lgkmcnt(1)
	v_mfma_f32_16x16x32_fp8_fp8 v[24:27], v[54:55], v[52:53], v[24:27]
	v_mfma_f32_16x16x32_fp8_fp8 v[12:15], v[62:63], v[52:53], v[12:15]
	;; [unrolled: 1-line block ×3, first 2 shown]
	s_andn2_b64 exec, exec, s[8:9]
	s_cbranch_execz .LBB284_31
.LBB284_13:                             ;   Parent Loop BB284_7 Depth=1
                                        ; =>  This Loop Header: Depth=2
                                        ;       Child Loop BB284_15 Depth 3
                                        ;       Child Loop BB284_18 Depth 3
	;; [unrolled: 1-line block ×6, first 2 shown]
	v_cmp_gt_i32_e32 vcc, 5, v50
	s_nop 1
	v_cndmask_b32_e64 v48, -5, 0, vcc
	v_add_u32_e32 v93, v48, v50
	v_mul_lo_u32 v94, v93, 12
	ds_read_b32 v48, v94 offset:61500
	s_waitcnt lgkmcnt(0)
	v_cmp_ne_u32_e32 vcc, v48, v76
	s_and_saveexec_b64 s[10:11], vcc
	s_cbranch_execz .LBB284_16
; %bb.14:                               ;   in Loop: Header=BB284_13 Depth=2
	s_mov_b64 s[12:13], 0
.LBB284_15:                             ;   Parent Loop BB284_7 Depth=1
                                        ;     Parent Loop BB284_13 Depth=2
                                        ; =>    This Inner Loop Header: Depth=3
	;;#ASMSTART
	s_sleep 0
	;;#ASMEND
	ds_read_b32 v48, v94 offset:61500
	s_waitcnt lgkmcnt(0)
	v_cmp_eq_u32_e32 vcc, v48, v76
	s_or_b64 s[12:13], vcc, s[12:13]
	s_andn2_b64 exec, exec, s[12:13]
	s_cbranch_execnz .LBB284_15
.LBB284_16:                             ;   in Loop: Header=BB284_13 Depth=2
	s_or_b64 exec, exec, s[10:11]
	v_mul_lo_u32 v48, v93, s61
	v_add_u32_e32 v95, v78, v48
	v_add_u32_e32 v49, 0x400, v95
	ds_read2_b32 v[68:69], v95 offset1:32
	ds_read2_b32 v[64:65], v95 offset0:128 offset1:160
	ds_read2_b32 v[70:71], v49 offset1:32
	ds_read2_b32 v[66:67], v49 offset0:128 offset1:160
	;;#ASMSTART
	s_waitcnt lgkmcnt(0)
	;;#ASMEND
	ds_read_b32 v49, v94 offset:61440
	v_add_u32_e32 v96, 1, v76
	ds_write_b32 v94, v96 offset:61500
	s_waitcnt lgkmcnt(1)
	v_cmp_ne_u32_e32 vcc, v49, v76
	s_and_saveexec_b64 s[10:11], vcc
	s_cbranch_execz .LBB284_19
; %bb.17:                               ;   in Loop: Header=BB284_13 Depth=2
	s_mov_b64 s[12:13], 0
.LBB284_18:                             ;   Parent Loop BB284_7 Depth=1
                                        ;     Parent Loop BB284_13 Depth=2
                                        ; =>    This Inner Loop Header: Depth=3
	;;#ASMSTART
	s_sleep 0
	;;#ASMEND
	ds_read_b32 v49, v94 offset:61440
	s_waitcnt lgkmcnt(0)
	v_cmp_eq_u32_e32 vcc, v49, v76
	s_or_b64 s[12:13], vcc, s[12:13]
	s_andn2_b64 exec, exec, s[12:13]
	s_cbranch_execnz .LBB284_18
.LBB284_19:                             ;   in Loop: Header=BB284_13 Depth=2
	s_or_b64 exec, exec, s[10:11]
	v_add_u32_e32 v97, v77, v48
	ds_read2_b32 v[48:49], v97 offset1:32
	ds_read2_b32 v[50:51], v97 offset0:128 offset1:160
	v_add_u32_e32 v54, 0x400, v97
	ds_read2_b32 v[52:53], v54 offset1:32
	ds_read2_b32 v[54:55], v54 offset0:128 offset1:160
	ds_read_b32 v56, v94 offset:61444
	ds_write_b32 v94, v96 offset:61440
	s_waitcnt lgkmcnt(5)
	v_mfma_f32_16x16x32_fp8_fp8 v[32:35], v[48:49], v[68:69], v[32:35]
	s_waitcnt lgkmcnt(1)
	v_cmp_ne_u32_e32 vcc, v56, v76
	v_mfma_f32_16x16x32_fp8_fp8 v[32:35], v[50:51], v[64:65], v[32:35]
	v_mfma_f32_16x16x32_fp8_fp8 v[32:35], v[52:53], v[70:71], v[32:35]
	;; [unrolled: 1-line block ×3, first 2 shown]
	s_and_saveexec_b64 s[10:11], vcc
	s_cbranch_execz .LBB284_22
; %bb.20:                               ;   in Loop: Header=BB284_13 Depth=2
	s_mov_b64 s[12:13], 0
.LBB284_21:                             ;   Parent Loop BB284_7 Depth=1
                                        ;     Parent Loop BB284_13 Depth=2
                                        ; =>    This Inner Loop Header: Depth=3
	;;#ASMSTART
	s_sleep 0
	;;#ASMEND
	ds_read_b32 v56, v94 offset:61444
	s_waitcnt lgkmcnt(0)
	v_cmp_eq_u32_e32 vcc, v56, v76
	s_or_b64 s[12:13], vcc, s[12:13]
	s_andn2_b64 exec, exec, s[12:13]
	s_cbranch_execnz .LBB284_21
.LBB284_22:                             ;   in Loop: Header=BB284_13 Depth=2
	s_or_b64 exec, exec, s[10:11]
	v_add_u32_e32 v58, 0x800, v97
	ds_read2_b32 v[56:57], v58 offset1:32
	ds_read2_b32 v[58:59], v58 offset0:128 offset1:160
	v_add_u32_e32 v62, 0xc00, v97
	ds_read2_b32 v[60:61], v62 offset1:32
	ds_read2_b32 v[62:63], v62 offset0:128 offset1:160
	ds_read_b32 v72, v94 offset:61448
	ds_write_b32 v94, v96 offset:61444
	s_waitcnt lgkmcnt(5)
	v_mfma_f32_16x16x32_fp8_fp8 v[20:23], v[56:57], v[68:69], v[20:23]
	s_waitcnt lgkmcnt(1)
	v_cmp_ne_u32_e32 vcc, v72, v76
	v_mfma_f32_16x16x32_fp8_fp8 v[20:23], v[58:59], v[64:65], v[20:23]
	v_mfma_f32_16x16x32_fp8_fp8 v[20:23], v[60:61], v[70:71], v[20:23]
	;; [unrolled: 1-line block ×3, first 2 shown]
	s_and_saveexec_b64 s[10:11], vcc
	s_cbranch_execz .LBB284_25
; %bb.23:                               ;   in Loop: Header=BB284_13 Depth=2
	s_mov_b64 s[12:13], 0
.LBB284_24:                             ;   Parent Loop BB284_7 Depth=1
                                        ;     Parent Loop BB284_13 Depth=2
                                        ; =>    This Inner Loop Header: Depth=3
	;;#ASMSTART
	s_sleep 0
	;;#ASMEND
	ds_read_b32 v72, v94 offset:61448
	s_waitcnt lgkmcnt(0)
	v_cmp_eq_u32_e32 vcc, v72, v76
	s_or_b64 s[12:13], vcc, s[12:13]
	s_andn2_b64 exec, exec, s[12:13]
	s_cbranch_execnz .LBB284_24
.LBB284_25:                             ;   in Loop: Header=BB284_13 Depth=2
	s_or_b64 exec, exec, s[10:11]
	v_add_u32_e32 v74, 0x1000, v97
	ds_read2_b32 v[72:73], v74 offset1:32
	ds_read2_b32 v[74:75], v74 offset0:128 offset1:160
	v_add_u32_e32 v97, 0x1400, v97
	s_waitcnt lgkmcnt(1)
	v_mfma_f32_16x16x32_fp8_fp8 v[8:11], v[72:73], v[68:69], v[8:11]
	ds_read2_b32 v[68:69], v97 offset1:32
	s_waitcnt lgkmcnt(1)
	v_mfma_f32_16x16x32_fp8_fp8 v[8:11], v[74:75], v[64:65], v[8:11]
	s_waitcnt lgkmcnt(0)
	v_mfma_f32_16x16x32_fp8_fp8 v[8:11], v[68:69], v[70:71], v[8:11]
	ds_read2_b32 v[64:65], v97 offset0:128 offset1:160
	ds_read_b32 v70, v94 offset:61504
	ds_write_b32 v94, v96 offset:61448
	s_waitcnt lgkmcnt(1)
	v_cmp_ne_u32_e32 vcc, v70, v76
	v_mfma_f32_16x16x32_fp8_fp8 v[8:11], v[64:65], v[66:67], v[8:11]
	s_and_saveexec_b64 s[10:11], vcc
	s_cbranch_execz .LBB284_28
; %bb.26:                               ;   in Loop: Header=BB284_13 Depth=2
	s_mov_b64 s[12:13], 0
.LBB284_27:                             ;   Parent Loop BB284_7 Depth=1
                                        ;     Parent Loop BB284_13 Depth=2
                                        ; =>    This Inner Loop Header: Depth=3
	;;#ASMSTART
	s_sleep 0
	;;#ASMEND
	ds_read_b32 v66, v94 offset:61504
	s_waitcnt lgkmcnt(0)
	v_cmp_eq_u32_e32 vcc, v66, v76
	s_or_b64 s[12:13], vcc, s[12:13]
	s_andn2_b64 exec, exec, s[12:13]
	s_cbranch_execnz .LBB284_27
.LBB284_28:                             ;   in Loop: Header=BB284_13 Depth=2
	s_or_b64 exec, exec, s[10:11]
	v_add_u32_e32 v70, 0x800, v95
	ds_read2_b32 v[66:67], v70 offset1:32
	ds_read2_b32 v[70:71], v70 offset0:128 offset1:160
	v_add_u32_e32 v97, 0xc00, v95
	ds_read2_b32 v[98:99], v97 offset1:32
	ds_read2_b32 v[100:101], v97 offset0:128 offset1:160
	s_waitcnt lgkmcnt(3)
	v_mfma_f32_16x16x32_fp8_fp8 v[28:31], v[48:49], v[66:67], v[28:31]
	;;#ASMSTART
	s_waitcnt lgkmcnt(0)
	;;#ASMEND
	ds_write_b32 v94, v96 offset:61504
	v_mfma_f32_16x16x32_fp8_fp8 v[16:19], v[56:57], v[66:67], v[16:19]
	v_mfma_f32_16x16x32_fp8_fp8 v[0:3], v[72:73], v[66:67], v[0:3]
	ds_read_b32 v66, v94 offset:61508
	s_waitcnt lgkmcnt(0)
	v_cmp_ne_u32_e32 vcc, v66, v76
	v_mfma_f32_16x16x32_fp8_fp8 v[28:31], v[50:51], v[70:71], v[28:31]
	v_mfma_f32_16x16x32_fp8_fp8 v[16:19], v[58:59], v[70:71], v[16:19]
	;; [unrolled: 1-line block ×9, first 2 shown]
	s_and_saveexec_b64 s[10:11], vcc
	s_cbranch_execz .LBB284_12
; %bb.29:                               ;   in Loop: Header=BB284_13 Depth=2
	s_mov_b64 s[12:13], 0
.LBB284_30:                             ;   Parent Loop BB284_7 Depth=1
                                        ;     Parent Loop BB284_13 Depth=2
                                        ; =>    This Inner Loop Header: Depth=3
	;;#ASMSTART
	s_sleep 0
	;;#ASMEND
	ds_read_b32 v66, v94 offset:61508
	s_waitcnt lgkmcnt(0)
	v_cmp_eq_u32_e32 vcc, v66, v76
	s_or_b64 s[12:13], vcc, s[12:13]
	s_andn2_b64 exec, exec, s[12:13]
	s_cbranch_execnz .LBB284_30
	s_branch .LBB284_12
.LBB284_31:                             ;   in Loop: Header=BB284_7 Depth=1
	s_or_b64 exec, exec, s[8:9]
.LBB284_32:                             ;   in Loop: Header=BB284_7 Depth=1
	s_or_b64 exec, exec, s[6:7]
	v_cmp_le_i32_e32 vcc, s18, v36
	v_cmp_eq_u32_e64 s[6:7], 2, v79
	v_cmp_eq_u32_e64 s[8:9], 3, v79
	s_waitcnt vmcnt(0)
	v_cndmask_b32_e32 v48, 0, v92, vcc
	v_pk_mul_f32 v[32:33], v[48:49], v[32:33] op_sel_hi:[0,1]
	v_cmp_eq_u32_e32 vcc, 1, v79
	v_pk_mul_f32 v[52:53], v[48:49], v[34:35] op_sel_hi:[0,1]
	v_cmp_eq_u32_e64 s[10:11], 0, v79
	v_cndmask_b32_e32 v34, v32, v33, vcc
	v_cndmask_b32_e64 v34, v34, v52, s[6:7]
	v_cndmask_b32_e64 v34, v34, v53, s[8:9]
	ds_bpermute_b32 v49, v90, v34
	v_cmp_le_i32_e64 s[14:15], s18, v81
	v_cmp_eq_u32_e64 s[12:13], 1, v80
	v_cmp_le_i32_e64 s[18:19], s18, v82
	v_cmp_eq_u32_e64 s[16:17], 3, v80
	s_waitcnt lgkmcnt(0)
	v_cndmask_b32_e64 v34, v53, v49, s[8:9]
	v_cndmask_b32_e64 v35, v52, v49, s[6:7]
	v_cndmask_b32_e32 v33, v33, v49, vcc
	v_cndmask_b32_e64 v49, v32, v49, s[10:11]
	v_cndmask_b32_e64 v32, 0, v92, s[14:15]
	v_pk_mul_f32 v[28:29], v[32:33], v[28:29] op_sel_hi:[0,1]
	v_pk_mul_f32 v[52:53], v[32:33], v[30:31] op_sel_hi:[0,1]
	v_cndmask_b32_e32 v30, v28, v29, vcc
	v_cndmask_b32_e64 v30, v30, v52, s[6:7]
	v_cndmask_b32_e64 v30, v30, v53, s[8:9]
	ds_bpermute_b32 v55, v90, v30
	v_cndmask_b32_e64 v51, v49, v33, s[12:13]
	v_cmp_eq_u32_e64 s[14:15], 2, v80
	s_waitcnt lgkmcnt(0)
	v_cndmask_b32_e64 v31, v53, v55, s[8:9]
	v_cndmask_b32_e64 v30, v51, v35, s[14:15]
	;; [unrolled: 1-line block ×3, first 2 shown]
	v_cndmask_b32_e32 v54, v29, v55, vcc
	v_cndmask_b32_e64 v55, v28, v55, s[10:11]
	v_cndmask_b32_e64 v28, 0, v92, s[18:19]
	v_pk_mul_f32 v[56:57], v[28:29], v[24:25] op_sel_hi:[0,1]
	v_pk_mul_f32 v[52:53], v[28:29], v[26:27] op_sel_hi:[0,1]
	v_cndmask_b32_e32 v24, v56, v57, vcc
	v_cndmask_b32_e64 v24, v24, v52, s[6:7]
	v_cndmask_b32_e64 v24, v24, v53, s[8:9]
	ds_bpermute_b32 v25, v90, v24
	v_cndmask_b32_e64 v24, v55, v54, s[12:13]
	v_cndmask_b32_e64 v24, v24, v51, s[14:15]
	;; [unrolled: 1-line block ×3, first 2 shown]
	v_cmp_ne_u32_e32 vcc, 0, v79
	ds_bpermute_b32 v26, v90, v24
	s_waitcnt lgkmcnt(1)
	v_cndmask_b32_e64 v27, v53, v25, s[8:9]
	v_cndmask_b32_e64 v52, v52, v25, s[6:7]
	v_cndmask_b32_e32 v24, v57, v25, vcc
	v_cndmask_b32_e64 v25, v56, v25, s[10:11]
	v_cndmask_b32_e64 v29, v25, v24, s[12:13]
	;; [unrolled: 1-line block ×5, first 2 shown]
	ds_bpermute_b32 v30, v90, v30
	ds_bpermute_b32 v53, v90, v29
	v_add_u32_e32 v29, s65, v83
	v_cmp_gt_u32_e32 vcc, 48, v29
	s_and_saveexec_b64 s[18:19], vcc
	s_cbranch_execz .LBB284_39
; %bb.33:                               ;   in Loop: Header=BB284_7 Depth=1
	v_cmp_eq_u32_e64 s[8:9], 1, v80
	v_cmp_eq_u32_e64 s[10:11], 0, v80
	v_cmp_eq_u32_e32 vcc, 3, v80
	s_waitcnt lgkmcnt(1)
	v_cndmask_b32_e64 v33, v33, v30, s[8:9]
	v_cndmask_b32_e64 v54, v54, v26, s[8:9]
	s_waitcnt lgkmcnt(0)
	v_cndmask_b32_e64 v56, v24, v53, s[8:9]
	s_mul_i32 s8, s63, s21
	s_ashr_i32 s9, s8, 31
	v_cndmask_b32_e64 v49, v49, v30, s[10:11]
	s_lshl_b64 s[8:9], s[8:9], 1
	v_cndmask_b32_e64 v55, v55, v26, s[10:11]
	v_cndmask_b32_e64 v57, v25, v53, s[10:11]
	s_add_u32 s10, s40, s8
	v_cvt_f16_f32_e32 v49, v49
	v_cvt_f16_f32_sdwa v33, v33 dst_sel:WORD_1 dst_unused:UNUSED_PAD src0_sel:DWORD
	s_addc_u32 s11, s41, s9
	s_ashr_i32 s35, s34, 31
	s_lshl_b64 s[8:9], s[34:35], 1
	s_add_u32 s48, s10, s8
	s_addc_u32 s49, s11, s9
	v_or_b32_e32 v33, v33, v49
	v_lshl_add_u64 v[24:25], v[38:39], 1, s[48:49]
	;;#ASMSTART
	global_atomic_pk_add_f16 v[24:25], v33, off
	
	;;#ASMEND
	v_cvt_f16_f32_e32 v33, v55
	v_cvt_f16_f32_sdwa v49, v54 dst_sel:WORD_1 dst_unused:UNUSED_PAD src0_sel:DWORD
	v_cvt_f16_f32_e32 v57, v57
	v_cvt_f16_f32_sdwa v56, v56 dst_sel:WORD_1 dst_unused:UNUSED_PAD src0_sel:DWORD
	v_cmp_eq_u32_e64 s[6:7], 2, v80
	v_lshl_add_u64 v[54:55], v[24:25], 0, 32
	v_or_b32_e32 v33, v49, v33
	v_cmp_gt_u32_e64 s[8:9], 46, v29
	;;#ASMSTART
	global_atomic_pk_add_f16 v[54:55], v33, off
	
	;;#ASMEND
	v_lshl_add_u64 v[54:55], v[24:25], 0, 64
	v_or_b32_e32 v33, v56, v57
	;;#ASMSTART
	global_atomic_pk_add_f16 v[54:55], v33, off
	
	;;#ASMEND
	s_and_b64 exec, exec, s[8:9]
	s_cbranch_execz .LBB284_39
; %bb.34:                               ;   in Loop: Header=BB284_7 Depth=1
	v_cndmask_b32_e32 v34, v34, v30, vcc
	v_cndmask_b32_e64 v30, v35, v30, s[6:7]
	v_cndmask_b32_e32 v31, v31, v26, vcc
	v_cndmask_b32_e64 v26, v51, v26, s[6:7]
	v_cndmask_b32_e32 v35, v27, v53, vcc
	v_cvt_f16_f32_e32 v27, v30
	v_cvt_f16_f32_sdwa v30, v34 dst_sel:WORD_1 dst_unused:UNUSED_PAD src0_sel:DWORD
	v_cvt_f16_f32_e32 v34, v26
	v_cvt_f16_f32_sdwa v31, v31 dst_sel:WORD_1 dst_unused:UNUSED_PAD src0_sel:DWORD
	v_mov_b32_e32 v49, v48
	v_or_b32_e32 v26, v30, v27
	v_mov_b32_e32 v30, v48
	v_or_b32_e32 v34, v31, v34
	v_mov_b32_e32 v31, v48
	v_pk_mul_f32 v[22:23], v[30:31], v[22:23]
	v_pk_mul_f32 v[30:31], v[48:49], v[20:21]
	v_cmp_eq_u32_e32 vcc, 1, v79
	v_cndmask_b32_e64 v51, v52, v53, s[6:7]
	v_cmp_eq_u32_e64 s[6:7], 2, v79
	v_cndmask_b32_e32 v20, v30, v31, vcc
	v_lshl_add_u64 v[24:25], s[28:29], 2, v[24:25]
	v_cndmask_b32_e64 v20, v20, v22, s[6:7]
	v_cmp_eq_u32_e64 s[8:9], 3, v79
	;;#ASMSTART
	global_atomic_pk_add_f16 v[24:25], v26, off
	
	;;#ASMEND
	v_lshl_add_u64 v[26:27], v[24:25], 0, 32
	v_mov_b32_e32 v33, v32
	v_cndmask_b32_e64 v20, v20, v23, s[8:9]
	ds_bpermute_b32 v52, v90, v20
	;;#ASMSTART
	global_atomic_pk_add_f16 v[26:27], v34, off
	
	;;#ASMEND
	v_cvt_f16_f32_e32 v27, v51
	v_cvt_f16_f32_sdwa v51, v35 dst_sel:WORD_1 dst_unused:UNUSED_PAD src0_sel:DWORD
	v_lshl_add_u64 v[34:35], v[24:25], 0, 64
	v_mov_b32_e32 v24, v32
	v_mov_b32_e32 v25, v32
	v_pk_mul_f32 v[18:19], v[24:25], v[18:19]
	v_pk_mul_f32 v[24:25], v[32:33], v[16:17]
	v_cmp_eq_u32_e64 s[10:11], 0, v79
	v_cndmask_b32_e32 v16, v24, v25, vcc
	v_cndmask_b32_e64 v16, v16, v18, s[6:7]
	v_cndmask_b32_e64 v16, v16, v19, s[8:9]
	s_waitcnt lgkmcnt(0)
	v_cndmask_b32_e64 v20, v23, v52, s[8:9]
	v_cndmask_b32_e64 v23, v30, v52, s[10:11]
	ds_bpermute_b32 v30, v90, v16
	v_cndmask_b32_e64 v21, v22, v52, s[6:7]
	v_cndmask_b32_e32 v22, v31, v52, vcc
	v_cmp_eq_u32_e64 s[12:13], 1, v80
	v_mov_b32_e32 v29, v28
	v_cmp_eq_u32_e64 s[14:15], 2, v80
	v_cndmask_b32_e64 v26, v23, v22, s[12:13]
	s_waitcnt lgkmcnt(0)
	v_cndmask_b32_e64 v17, v19, v30, s[8:9]
	v_cndmask_b32_e64 v16, v26, v21, s[14:15]
	;; [unrolled: 1-line block ×3, first 2 shown]
	v_cndmask_b32_e32 v25, v25, v30, vcc
	v_cndmask_b32_e64 v26, v24, v30, s[10:11]
	v_mov_b32_e32 v30, v28
	v_mov_b32_e32 v31, v28
	v_pk_mul_f32 v[52:53], v[28:29], v[12:13]
	v_pk_mul_f32 v[30:31], v[30:31], v[14:15]
	v_cndmask_b32_e32 v12, v52, v53, vcc
	v_cndmask_b32_e64 v12, v12, v30, s[6:7]
	v_cndmask_b32_e64 v12, v12, v31, s[8:9]
	ds_bpermute_b32 v13, v90, v12
	v_cndmask_b32_e64 v12, v26, v25, s[12:13]
	v_cmp_eq_u32_e64 s[16:17], 3, v80
	v_cndmask_b32_e64 v12, v12, v18, s[14:15]
	v_cmp_ne_u32_e32 vcc, 0, v79
	v_cndmask_b32_e64 v12, v12, v17, s[16:17]
	ds_bpermute_b32 v14, v90, v12
	s_waitcnt lgkmcnt(1)
	v_cndmask_b32_e64 v15, v31, v13, s[8:9]
	v_cndmask_b32_e64 v19, v30, v13, s[6:7]
	v_cndmask_b32_e32 v12, v53, v13, vcc
	v_cndmask_b32_e64 v13, v52, v13, s[10:11]
	v_cndmask_b32_e64 v24, v13, v12, s[12:13]
	;; [unrolled: 1-line block ×5, first 2 shown]
	ds_bpermute_b32 v16, v90, v16
	ds_bpermute_b32 v24, v90, v24
	v_or_b32_e32 v27, v51, v27
	;;#ASMSTART
	global_atomic_pk_add_f16 v[34:35], v27, off
	
	;;#ASMEND
	v_add_u32_e32 v27, s65, v84
	v_cmp_gt_u32_e32 vcc, 48, v27
	s_and_b64 exec, exec, vcc
	s_cbranch_execz .LBB284_39
; %bb.35:                               ;   in Loop: Header=BB284_7 Depth=1
	v_cmp_eq_u32_e64 s[8:9], 1, v80
	v_cmp_eq_u32_e64 s[10:11], 0, v80
	v_cmp_eq_u32_e32 vcc, 3, v80
	s_waitcnt lgkmcnt(1)
	v_cndmask_b32_e64 v22, v22, v16, s[8:9]
	v_cndmask_b32_e64 v23, v23, v16, s[10:11]
	;; [unrolled: 1-line block ×4, first 2 shown]
	v_cvt_f16_f32_e32 v23, v23
	v_cvt_f16_f32_sdwa v22, v22 dst_sel:WORD_1 dst_unused:UNUSED_PAD src0_sel:DWORD
	s_waitcnt lgkmcnt(0)
	v_cndmask_b32_e64 v30, v12, v24, s[8:9]
	v_cndmask_b32_e64 v31, v13, v24, s[10:11]
	v_cvt_f16_f32_e32 v26, v26
	v_cvt_f16_f32_sdwa v25, v25 dst_sel:WORD_1 dst_unused:UNUSED_PAD src0_sel:DWORD
	v_cvt_f16_f32_e32 v31, v31
	v_cvt_f16_f32_sdwa v30, v30 dst_sel:WORD_1 dst_unused:UNUSED_PAD src0_sel:DWORD
	v_lshl_add_u64 v[12:13], v[40:41], 1, s[48:49]
	v_or_b32_e32 v22, v22, v23
	v_cmp_eq_u32_e64 s[6:7], 2, v80
	;;#ASMSTART
	global_atomic_pk_add_f16 v[12:13], v22, off
	
	;;#ASMEND
	v_lshl_add_u64 v[22:23], v[12:13], 0, 32
	v_or_b32_e32 v25, v25, v26
	v_cmp_gt_u32_e64 s[8:9], 46, v27
	;;#ASMSTART
	global_atomic_pk_add_f16 v[22:23], v25, off
	
	;;#ASMEND
	v_lshl_add_u64 v[22:23], v[12:13], 0, 64
	v_or_b32_e32 v25, v30, v31
	;;#ASMSTART
	global_atomic_pk_add_f16 v[22:23], v25, off
	
	;;#ASMEND
	s_and_b64 exec, exec, s[8:9]
	s_cbranch_execz .LBB284_39
; %bb.36:                               ;   in Loop: Header=BB284_7 Depth=1
	v_cndmask_b32_e32 v20, v20, v16, vcc
	v_cndmask_b32_e64 v16, v21, v16, s[6:7]
	v_cndmask_b32_e32 v17, v17, v14, vcc
	v_cndmask_b32_e64 v14, v18, v14, s[6:7]
	v_cndmask_b32_e32 v18, v15, v24, vcc
	v_cvt_f16_f32_e32 v15, v16
	v_cvt_f16_f32_sdwa v16, v20 dst_sel:WORD_1 dst_unused:UNUSED_PAD src0_sel:DWORD
	v_cvt_f16_f32_e32 v20, v14
	v_cvt_f16_f32_sdwa v17, v17 dst_sel:WORD_1 dst_unused:UNUSED_PAD src0_sel:DWORD
	v_cmp_eq_u32_e32 vcc, 1, v79
	v_or_b32_e32 v14, v16, v15
	v_mov_b32_e32 v16, v48
	v_or_b32_e32 v20, v17, v20
	v_mov_b32_e32 v17, v48
	v_pk_mul_f32 v[10:11], v[16:17], v[10:11]
	v_pk_mul_f32 v[16:17], v[48:49], v[8:9]
	v_cndmask_b32_e64 v19, v19, v24, s[6:7]
	v_cndmask_b32_e32 v8, v16, v17, vcc
	v_cmp_eq_u32_e64 s[6:7], 2, v79
	v_cmp_eq_u32_e64 s[8:9], 3, v79
	v_lshl_add_u64 v[12:13], s[28:29], 2, v[12:13]
	v_cndmask_b32_e64 v8, v8, v10, s[6:7]
	v_cndmask_b32_e64 v8, v8, v11, s[8:9]
	ds_bpermute_b32 v21, v90, v8
	;;#ASMSTART
	global_atomic_pk_add_f16 v[12:13], v14, off
	
	;;#ASMEND
	v_lshl_add_u64 v[14:15], v[12:13], 0, 32
	v_cmp_eq_u32_e64 s[10:11], 0, v79
	;;#ASMSTART
	global_atomic_pk_add_f16 v[14:15], v20, off
	
	;;#ASMEND
	v_cvt_f16_f32_e32 v20, v19
	v_cvt_f16_f32_sdwa v22, v18 dst_sel:WORD_1 dst_unused:UNUSED_PAD src0_sel:DWORD
	v_lshl_add_u64 v[18:19], v[12:13], 0, 64
	s_waitcnt lgkmcnt(0)
	v_cndmask_b32_e64 v8, v11, v21, s[8:9]
	v_cndmask_b32_e32 v11, v17, v21, vcc
	v_cndmask_b32_e64 v12, v16, v21, s[10:11]
	v_mov_b32_e32 v14, v32
	v_mov_b32_e32 v15, v32
	v_pk_mul_f32 v[16:17], v[32:33], v[0:1]
	v_pk_mul_f32 v[14:15], v[14:15], v[2:3]
	v_cndmask_b32_e32 v0, v16, v17, vcc
	v_cndmask_b32_e64 v0, v0, v14, s[6:7]
	v_cndmask_b32_e64 v0, v0, v15, s[8:9]
	ds_bpermute_b32 v1, v90, v0
	v_cmp_eq_u32_e64 s[12:13], 1, v80
	v_cndmask_b32_e64 v9, v10, v21, s[6:7]
	v_cmp_eq_u32_e64 s[14:15], 2, v80
	v_cndmask_b32_e64 v10, v12, v11, s[12:13]
	;; [unrolled: 2-line block ×3, first 2 shown]
	s_waitcnt lgkmcnt(0)
	v_cndmask_b32_e64 v3, v15, v1, s[8:9]
	v_cndmask_b32_e64 v0, v0, v8, s[16:17]
	ds_bpermute_b32 v2, v90, v0
	v_cndmask_b32_e64 v10, v14, v1, s[6:7]
	v_cndmask_b32_e32 v0, v17, v1, vcc
	v_cndmask_b32_e64 v1, v16, v1, s[10:11]
	v_mov_b32_e32 v14, v28
	v_mov_b32_e32 v15, v28
	v_pk_mul_f32 v[16:17], v[28:29], v[4:5]
	v_pk_mul_f32 v[14:15], v[14:15], v[6:7]
	v_cndmask_b32_e32 v4, v16, v17, vcc
	v_cndmask_b32_e64 v4, v4, v14, s[6:7]
	v_cndmask_b32_e64 v4, v4, v15, s[8:9]
	ds_bpermute_b32 v7, v90, v4
	v_cndmask_b32_e64 v4, v1, v0, s[12:13]
	v_cndmask_b32_e64 v4, v4, v10, s[14:15]
	;; [unrolled: 1-line block ×3, first 2 shown]
	v_cmp_ne_u32_e32 vcc, 0, v79
	ds_bpermute_b32 v6, v90, v4
	s_waitcnt lgkmcnt(1)
	v_cndmask_b32_e64 v4, v15, v7, s[8:9]
	v_cndmask_b32_e64 v5, v14, v7, s[6:7]
	v_cndmask_b32_e32 v14, v17, v7, vcc
	v_cndmask_b32_e64 v15, v16, v7, s[10:11]
	v_cndmask_b32_e64 v7, v15, v14, s[12:13]
	;; [unrolled: 1-line block ×4, first 2 shown]
	ds_bpermute_b32 v7, v90, v7
	v_or_b32_e32 v13, v22, v20
	;;#ASMSTART
	global_atomic_pk_add_f16 v[18:19], v13, off
	
	;;#ASMEND
	v_add_u32_e32 v13, s65, v85
	v_cmp_gt_u32_e32 vcc, 48, v13
	s_and_b64 exec, exec, vcc
	s_cbranch_execz .LBB284_39
; %bb.37:                               ;   in Loop: Header=BB284_7 Depth=1
	v_cmp_eq_u32_e64 s[8:9], 1, v80
	v_cmp_eq_u32_e64 s[10:11], 0, v80
	v_cmp_eq_u32_e32 vcc, 3, v80
	v_cndmask_b32_e64 v11, v11, v2, s[8:9]
	v_cndmask_b32_e64 v12, v12, v2, s[10:11]
	v_cvt_f16_f32_e32 v12, v12
	v_cvt_f16_f32_sdwa v11, v11 dst_sel:WORD_1 dst_unused:UNUSED_PAD src0_sel:DWORD
	s_waitcnt lgkmcnt(1)
	v_cndmask_b32_e64 v16, v0, v6, s[8:9]
	v_cndmask_b32_e64 v17, v1, v6, s[10:11]
	s_waitcnt lgkmcnt(0)
	v_cndmask_b32_e64 v18, v14, v7, s[8:9]
	v_or_b32_e32 v11, v11, v12
	v_cndmask_b32_e64 v19, v15, v7, s[10:11]
	v_lshl_add_u64 v[0:1], v[42:43], 1, s[48:49]
	;;#ASMSTART
	global_atomic_pk_add_f16 v[0:1], v11, off
	
	;;#ASMEND
	v_cvt_f16_f32_e32 v11, v17
	v_cvt_f16_f32_sdwa v12, v16 dst_sel:WORD_1 dst_unused:UNUSED_PAD src0_sel:DWORD
	v_cvt_f16_f32_e32 v16, v19
	v_cvt_f16_f32_sdwa v17, v18 dst_sel:WORD_1 dst_unused:UNUSED_PAD src0_sel:DWORD
	v_cmp_eq_u32_e64 s[6:7], 2, v80
	v_lshl_add_u64 v[14:15], v[0:1], 0, 32
	v_or_b32_e32 v11, v12, v11
	v_cmp_gt_u32_e64 s[8:9], 46, v13
	;;#ASMSTART
	global_atomic_pk_add_f16 v[14:15], v11, off
	
	;;#ASMEND
	v_lshl_add_u64 v[14:15], v[0:1], 0, 64
	v_or_b32_e32 v11, v17, v16
	;;#ASMSTART
	global_atomic_pk_add_f16 v[14:15], v11, off
	
	;;#ASMEND
	s_and_b64 exec, exec, s[8:9]
	s_cbranch_execz .LBB284_39
; %bb.38:                               ;   in Loop: Header=BB284_7 Depth=1
	v_cndmask_b32_e32 v8, v8, v2, vcc
	v_cndmask_b32_e64 v2, v9, v2, s[6:7]
	v_cvt_f16_f32_e32 v2, v2
	v_cvt_f16_f32_sdwa v8, v8 dst_sel:WORD_1 dst_unused:UNUSED_PAD src0_sel:DWORD
	v_cndmask_b32_e32 v3, v3, v6, vcc
	v_cndmask_b32_e64 v6, v10, v6, s[6:7]
	v_cndmask_b32_e32 v4, v4, v7, vcc
	v_cndmask_b32_e64 v5, v5, v7, s[6:7]
	v_cvt_f16_f32_e32 v6, v6
	v_cvt_f16_f32_sdwa v7, v3 dst_sel:WORD_1 dst_unused:UNUSED_PAD src0_sel:DWORD
	v_cvt_f16_f32_e32 v5, v5
	v_cvt_f16_f32_sdwa v4, v4 dst_sel:WORD_1 dst_unused:UNUSED_PAD src0_sel:DWORD
	v_lshl_add_u64 v[0:1], s[28:29], 2, v[0:1]
	v_or_b32_e32 v2, v8, v2
	;;#ASMSTART
	global_atomic_pk_add_f16 v[0:1], v2, off
	
	;;#ASMEND
	v_lshl_add_u64 v[2:3], v[0:1], 0, 32
	v_or_b32_e32 v6, v7, v6
	;;#ASMSTART
	global_atomic_pk_add_f16 v[2:3], v6, off
	
	;;#ASMEND
	;; [unrolled: 6-line block ×3, first 2 shown]
.LBB284_39:                             ;   in Loop: Header=BB284_7 Depth=1
	s_or_b64 exec, exec, s[18:19]
	v_subrev_u32_e32 v91, s66, v91
.LBB284_40:                             ;   in Loop: Header=BB284_7 Depth=1
	s_or_b64 exec, exec, s[46:47]
.LBB284_41:                             ;   in Loop: Header=BB284_7 Depth=1
	s_andn2_saveexec_b64 s[6:7], s[44:45]
	s_cbranch_execz .LBB284_50
; %bb.42:                               ;   in Loop: Header=BB284_7 Depth=1
	s_mul_i32 s16, s66, 3
	v_cmp_gt_i32_e32 vcc, s16, v91
	s_and_saveexec_b64 s[8:9], vcc
	s_cbranch_execz .LBB284_49
; %bb.43:                               ;   in Loop: Header=BB284_7 Depth=1
	s_mul_i32 s10, s34, s23
	s_ashr_i32 s11, s10, 31
	s_waitcnt lgkmcnt(0)
	s_add_u32 s10, s38, s10
	s_addc_u32 s11, s39, s11
	s_ashr_i32 s12, s64, 31
	s_add_u32 s10, s10, s64
	s_addc_u32 s11, s11, s12
	v_lshl_add_u64 v[0:1], s[10:11], 0, v[46:47]
	v_lshl_add_u64 v[8:9], v[0:1], 0, v[44:45]
	s_mov_b64 s[10:11], 0
	s_branch .LBB284_45
.LBB284_44:                             ;   in Loop: Header=BB284_45 Depth=2
	s_or_b64 exec, exec, s[12:13]
	v_lshl_add_u32 v12, v10, 11, v88
	;;#ASMSTART
	s_waitcnt vmcnt(1)
	;;#ASMEND
	ds_write2_b32 v12, v4, v5 offset1:32
	ds_write2_b32 v12, v6, v7 offset0:64 offset1:96
	v_add_u32_e32 v4, 0x400, v12
	v_add_u32_e32 v91, s26, v91
	;;#ASMSTART
	s_waitcnt vmcnt(0)
	;;#ASMEND
	ds_write2_b32 v4, v0, v1 offset1:32
	ds_write2_b32 v4, v2, v3 offset0:64 offset1:96
	v_add_u32_e32 v0, 1, v76
	v_add_u32_e32 v50, s26, v10
	v_cmp_le_i32_e32 vcc, s16, v91
	ds_write_b32 v11, v0 offset:60
	v_add_u32_e32 v0, 2, v76
	s_or_b64 s[10:11], vcc, s[10:11]
	v_cmp_lt_i32_e32 vcc, 14, v50
	s_nop 1
	v_cndmask_b32_e32 v76, v76, v0, vcc
	s_andn2_b64 exec, exec, s[10:11]
	s_cbranch_execz .LBB284_48
.LBB284_45:                             ;   Parent Loop BB284_7 Depth=1
                                        ; =>  This Loop Header: Depth=2
                                        ;       Child Loop BB284_47 Depth 3
	v_cmp_gt_i32_e32 vcc, 15, v50
	s_nop 1
	v_cndmask_b32_e64 v0, -15, 0, vcc
	v_add_u32_e32 v10, v0, v50
	v_mul_hi_i32 v0, v91, s62
	v_lshrrev_b32_e32 v1, 31, v0
	v_add_u32_e32 v0, v0, v1
	v_lshl_add_u32 v1, v0, 1, v0
	v_sub_u32_e32 v2, v91, v1
	v_lshlrev_b32_e32 v0, 7, v0
	v_ashrrev_i32_e32 v1, 31, v0
	v_mul_lo_u32 v2, s55, v2
	v_lshl_add_u64 v[0:1], v[8:9], 0, v[0:1]
	v_ashrrev_i32_e32 v3, 31, v2
	v_lshl_add_u64 v[0:1], v[0:1], 0, v[2:3]
	v_lshlrev_b32_e32 v11, 2, v10
	;;#ASMSTART
	global_load_dwordx4 v[4:7], v[0:1], off offset:0   sc0 sc1 nt  
	global_load_dwordx4 v[0:3], v[0:1], off offset:64  sc0 sc1 nt  
	
	;;#ASMEND
	ds_read_b32 v12, v11 offset:61500
	v_add_u32_e32 v11, 0xf000, v11
	s_waitcnt lgkmcnt(0)
	v_cmp_ne_u32_e32 vcc, v12, v76
	s_and_saveexec_b64 s[12:13], vcc
	s_cbranch_execz .LBB284_44
; %bb.46:                               ;   in Loop: Header=BB284_45 Depth=2
	s_mov_b64 s[14:15], 0
.LBB284_47:                             ;   Parent Loop BB284_7 Depth=1
                                        ;     Parent Loop BB284_45 Depth=2
                                        ; =>    This Inner Loop Header: Depth=3
	;;#ASMSTART
	s_sleep 0
	;;#ASMEND
	ds_read_b32 v12, v11 offset:60
	s_waitcnt lgkmcnt(0)
	v_cmp_eq_u32_e32 vcc, v12, v76
	s_or_b64 s[14:15], vcc, s[14:15]
	s_andn2_b64 exec, exec, s[14:15]
	s_cbranch_execnz .LBB284_47
	s_branch .LBB284_44
.LBB284_48:                             ;   in Loop: Header=BB284_7 Depth=1
	s_or_b64 exec, exec, s[10:11]
.LBB284_49:                             ;   in Loop: Header=BB284_7 Depth=1
	s_or_b64 exec, exec, s[8:9]
	v_subrev_u32_e32 v91, s16, v91
.LBB284_50:                             ;   in Loop: Header=BB284_7 Depth=1
	s_or_b64 exec, exec, s[6:7]
.LBB284_51:                             ;   in Loop: Header=BB284_7 Depth=1
	s_andn2_saveexec_b64 s[6:7], s[30:31]
	s_cbranch_execz .LBB284_6
; %bb.52:                               ;   in Loop: Header=BB284_7 Depth=1
	s_mul_i32 s66, s66, 3
	v_cmp_gt_i32_e32 vcc, s66, v91
	s_and_saveexec_b64 s[8:9], vcc
	s_cbranch_execz .LBB284_5
; %bb.53:                               ;   in Loop: Header=BB284_7 Depth=1
	s_mul_i32 s63, s63, s22
	s_ashr_i32 s10, s63, 31
	s_waitcnt lgkmcnt(0)
	s_add_u32 s11, s36, s63
	v_add_u32_e32 v2, s65, v86
	s_addc_u32 s12, s37, s10
	s_ashr_i32 s13, s64, 31
	v_cmp_gt_u32_e32 vcc, 48, v2
	s_add_u32 s10, s11, s64
	s_addc_u32 s11, s12, s13
	v_cndmask_b32_e32 v0, 0, v89, vcc
	v_ashrrev_i32_e32 v1, 31, v0
	v_lshl_add_u64 v[0:1], s[10:11], 0, v[0:1]
	v_lshl_add_u64 v[8:9], v[0:1], 0, v[44:45]
	v_sub_u32_e32 v10, 47, v2
	s_mov_b64 s[10:11], 0
	s_branch .LBB284_55
.LBB284_54:                             ;   in Loop: Header=BB284_55 Depth=2
	s_or_b64 exec, exec, s[12:13]
	v_lshl_or_b32 v13, v11, 11, v87
	;;#ASMSTART
	s_waitcnt vmcnt(1)
	;;#ASMEND
	ds_write2_b32 v13, v4, v5 offset1:32
	ds_write2_b32 v13, v6, v7 offset0:64 offset1:96
	v_add_u32_e32 v4, 0x400, v13
	v_add_u32_e32 v91, s25, v91
	;;#ASMSTART
	s_waitcnt vmcnt(0)
	;;#ASMEND
	ds_write2_b32 v4, v0, v1 offset1:32
	ds_write2_b32 v4, v2, v3 offset0:64 offset1:96
	v_add_u32_e32 v0, 1, v76
	v_add_u32_e32 v50, s25, v11
	v_cmp_le_i32_e32 vcc, s66, v91
	ds_write_b32 v12, v0
	v_add_u32_e32 v0, 2, v76
	s_or_b64 s[10:11], vcc, s[10:11]
	v_cmp_lt_i32_e32 vcc, 14, v50
	s_nop 1
	v_cndmask_b32_e32 v76, v76, v0, vcc
	s_andn2_b64 exec, exec, s[10:11]
	s_cbranch_execz .LBB284_4
.LBB284_55:                             ;   Parent Loop BB284_7 Depth=1
                                        ; =>  This Loop Header: Depth=2
                                        ;       Child Loop BB284_57 Depth 3
	v_cmp_gt_i32_e32 vcc, 15, v50
	s_nop 1
	v_cndmask_b32_e64 v0, -15, 0, vcc
	v_add_u32_e32 v11, v0, v50
	v_mul_hi_i32 v0, v91, s62
	v_lshrrev_b32_e32 v1, 31, v0
	v_add_u32_e32 v0, v0, v1
	v_lshl_add_u32 v1, v0, 1, v0
	v_sub_u32_e32 v1, v91, v1
	v_lshlrev_b32_e32 v1, 4, v1
	v_cmp_le_i32_e32 vcc, v1, v10
	v_lshlrev_b32_e32 v0, 7, v0
	v_lshlrev_b32_e32 v12, 2, v11
	v_cndmask_b32_e32 v2, 0, v1, vcc
	v_ashrrev_i32_e32 v1, 31, v0
	v_mul_lo_u32 v2, v2, s22
	v_lshl_add_u64 v[0:1], v[8:9], 0, v[0:1]
	v_ashrrev_i32_e32 v3, 31, v2
	v_lshl_add_u64 v[0:1], v[0:1], 0, v[2:3]
	;;#ASMSTART
	global_load_dwordx4 v[4:7], v[0:1], off offset:0   
	global_load_dwordx4 v[0:3], v[0:1], off offset:64  
	
	;;#ASMEND
	ds_read_b32 v13, v12 offset:61440
	v_add_u32_e32 v12, 0xf000, v12
	s_waitcnt lgkmcnt(0)
	v_cmp_ne_u32_e32 vcc, v13, v76
	s_and_saveexec_b64 s[12:13], vcc
	s_cbranch_execz .LBB284_54
; %bb.56:                               ;   in Loop: Header=BB284_55 Depth=2
	s_mov_b64 s[14:15], 0
.LBB284_57:                             ;   Parent Loop BB284_7 Depth=1
                                        ;     Parent Loop BB284_55 Depth=2
                                        ; =>    This Inner Loop Header: Depth=3
	;;#ASMSTART
	s_sleep 0
	;;#ASMEND
	ds_read_b32 v13, v12
	s_waitcnt lgkmcnt(0)
	v_cmp_eq_u32_e32 vcc, v13, v76
	s_or_b64 s[14:15], vcc, s[14:15]
	s_andn2_b64 exec, exec, s[14:15]
	s_cbranch_execnz .LBB284_57
	s_branch .LBB284_54
.LBB284_58:
	s_endpgm
	.section	.rodata,"a",@progbits
	.p2align	6, 0x0
	.amdhsa_kernel _Z19_skinny_gemm_kernelILi3ELi3ELi5ELi16ELi4EEvPKhS1_P6__halfPKfiiiiiiii
		.amdhsa_group_segment_fixed_size 61560
		.amdhsa_private_segment_fixed_size 0
		.amdhsa_kernarg_size 64
		.amdhsa_user_sgpr_count 2
		.amdhsa_user_sgpr_dispatch_ptr 0
		.amdhsa_user_sgpr_queue_ptr 0
		.amdhsa_user_sgpr_kernarg_segment_ptr 1
		.amdhsa_user_sgpr_dispatch_id 0
		.amdhsa_user_sgpr_kernarg_preload_length 0
		.amdhsa_user_sgpr_kernarg_preload_offset 0
		.amdhsa_user_sgpr_private_segment_size 0
		.amdhsa_uses_dynamic_stack 0
		.amdhsa_enable_private_segment 0
		.amdhsa_system_sgpr_workgroup_id_x 1
		.amdhsa_system_sgpr_workgroup_id_y 0
		.amdhsa_system_sgpr_workgroup_id_z 0
		.amdhsa_system_sgpr_workgroup_info 0
		.amdhsa_system_vgpr_workitem_id 0
		.amdhsa_next_free_vgpr 102
		.amdhsa_next_free_sgpr 67
		.amdhsa_accum_offset 104
		.amdhsa_reserve_vcc 1
		.amdhsa_float_round_mode_32 0
		.amdhsa_float_round_mode_16_64 0
		.amdhsa_float_denorm_mode_32 3
		.amdhsa_float_denorm_mode_16_64 3
		.amdhsa_dx10_clamp 1
		.amdhsa_ieee_mode 1
		.amdhsa_fp16_overflow 0
		.amdhsa_tg_split 0
		.amdhsa_exception_fp_ieee_invalid_op 0
		.amdhsa_exception_fp_denorm_src 0
		.amdhsa_exception_fp_ieee_div_zero 0
		.amdhsa_exception_fp_ieee_overflow 0
		.amdhsa_exception_fp_ieee_underflow 0
		.amdhsa_exception_fp_ieee_inexact 0
		.amdhsa_exception_int_div_zero 0
	.end_amdhsa_kernel
	.section	.text._Z19_skinny_gemm_kernelILi3ELi3ELi5ELi16ELi4EEvPKhS1_P6__halfPKfiiiiiiii,"axG",@progbits,_Z19_skinny_gemm_kernelILi3ELi3ELi5ELi16ELi4EEvPKhS1_P6__halfPKfiiiiiiii,comdat
.Lfunc_end284:
	.size	_Z19_skinny_gemm_kernelILi3ELi3ELi5ELi16ELi4EEvPKhS1_P6__halfPKfiiiiiiii, .Lfunc_end284-_Z19_skinny_gemm_kernelILi3ELi3ELi5ELi16ELi4EEvPKhS1_P6__halfPKfiiiiiiii
                                        ; -- End function
	.set _Z19_skinny_gemm_kernelILi3ELi3ELi5ELi16ELi4EEvPKhS1_P6__halfPKfiiiiiiii.num_vgpr, 102
	.set _Z19_skinny_gemm_kernelILi3ELi3ELi5ELi16ELi4EEvPKhS1_P6__halfPKfiiiiiiii.num_agpr, 0
	.set _Z19_skinny_gemm_kernelILi3ELi3ELi5ELi16ELi4EEvPKhS1_P6__halfPKfiiiiiiii.numbered_sgpr, 67
	.set _Z19_skinny_gemm_kernelILi3ELi3ELi5ELi16ELi4EEvPKhS1_P6__halfPKfiiiiiiii.num_named_barrier, 0
	.set _Z19_skinny_gemm_kernelILi3ELi3ELi5ELi16ELi4EEvPKhS1_P6__halfPKfiiiiiiii.private_seg_size, 0
	.set _Z19_skinny_gemm_kernelILi3ELi3ELi5ELi16ELi4EEvPKhS1_P6__halfPKfiiiiiiii.uses_vcc, 1
	.set _Z19_skinny_gemm_kernelILi3ELi3ELi5ELi16ELi4EEvPKhS1_P6__halfPKfiiiiiiii.uses_flat_scratch, 0
	.set _Z19_skinny_gemm_kernelILi3ELi3ELi5ELi16ELi4EEvPKhS1_P6__halfPKfiiiiiiii.has_dyn_sized_stack, 0
	.set _Z19_skinny_gemm_kernelILi3ELi3ELi5ELi16ELi4EEvPKhS1_P6__halfPKfiiiiiiii.has_recursion, 0
	.set _Z19_skinny_gemm_kernelILi3ELi3ELi5ELi16ELi4EEvPKhS1_P6__halfPKfiiiiiiii.has_indirect_call, 0
	.section	.AMDGPU.csdata,"",@progbits
; Kernel info:
; codeLenInByte = 5944
; TotalNumSgprs: 73
; NumVgprs: 102
; NumAgprs: 0
; TotalNumVgprs: 102
; ScratchSize: 0
; MemoryBound: 0
; FloatMode: 240
; IeeeMode: 1
; LDSByteSize: 61560 bytes/workgroup (compile time only)
; SGPRBlocks: 9
; VGPRBlocks: 12
; NumSGPRsForWavesPerEU: 73
; NumVGPRsForWavesPerEU: 102
; AccumOffset: 104
; Occupancy: 4
; WaveLimiterHint : 0
; COMPUTE_PGM_RSRC2:SCRATCH_EN: 0
; COMPUTE_PGM_RSRC2:USER_SGPR: 2
; COMPUTE_PGM_RSRC2:TRAP_HANDLER: 0
; COMPUTE_PGM_RSRC2:TGID_X_EN: 1
; COMPUTE_PGM_RSRC2:TGID_Y_EN: 0
; COMPUTE_PGM_RSRC2:TGID_Z_EN: 0
; COMPUTE_PGM_RSRC2:TIDIG_COMP_CNT: 0
; COMPUTE_PGM_RSRC3_GFX90A:ACCUM_OFFSET: 25
; COMPUTE_PGM_RSRC3_GFX90A:TG_SPLIT: 0
	.section	.text._Z19_skinny_gemm_kernelILi3ELi3ELi5ELi32ELi4EEvPKhS1_P6__halfPKfiiiiiiii,"axG",@progbits,_Z19_skinny_gemm_kernelILi3ELi3ELi5ELi32ELi4EEvPKhS1_P6__halfPKfiiiiiiii,comdat
	.protected	_Z19_skinny_gemm_kernelILi3ELi3ELi5ELi32ELi4EEvPKhS1_P6__halfPKfiiiiiiii ; -- Begin function _Z19_skinny_gemm_kernelILi3ELi3ELi5ELi32ELi4EEvPKhS1_P6__halfPKfiiiiiiii
	.globl	_Z19_skinny_gemm_kernelILi3ELi3ELi5ELi32ELi4EEvPKhS1_P6__halfPKfiiiiiiii
	.p2align	8
	.type	_Z19_skinny_gemm_kernelILi3ELi3ELi5ELi32ELi4EEvPKhS1_P6__halfPKfiiiiiiii,@function
_Z19_skinny_gemm_kernelILi3ELi3ELi5ELi32ELi4EEvPKhS1_P6__halfPKfiiiiiiii: ; @_Z19_skinny_gemm_kernelILi3ELi3ELi5ELi32ELi4EEvPKhS1_P6__halfPKfiiiiiiii
; %bb.0:
	v_cmp_gt_u32_e32 vcc, 30, v0
	s_and_saveexec_b64 s[4:5], vcc
; %bb.1:
	v_lshlrev_b32_e32 v1, 2, v0
	v_mov_b32_e32 v2, 0
	ds_write_b32 v1, v2 offset:61440
; %bb.2:
	s_or_b64 exec, exec, s[4:5]
	s_load_dwordx8 s[92:99], s[0:1], 0x20
	s_waitcnt lgkmcnt(0)
	s_barrier
	s_add_i32 s3, s92, 0x5f
	s_mul_hi_i32 s3, s3, 0x2aaaaaab
	s_add_i32 s4, s93, 0x5f
	s_lshr_b32 s5, s3, 31
	s_ashr_i32 s3, s3, 4
	s_add_i32 s14, s3, s5
	s_mul_hi_i32 s3, s4, 0x2aaaaaab
	s_lshr_b32 s4, s3, 31
	s_ashr_i32 s3, s3, 4
	s_add_i32 s15, s3, s4
	s_mul_i32 s3, s15, s14
	s_mul_i32 s3, s3, s96
	s_add_i32 s4, s3, 0x12f
	s_mul_hi_i32 s4, s4, 0x6bca1af3
	s_lshr_b32 s5, s4, 31
	s_ashr_i32 s4, s4, 7
	s_add_i32 s4, s4, s5
	s_add_i32 s5, s2, 1
	s_mul_i32 s5, s4, s5
	v_cvt_f64_i32_e32 v[2:3], s3
	v_cvt_f64_u32_e32 v[4:5], s5
	v_min_f64 v[2:3], v[2:3], v[4:5]
	v_cvt_i32_f64_e32 v62, v[2:3]
	s_mul_i32 s33, s4, s2
	v_cmp_ge_i32_e32 vcc, s33, v62
	s_cbranch_vccnz .LBB285_51
; %bb.3:
	s_load_dwordx8 s[16:23], s[0:1], 0x0
	v_lshrrev_b32_e32 v1, 6, v0
	s_add_i32 s0, s98, s97
	v_cmp_le_i32_e64 s[24:25], s0, v1
	v_mov_b32_e32 v2, s97
	v_cmp_le_i32_e64 s[26:27], s97, v1
	v_mov_b32_e32 v3, s98
	v_cndmask_b32_e64 v3, 0, v3, s[24:25]
	v_cndmask_b32_e64 v2, 0, v2, s[26:27]
	s_abs_i32 s1, s96
	v_add_u32_e32 v2, v2, v3
	v_cvt_f32_u32_e32 v3, s1
	v_sub_u32_e32 v56, v1, v2
	s_ashr_i32 s2, s94, 31
	s_lshr_b32 s2, s2, 26
	v_rcp_iflag_f32_e32 v2, v3
	s_sub_i32 s5, 0, s1
	s_add_i32 s2, s94, s2
	s_ashr_i32 s2, s2, 6
	v_mul_f32_e32 v2, 0x4f7ffffe, v2
	v_cvt_u32_f32_e32 v2, v2
	s_abs_i32 s4, s2
	s_xor_b32 s3, s2, s96
	s_ashr_i32 s3, s3, 31
	v_readfirstlane_b32 s6, v2
	s_mul_i32 s5, s5, s6
	s_mul_hi_u32 s5, s6, s5
	s_add_i32 s6, s6, s5
	s_mul_hi_u32 s5, s4, s6
	s_mul_i32 s6, s5, s1
	s_sub_i32 s4, s4, s6
	s_add_i32 s6, s5, 1
	s_sub_i32 s7, s4, s1
	s_cmp_ge_u32 s4, s1
	s_cselect_b32 s5, s6, s5
	s_cselect_b32 s4, s7, s4
	s_add_i32 s6, s5, 1
	s_cmp_ge_u32 s4, s1
	s_cselect_b32 s1, s6, s5
	s_add_i32 s0, s0, s99
	v_and_b32_e32 v64, 31, v0
	v_lshrrev_b32_e32 v2, 3, v0
	v_cmp_gt_i32_e64 s[34:35], s0, v1
	v_lshlrev_b32_e32 v1, 2, v64
	v_and_b32_e32 v3, 4, v2
	v_lshlrev_b32_e32 v2, 6, v3
	v_or_b32_e32 v4, 0x7800, v1
	v_and_b32_e32 v5, 1, v0
                                        ; implicit-def: $vgpr93 : SGPR spill to VGPR lane
	s_add_i32 s29, s96, -1
	v_or_b32_e32 v65, v1, v2
	v_or_b32_e32 v66, v4, v2
	v_lshlrev_b32_e32 v2, 1, v5
	v_lshrrev_b32_e32 v7, 1, v0
	s_abs_i32 s96, s14
	v_writelane_b32 v93, s14, 0
	v_sub_u32_e32 v2, v0, v2
	v_and_b32_e32 v50, 16, v7
	v_cvt_f32_u32_e32 v7, s96
	v_writelane_b32 v93, s15, 1
	v_add_u32_e32 v2, 1, v2
	s_waitcnt lgkmcnt(0)
	v_writelane_b32 v93, s16, 2
	v_and_b32_e32 v6, 63, v2
	v_bitop3_b32 v67, v0, 1, v0 bitop3:0xc
	v_bitop3_b32 v68, v0, 3, 1 bitop3:0x6c
	v_bitop3_b32 v69, v0, 5, 1 bitop3:0x6c
	v_bitop3_b32 v70, v0, 7, 1 bitop3:0x6c
	v_bitop3_b32 v71, v0, 9, 1 bitop3:0x6c
	v_bitop3_b32 v72, v0, 11, 1 bitop3:0x6c
	v_bitop3_b32 v73, v0, 13, 1 bitop3:0x6c
	v_bitop3_b32 v74, v0, 15, 1 bitop3:0x6c
	v_and_b32_e32 v2, 30, v0
	v_lshlrev_b32_e32 v0, 4, v0
	v_writelane_b32 v93, s17, 3
	v_and_b32_e32 v0, 0x200, v0
	v_writelane_b32 v93, s18, 4
	v_or_b32_e32 v77, v4, v0
	v_rcp_iflag_f32_e32 v4, v7
	s_abs_i32 s90, s15
	v_writelane_b32 v93, s19, 5
	v_or_b32_e32 v79, v1, v0
	v_cvt_f32_u32_e32 v1, s90
	v_writelane_b32 v93, s20, 6
	v_writelane_b32 v93, s21, 7
	;; [unrolled: 1-line block ×3, first 2 shown]
	v_mul_f32_e32 v0, 0x4f7ffffe, v4
	v_writelane_b32 v93, s23, 9
	v_cndmask_b32_e64 v63, 0, 1, s[24:25]
	v_cvt_u32_f32_e32 v0, v0
	v_rcp_iflag_f32_e32 v1, v1
	v_writelane_b32 v93, s24, 10
	s_xor_b32 s1, s1, s3
	s_sub_i32 s28, s1, s3
	v_writelane_b32 v93, s25, 11
	v_writelane_b32 v93, s26, 12
	s_mul_i32 s1, s28, s29
	s_sub_i32 s30, s2, s1
	v_writelane_b32 v93, s27, 13
	v_readfirstlane_b32 s1, v0
	v_mul_f32_e32 v0, 0x4f7ffffe, v1
	v_writelane_b32 v93, s28, 14
	v_cvt_u32_f32_e32 v0, v0
	v_writelane_b32 v93, s29, 15
	s_sub_i32 s0, 0, s96
	v_writelane_b32 v93, s30, 16
	s_mul_i32 s0, s0, s1
	v_writelane_b32 v93, s34, 17
	s_lshl_b32 s31, s95, 5
	s_mul_hi_u32 s0, s1, s0
	v_writelane_b32 v93, s35, 18
	s_ashr_i32 s36, s14, 31
	s_add_i32 s37, s1, s0
	s_sub_i32 s0, 0, s90
	v_readfirstlane_b32 s1, v0
	v_mbcnt_lo_u32_b32 v0, -1, 0
	v_writelane_b32 v93, s31, 19
	s_mul_i32 s0, s0, s1
	v_mbcnt_hi_u32_b32 v0, -1, v0
	v_writelane_b32 v93, s36, 20
	v_mov_b32_e32 v49, 0
	v_mul_lo_u32 v52, s95, v64
	v_or_b32_e32 v80, v5, v3
	s_ashr_i32 s38, s15, 31
	s_mul_hi_u32 s0, s1, s0
	v_and_or_b32 v0, v0, 64, v6
	v_writelane_b32 v93, s37, 21
	v_or_b32_e32 v75, 32, v64
	v_or_b32_e32 v76, 64, v64
	v_ashrrev_i32_e32 v53, 31, v52
	v_mov_b32_e32 v51, v49
	v_mul_lo_u32 v78, s94, v64
	v_or_b32_e32 v81, 2, v80
	s_add_i32 s39, s1, s0
	v_lshlrev_b32_e32 v48, 1, v2
	s_mov_b32 s91, 0x55555556
	v_lshlrev_b32_e32 v82, 2, v0
	v_mov_b32_e32 v83, v56
	v_writelane_b32 v93, s38, 22
	v_writelane_b32 v93, s39, 23
	s_branch .LBB285_7
.LBB285_4:                              ;   in Loop: Header=BB285_7 Depth=1
	s_or_b64 exec, exec, s[4:5]
.LBB285_5:                              ;   in Loop: Header=BB285_7 Depth=1
	s_or_b64 exec, exec, s[2:3]
	v_subrev_u32_e32 v83, s10, v83
.LBB285_6:                              ;   in Loop: Header=BB285_7 Depth=1
	s_or_b64 exec, exec, s[0:1]
	s_add_i32 s33, s33, 1
	v_cmp_ge_i32_e32 vcc, s33, v62
	s_cbranch_vccnz .LBB285_51
.LBB285_7:                              ; =>This Loop Header: Depth=1
                                        ;     Child Loop BB285_13 Depth 2
                                        ;       Child Loop BB285_15 Depth 3
                                        ;       Child Loop BB285_18 Depth 3
                                        ;       Child Loop BB285_21 Depth 3
                                        ;       Child Loop BB285_24 Depth 3
                                        ;     Child Loop BB285_29 Depth 2
                                        ;     Child Loop BB285_38 Depth 2
                                        ;       Child Loop BB285_40 Depth 3
                                        ;     Child Loop BB285_48 Depth 2
                                        ;       Child Loop BB285_50 Depth 3
	s_abs_i32 s1, s33
	s_mul_hi_u32 s2, s1, s37
	s_mul_i32 s3, s2, s96
	s_ashr_i32 s0, s33, 31
	s_sub_i32 s1, s1, s3
	s_xor_b32 s0, s0, s36
	s_add_i32 s3, s2, 1
	s_sub_i32 s4, s1, s96
	s_cmp_ge_u32 s1, s96
	s_cselect_b32 s2, s3, s2
	s_cselect_b32 s1, s4, s1
	s_add_i32 s3, s2, 1
	s_cmp_ge_u32 s1, s96
	s_cselect_b32 s1, s3, s2
	s_xor_b32 s1, s1, s0
	s_sub_i32 s0, s1, s0
	s_abs_i32 s2, s0
	s_mul_i32 s1, s0, s14
	s_mul_hi_u32 s3, s2, s39
	s_sub_i32 s1, s33, s1
	s_mul_i32 s4, s3, s90
	s_mul_i32 s40, s1, 0x60
	s_ashr_i32 s1, s0, 31
	s_sub_i32 s2, s2, s4
	s_xor_b32 s1, s1, s38
	s_add_i32 s4, s3, 1
	s_sub_i32 s5, s2, s90
	s_cmp_ge_u32 s2, s90
	s_cselect_b32 s3, s4, s3
	s_cselect_b32 s2, s5, s2
	s_add_i32 s4, s3, 1
	s_cmp_ge_u32 s2, s90
	s_cselect_b32 s2, s4, s3
	s_xor_b32 s2, s2, s1
	s_sub_i32 s1, s2, s1
	s_mul_i32 s2, s1, s28
	s_lshl_b32 s13, s2, 6
	s_cmp_eq_u32 s1, s29
	s_cselect_b32 s4, s30, s28
	s_sub_i32 s2, s40, s92
	s_addk_i32 s2, 0x60
	s_max_i32 s5, s2, 0
	s_and_saveexec_b64 s[2:3], s[26:27]
	s_xor_b64 s[2:3], exec, s[2:3]
	v_writelane_b32 v93, s2, 24
	s_nop 1
	v_writelane_b32 v93, s3, 25
	s_cbranch_execz .LBB285_44
; %bb.8:                                ;   in Loop: Header=BB285_7 Depth=1
	s_mul_i32 s1, s1, s15
	s_sub_i32 s0, s0, s1
	s_mulk_i32 s0, 0x60
	s_sub_i32 s70, s0, s93
	s_addk_i32 s70, 0x60
	s_max_i32 s1, s70, 0
	s_sub_i32 s0, s0, s1
	v_writelane_b32 v93, s13, 26
	s_and_saveexec_b64 s[2:3], s[24:25]
	s_xor_b64 s[2:3], exec, s[2:3]
	s_cbranch_execz .LBB285_34
; %bb.9:                                ;   in Loop: Header=BB285_7 Depth=1
	s_mov_b64 s[6:7], exec
	v_writelane_b32 v93, s6, 27
	s_nop 1
	v_writelane_b32 v93, s7, 28
	s_and_b64 s[6:7], s[6:7], s[34:35]
	s_mov_b64 exec, s[6:7]
	s_cbranch_execz .LBB285_33
; %bb.10:                               ;   in Loop: Header=BB285_7 Depth=1
	global_load_dword v84, v49, s[22:23]
	v_mov_b32_e32 v47, 0
	v_cmp_gt_i32_e32 vcc, s4, v83
	v_mov_b32_e32 v46, v47
	v_mov_b32_e32 v45, v47
	;; [unrolled: 1-line block ×47, first 2 shown]
	s_and_saveexec_b64 s[6:7], vcc
	s_cbranch_execz .LBB285_26
; %bb.11:                               ;   in Loop: Header=BB285_7 Depth=1
	v_mov_b32_e32 v0, 0
	s_mov_b64 s[8:9], 0
	v_mov_b32_e32 v1, v0
	v_mov_b32_e32 v2, v0
	;; [unrolled: 1-line block ×47, first 2 shown]
	s_branch .LBB285_13
.LBB285_12:                             ;   in Loop: Header=BB285_13 Depth=2
	s_or_b64 exec, exec, s[10:11]
	v_add_u32_e32 v89, 0x1000, v88
	ds_read2_b32 v[90:91], v89 offset1:32
	v_add_u32_e32 v83, s99, v83
	s_waitcnt lgkmcnt(0)
	v_mfma_f32_32x32x16_fp8_fp8 v[0:15], v[60:61], v[90:91], v[0:15]
	ds_read2_b32 v[60:61], v89 offset0:128 offset1:160
	s_waitcnt lgkmcnt(0)
	v_mfma_f32_32x32x16_fp8_fp8 v[0:15], v[58:59], v[60:61], v[0:15]
	v_add_u32_e32 v60, 0x1400, v88
	ds_read2_b32 v[58:59], v60 offset1:32
	ds_read2_b32 v[60:61], v60 offset0:128 offset1:160
	ds_write_b32 v86, v87 offset:61460
	s_waitcnt lgkmcnt(2)
	v_mfma_f32_32x32x16_fp8_fp8 v[0:15], v[56:57], v[58:59], v[0:15]
	v_add_u32_e32 v56, s99, v85
	v_add_u32_e32 v57, 2, v63
	v_cmp_lt_i32_e32 vcc, 4, v56
	s_nop 1
	v_cndmask_b32_e32 v63, v63, v57, vcc
	v_cmp_le_i32_e32 vcc, s4, v83
	s_waitcnt lgkmcnt(1)
	v_mfma_f32_32x32x16_fp8_fp8 v[0:15], v[54:55], v[60:61], v[0:15]
	s_or_b64 s[8:9], vcc, s[8:9]
	s_andn2_b64 exec, exec, s[8:9]
	s_cbranch_execz .LBB285_25
.LBB285_13:                             ;   Parent Loop BB285_7 Depth=1
                                        ; =>  This Loop Header: Depth=2
                                        ;       Child Loop BB285_15 Depth 3
                                        ;       Child Loop BB285_18 Depth 3
	;; [unrolled: 1-line block ×4, first 2 shown]
	v_cmp_gt_i32_e32 vcc, 5, v56
	s_nop 1
	v_cndmask_b32_e64 v54, -5, 0, vcc
	v_add_u32_e32 v85, v54, v56
	v_mul_lo_u32 v86, v85, 24
	ds_read_b32 v54, v86 offset:61440
	s_waitcnt lgkmcnt(0)
	v_cmp_ne_u32_e32 vcc, v54, v63
	s_and_saveexec_b64 s[10:11], vcc
	s_cbranch_execz .LBB285_16
; %bb.14:                               ;   in Loop: Header=BB285_13 Depth=2
	s_mov_b64 s[12:13], 0
.LBB285_15:                             ;   Parent Loop BB285_7 Depth=1
                                        ;     Parent Loop BB285_13 Depth=2
                                        ; =>    This Inner Loop Header: Depth=3
	;;#ASMSTART
	s_sleep 0
	;;#ASMEND
	ds_read_b32 v54, v86 offset:61440
	s_waitcnt lgkmcnt(0)
	v_cmp_eq_u32_e32 vcc, v54, v63
	s_or_b64 s[12:13], vcc, s[12:13]
	s_andn2_b64 exec, exec, s[12:13]
	s_cbranch_execnz .LBB285_15
.LBB285_16:                             ;   in Loop: Header=BB285_13 Depth=2
	s_or_b64 exec, exec, s[10:11]
	v_lshl_or_b32 v54, v85, 11, v65
	ds_read2_b32 v[60:61], v54 offset1:32
	ds_read2_b32 v[58:59], v54 offset0:128 offset1:160
	v_add_u32_e32 v54, 0x400, v54
	ds_read2_b32 v[56:57], v54 offset1:32
	ds_read_b32 v88, v86 offset:61444
	ds_read2_b32 v[54:55], v54 offset0:128 offset1:160
	v_add_u32_e32 v87, 1, v63
	ds_write_b32 v86, v87 offset:61440
	s_waitcnt lgkmcnt(2)
	v_cmp_ne_u32_e32 vcc, v88, v63
	s_and_saveexec_b64 s[10:11], vcc
	s_cbranch_execz .LBB285_19
; %bb.17:                               ;   in Loop: Header=BB285_13 Depth=2
	s_mov_b64 s[12:13], 0
.LBB285_18:                             ;   Parent Loop BB285_7 Depth=1
                                        ;     Parent Loop BB285_13 Depth=2
                                        ; =>    This Inner Loop Header: Depth=3
	;;#ASMSTART
	s_sleep 0
	;;#ASMEND
	ds_read_b32 v88, v86 offset:61444
	s_waitcnt lgkmcnt(0)
	v_cmp_eq_u32_e32 vcc, v88, v63
	s_or_b64 s[12:13], vcc, s[12:13]
	s_andn2_b64 exec, exec, s[12:13]
	s_cbranch_execnz .LBB285_18
.LBB285_19:                             ;   in Loop: Header=BB285_13 Depth=2
	s_or_b64 exec, exec, s[10:11]
	s_movk_i32 s1, 0x1800
	v_mul_lo_u32 v88, v85, s1
	v_add_u32_e32 v88, v66, v88
	ds_read2_b32 v[90:91], v88 offset1:32
	v_add_u32_e32 v89, 0x400, v88
	ds_write_b32 v86, v87 offset:61444
	s_waitcnt lgkmcnt(1)
	v_mfma_f32_32x32x16_fp8_fp8 v[32:47], v[60:61], v[90:91], v[32:47]
	ds_read2_b32 v[90:91], v88 offset0:128 offset1:160
	s_waitcnt lgkmcnt(0)
	v_mfma_f32_32x32x16_fp8_fp8 v[32:47], v[58:59], v[90:91], v[32:47]
	ds_read2_b32 v[90:91], v89 offset1:32
	s_waitcnt lgkmcnt(0)
	v_mfma_f32_32x32x16_fp8_fp8 v[32:47], v[56:57], v[90:91], v[32:47]
	ds_read2_b32 v[90:91], v89 offset0:128 offset1:160
	ds_read_b32 v89, v86 offset:61452
	s_waitcnt lgkmcnt(0)
	v_cmp_ne_u32_e32 vcc, v89, v63
	v_mfma_f32_32x32x16_fp8_fp8 v[32:47], v[54:55], v[90:91], v[32:47]
	s_and_saveexec_b64 s[10:11], vcc
	s_cbranch_execz .LBB285_22
; %bb.20:                               ;   in Loop: Header=BB285_13 Depth=2
	s_mov_b64 s[12:13], 0
.LBB285_21:                             ;   Parent Loop BB285_7 Depth=1
                                        ;     Parent Loop BB285_13 Depth=2
                                        ; =>    This Inner Loop Header: Depth=3
	;;#ASMSTART
	s_sleep 0
	;;#ASMEND
	ds_read_b32 v89, v86 offset:61452
	s_waitcnt lgkmcnt(0)
	v_cmp_eq_u32_e32 vcc, v89, v63
	s_or_b64 s[12:13], vcc, s[12:13]
	s_andn2_b64 exec, exec, s[12:13]
	s_cbranch_execnz .LBB285_21
.LBB285_22:                             ;   in Loop: Header=BB285_13 Depth=2
	s_or_b64 exec, exec, s[10:11]
	v_add_u32_e32 v89, 0x800, v88
	ds_read2_b32 v[90:91], v89 offset1:32
	s_waitcnt lgkmcnt(0)
	v_mfma_f32_32x32x16_fp8_fp8 v[16:31], v[60:61], v[90:91], v[16:31]
	ds_read2_b32 v[90:91], v89 offset0:128 offset1:160
	v_add_u32_e32 v89, 0xc00, v88
	s_waitcnt lgkmcnt(0)
	v_mfma_f32_32x32x16_fp8_fp8 v[16:31], v[58:59], v[90:91], v[16:31]
	ds_read2_b32 v[90:91], v89 offset1:32
	s_waitcnt lgkmcnt(0)
	v_mfma_f32_32x32x16_fp8_fp8 v[16:31], v[56:57], v[90:91], v[16:31]
	ds_read_b32 v92, v86 offset:61460
	ds_read2_b32 v[90:91], v89 offset0:128 offset1:160
	ds_write_b32 v86, v87 offset:61452
	s_waitcnt lgkmcnt(2)
	v_cmp_ne_u32_e32 vcc, v92, v63
	s_waitcnt lgkmcnt(1)
	v_mfma_f32_32x32x16_fp8_fp8 v[16:31], v[54:55], v[90:91], v[16:31]
	s_and_saveexec_b64 s[10:11], vcc
	s_cbranch_execz .LBB285_12
; %bb.23:                               ;   in Loop: Header=BB285_13 Depth=2
	s_mov_b64 s[12:13], 0
.LBB285_24:                             ;   Parent Loop BB285_7 Depth=1
                                        ;     Parent Loop BB285_13 Depth=2
                                        ; =>    This Inner Loop Header: Depth=3
	;;#ASMSTART
	s_sleep 0
	;;#ASMEND
	ds_read_b32 v89, v86 offset:61460
	s_waitcnt lgkmcnt(0)
	v_cmp_eq_u32_e32 vcc, v89, v63
	s_or_b64 s[12:13], vcc, s[12:13]
	s_andn2_b64 exec, exec, s[12:13]
	s_cbranch_execnz .LBB285_24
	s_branch .LBB285_12
.LBB285_25:                             ;   in Loop: Header=BB285_7 Depth=1
	s_or_b64 exec, exec, s[8:9]
.LBB285_26:                             ;   in Loop: Header=BB285_7 Depth=1
	s_or_b64 exec, exec, s[6:7]
	v_cmp_le_i32_e32 vcc, s70, v64
	v_cmp_eq_u32_e64 s[60:61], 1, v67
	v_cmp_eq_u32_e64 s[26:27], 2, v67
	s_waitcnt vmcnt(0)
	v_cndmask_b32_e32 v54, 0, v84, vcc
	v_pk_mul_f32 v[32:33], v[54:55], v[32:33] op_sel_hi:[0,1]
	v_pk_mul_f32 v[46:47], v[54:55], v[46:47] op_sel_hi:[0,1]
	;; [unrolled: 1-line block ×8, first 2 shown]
	v_cndmask_b32_e64 v54, v32, v33, s[60:61]
	v_writelane_b32 v93, s40, 29
	s_mul_i32 s6, s40, s93
	v_cndmask_b32_e64 v54, v54, v34, s[26:27]
	v_cmp_eq_u32_e64 s[40:41], 3, v67
	v_cmp_eq_u32_e64 s[42:43], 4, v67
	v_cmp_eq_u32_e64 s[44:45], 5, v67
	v_cndmask_b32_e64 v54, v54, v35, s[40:41]
	v_cndmask_b32_e64 v54, v54, v36, s[42:43]
	v_cndmask_b32_e64 v54, v54, v37, s[44:45]
	v_cmp_eq_u32_e64 s[46:47], 6, v67
	v_cmp_eq_u32_e64 s[48:49], 7, v67
	v_cmp_eq_u32_e64 s[50:51], 8, v67
	v_cndmask_b32_e64 v54, v54, v38, s[46:47]
	v_cndmask_b32_e64 v54, v54, v39, s[48:49]
	;; [unrolled: 6-line block ×4, first 2 shown]
	v_cndmask_b32_e64 v54, v54, v46, s[64:65]
	v_cmp_eq_u32_e64 s[66:67], 15, v67
	s_ashr_i32 s7, s6, 31
	s_lshl_b64 s[6:7], s[6:7], 1
	v_cndmask_b32_e64 v54, v54, v47, s[66:67]
	ds_bpermute_b32 v54, v82, v54
	v_cmp_eq_u32_e64 s[36:37], 0, v67
	s_add_u32 s71, s20, s6
	v_cmp_eq_u32_e32 vcc, 1, v68
	s_addc_u32 s72, s21, s7
	s_waitcnt lgkmcnt(0)
	v_cndmask_b32_e64 v47, v47, v54, s[66:67]
	v_cndmask_b32_e64 v46, v46, v54, s[64:65]
	;; [unrolled: 1-line block ×16, first 2 shown]
	v_cndmask_b32_e32 v32, v54, v86, vcc
	v_cmp_eq_u32_e64 s[6:7], 2, v68
	v_cmp_eq_u32_e64 s[8:9], 3, v68
	v_cmp_eq_u32_e64 s[10:11], 4, v68
	v_cndmask_b32_e64 v32, v32, v85, s[6:7]
	v_cndmask_b32_e64 v32, v32, v61, s[8:9]
	v_cndmask_b32_e64 v32, v32, v60, s[10:11]
	v_cmp_eq_u32_e64 s[12:13], 5, v68
	v_cmp_eq_u32_e64 s[14:15], 6, v68
	v_cmp_eq_u32_e64 s[16:17], 7, v68
	v_cndmask_b32_e64 v32, v32, v59, s[12:13]
	v_cndmask_b32_e64 v32, v32, v58, s[14:15]
	v_cndmask_b32_e64 v32, v32, v57, s[16:17]
	;; [unrolled: 6-line block ×4, first 2 shown]
	v_cmp_eq_u32_e64 s[34:35], 14, v68
	v_cmp_eq_u32_e64 s[38:39], 15, v68
	s_ashr_i32 s1, s0, 31
	v_cndmask_b32_e64 v32, v32, v46, s[34:35]
	v_cndmask_b32_e64 v32, v32, v47, s[38:39]
	ds_bpermute_b32 v55, v82, v32
	s_lshl_b64 s[68:69], s[0:1], 1
	s_add_u32 s68, s71, s68
	s_addc_u32 s69, s72, s69
	v_writelane_b32 v93, s68, 30
	s_waitcnt lgkmcnt(0)
	v_cndmask_b32_e64 v33, v47, v55, s[38:39]
	v_cndmask_b32_e64 v38, v42, v55, s[22:23]
	v_writelane_b32 v93, s69, 31
	v_cmp_le_i32_e64 s[68:69], s70, v75
	v_cmp_le_i32_e64 s[70:71], s70, v76
	v_cndmask_b32_e64 v42, v58, v55, s[14:15]
	v_cndmask_b32_e64 v32, 0, v84, s[68:69]
	;; [unrolled: 1-line block ×3, first 2 shown]
	v_pk_mul_f32 v[16:17], v[32:33], v[16:17] op_sel_hi:[0,1]
	v_pk_mul_f32 v[0:1], v[58:59], v[0:1] op_sel_hi:[0,1]
	v_cndmask_b32_e64 v35, v45, v55, s[30:31]
	v_cndmask_b32_e64 v36, v44, v55, s[28:29]
	;; [unrolled: 1-line block ×4, first 2 shown]
	v_pk_mul_f32 v[30:31], v[32:33], v[30:31] op_sel_hi:[0,1]
	v_pk_mul_f32 v[28:29], v[32:33], v[28:29] op_sel_hi:[0,1]
	;; [unrolled: 1-line block ×7, first 2 shown]
	v_cndmask_b32_e64 v32, v16, v17, s[60:61]
	v_pk_mul_f32 v[60:61], v[58:59], v[4:5] op_sel_hi:[0,1]
	v_pk_mul_f32 v[2:3], v[58:59], v[2:3] op_sel_hi:[0,1]
	v_cndmask_b32_e64 v4, v0, v1, s[60:61]
	v_cndmask_b32_e64 v32, v32, v18, s[26:27]
	;; [unrolled: 1-line block ×8, first 2 shown]
	v_pk_mul_f32 v[6:7], v[58:59], v[6:7] op_sel_hi:[0,1]
	v_cndmask_b32_e64 v4, v4, v61, s[44:45]
	v_cndmask_b32_e64 v32, v32, v22, s[46:47]
	v_cndmask_b32_e64 v4, v4, v6, s[46:47]
	v_cndmask_b32_e64 v32, v32, v23, s[48:49]
	v_pk_mul_f32 v[8:9], v[58:59], v[8:9] op_sel_hi:[0,1]
	v_cndmask_b32_e64 v4, v4, v7, s[48:49]
	v_cndmask_b32_e64 v32, v32, v24, s[50:51]
	v_cndmask_b32_e64 v4, v4, v8, s[50:51]
	v_cndmask_b32_e64 v32, v32, v25, s[52:53]
	;; [unrolled: 5-line block ×5, first 2 shown]
	v_cndmask_b32_e64 v4, v4, v15, s[66:67]
	ds_bpermute_b32 v32, v82, v32
	ds_bpermute_b32 v5, v82, v4
	v_cmp_eq_u32_e64 s[68:69], 0, v68
	v_cndmask_b32_e32 v47, v86, v55, vcc
	v_cmp_eq_u32_e64 s[70:71], 1, v69
	v_cndmask_b32_e64 v54, v54, v55, s[68:69]
	v_cndmask_b32_e64 v34, v46, v55, s[34:35]
	;; [unrolled: 1-line block ×9, first 2 shown]
	s_waitcnt lgkmcnt(1)
	v_cndmask_b32_e64 v4, v17, v32, s[60:61]
	v_cmp_eq_u32_e64 s[60:61], 2, v69
	v_cndmask_b32_e64 v18, v18, v32, s[26:27]
	s_waitcnt lgkmcnt(0)
	v_cndmask_b32_e64 v2, v2, v5, s[26:27]
	v_cmp_ne_u32_e64 s[26:27], 0, v67
	v_cndmask_b32_e64 v17, v55, v46, s[60:61]
	v_cndmask_b32_e64 v31, v31, v32, s[66:67]
	v_cndmask_b32_e64 v15, v15, v5, s[66:67]
	v_cmp_eq_u32_e64 s[66:67], 3, v69
	v_cndmask_b32_e64 v1, v1, v5, s[26:27]
	v_cndmask_b32_e64 v16, v16, v32, s[36:37]
	;; [unrolled: 1-line block ×6, first 2 shown]
	v_cmp_eq_u32_e64 s[64:65], 4, v69
	v_cndmask_b32_e64 v29, v29, v32, s[62:63]
	v_cndmask_b32_e64 v13, v13, v5, s[62:63]
	;; [unrolled: 1-line block ×22, first 2 shown]
	v_cndmask_b32_e32 v32, v16, v4, vcc
	v_cndmask_b32_e32 v5, v0, v1, vcc
	v_cndmask_b32_e64 v17, v17, v44, s[64:65]
	v_cmp_eq_u32_e64 s[62:63], 5, v69
	v_cndmask_b32_e64 v32, v32, v18, s[6:7]
	v_cndmask_b32_e64 v5, v5, v2, s[6:7]
	v_cndmask_b32_e64 v17, v17, v43, s[62:63]
	v_cmp_eq_u32_e64 s[58:59], 6, v69
	v_cndmask_b32_e64 v32, v32, v19, s[8:9]
	v_cndmask_b32_e64 v5, v5, v3, s[8:9]
	v_cndmask_b32_e64 v17, v17, v42, s[58:59]
	v_cmp_eq_u32_e64 s[56:57], 7, v69
	v_cndmask_b32_e64 v32, v32, v20, s[10:11]
	v_cndmask_b32_e64 v5, v5, v57, s[10:11]
	v_cndmask_b32_e64 v17, v17, v41, s[56:57]
	v_cmp_eq_u32_e64 s[54:55], 8, v69
	v_cndmask_b32_e64 v32, v32, v21, s[12:13]
	v_cndmask_b32_e64 v5, v5, v55, s[12:13]
	v_cndmask_b32_e64 v17, v17, v40, s[54:55]
	v_cmp_eq_u32_e64 s[52:53], 9, v69
	v_cndmask_b32_e64 v32, v32, v22, s[14:15]
	v_cndmask_b32_e64 v5, v5, v6, s[14:15]
	v_cndmask_b32_e64 v17, v17, v39, s[52:53]
	v_cmp_eq_u32_e64 s[50:51], 10, v69
	v_cndmask_b32_e64 v32, v32, v23, s[16:17]
	v_cndmask_b32_e64 v5, v5, v7, s[16:17]
	v_cndmask_b32_e64 v17, v17, v38, s[50:51]
	v_cmp_eq_u32_e64 s[48:49], 11, v69
	v_cndmask_b32_e64 v32, v32, v24, s[18:19]
	v_cndmask_b32_e64 v5, v5, v8, s[18:19]
	v_cndmask_b32_e64 v17, v17, v37, s[48:49]
	v_cmp_eq_u32_e64 s[46:47], 12, v69
	v_cndmask_b32_e64 v32, v32, v25, s[20:21]
	v_cndmask_b32_e64 v5, v5, v9, s[20:21]
	v_cndmask_b32_e64 v17, v17, v36, s[46:47]
	v_cmp_eq_u32_e64 s[44:45], 13, v69
	v_cndmask_b32_e64 v32, v32, v26, s[22:23]
	v_cndmask_b32_e64 v5, v5, v10, s[22:23]
	v_cndmask_b32_e64 v17, v17, v35, s[44:45]
	v_cmp_eq_u32_e64 s[76:77], 14, v69
	v_cndmask_b32_e64 v32, v32, v27, s[24:25]
	v_cndmask_b32_e64 v5, v5, v11, s[24:25]
	v_cndmask_b32_e64 v17, v17, v34, s[76:77]
	v_cmp_eq_u32_e64 s[82:83], 15, v69
	v_cndmask_b32_e64 v32, v32, v28, s[28:29]
	v_cndmask_b32_e64 v5, v5, v12, s[28:29]
	v_cndmask_b32_e64 v17, v17, v33, s[82:83]
	v_cndmask_b32_e64 v32, v32, v29, s[30:31]
	;; [unrolled: 1-line block ×3, first 2 shown]
	ds_bpermute_b32 v17, v82, v17
	v_cndmask_b32_e64 v32, v32, v30, s[34:35]
	v_cndmask_b32_e64 v5, v5, v14, s[34:35]
	;; [unrolled: 1-line block ×4, first 2 shown]
	ds_bpermute_b32 v32, v82, v32
	ds_bpermute_b32 v5, v82, v5
	v_cmp_eq_u32_e64 s[42:43], 0, v69
	s_waitcnt lgkmcnt(2)
	v_cndmask_b32_e64 v33, v33, v17, s[82:83]
	v_cndmask_b32_e64 v34, v34, v17, s[76:77]
	;; [unrolled: 1-line block ×16, first 2 shown]
	v_cmp_eq_u32_e64 s[26:27], 1, v70
	v_cmp_eq_u32_e64 s[36:37], 2, v70
	s_waitcnt lgkmcnt(1)
	v_cndmask_b32_e64 v30, v30, v32, s[34:35]
	v_cndmask_b32_e64 v54, v17, v47, s[26:27]
	;; [unrolled: 1-line block ×3, first 2 shown]
	s_waitcnt lgkmcnt(0)
	v_cndmask_b32_e64 v14, v14, v5, s[34:35]
	v_cmp_eq_u32_e64 s[34:35], 3, v70
	v_cndmask_b32_e32 v4, v4, v32, vcc
	v_cndmask_b32_e32 v1, v1, v5, vcc
	v_cndmask_b32_e64 v16, v16, v32, s[68:69]
	v_cndmask_b32_e64 v0, v0, v5, s[68:69]
	;; [unrolled: 1-line block ×7, first 2 shown]
	v_cmp_eq_u32_e64 s[30:31], 4, v70
	v_cndmask_b32_e64 v28, v28, v32, s[28:29]
	v_cndmask_b32_e64 v12, v12, v5, s[28:29]
	;; [unrolled: 1-line block ×25, first 2 shown]
	v_cmp_eq_u32_e64 s[38:39], 5, v70
	v_cndmask_b32_e64 v32, v32, v18, s[60:61]
	v_cndmask_b32_e64 v5, v5, v2, s[60:61]
	v_cndmask_b32_e64 v54, v54, v43, s[38:39]
	v_cmp_eq_u32_e64 s[24:25], 6, v70
	v_cndmask_b32_e64 v32, v32, v19, s[66:67]
	v_cndmask_b32_e64 v5, v5, v3, s[66:67]
	v_cndmask_b32_e64 v54, v54, v42, s[24:25]
	;; [unrolled: 4-line block ×11, first 2 shown]
	v_cndmask_b32_e64 v32, v32, v29, s[44:45]
	v_cndmask_b32_e64 v5, v5, v13, s[44:45]
	ds_bpermute_b32 v54, v82, v54
	v_cndmask_b32_e64 v32, v32, v30, s[76:77]
	v_cndmask_b32_e64 v5, v5, v14, s[76:77]
	;; [unrolled: 1-line block ×4, first 2 shown]
	ds_bpermute_b32 v32, v82, v32
	ds_bpermute_b32 v5, v82, v5
	v_cmp_eq_u32_e64 s[16:17], 0, v70
	s_waitcnt lgkmcnt(2)
	v_cndmask_b32_e64 v47, v47, v54, s[26:27]
	v_cmp_eq_u32_e64 s[8:9], 1, v71
	v_cndmask_b32_e64 v17, v17, v54, s[16:17]
	v_cndmask_b32_e64 v33, v33, v54, s[86:87]
	;; [unrolled: 1-line block ×16, first 2 shown]
	v_cmp_eq_u32_e64 s[14:15], 2, v71
	v_cmp_eq_u32_e64 s[18:19], 3, v71
	s_waitcnt lgkmcnt(1)
	v_cndmask_b32_e64 v4, v4, v32, s[70:71]
	v_cndmask_b32_e64 v54, v54, v46, s[14:15]
	s_waitcnt lgkmcnt(0)
	v_cndmask_b32_e64 v1, v1, v5, s[70:71]
	v_cndmask_b32_e64 v16, v16, v32, s[42:43]
	;; [unrolled: 1-line block ×10, first 2 shown]
	v_cmp_eq_u32_e64 s[28:29], 4, v71
	v_cndmask_b32_e64 v28, v28, v32, s[46:47]
	v_cndmask_b32_e64 v12, v12, v5, s[46:47]
	v_cndmask_b32_e64 v27, v27, v32, s[48:49]
	v_cndmask_b32_e64 v11, v11, v5, s[48:49]
	v_cndmask_b32_e64 v26, v26, v32, s[50:51]
	v_cndmask_b32_e64 v10, v10, v5, s[50:51]
	v_cndmask_b32_e64 v25, v25, v32, s[52:53]
	v_cndmask_b32_e64 v9, v9, v5, s[52:53]
	v_cndmask_b32_e64 v24, v24, v32, s[54:55]
	v_cndmask_b32_e64 v8, v8, v5, s[54:55]
	v_cndmask_b32_e64 v23, v23, v32, s[56:57]
	v_cndmask_b32_e64 v7, v7, v5, s[56:57]
	v_cndmask_b32_e64 v22, v22, v32, s[58:59]
	v_cndmask_b32_e64 v6, v6, v5, s[58:59]
	v_cndmask_b32_e64 v21, v21, v32, s[62:63]
	v_cndmask_b32_e64 v55, v55, v5, s[62:63]
	v_cndmask_b32_e64 v20, v20, v32, s[64:65]
	v_cndmask_b32_e64 v57, v57, v5, s[64:65]
	v_cndmask_b32_e64 v19, v19, v32, s[66:67]
	v_cndmask_b32_e64 v3, v3, v5, s[66:67]
	v_cndmask_b32_e64 v18, v18, v32, s[60:61]
	v_cndmask_b32_e64 v2, v2, v5, s[60:61]
	v_cndmask_b32_e64 v32, v16, v4, s[26:27]
	v_cndmask_b32_e64 v5, v0, v1, s[26:27]
	v_cndmask_b32_e64 v54, v54, v44, s[28:29]
	v_cmp_eq_u32_e64 s[40:41], 5, v71
	v_cndmask_b32_e64 v32, v32, v18, s[36:37]
	v_cndmask_b32_e64 v5, v5, v2, s[36:37]
	v_cndmask_b32_e64 v54, v54, v43, s[40:41]
	v_cmp_eq_u32_e64 s[48:49], 6, v71
	v_cndmask_b32_e64 v32, v32, v19, s[34:35]
	v_cndmask_b32_e64 v5, v5, v3, s[34:35]
	v_cndmask_b32_e64 v54, v54, v42, s[48:49]
	;; [unrolled: 4-line block ×11, first 2 shown]
	v_cndmask_b32_e64 v32, v32, v29, s[12:13]
	v_cndmask_b32_e64 v5, v5, v13, s[12:13]
	ds_bpermute_b32 v54, v82, v54
	v_cndmask_b32_e64 v32, v32, v30, s[10:11]
	v_cndmask_b32_e64 v5, v5, v14, s[10:11]
	;; [unrolled: 1-line block ×4, first 2 shown]
	ds_bpermute_b32 v32, v82, v32
	ds_bpermute_b32 v5, v82, v5
	v_cmp_eq_u32_e64 s[60:61], 0, v71
	s_waitcnt lgkmcnt(2)
	v_cndmask_b32_e64 v47, v47, v54, s[8:9]
	v_cmp_eq_u32_e32 vcc, 1, v72
	v_cndmask_b32_e64 v17, v17, v54, s[60:61]
	v_cndmask_b32_e64 v33, v33, v54, s[88:89]
	;; [unrolled: 1-line block ×15, first 2 shown]
	v_cndmask_b32_e32 v54, v17, v47, vcc
	v_cmp_eq_u32_e64 s[6:7], 2, v72
	s_waitcnt lgkmcnt(1)
	v_cndmask_b32_e64 v30, v30, v32, s[10:11]
	s_waitcnt lgkmcnt(0)
	v_cndmask_b32_e64 v14, v14, v5, s[10:11]
	v_cndmask_b32_e64 v54, v54, v46, s[6:7]
	v_cmp_eq_u32_e64 s[10:11], 3, v72
	v_cndmask_b32_e64 v29, v29, v32, s[12:13]
	v_cndmask_b32_e64 v13, v13, v5, s[12:13]
	;; [unrolled: 1-line block ×3, first 2 shown]
	v_cmp_eq_u32_e64 s[12:13], 4, v72
	v_cmp_eq_u32_e64 s[42:43], 5, v72
	;; [unrolled: 1-line block ×3, first 2 shown]
	v_cndmask_b32_e64 v54, v54, v44, s[12:13]
	v_cndmask_b32_e64 v54, v54, v43, s[42:43]
	;; [unrolled: 1-line block ×7, first 2 shown]
	v_cmp_eq_u32_e64 s[52:53], 7, v72
	v_cndmask_b32_e64 v9, v9, v5, s[72:73]
	v_cndmask_b32_e64 v8, v8, v5, s[20:21]
	;; [unrolled: 1-line block ×11, first 2 shown]
	v_cmp_eq_u32_e64 s[54:55], 8, v72
	v_cndmask_b32_e64 v0, v5, v58, s[8:9]
	v_cndmask_b32_e64 v31, v31, v32, s[86:87]
	;; [unrolled: 1-line block ×8, first 2 shown]
	v_cmp_eq_u32_e64 s[56:57], 9, v72
	v_cndmask_b32_e64 v23, v23, v32, s[22:23]
	v_cndmask_b32_e64 v22, v22, v32, s[24:25]
	v_cndmask_b32_e64 v21, v21, v32, s[38:39]
	v_cndmask_b32_e64 v20, v20, v32, s[30:31]
	v_cndmask_b32_e64 v19, v19, v32, s[34:35]
	v_cndmask_b32_e64 v18, v18, v32, s[36:37]
	v_cndmask_b32_e64 v4, v4, v32, s[26:27]
	v_cndmask_b32_e64 v32, v16, v32, s[16:17]
	v_cndmask_b32_e64 v0, v0, v2, s[14:15]
	v_cndmask_b32_e64 v54, v54, v39, s[56:57]
	v_cmp_eq_u32_e64 s[62:63], 10, v72
	v_cndmask_b32_e64 v1, v32, v4, s[8:9]
	v_cndmask_b32_e64 v0, v0, v3, s[18:19]
	v_cndmask_b32_e64 v54, v54, v38, s[62:63]
	v_cmp_eq_u32_e64 s[66:67], 11, v72
	v_cndmask_b32_e64 v1, v1, v18, s[14:15]
	v_cndmask_b32_e64 v0, v0, v57, s[28:29]
	v_cndmask_b32_e64 v54, v54, v37, s[66:67]
	;; [unrolled: 4-line block ×6, first 2 shown]
	v_cndmask_b32_e64 v1, v1, v23, s[46:47]
	v_cndmask_b32_e64 v0, v0, v9, s[68:69]
	ds_bpermute_b32 v54, v82, v54
	v_cndmask_b32_e64 v1, v1, v24, s[44:45]
	v_cndmask_b32_e64 v0, v0, v10, s[76:77]
	;; [unrolled: 1-line block ×10, first 2 shown]
	v_cmp_eq_u32_e64 s[34:35], 0, v72
	s_waitcnt lgkmcnt(0)
	v_cndmask_b32_e32 v47, v47, v54, vcc
	v_cndmask_b32_e64 v1, v1, v29, s[64:65]
	v_cndmask_b32_e64 v0, v0, v15, s[88:89]
	;; [unrolled: 1-line block ×3, first 2 shown]
	v_cmp_eq_u32_e64 s[16:17], 1, v73
	v_cndmask_b32_e64 v46, v46, v54, s[6:7]
	v_cndmask_b32_e64 v1, v1, v30, s[84:85]
	ds_bpermute_b32 v60, v82, v0
	v_cndmask_b32_e64 v0, v17, v47, s[16:17]
	v_cmp_eq_u32_e64 s[20:21], 2, v73
	v_cndmask_b32_e64 v45, v45, v54, s[10:11]
	v_cndmask_b32_e64 v1, v1, v31, s[88:89]
	;; [unrolled: 1-line block ×3, first 2 shown]
	v_cmp_eq_u32_e64 s[22:23], 3, v73
	v_cndmask_b32_e64 v44, v44, v54, s[12:13]
	ds_bpermute_b32 v59, v82, v1
	v_cndmask_b32_e64 v0, v0, v45, s[22:23]
	v_cmp_eq_u32_e64 s[24:25], 4, v73
	v_cndmask_b32_e64 v43, v43, v54, s[42:43]
	v_cmp_eq_u32_e64 s[26:27], 5, v73
	v_cndmask_b32_e64 v0, v0, v44, s[24:25]
	v_cndmask_b32_e64 v42, v42, v54, s[50:51]
	;; [unrolled: 1-line block ×3, first 2 shown]
	v_cmp_eq_u32_e64 s[30:31], 6, v73
	v_cndmask_b32_e64 v41, v41, v54, s[52:53]
	v_cmp_eq_u32_e64 s[36:37], 7, v73
	v_cndmask_b32_e64 v0, v0, v42, s[30:31]
	v_cndmask_b32_e64 v40, v40, v54, s[54:55]
	;; [unrolled: 1-line block ×3, first 2 shown]
	v_cmp_eq_u32_e64 s[38:39], 8, v73
	v_cndmask_b32_e64 v39, v39, v54, s[56:57]
	s_waitcnt lgkmcnt(0)
	v_cndmask_b32_e64 v24, v24, v59, s[44:45]
	v_cndmask_b32_e64 v0, v0, v40, s[38:39]
	v_cndmask_b32_e64 v8, v8, v60, s[44:45]
	v_cmp_eq_u32_e64 s[44:45], 9, v73
	v_cndmask_b32_e64 v38, v38, v54, s[62:63]
	v_cndmask_b32_e64 v23, v23, v59, s[46:47]
	v_cndmask_b32_e64 v0, v0, v39, s[44:45]
	v_cndmask_b32_e64 v7, v7, v60, s[46:47]
	v_cmp_eq_u32_e64 s[46:47], 10, v73
	v_cndmask_b32_e64 v37, v37, v54, s[66:67]
	v_cndmask_b32_e64 v22, v22, v59, s[48:49]
	v_cndmask_b32_e64 v0, v0, v38, s[46:47]
	v_cndmask_b32_e64 v6, v6, v60, s[48:49]
	v_cmp_eq_u32_e64 s[48:49], 11, v73
	v_cndmask_b32_e64 v33, v33, v54, s[78:79]
	v_cndmask_b32_e64 v34, v34, v54, s[74:75]
	v_cndmask_b32_e64 v35, v35, v54, s[72:73]
	;; [unrolled: 1-line block ×6, first 2 shown]
	v_cmp_eq_u32_e64 s[40:41], 12, v73
	v_cndmask_b32_e64 v20, v20, v59, s[28:29]
	v_cndmask_b32_e64 v55, v57, v60, s[28:29]
	v_cndmask_b32_e64 v0, v0, v36, s[40:41]
	v_cmp_eq_u32_e64 s[28:29], 13, v73
	v_cndmask_b32_e64 v27, v27, v59, s[58:59]
	v_cndmask_b32_e64 v11, v11, v60, s[58:59]
	v_cndmask_b32_e64 v0, v0, v35, s[28:29]
	;; [unrolled: 4-line block ×4, first 2 shown]
	ds_bpermute_b32 v57, v82, v0
	v_cndmask_b32_e64 v32, v32, v59, s[60:61]
	v_cndmask_b32_e64 v18, v18, v59, s[14:15]
	;; [unrolled: 1-line block ×4, first 2 shown]
	s_waitcnt lgkmcnt(0)
	v_cndmask_b32_e64 v1, v43, v57, s[26:27]
	v_cndmask_b32_e64 v3, v45, v57, s[22:23]
	;; [unrolled: 1-line block ×5, first 2 shown]
	v_cndmask_b32_e32 v44, v32, v4, vcc
	v_cndmask_b32_e32 v5, v45, v43, vcc
	v_cndmask_b32_e64 v44, v44, v18, s[6:7]
	v_cndmask_b32_e64 v5, v5, v84, s[6:7]
	;; [unrolled: 1-line block ×38, first 2 shown]
	v_cmp_eq_u32_e64 s[76:77], 0, v73
	v_cndmask_b32_e64 v16, v46, v57, s[20:21]
	v_cndmask_b32_e64 v0, v47, v57, s[16:17]
	ds_bpermute_b32 v44, v82, v44
	ds_bpermute_b32 v46, v82, v5
	v_cndmask_b32_e64 v47, v17, v57, s[76:77]
	v_cmp_eq_u32_e64 s[8:9], 1, v74
	v_cmp_eq_u32_e64 s[14:15], 2, v74
	;; [unrolled: 1-line block ×3, first 2 shown]
	v_cndmask_b32_e64 v5, v47, v0, s[8:9]
	v_cndmask_b32_e64 v5, v5, v16, s[14:15]
	;; [unrolled: 1-line block ×3, first 2 shown]
	v_cmp_eq_u32_e64 s[60:61], 4, v74
	v_cmp_eq_u32_e64 s[68:69], 5, v74
	v_cndmask_b32_e64 v42, v42, v57, s[30:31]
	v_cndmask_b32_e64 v5, v5, v2, s[60:61]
	v_cndmask_b32_e64 v5, v5, v1, s[68:69]
	s_waitcnt lgkmcnt(1)
	v_cndmask_b32_e64 v27, v27, v44, s[66:67]
	s_waitcnt lgkmcnt(0)
	v_cndmask_b32_e64 v60, v11, v46, s[66:67]
	v_cmp_eq_u32_e64 s[66:67], 6, v74
	v_cndmask_b32_e32 v91, v4, v44, vcc
	v_cndmask_b32_e64 v32, v32, v44, s[34:35]
	v_cndmask_b32_e64 v41, v41, v57, s[36:37]
	v_cndmask_b32_e64 v5, v5, v42, s[66:67]
	v_cndmask_b32_e64 v26, v26, v44, s[62:63]
	v_cndmask_b32_e64 v85, v10, v46, s[62:63]
	v_cmp_eq_u32_e64 s[62:63], 7, v74
	v_cndmask_b32_e64 v18, v18, v44, s[6:7]
	v_cndmask_b32_e64 v4, v32, v91, s[16:17]
	v_cndmask_b32_e64 v40, v40, v57, s[38:39]
	v_cndmask_b32_e64 v5, v5, v41, s[62:63]
	v_cndmask_b32_e64 v25, v25, v44, s[56:57]
	v_cndmask_b32_e64 v86, v9, v46, s[56:57]
	v_cmp_eq_u32_e64 s[56:57], 8, v74
	v_cndmask_b32_e64 v19, v19, v44, s[10:11]
	;; [unrolled: 7-line block ×5, first 2 shown]
	v_cndmask_b32_e64 v36, v36, v57, s[40:41]
	v_cndmask_b32_e64 v5, v5, v37, s[50:51]
	v_cndmask_b32_e64 v54, v54, v46, s[42:43]
	v_cmp_eq_u32_e64 s[42:43], 12, v74
	v_cndmask_b32_e64 v4, v4, v22, s[30:31]
	v_cndmask_b32_e64 v35, v35, v57, s[28:29]
	v_cndmask_b32_e64 v5, v5, v36, s[42:43]
	v_cndmask_b32_e64 v55, v55, v46, s[12:13]
	v_cmp_eq_u32_e64 s[12:13], 13, v74
	v_cndmask_b32_e64 v4, v4, v23, s[36:37]
	;; [unrolled: 5-line block ×4, first 2 shown]
	v_cndmask_b32_e64 v4, v4, v26, s[46:47]
	v_cndmask_b32_e64 v5, v5, v33, s[6:7]
	;; [unrolled: 1-line block ×3, first 2 shown]
	ds_bpermute_b32 v90, v82, v5
	v_cndmask_b32_e64 v4, v4, v27, s[48:49]
	v_cndmask_b32_e64 v29, v29, v44, s[72:73]
	;; [unrolled: 1-line block ×9, first 2 shown]
	s_waitcnt lgkmcnt(0)
	v_cndmask_b32_e64 v15, v33, v90, s[6:7]
	ds_bpermute_b32 v33, v82, v4
	v_cndmask_b32_e64 v57, v14, v46, s[74:75]
	v_cndmask_b32_e64 v14, v34, v90, s[10:11]
	;; [unrolled: 1-line block ×4, first 2 shown]
	s_waitcnt lgkmcnt(0)
	v_cndmask_b32_e64 v34, v91, v33, s[16:17]
	v_cndmask_b32_e64 v32, v32, v33, s[76:77]
	;; [unrolled: 1-line block ×32, first 2 shown]
	ds_bpermute_b32 v33, v82, v1
	v_cndmask_b32_e64 v58, v13, v46, s[72:73]
	v_cndmask_b32_e32 v43, v43, v46, vcc
	v_cndmask_b32_e64 v13, v35, v90, s[12:13]
	v_cndmask_b32_e64 v35, v45, v46, s[34:35]
	s_waitcnt lgkmcnt(0)
	v_cndmask_b32_e64 v31, v16, v33, s[6:7]
	v_cndmask_b32_e64 v16, v35, v43, s[16:17]
	;; [unrolled: 1-line block ×17, first 2 shown]
	ds_bpermute_b32 v16, v82, v16
	v_cndmask_b32_e64 v11, v37, v90, s[50:51]
	v_cndmask_b32_e64 v7, v41, v90, s[62:63]
	;; [unrolled: 1-line block ×4, first 2 shown]
	s_waitcnt lgkmcnt(0)
	v_cndmask_b32_e64 v37, v57, v16, s[58:59]
	v_cndmask_b32_e64 v41, v85, v16, s[46:47]
	v_cndmask_b32_e64 v57, v86, v16, s[44:45]
	v_cndmask_b32_e64 v85, v43, v16, s[16:17]
	v_cndmask_b32_e64 v86, v35, v16, s[76:77]
	v_cndmask_b32_e64 v9, v39, v90, s[54:55]
	v_cndmask_b32_e64 v8, v40, v90, s[56:57]
	v_cndmask_b32_e64 v36, v17, v16, s[64:65]
	v_cndmask_b32_e64 v38, v58, v16, s[28:29]
	v_cndmask_b32_e64 v39, v59, v16, s[40:41]
	v_cndmask_b32_e64 v40, v60, v16, s[48:49]
	v_cndmask_b32_e64 v58, v87, v16, s[38:39]
	v_cndmask_b32_e64 v59, v88, v16, s[36:37]
	v_cndmask_b32_e64 v60, v89, v16, s[30:31]
	v_cndmask_b32_e64 v54, v54, v16, s[26:27]
	v_cndmask_b32_e64 v55, v55, v16, s[24:25]
	v_cndmask_b32_e64 v61, v61, v16, s[22:23]
	v_cndmask_b32_e64 v84, v84, v16, s[20:21]
	v_cndmask_b32_e64 v16, v86, v85, s[8:9]
	v_cndmask_b32_e64 v16, v16, v84, s[14:15]
	v_cndmask_b32_e64 v16, v16, v61, s[18:19]
	v_cndmask_b32_e64 v16, v16, v55, s[60:61]
	v_cndmask_b32_e64 v16, v16, v54, s[68:69]
	v_cndmask_b32_e64 v16, v16, v60, s[66:67]
	v_cndmask_b32_e64 v16, v16, v59, s[62:63]
	v_cndmask_b32_e64 v16, v16, v58, s[56:57]
	v_cndmask_b32_e64 v16, v16, v57, s[54:55]
	v_cndmask_b32_e64 v16, v16, v41, s[52:53]
	v_cndmask_b32_e64 v16, v16, v40, s[50:51]
	v_cndmask_b32_e64 v16, v16, v39, s[42:43]
	v_cndmask_b32_e64 v16, v16, v38, s[12:13]
	v_cndmask_b32_e64 v16, v16, v37, s[10:11]
	v_cndmask_b32_e64 v16, v16, v36, s[6:7]
	ds_bpermute_b32 v87, v82, v16
	v_cmp_eq_u32_e32 vcc, 0, v74
	v_cndmask_b32_e64 v1, v0, v90, s[8:9]
	v_readlane_b32 s24, v93, 10
	v_cndmask_b32_e32 v0, v47, v90, vcc
	s_waitcnt lgkmcnt(0)
	v_cndmask_b32_e64 v47, v36, v87, s[6:7]
	v_readlane_b32 s6, v93, 30
	v_readlane_b32 s7, v93, 31
	;; [unrolled: 1-line block ×4, first 2 shown]
	v_subrev_u32_e32 v83, s4, v83
	s_mov_b32 s1, 0
	v_cndmask_b32_e64 v6, v42, v90, s[66:67]
	v_cndmask_b32_e64 v3, v3, v90, s[18:19]
	v_cndmask_b32_e64 v30, v30, v33, s[10:11]
	v_cndmask_b32_e64 v29, v29, v33, s[12:13]
	v_cndmask_b32_e64 v28, v28, v33, s[42:43]
	v_cndmask_b32_e64 v27, v27, v33, s[50:51]
	v_cndmask_b32_e64 v26, v26, v33, s[52:53]
	v_cndmask_b32_e64 v25, v25, v33, s[54:55]
	v_cndmask_b32_e64 v24, v24, v33, s[56:57]
	v_cndmask_b32_e64 v23, v23, v33, s[62:63]
	v_cndmask_b32_e64 v22, v22, v33, s[66:67]
	v_cndmask_b32_e64 v21, v21, v33, s[68:69]
	v_cndmask_b32_e64 v20, v20, v33, s[60:61]
	v_cndmask_b32_e64 v19, v19, v33, s[18:19]
	v_cndmask_b32_e64 v18, v18, v33, s[14:15]
	v_cndmask_b32_e64 v17, v34, v33, s[8:9]
	v_cndmask_b32_e32 v16, v32, v33, vcc
	v_cndmask_b32_e64 v46, v37, v87, s[10:11]
	v_cndmask_b32_e64 v45, v38, v87, s[12:13]
	;; [unrolled: 1-line block ×14, first 2 shown]
	v_cndmask_b32_e32 v32, v86, v87, vcc
	v_lshl_add_u64 v[54:55], s[6:7], 0, v[48:49]
	s_mov_b64 s[6:7], 0
	s_mov_b32 s16, 0
	v_readlane_b32 s25, v93, 11
	v_readlane_b32 s27, v93, 13
	;; [unrolled: 1-line block ×11, first 2 shown]
	s_mov_b64 s[20:21], 0x80
                                        ; implicit-def: $sgpr8_sgpr9
	s_branch .LBB285_29
.LBB285_27:                             ;   in Loop: Header=BB285_29 Depth=2
	s_or_b64 exec, exec, s[12:13]
	s_andn2_b64 s[8:9], s[8:9], exec
	s_and_b64 s[12:13], s[14:15], exec
	s_or_b64 s[8:9], s[8:9], s[12:13]
.LBB285_28:                             ;   in Loop: Header=BB285_29 Depth=2
	s_or_b64 exec, exec, s[10:11]
	s_and_b64 s[10:11], exec, s[8:9]
	s_or_b64 s[6:7], s[10:11], s[6:7]
	s_andn2_b64 exec, exec, s[6:7]
	s_cbranch_execz .LBB285_32
.LBB285_29:                             ;   Parent Loop BB285_7 Depth=1
                                        ; =>  This Inner Loop Header: Depth=2
	s_and_b32 s12, s1, 24
	v_or_b32_e32 v57, s12, v80
	v_add_u32_e32 v58, s5, v57
	v_cmp_gt_u32_e32 vcc, 32, v58
	s_or_b64 s[8:9], s[8:9], exec
	s_and_saveexec_b64 s[10:11], vcc
	s_cbranch_execz .LBB285_28
; %bb.30:                               ;   in Loop: Header=BB285_29 Depth=2
	s_add_i32 s13, s16, 1
	s_set_gpr_idx_on s16, gpr_idx(SRC0)
	v_mov_b32_e32 v58, v0
	s_set_gpr_idx_off
	v_cvt_f16_f32_e32 v60, v58
	s_set_gpr_idx_on s13, gpr_idx(SRC0)
	v_mov_b32_e32 v58, v0
	s_set_gpr_idx_off
	v_cvt_f16_f32_sdwa v61, v58 dst_sel:WORD_1 dst_unused:UNUSED_PAD src0_sel:DWORD
	v_mul_lo_u32 v58, v57, s93
	v_ashrrev_i32_e32 v59, 31, v58
	v_lshl_add_u64 v[58:59], v[58:59], 1, v[54:55]
	v_or_b32_e32 v57, v61, v60
	;;#ASMSTART
	global_atomic_pk_add_f16 v[58:59], v57, off
	
	;;#ASMEND
	s_set_gpr_idx_on s16, gpr_idx(SRC0)
	v_mov_b32_e32 v57, v16
	s_set_gpr_idx_off
	v_cvt_f16_f32_e32 v57, v57
	s_set_gpr_idx_on s13, gpr_idx(SRC0)
	v_mov_b32_e32 v60, v16
	s_set_gpr_idx_off
	v_cvt_f16_f32_sdwa v84, v60 dst_sel:WORD_1 dst_unused:UNUSED_PAD src0_sel:DWORD
	v_lshl_add_u64 v[60:61], v[58:59], 0, 64
	v_lshl_add_u64 v[58:59], v[58:59], 0, s[20:21]
	s_mov_b64 s[14:15], -1
	v_or_b32_e32 v57, v84, v57
	;;#ASMSTART
	global_atomic_pk_add_f16 v[60:61], v57, off
	
	;;#ASMEND
	s_set_gpr_idx_on s16, gpr_idx(SRC0)
	v_mov_b32_e32 v57, v32
	s_set_gpr_idx_off
	v_cvt_f16_f32_e32 v57, v57
	s_set_gpr_idx_on s13, gpr_idx(SRC0)
	v_mov_b32_e32 v60, v32
	s_set_gpr_idx_off
	v_cvt_f16_f32_sdwa v60, v60 dst_sel:WORD_1 dst_unused:UNUSED_PAD src0_sel:DWORD
	s_nop 0
	v_or_b32_e32 v57, v60, v57
	;;#ASMSTART
	global_atomic_pk_add_f16 v[58:59], v57, off
	
	;;#ASMEND
	v_or_b32_e32 v57, s12, v81
	v_add_u32_e32 v58, s5, v57
	v_cmp_gt_u32_e32 vcc, 32, v58
	s_and_saveexec_b64 s[12:13], vcc
	s_cbranch_execz .LBB285_27
; %bb.31:                               ;   in Loop: Header=BB285_29 Depth=2
	s_add_i32 s14, s16, 2
	s_add_i32 s15, s16, 3
	s_set_gpr_idx_on s14, gpr_idx(SRC0)
	v_mov_b32_e32 v58, v0
	s_set_gpr_idx_off
	v_cvt_f16_f32_e32 v60, v58
	s_set_gpr_idx_on s15, gpr_idx(SRC0)
	v_mov_b32_e32 v58, v0
	s_set_gpr_idx_off
	v_cvt_f16_f32_sdwa v61, v58 dst_sel:WORD_1 dst_unused:UNUSED_PAD src0_sel:DWORD
	v_mul_lo_u32 v58, v57, s93
	v_ashrrev_i32_e32 v59, 31, v58
	v_lshl_add_u64 v[58:59], v[58:59], 1, v[54:55]
	v_or_b32_e32 v57, v61, v60
	;;#ASMSTART
	global_atomic_pk_add_f16 v[58:59], v57, off
	
	;;#ASMEND
	s_set_gpr_idx_on s14, gpr_idx(SRC0)
	v_mov_b32_e32 v57, v16
	s_set_gpr_idx_off
	v_cvt_f16_f32_e32 v57, v57
	s_set_gpr_idx_on s15, gpr_idx(SRC0)
	v_mov_b32_e32 v60, v16
	s_set_gpr_idx_off
	v_cvt_f16_f32_sdwa v84, v60 dst_sel:WORD_1 dst_unused:UNUSED_PAD src0_sel:DWORD
	v_lshl_add_u64 v[60:61], v[58:59], 0, 64
	s_add_i32 s16, s16, 4
	s_add_i32 s1, s1, 8
	v_or_b32_e32 v57, v84, v57
	;;#ASMSTART
	global_atomic_pk_add_f16 v[60:61], v57, off
	
	;;#ASMEND
	s_set_gpr_idx_on s14, gpr_idx(SRC0)
	v_mov_b32_e32 v57, v32
	s_set_gpr_idx_off
	v_cvt_f16_f32_e32 v57, v57
	s_set_gpr_idx_on s15, gpr_idx(SRC0)
	v_mov_b32_e32 v60, v32
	s_set_gpr_idx_off
	v_cvt_f16_f32_sdwa v60, v60 dst_sel:WORD_1 dst_unused:UNUSED_PAD src0_sel:DWORD
	s_cmp_eq_u32 s16, 16
	s_cselect_b64 s[14:15], -1, 0
	s_orn2_b64 s[14:15], s[14:15], exec
	v_lshl_add_u64 v[58:59], v[58:59], 0, s[20:21]
	v_or_b32_e32 v57, v60, v57
	;;#ASMSTART
	global_atomic_pk_add_f16 v[58:59], v57, off
	
	;;#ASMEND
	s_branch .LBB285_27
.LBB285_32:                             ;   in Loop: Header=BB285_7 Depth=1
	s_or_b64 exec, exec, s[6:7]
	v_readlane_b32 s16, v93, 2
	v_readlane_b32 s14, v93, 0
	;; [unrolled: 1-line block ×11, first 2 shown]
.LBB285_33:                             ;   in Loop: Header=BB285_7 Depth=1
	v_readlane_b32 s6, v93, 27
	v_readlane_b32 s7, v93, 28
	s_or_b64 exec, exec, s[6:7]
.LBB285_34:                             ;   in Loop: Header=BB285_7 Depth=1
	s_or_saveexec_b64 s[2:3], s[2:3]
	v_readlane_b32 s13, v93, 26
	s_xor_b64 exec, exec, s[2:3]
	s_cbranch_execz .LBB285_43
; %bb.35:                               ;   in Loop: Header=BB285_7 Depth=1
	s_mul_i32 s12, s4, 3
	v_cmp_gt_i32_e32 vcc, s12, v83
	s_and_saveexec_b64 s[6:7], vcc
	s_cbranch_execz .LBB285_42
; %bb.36:                               ;   in Loop: Header=BB285_7 Depth=1
	s_mul_i32 s0, s0, s95
	s_ashr_i32 s1, s0, 31
	s_add_u32 s0, s18, s0
	s_addc_u32 s1, s19, s1
	s_ashr_i32 s8, s13, 31
	s_add_u32 s0, s0, s13
	s_addc_u32 s1, s1, s8
	v_lshl_add_u64 v[0:1], s[0:1], 0, v[52:53]
	v_lshl_add_u64 v[8:9], v[0:1], 0, v[50:51]
	s_mov_b64 s[0:1], 0
	s_branch .LBB285_38
.LBB285_37:                             ;   in Loop: Header=BB285_38 Depth=2
	s_or_b64 exec, exec, s[8:9]
	v_lshl_add_u32 v12, v10, 11, v77
	;;#ASMSTART
	s_waitcnt vmcnt(1)
	;;#ASMEND
	ds_write2_b32 v12, v4, v5 offset1:32
	ds_write2_b32 v12, v6, v7 offset0:64 offset1:96
	v_add_u32_e32 v4, 0x400, v12
	v_add_u32_e32 v83, s98, v83
	;;#ASMSTART
	s_waitcnt vmcnt(0)
	;;#ASMEND
	ds_write2_b32 v4, v0, v1 offset1:32
	ds_write2_b32 v4, v2, v3 offset0:64 offset1:96
	v_add_u32_e32 v0, 1, v63
	v_add_u32_e32 v56, s98, v10
	v_cmp_le_i32_e32 vcc, s12, v83
	ds_write_b32 v11, v0 offset:60
	v_add_u32_e32 v0, 2, v63
	s_or_b64 s[0:1], vcc, s[0:1]
	v_cmp_lt_i32_e32 vcc, 14, v56
	s_nop 1
	v_cndmask_b32_e32 v63, v63, v0, vcc
	s_andn2_b64 exec, exec, s[0:1]
	s_cbranch_execz .LBB285_41
.LBB285_38:                             ;   Parent Loop BB285_7 Depth=1
                                        ; =>  This Loop Header: Depth=2
                                        ;       Child Loop BB285_40 Depth 3
	v_cmp_gt_i32_e32 vcc, 15, v56
	s_nop 1
	v_cndmask_b32_e64 v0, -15, 0, vcc
	v_add_u32_e32 v10, v0, v56
	v_mul_hi_i32 v0, v83, s91
	v_lshrrev_b32_e32 v1, 31, v0
	v_add_u32_e32 v0, v0, v1
	v_lshl_add_u32 v1, v0, 1, v0
	v_sub_u32_e32 v2, v83, v1
	v_lshlrev_b32_e32 v0, 6, v0
	v_ashrrev_i32_e32 v1, 31, v0
	v_mul_lo_u32 v2, s31, v2
	v_lshl_add_u64 v[0:1], v[8:9], 0, v[0:1]
	v_ashrrev_i32_e32 v3, 31, v2
	v_lshl_add_u64 v[0:1], v[0:1], 0, v[2:3]
	v_lshlrev_b32_e32 v11, 2, v10
	;;#ASMSTART
	global_load_dwordx4 v[4:7], v[0:1], off offset:0   sc0 sc1 nt  
	global_load_dwordx4 v[0:3], v[0:1], off offset:32  sc0 sc1 nt  
	
	;;#ASMEND
	ds_read_b32 v12, v11 offset:61500
	v_add_u32_e32 v11, 0xf000, v11
	s_waitcnt lgkmcnt(0)
	v_cmp_ne_u32_e32 vcc, v12, v63
	s_and_saveexec_b64 s[8:9], vcc
	s_cbranch_execz .LBB285_37
; %bb.39:                               ;   in Loop: Header=BB285_38 Depth=2
	s_mov_b64 s[10:11], 0
.LBB285_40:                             ;   Parent Loop BB285_7 Depth=1
                                        ;     Parent Loop BB285_38 Depth=2
                                        ; =>    This Inner Loop Header: Depth=3
	;;#ASMSTART
	s_sleep 0
	;;#ASMEND
	ds_read_b32 v12, v11 offset:60
	s_waitcnt lgkmcnt(0)
	v_cmp_eq_u32_e32 vcc, v12, v63
	s_or_b64 s[10:11], vcc, s[10:11]
	s_andn2_b64 exec, exec, s[10:11]
	s_cbranch_execnz .LBB285_40
	s_branch .LBB285_37
.LBB285_41:                             ;   in Loop: Header=BB285_7 Depth=1
	s_or_b64 exec, exec, s[0:1]
.LBB285_42:                             ;   in Loop: Header=BB285_7 Depth=1
	s_or_b64 exec, exec, s[6:7]
	v_subrev_u32_e32 v83, s12, v83
.LBB285_43:                             ;   in Loop: Header=BB285_7 Depth=1
	s_or_b64 exec, exec, s[2:3]
.LBB285_44:                             ;   in Loop: Header=BB285_7 Depth=1
	v_readlane_b32 s0, v93, 24
	v_readlane_b32 s1, v93, 25
	s_andn2_saveexec_b64 s[0:1], s[0:1]
	s_cbranch_execz .LBB285_6
; %bb.45:                               ;   in Loop: Header=BB285_7 Depth=1
	s_mul_i32 s10, s4, 3
	v_cmp_gt_i32_e32 vcc, s10, v83
	s_and_saveexec_b64 s[2:3], vcc
	s_cbranch_execz .LBB285_5
; %bb.46:                               ;   in Loop: Header=BB285_7 Depth=1
	s_mul_i32 s4, s40, s94
	s_ashr_i32 s6, s4, 31
	s_add_u32 s4, s16, s4
	s_addc_u32 s7, s17, s6
	s_ashr_i32 s8, s13, 31
	s_add_u32 s6, s4, s13
	v_add_u32_e32 v2, s5, v64
	s_movk_i32 s4, 0x60
	v_cmp_gt_u32_e32 vcc, s4, v2
	s_addc_u32 s7, s7, s8
	v_sub_u32_e32 v10, 0x5f, v2
	v_cndmask_b32_e32 v0, 0, v78, vcc
	v_ashrrev_i32_e32 v1, 31, v0
	v_lshl_add_u64 v[0:1], s[6:7], 0, v[0:1]
	v_lshl_add_u64 v[8:9], v[0:1], 0, v[50:51]
	s_mov_b64 s[4:5], 0
	s_branch .LBB285_48
.LBB285_47:                             ;   in Loop: Header=BB285_48 Depth=2
	s_or_b64 exec, exec, s[6:7]
	v_lshl_or_b32 v13, v11, 11, v79
	;;#ASMSTART
	s_waitcnt vmcnt(1)
	;;#ASMEND
	ds_write2_b32 v13, v4, v5 offset1:32
	ds_write2_b32 v13, v6, v7 offset0:64 offset1:96
	v_add_u32_e32 v4, 0x400, v13
	v_add_u32_e32 v83, s97, v83
	;;#ASMSTART
	s_waitcnt vmcnt(0)
	;;#ASMEND
	ds_write2_b32 v4, v0, v1 offset1:32
	ds_write2_b32 v4, v2, v3 offset0:64 offset1:96
	v_add_u32_e32 v0, 1, v63
	v_add_u32_e32 v56, s97, v11
	v_cmp_le_i32_e32 vcc, s10, v83
	ds_write_b32 v12, v0
	v_add_u32_e32 v0, 2, v63
	s_or_b64 s[4:5], vcc, s[4:5]
	v_cmp_lt_i32_e32 vcc, 14, v56
	s_nop 1
	v_cndmask_b32_e32 v63, v63, v0, vcc
	s_andn2_b64 exec, exec, s[4:5]
	s_cbranch_execz .LBB285_4
.LBB285_48:                             ;   Parent Loop BB285_7 Depth=1
                                        ; =>  This Loop Header: Depth=2
                                        ;       Child Loop BB285_50 Depth 3
	v_cmp_gt_i32_e32 vcc, 15, v56
	s_nop 1
	v_cndmask_b32_e64 v0, -15, 0, vcc
	v_add_u32_e32 v11, v0, v56
	v_mul_hi_i32 v0, v83, s91
	v_lshrrev_b32_e32 v1, 31, v0
	v_add_u32_e32 v0, v0, v1
	v_lshl_add_u32 v1, v0, 1, v0
	v_sub_u32_e32 v1, v83, v1
	v_lshlrev_b32_e32 v1, 5, v1
	v_cmp_le_i32_e32 vcc, v1, v10
	v_lshlrev_b32_e32 v0, 6, v0
	v_lshlrev_b32_e32 v12, 2, v11
	v_cndmask_b32_e32 v2, 0, v1, vcc
	v_ashrrev_i32_e32 v1, 31, v0
	v_mul_lo_u32 v2, v2, s94
	v_lshl_add_u64 v[0:1], v[8:9], 0, v[0:1]
	v_ashrrev_i32_e32 v3, 31, v2
	v_lshl_add_u64 v[0:1], v[0:1], 0, v[2:3]
	;;#ASMSTART
	global_load_dwordx4 v[4:7], v[0:1], off offset:0   
	global_load_dwordx4 v[0:3], v[0:1], off offset:32  
	
	;;#ASMEND
	ds_read_b32 v13, v12 offset:61440
	v_add_u32_e32 v12, 0xf000, v12
	s_waitcnt lgkmcnt(0)
	v_cmp_ne_u32_e32 vcc, v13, v63
	s_and_saveexec_b64 s[6:7], vcc
	s_cbranch_execz .LBB285_47
; %bb.49:                               ;   in Loop: Header=BB285_48 Depth=2
	s_mov_b64 s[8:9], 0
.LBB285_50:                             ;   Parent Loop BB285_7 Depth=1
                                        ;     Parent Loop BB285_48 Depth=2
                                        ; =>    This Inner Loop Header: Depth=3
	;;#ASMSTART
	s_sleep 0
	;;#ASMEND
	ds_read_b32 v13, v12
	s_waitcnt lgkmcnt(0)
	v_cmp_eq_u32_e32 vcc, v13, v63
	s_or_b64 s[8:9], vcc, s[8:9]
	s_andn2_b64 exec, exec, s[8:9]
	s_cbranch_execnz .LBB285_50
	s_branch .LBB285_47
.LBB285_51:
	s_endpgm
	.section	.rodata,"a",@progbits
	.p2align	6, 0x0
	.amdhsa_kernel _Z19_skinny_gemm_kernelILi3ELi3ELi5ELi32ELi4EEvPKhS1_P6__halfPKfiiiiiiii
		.amdhsa_group_segment_fixed_size 61560
		.amdhsa_private_segment_fixed_size 0
		.amdhsa_kernarg_size 64
		.amdhsa_user_sgpr_count 2
		.amdhsa_user_sgpr_dispatch_ptr 0
		.amdhsa_user_sgpr_queue_ptr 0
		.amdhsa_user_sgpr_kernarg_segment_ptr 1
		.amdhsa_user_sgpr_dispatch_id 0
		.amdhsa_user_sgpr_kernarg_preload_length 0
		.amdhsa_user_sgpr_kernarg_preload_offset 0
		.amdhsa_user_sgpr_private_segment_size 0
		.amdhsa_uses_dynamic_stack 0
		.amdhsa_enable_private_segment 0
		.amdhsa_system_sgpr_workgroup_id_x 1
		.amdhsa_system_sgpr_workgroup_id_y 0
		.amdhsa_system_sgpr_workgroup_id_z 0
		.amdhsa_system_sgpr_workgroup_info 0
		.amdhsa_system_vgpr_workitem_id 0
		.amdhsa_next_free_vgpr 94
		.amdhsa_next_free_sgpr 100
		.amdhsa_accum_offset 96
		.amdhsa_reserve_vcc 1
		.amdhsa_float_round_mode_32 0
		.amdhsa_float_round_mode_16_64 0
		.amdhsa_float_denorm_mode_32 3
		.amdhsa_float_denorm_mode_16_64 3
		.amdhsa_dx10_clamp 1
		.amdhsa_ieee_mode 1
		.amdhsa_fp16_overflow 0
		.amdhsa_tg_split 0
		.amdhsa_exception_fp_ieee_invalid_op 0
		.amdhsa_exception_fp_denorm_src 0
		.amdhsa_exception_fp_ieee_div_zero 0
		.amdhsa_exception_fp_ieee_overflow 0
		.amdhsa_exception_fp_ieee_underflow 0
		.amdhsa_exception_fp_ieee_inexact 0
		.amdhsa_exception_int_div_zero 0
	.end_amdhsa_kernel
	.section	.text._Z19_skinny_gemm_kernelILi3ELi3ELi5ELi32ELi4EEvPKhS1_P6__halfPKfiiiiiiii,"axG",@progbits,_Z19_skinny_gemm_kernelILi3ELi3ELi5ELi32ELi4EEvPKhS1_P6__halfPKfiiiiiiii,comdat
.Lfunc_end285:
	.size	_Z19_skinny_gemm_kernelILi3ELi3ELi5ELi32ELi4EEvPKhS1_P6__halfPKfiiiiiiii, .Lfunc_end285-_Z19_skinny_gemm_kernelILi3ELi3ELi5ELi32ELi4EEvPKhS1_P6__halfPKfiiiiiiii
                                        ; -- End function
	.set _Z19_skinny_gemm_kernelILi3ELi3ELi5ELi32ELi4EEvPKhS1_P6__halfPKfiiiiiiii.num_vgpr, 94
	.set _Z19_skinny_gemm_kernelILi3ELi3ELi5ELi32ELi4EEvPKhS1_P6__halfPKfiiiiiiii.num_agpr, 0
	.set _Z19_skinny_gemm_kernelILi3ELi3ELi5ELi32ELi4EEvPKhS1_P6__halfPKfiiiiiiii.numbered_sgpr, 100
	.set _Z19_skinny_gemm_kernelILi3ELi3ELi5ELi32ELi4EEvPKhS1_P6__halfPKfiiiiiiii.num_named_barrier, 0
	.set _Z19_skinny_gemm_kernelILi3ELi3ELi5ELi32ELi4EEvPKhS1_P6__halfPKfiiiiiiii.private_seg_size, 0
	.set _Z19_skinny_gemm_kernelILi3ELi3ELi5ELi32ELi4EEvPKhS1_P6__halfPKfiiiiiiii.uses_vcc, 1
	.set _Z19_skinny_gemm_kernelILi3ELi3ELi5ELi32ELi4EEvPKhS1_P6__halfPKfiiiiiiii.uses_flat_scratch, 0
	.set _Z19_skinny_gemm_kernelILi3ELi3ELi5ELi32ELi4EEvPKhS1_P6__halfPKfiiiiiiii.has_dyn_sized_stack, 0
	.set _Z19_skinny_gemm_kernelILi3ELi3ELi5ELi32ELi4EEvPKhS1_P6__halfPKfiiiiiiii.has_recursion, 0
	.set _Z19_skinny_gemm_kernelILi3ELi3ELi5ELi32ELi4EEvPKhS1_P6__halfPKfiiiiiiii.has_indirect_call, 0
	.section	.AMDGPU.csdata,"",@progbits
; Kernel info:
; codeLenInByte = 11648
; TotalNumSgprs: 106
; NumVgprs: 94
; NumAgprs: 0
; TotalNumVgprs: 94
; ScratchSize: 0
; MemoryBound: 0
; FloatMode: 240
; IeeeMode: 1
; LDSByteSize: 61560 bytes/workgroup (compile time only)
; SGPRBlocks: 13
; VGPRBlocks: 11
; NumSGPRsForWavesPerEU: 106
; NumVGPRsForWavesPerEU: 94
; AccumOffset: 96
; Occupancy: 5
; WaveLimiterHint : 0
; COMPUTE_PGM_RSRC2:SCRATCH_EN: 0
; COMPUTE_PGM_RSRC2:USER_SGPR: 2
; COMPUTE_PGM_RSRC2:TRAP_HANDLER: 0
; COMPUTE_PGM_RSRC2:TGID_X_EN: 1
; COMPUTE_PGM_RSRC2:TGID_Y_EN: 0
; COMPUTE_PGM_RSRC2:TGID_Z_EN: 0
; COMPUTE_PGM_RSRC2:TIDIG_COMP_CNT: 0
; COMPUTE_PGM_RSRC3_GFX90A:ACCUM_OFFSET: 23
; COMPUTE_PGM_RSRC3_GFX90A:TG_SPLIT: 0
	.section	.text._Z19_skinny_gemm_kernelILi3ELi4ELi1ELi16ELi4EEvPKhS1_P6__halfPKfiiiiiiii,"axG",@progbits,_Z19_skinny_gemm_kernelILi3ELi4ELi1ELi16ELi4EEvPKhS1_P6__halfPKfiiiiiiii,comdat
	.protected	_Z19_skinny_gemm_kernelILi3ELi4ELi1ELi16ELi4EEvPKhS1_P6__halfPKfiiiiiiii ; -- Begin function _Z19_skinny_gemm_kernelILi3ELi4ELi1ELi16ELi4EEvPKhS1_P6__halfPKfiiiiiiii
	.globl	_Z19_skinny_gemm_kernelILi3ELi4ELi1ELi16ELi4EEvPKhS1_P6__halfPKfiiiiiiii
	.p2align	8
	.type	_Z19_skinny_gemm_kernelILi3ELi4ELi1ELi16ELi4EEvPKhS1_P6__halfPKfiiiiiiii,@function
_Z19_skinny_gemm_kernelILi3ELi4ELi1ELi16ELi4EEvPKhS1_P6__halfPKfiiiiiiii: ; @_Z19_skinny_gemm_kernelILi3ELi4ELi1ELi16ELi4EEvPKhS1_P6__halfPKfiiiiiiii
; %bb.0:
	v_cmp_gt_u32_e32 vcc, 7, v0
	v_lshlrev_b32_e32 v1, 2, v0
	s_and_saveexec_b64 s[4:5], vcc
; %bb.1:
	v_mov_b32_e32 v2, 0
	ds_write_b32 v1, v2 offset:14336
; %bb.2:
	s_or_b64 exec, exec, s[4:5]
	s_load_dwordx8 s[20:27], s[0:1], 0x20
	s_waitcnt lgkmcnt(0)
	s_barrier
	s_add_i32 s3, s20, 47
	s_add_i32 s4, s21, 63
	s_mul_hi_i32 s3, s3, 0x2aaaaaab
	s_lshr_b32 s5, s3, 31
	s_ashr_i32 s33, s3, 3
	s_ashr_i32 s3, s4, 31
	s_lshr_b32 s3, s3, 26
	s_add_i32 s4, s4, s3
	s_add_i32 s33, s33, s5
	s_ashr_i32 s52, s4, 6
	s_mul_i32 s3, s52, s33
	s_mul_i32 s3, s3, s24
	s_add_i32 s4, s3, 0x12f
	s_mul_hi_i32 s4, s4, 0x6bca1af3
	s_lshr_b32 s5, s4, 31
	s_ashr_i32 s4, s4, 7
	s_add_i32 s4, s4, s5
	s_add_i32 s5, s2, 1
	s_mul_i32 s5, s4, s5
	v_cvt_f64_i32_e32 v[2:3], s3
	v_cvt_f64_u32_e32 v[4:5], s5
	v_min_f64 v[2:3], v[2:3], v[4:5]
	v_cvt_i32_f64_e32 v49, v[2:3]
	s_mul_i32 s53, s4, s2
	v_cmp_ge_i32_e32 vcc, s53, v49
	s_cbranch_vccnz .LBB286_61
; %bb.3:
	v_lshrrev_b32_e32 v2, 6, v0
	s_add_i32 s4, s26, s25
	s_load_dwordx8 s[36:43], s[0:1], 0x0
	v_cmp_le_i32_e64 s[0:1], s4, v2
	v_mov_b32_e32 v3, s25
	v_cmp_le_i32_e64 s[2:3], s25, v2
	v_mov_b32_e32 v4, s26
	v_cndmask_b32_e64 v4, 0, v4, s[0:1]
	v_cndmask_b32_e64 v3, 0, v3, s[2:3]
	s_abs_i32 s5, s24
	v_add_u32_e32 v3, v3, v4
	v_cvt_f32_u32_e32 v4, s5
	v_sub_u32_e32 v62, v2, v3
	s_ashr_i32 s6, s22, 31
	s_lshr_b32 s6, s6, 25
	v_rcp_iflag_f32_e32 v3, v4
	s_sub_i32 s9, 0, s5
	s_add_i32 s6, s22, s6
	s_ashr_i32 s6, s6, 7
	v_mul_f32_e32 v3, 0x4f7ffffe, v3
	v_cvt_u32_f32_e32 v3, v3
	s_abs_i32 s8, s6
	s_xor_b32 s7, s6, s24
	s_ashr_i32 s7, s7, 31
	v_readfirstlane_b32 s10, v3
	s_mul_i32 s9, s9, s10
	s_mul_hi_u32 s9, s10, s9
	s_add_i32 s10, s10, s9
	s_mul_hi_u32 s9, s8, s10
	s_mul_i32 s10, s9, s5
	s_sub_i32 s8, s8, s10
	s_add_i32 s10, s9, 1
	s_sub_i32 s11, s8, s5
	s_cmp_ge_u32 s8, s5
	s_cselect_b32 s9, s10, s9
	s_cselect_b32 s8, s11, s8
	s_add_i32 s10, s9, 1
	s_cmp_ge_u32 s8, s5
	s_cselect_b32 s5, s10, s9
	s_xor_b32 s5, s5, s7
	s_sub_i32 s54, s5, s7
	s_add_i32 s24, s24, -1
	s_mul_i32 s5, s54, s24
	s_add_i32 s4, s4, s27
	s_sub_i32 s55, s6, s5
	v_cmp_gt_i32_e64 s[4:5], s4, v2
	v_lshlrev_b32_e32 v2, 1, v0
	v_lshlrev_b32_e32 v3, 4, v0
	v_and_b32_e32 v1, 60, v1
	v_and_b32_e32 v2, 64, v2
	;; [unrolled: 1-line block ×3, first 2 shown]
	v_or3_b32 v91, v1, v2, v4
	v_and_b32_e32 v1, 1, v0
	v_lshrrev_b32_e32 v4, 2, v0
	s_abs_i32 s56, s33
	v_and_or_b32 v98, v4, 12, v1
	v_cvt_f32_u32_e32 v4, s56
	v_lshlrev_b32_e32 v2, 1, v1
	v_and_b32_e32 v48, 14, v0
	v_sub_u32_e32 v2, v0, v2
	v_bitop3_b32 v93, v0, 1, v0 bitop3:0xc
	v_bitop3_b32 v94, v0, 3, 1 bitop3:0x6c
	v_and_b32_e32 v56, 48, v3
	v_bfe_u32 v101, v0, 2, 4
	v_and_b32_e32 v1, 60, v0
	v_lshlrev_b32_e32 v3, 8, v0
	v_lshlrev_b32_e32 v0, 6, v0
	v_and_b32_e32 v3, 0x200, v3
	v_and_b32_e32 v0, 64, v0
	v_or3_b32 v102, v1, v3, v0
	v_rcp_iflag_f32_e32 v0, v4
	s_abs_i32 s58, s52
	v_cvt_f32_u32_e32 v1, s58
	v_mad_u64_u32 v[50:51], s[6:7], s21, v98, v[48:49]
	v_mul_f32_e32 v0, 0x4f7ffffe, v0
	v_cvt_u32_f32_e32 v0, v0
	v_rcp_iflag_f32_e32 v1, v1
	s_lshl_b32 s6, s21, 4
	v_add_u32_e32 v52, s6, v50
	v_readfirstlane_b32 s7, v0
	v_mul_f32_e32 v0, 0x4f7ffffe, v1
	v_cvt_u32_f32_e32 v0, v0
	v_add_u32_e32 v54, s6, v52
	s_sub_i32 s6, 0, s56
	s_mul_i32 s6, s6, s7
	s_mul_hi_u32 s6, s7, s6
	v_add_u32_e32 v2, 1, v2
	s_add_i32 s60, s7, s6
	s_sub_i32 s6, 0, s58
	v_readfirstlane_b32 s7, v0
	v_mbcnt_lo_u32_b32 v0, -1, 0
	v_and_b32_e32 v2, 63, v2
	s_mul_i32 s6, s6, s7
	v_mbcnt_hi_u32_b32 v0, -1, v0
	v_mul_lo_u32 v58, s23, v101
	s_mul_hi_u32 s6, s7, s6
	v_and_or_b32 v0, v0, 64, v2
	v_cndmask_b32_e64 v90, 0, 1, s[0:1]
	v_or_b32_e32 v92, 0x2000, v91
	s_ashr_i32 s29, s21, 31
	s_mov_b32 s28, s21
	v_or_b32_e32 v95, 16, v48
	v_or_b32_e32 v96, 32, v48
	;; [unrolled: 1-line block ×3, first 2 shown]
	v_ashrrev_i32_e32 v51, 31, v50
	v_or_b32_e32 v99, 16, v98
	v_ashrrev_i32_e32 v53, 31, v52
	v_or_b32_e32 v100, 32, v98
	v_ashrrev_i32_e32 v55, 31, v54
	v_ashrrev_i32_e32 v59, 31, v58
	v_mov_b32_e32 v57, 0
	s_lshl_b32 s57, s23, 4
	v_mul_lo_u32 v103, s22, v101
	v_or_b32_e32 v104, 0x2000, v102
	s_ashr_i32 s59, s33, 31
	s_ashr_i32 s61, s52, 31
	s_add_i32 s62, s7, s6
	s_movk_i32 s63, 0x1800
	s_mov_b64 s[30:31], 0x60
	s_mov_b32 s64, 0x55555556
	v_lshlrev_b32_e32 v105, 2, v0
	v_mov_b32_e32 v106, v62
	s_branch .LBB286_7
.LBB286_4:                              ;   in Loop: Header=BB286_7 Depth=1
	s_or_b64 exec, exec, s[10:11]
.LBB286_5:                              ;   in Loop: Header=BB286_7 Depth=1
	s_or_b64 exec, exec, s[8:9]
	v_subrev_u32_e32 v106, s68, v106
.LBB286_6:                              ;   in Loop: Header=BB286_7 Depth=1
	s_or_b64 exec, exec, s[6:7]
	s_add_i32 s53, s53, 1
	v_cmp_ge_i32_e32 vcc, s53, v49
	s_cbranch_vccnz .LBB286_61
.LBB286_7:                              ; =>This Loop Header: Depth=1
                                        ;     Child Loop BB286_13 Depth 2
                                        ;       Child Loop BB286_15 Depth 3
                                        ;       Child Loop BB286_18 Depth 3
	;; [unrolled: 1-line block ×7, first 2 shown]
                                        ;     Child Loop BB286_48 Depth 2
                                        ;       Child Loop BB286_50 Depth 3
                                        ;     Child Loop BB286_58 Depth 2
                                        ;       Child Loop BB286_60 Depth 3
	s_abs_i32 s7, s53
	s_mul_hi_u32 s8, s7, s60
	s_mul_i32 s9, s8, s56
	s_ashr_i32 s6, s53, 31
	s_sub_i32 s7, s7, s9
	s_xor_b32 s6, s6, s59
	s_add_i32 s9, s8, 1
	s_sub_i32 s10, s7, s56
	s_cmp_ge_u32 s7, s56
	s_cselect_b32 s8, s9, s8
	s_cselect_b32 s7, s10, s7
	s_add_i32 s9, s8, 1
	s_cmp_ge_u32 s7, s56
	s_cselect_b32 s7, s9, s8
	s_xor_b32 s7, s7, s6
	s_sub_i32 s6, s7, s6
	s_abs_i32 s8, s6
	s_mul_hi_u32 s9, s8, s62
	s_mul_i32 s7, s6, s33
	s_mul_i32 s10, s9, s58
	s_sub_i32 s65, s53, s7
	s_ashr_i32 s7, s6, 31
	s_sub_i32 s8, s8, s10
	s_xor_b32 s7, s7, s61
	s_add_i32 s10, s9, 1
	s_sub_i32 s11, s8, s58
	s_cmp_ge_u32 s8, s58
	s_cselect_b32 s9, s10, s9
	s_cselect_b32 s8, s11, s8
	s_add_i32 s10, s9, 1
	s_cmp_ge_u32 s8, s58
	s_cselect_b32 s8, s10, s9
	s_xor_b32 s8, s8, s7
	s_sub_i32 s7, s8, s7
	s_mul_i32 s8, s7, s54
	s_lshl_b32 s66, s8, 7
	s_mul_i32 s65, s65, 48
	s_cmp_eq_u32 s7, s24
	s_cselect_b32 s68, s55, s54
	s_sub_i32 s8, s65, s20
	s_add_i32 s8, s8, 48
	s_max_i32 s67, s8, 0
	s_and_saveexec_b64 s[8:9], s[2:3]
	s_xor_b64 s[34:35], exec, s[8:9]
	s_cbranch_execz .LBB286_54
; %bb.8:                                ;   in Loop: Header=BB286_7 Depth=1
	s_mul_i32 s7, s7, s52
	s_sub_i32 s6, s6, s7
	s_lshl_b32 s6, s6, 6
	s_sub_i32 s45, s6, s21
	s_add_i32 s45, s45, 64
	s_max_i32 s7, s45, 0
	s_sub_i32 s44, s6, s7
	s_and_saveexec_b64 s[6:7], s[0:1]
	s_xor_b64 s[46:47], exec, s[6:7]
	s_cbranch_execz .LBB286_44
; %bb.9:                                ;   in Loop: Header=BB286_7 Depth=1
	s_and_saveexec_b64 s[48:49], s[4:5]
	s_cbranch_execz .LBB286_43
; %bb.10:                               ;   in Loop: Header=BB286_7 Depth=1
	s_waitcnt lgkmcnt(0)
	global_load_dword v107, v57, s[42:43]
	v_mov_b32_e32 v47, 0
	v_cmp_gt_i32_e32 vcc, s68, v106
	v_mov_b32_e32 v46, v47
	v_mov_b32_e32 v45, v47
	;; [unrolled: 1-line block ×47, first 2 shown]
	s_and_saveexec_b64 s[6:7], vcc
	s_cbranch_execz .LBB286_35
; %bb.11:                               ;   in Loop: Header=BB286_7 Depth=1
	v_mov_b32_e32 v4, 0
	s_mov_b64 s[8:9], 0
	v_mov_b32_e32 v5, v4
	v_mov_b32_e32 v6, v4
	;; [unrolled: 1-line block ×47, first 2 shown]
	s_branch .LBB286_13
.LBB286_12:                             ;   in Loop: Header=BB286_13 Depth=2
	s_or_b64 exec, exec, s[10:11]
	v_add_u32_e32 v85, 0x1800, v84
	ds_read2_b32 v[86:87], v85 offset1:32
	v_add_u32_e32 v88, 0x1c00, v84
	v_add_u32_e32 v106, s27, v106
	s_waitcnt lgkmcnt(0)
	v_mfma_f32_16x16x32_fp8_fp8 v[32:35], v[60:61], v[86:87], v[32:35]
	ds_read2_b32 v[60:61], v85 offset0:128 offset1:160
	ds_read2_b32 v[84:85], v88 offset1:32
	v_mfma_f32_16x16x32_fp8_fp8 v[16:19], v[68:69], v[86:87], v[16:19]
	v_mfma_f32_16x16x32_fp8_fp8 v[4:7], v[78:79], v[86:87], v[4:7]
	s_waitcnt lgkmcnt(1)
	v_mfma_f32_16x16x32_fp8_fp8 v[32:35], v[62:63], v[60:61], v[32:35]
	v_add_u32_e32 v62, s27, v108
	v_cmp_lt_i32_e32 vcc, 0, v62
	v_mfma_f32_16x16x32_fp8_fp8 v[16:19], v[72:73], v[60:61], v[16:19]
	v_mfma_f32_16x16x32_fp8_fp8 v[4:7], v[80:81], v[60:61], v[4:7]
	v_add_u32_e32 v60, 2, v90
	v_cndmask_b32_e32 v90, v90, v60, vcc
	v_cmp_le_i32_e32 vcc, s68, v106
	s_waitcnt lgkmcnt(0)
	v_mfma_f32_16x16x32_fp8_fp8 v[32:35], v[64:65], v[84:85], v[32:35]
	ds_read2_b32 v[64:65], v88 offset0:128 offset1:160
	s_or_b64 s[8:9], vcc, s[8:9]
	;;#ASMSTART
	s_waitcnt lgkmcnt(0)
	;;#ASMEND
	v_mfma_f32_16x16x32_fp8_fp8 v[16:19], v[74:75], v[84:85], v[16:19]
	ds_write_b32 v109, v110 offset:14360
	v_mfma_f32_16x16x32_fp8_fp8 v[4:7], v[82:83], v[84:85], v[4:7]
	s_waitcnt lgkmcnt(1)
	v_mfma_f32_16x16x32_fp8_fp8 v[32:35], v[66:67], v[64:65], v[32:35]
	v_mfma_f32_16x16x32_fp8_fp8 v[16:19], v[76:77], v[64:65], v[16:19]
	;; [unrolled: 1-line block ×3, first 2 shown]
	s_andn2_b64 exec, exec, s[8:9]
	s_cbranch_execz .LBB286_34
.LBB286_13:                             ;   Parent Loop BB286_7 Depth=1
                                        ; =>  This Loop Header: Depth=2
                                        ;       Child Loop BB286_15 Depth 3
                                        ;       Child Loop BB286_18 Depth 3
	;; [unrolled: 1-line block ×7, first 2 shown]
	v_cmp_lt_i32_e32 vcc, 0, v62
	s_nop 1
	v_subbrev_co_u32_e32 v108, vcc, 0, v62, vcc
	v_lshlrev_b32_e32 v109, 4, v108
	ds_read_b32 v60, v109 offset:14348
	s_waitcnt lgkmcnt(0)
	v_cmp_ne_u32_e32 vcc, v60, v90
	s_and_saveexec_b64 s[10:11], vcc
	s_cbranch_execz .LBB286_16
; %bb.14:                               ;   in Loop: Header=BB286_13 Depth=2
	s_mov_b64 s[12:13], 0
.LBB286_15:                             ;   Parent Loop BB286_7 Depth=1
                                        ;     Parent Loop BB286_13 Depth=2
                                        ; =>    This Inner Loop Header: Depth=3
	;;#ASMSTART
	s_sleep 0
	;;#ASMEND
	ds_read_b32 v60, v109 offset:14348
	s_waitcnt lgkmcnt(0)
	v_cmp_eq_u32_e32 vcc, v60, v90
	s_or_b64 s[12:13], vcc, s[12:13]
	s_andn2_b64 exec, exec, s[12:13]
	s_cbranch_execnz .LBB286_15
.LBB286_16:                             ;   in Loop: Header=BB286_13 Depth=2
	s_or_b64 exec, exec, s[10:11]
	v_lshlrev_b32_e32 v111, 13, v108
	v_or_b32_e32 v60, v91, v111
	ds_read2_b32 v[70:71], v60 offset1:32
	ds_read2_b32 v[84:85], v60 offset0:128 offset1:160
	v_add_u32_e32 v60, 0x400, v60
	v_add_u32_e32 v110, 1, v90
	ds_read2_b32 v[88:89], v60 offset1:32
	ds_read2_b32 v[86:87], v60 offset0:128 offset1:160
	;;#ASMSTART
	s_waitcnt lgkmcnt(0)
	;;#ASMEND
	ds_write_b32 v109, v110 offset:14348
	v_mul_lo_u32 v112, v108, 12
	ds_read_b32 v60, v112 offset:14336
	s_waitcnt lgkmcnt(0)
	v_cmp_ne_u32_e32 vcc, v60, v90
	s_and_saveexec_b64 s[10:11], vcc
	s_cbranch_execz .LBB286_19
; %bb.17:                               ;   in Loop: Header=BB286_13 Depth=2
	s_mov_b64 s[12:13], 0
.LBB286_18:                             ;   Parent Loop BB286_7 Depth=1
                                        ;     Parent Loop BB286_13 Depth=2
                                        ; =>    This Inner Loop Header: Depth=3
	;;#ASMSTART
	s_sleep 0
	;;#ASMEND
	ds_read_b32 v60, v112 offset:14336
	s_waitcnt lgkmcnt(0)
	v_cmp_eq_u32_e32 vcc, v60, v90
	s_or_b64 s[12:13], vcc, s[12:13]
	s_andn2_b64 exec, exec, s[12:13]
	s_cbranch_execnz .LBB286_18
.LBB286_19:                             ;   in Loop: Header=BB286_13 Depth=2
	s_or_b64 exec, exec, s[10:11]
	v_mul_lo_u32 v60, v108, s63
	v_add_u32_e32 v82, v92, v60
	ds_read2_b32 v[60:61], v82 offset1:32
	ds_read2_b32 v[62:63], v82 offset0:128 offset1:160
	v_add_u32_e32 v66, 0x400, v82
	ds_read2_b32 v[64:65], v66 offset1:32
	ds_read2_b32 v[66:67], v66 offset0:128 offset1:160
	ds_read_b32 v68, v112 offset:14340
	ds_write_b32 v112, v110 offset:14336
	s_waitcnt lgkmcnt(5)
	v_mfma_f32_16x16x32_fp8_fp8 v[44:47], v[60:61], v[70:71], v[44:47]
	s_waitcnt lgkmcnt(1)
	v_cmp_ne_u32_e32 vcc, v68, v90
	v_mfma_f32_16x16x32_fp8_fp8 v[44:47], v[62:63], v[84:85], v[44:47]
	v_mfma_f32_16x16x32_fp8_fp8 v[44:47], v[64:65], v[88:89], v[44:47]
	;; [unrolled: 1-line block ×3, first 2 shown]
	s_and_saveexec_b64 s[10:11], vcc
	s_cbranch_execz .LBB286_22
; %bb.20:                               ;   in Loop: Header=BB286_13 Depth=2
	s_mov_b64 s[12:13], 0
.LBB286_21:                             ;   Parent Loop BB286_7 Depth=1
                                        ;     Parent Loop BB286_13 Depth=2
                                        ; =>    This Inner Loop Header: Depth=3
	;;#ASMSTART
	s_sleep 0
	;;#ASMEND
	ds_read_b32 v68, v112 offset:14340
	s_waitcnt lgkmcnt(0)
	v_cmp_eq_u32_e32 vcc, v68, v90
	s_or_b64 s[12:13], vcc, s[12:13]
	s_andn2_b64 exec, exec, s[12:13]
	s_cbranch_execnz .LBB286_21
.LBB286_22:                             ;   in Loop: Header=BB286_13 Depth=2
	s_or_b64 exec, exec, s[10:11]
	v_add_u32_e32 v72, 0x800, v82
	ds_read2_b32 v[68:69], v72 offset1:32
	ds_read2_b32 v[72:73], v72 offset0:128 offset1:160
	v_add_u32_e32 v76, 0xc00, v82
	ds_read2_b32 v[74:75], v76 offset1:32
	ds_read2_b32 v[76:77], v76 offset0:128 offset1:160
	ds_read_b32 v78, v112 offset:14344
	ds_write_b32 v112, v110 offset:14340
	s_waitcnt lgkmcnt(5)
	v_mfma_f32_16x16x32_fp8_fp8 v[28:31], v[68:69], v[70:71], v[28:31]
	s_waitcnt lgkmcnt(1)
	v_cmp_ne_u32_e32 vcc, v78, v90
	v_mfma_f32_16x16x32_fp8_fp8 v[28:31], v[72:73], v[84:85], v[28:31]
	v_mfma_f32_16x16x32_fp8_fp8 v[28:31], v[74:75], v[88:89], v[28:31]
	;; [unrolled: 1-line block ×3, first 2 shown]
	s_and_saveexec_b64 s[10:11], vcc
	s_cbranch_execz .LBB286_25
; %bb.23:                               ;   in Loop: Header=BB286_13 Depth=2
	s_mov_b64 s[12:13], 0
.LBB286_24:                             ;   Parent Loop BB286_7 Depth=1
                                        ;     Parent Loop BB286_13 Depth=2
                                        ; =>    This Inner Loop Header: Depth=3
	;;#ASMSTART
	s_sleep 0
	;;#ASMEND
	ds_read_b32 v78, v112 offset:14344
	s_waitcnt lgkmcnt(0)
	v_cmp_eq_u32_e32 vcc, v78, v90
	s_or_b64 s[12:13], vcc, s[12:13]
	s_andn2_b64 exec, exec, s[12:13]
	s_cbranch_execnz .LBB286_24
.LBB286_25:                             ;   in Loop: Header=BB286_13 Depth=2
	s_or_b64 exec, exec, s[10:11]
	v_add_u32_e32 v80, 0x1000, v82
	ds_read2_b32 v[78:79], v80 offset1:32
	ds_read2_b32 v[80:81], v80 offset0:128 offset1:160
	v_add_u32_e32 v113, 0x1400, v82
	ds_read2_b32 v[82:83], v113 offset1:32
	ds_write_b32 v112, v110 offset:14344
	s_waitcnt lgkmcnt(3)
	v_mfma_f32_16x16x32_fp8_fp8 v[12:15], v[78:79], v[70:71], v[12:15]
	ds_read2_b32 v[70:71], v113 offset0:128 offset1:160
	s_waitcnt lgkmcnt(3)
	v_mfma_f32_16x16x32_fp8_fp8 v[12:15], v[80:81], v[84:85], v[12:15]
	ds_read_b32 v84, v109 offset:14352
	s_waitcnt lgkmcnt(0)
	v_cmp_ne_u32_e32 vcc, v84, v90
	v_mfma_f32_16x16x32_fp8_fp8 v[12:15], v[82:83], v[88:89], v[12:15]
	v_mfma_f32_16x16x32_fp8_fp8 v[12:15], v[70:71], v[86:87], v[12:15]
	s_and_saveexec_b64 s[10:11], vcc
	s_cbranch_execz .LBB286_28
; %bb.26:                               ;   in Loop: Header=BB286_13 Depth=2
	s_mov_b64 s[12:13], 0
.LBB286_27:                             ;   Parent Loop BB286_7 Depth=1
                                        ;     Parent Loop BB286_13 Depth=2
                                        ; =>    This Inner Loop Header: Depth=3
	;;#ASMSTART
	s_sleep 0
	;;#ASMEND
	ds_read_b32 v84, v109 offset:14352
	s_waitcnt lgkmcnt(0)
	v_cmp_eq_u32_e32 vcc, v84, v90
	s_or_b64 s[12:13], vcc, s[12:13]
	s_andn2_b64 exec, exec, s[12:13]
	s_cbranch_execnz .LBB286_27
.LBB286_28:                             ;   in Loop: Header=BB286_13 Depth=2
	s_or_b64 exec, exec, s[10:11]
	v_add_u32_e32 v84, v91, v111
	v_add_u32_e32 v85, 0x800, v84
	ds_read2_b32 v[86:87], v85 offset1:32
	ds_read2_b32 v[88:89], v85 offset0:128 offset1:160
	v_add_u32_e32 v85, 0xc00, v84
	ds_read2_b32 v[112:113], v85 offset1:32
	ds_read2_b32 v[114:115], v85 offset0:128 offset1:160
	s_waitcnt lgkmcnt(3)
	v_mfma_f32_16x16x32_fp8_fp8 v[40:43], v[60:61], v[86:87], v[40:43]
	;;#ASMSTART
	s_waitcnt lgkmcnt(0)
	;;#ASMEND
	ds_read_b32 v85, v109 offset:14356
	ds_write_b32 v109, v110 offset:14352
	v_mfma_f32_16x16x32_fp8_fp8 v[24:27], v[68:69], v[86:87], v[24:27]
	s_waitcnt lgkmcnt(1)
	v_cmp_ne_u32_e32 vcc, v85, v90
	v_mfma_f32_16x16x32_fp8_fp8 v[8:11], v[78:79], v[86:87], v[8:11]
	v_mfma_f32_16x16x32_fp8_fp8 v[40:43], v[62:63], v[88:89], v[40:43]
	;; [unrolled: 1-line block ×10, first 2 shown]
	s_and_saveexec_b64 s[10:11], vcc
	s_cbranch_execz .LBB286_31
; %bb.29:                               ;   in Loop: Header=BB286_13 Depth=2
	s_mov_b64 s[12:13], 0
.LBB286_30:                             ;   Parent Loop BB286_7 Depth=1
                                        ;     Parent Loop BB286_13 Depth=2
                                        ; =>    This Inner Loop Header: Depth=3
	;;#ASMSTART
	s_sleep 0
	;;#ASMEND
	ds_read_b32 v85, v109 offset:14356
	s_waitcnt lgkmcnt(0)
	v_cmp_eq_u32_e32 vcc, v85, v90
	s_or_b64 s[12:13], vcc, s[12:13]
	s_andn2_b64 exec, exec, s[12:13]
	s_cbranch_execnz .LBB286_30
.LBB286_31:                             ;   in Loop: Header=BB286_13 Depth=2
	s_or_b64 exec, exec, s[10:11]
	v_add_u32_e32 v85, 0x1000, v84
	ds_read2_b32 v[86:87], v85 offset1:32
	ds_read2_b32 v[88:89], v85 offset0:128 offset1:160
	v_add_u32_e32 v85, 0x1400, v84
	ds_read2_b32 v[112:113], v85 offset1:32
	ds_read2_b32 v[114:115], v85 offset0:128 offset1:160
	s_waitcnt lgkmcnt(3)
	v_mfma_f32_16x16x32_fp8_fp8 v[36:39], v[60:61], v[86:87], v[36:39]
	;;#ASMSTART
	s_waitcnt lgkmcnt(0)
	;;#ASMEND
	ds_read_b32 v85, v109 offset:14360
	ds_write_b32 v109, v110 offset:14356
	v_mfma_f32_16x16x32_fp8_fp8 v[20:23], v[68:69], v[86:87], v[20:23]
	s_waitcnt lgkmcnt(1)
	v_cmp_ne_u32_e32 vcc, v85, v90
	v_mfma_f32_16x16x32_fp8_fp8 v[0:3], v[78:79], v[86:87], v[0:3]
	v_mfma_f32_16x16x32_fp8_fp8 v[36:39], v[62:63], v[88:89], v[36:39]
	v_mfma_f32_16x16x32_fp8_fp8 v[20:23], v[72:73], v[88:89], v[20:23]
	v_mfma_f32_16x16x32_fp8_fp8 v[0:3], v[80:81], v[88:89], v[0:3]
	v_mfma_f32_16x16x32_fp8_fp8 v[36:39], v[64:65], v[112:113], v[36:39]
	v_mfma_f32_16x16x32_fp8_fp8 v[20:23], v[74:75], v[112:113], v[20:23]
	v_mfma_f32_16x16x32_fp8_fp8 v[0:3], v[82:83], v[112:113], v[0:3]
	v_mfma_f32_16x16x32_fp8_fp8 v[36:39], v[66:67], v[114:115], v[36:39]
	v_mfma_f32_16x16x32_fp8_fp8 v[20:23], v[76:77], v[114:115], v[20:23]
	v_mfma_f32_16x16x32_fp8_fp8 v[0:3], v[70:71], v[114:115], v[0:3]
	s_and_saveexec_b64 s[10:11], vcc
	s_cbranch_execz .LBB286_12
; %bb.32:                               ;   in Loop: Header=BB286_13 Depth=2
	s_mov_b64 s[12:13], 0
.LBB286_33:                             ;   Parent Loop BB286_7 Depth=1
                                        ;     Parent Loop BB286_13 Depth=2
                                        ; =>    This Inner Loop Header: Depth=3
	;;#ASMSTART
	s_sleep 0
	;;#ASMEND
	ds_read_b32 v85, v109 offset:14360
	s_waitcnt lgkmcnt(0)
	v_cmp_eq_u32_e32 vcc, v85, v90
	s_or_b64 s[12:13], vcc, s[12:13]
	s_andn2_b64 exec, exec, s[12:13]
	s_cbranch_execnz .LBB286_33
	s_branch .LBB286_12
.LBB286_34:                             ;   in Loop: Header=BB286_7 Depth=1
	s_or_b64 exec, exec, s[8:9]
.LBB286_35:                             ;   in Loop: Header=BB286_7 Depth=1
	s_or_b64 exec, exec, s[6:7]
	v_cmp_le_i32_e32 vcc, s45, v48
	v_cmp_eq_u32_e64 s[6:7], 2, v93
	v_cmp_eq_u32_e64 s[8:9], 3, v93
	s_waitcnt vmcnt(0)
	v_cndmask_b32_e32 v60, 0, v107, vcc
	v_pk_mul_f32 v[44:45], v[60:61], v[44:45] op_sel_hi:[0,1]
	v_cmp_eq_u32_e32 vcc, 1, v93
	v_pk_mul_f32 v[64:65], v[60:61], v[46:47] op_sel_hi:[0,1]
	v_cmp_eq_u32_e64 s[10:11], 0, v93
	v_cndmask_b32_e32 v46, v44, v45, vcc
	v_cndmask_b32_e64 v46, v46, v64, s[6:7]
	v_cndmask_b32_e64 v46, v46, v65, s[8:9]
	ds_bpermute_b32 v61, v105, v46
	v_cmp_le_i32_e64 s[14:15], s45, v95
	v_cmp_le_i32_e64 s[18:19], s45, v96
	v_cmp_eq_u32_e64 s[12:13], 1, v94
	v_cmp_eq_u32_e64 s[16:17], 3, v94
	s_waitcnt lgkmcnt(0)
	v_cndmask_b32_e64 v46, v65, v61, s[8:9]
	v_cndmask_b32_e64 v47, v64, v61, s[6:7]
	v_cndmask_b32_e32 v45, v45, v61, vcc
	v_cndmask_b32_e64 v61, v44, v61, s[10:11]
	v_cndmask_b32_e64 v44, 0, v107, s[14:15]
	v_pk_mul_f32 v[40:41], v[44:45], v[40:41] op_sel_hi:[0,1]
	v_pk_mul_f32 v[64:65], v[44:45], v[42:43] op_sel_hi:[0,1]
	v_cndmask_b32_e32 v42, v40, v41, vcc
	v_cndmask_b32_e64 v42, v42, v64, s[6:7]
	v_cndmask_b32_e64 v42, v42, v65, s[8:9]
	ds_bpermute_b32 v66, v105, v42
	v_cndmask_b32_e64 v63, v61, v45, s[12:13]
	v_cmp_eq_u32_e64 s[14:15], 2, v94
	s_waitcnt lgkmcnt(0)
	v_cndmask_b32_e32 v41, v41, v66, vcc
	v_cndmask_b32_e64 v67, v40, v66, s[10:11]
	v_cndmask_b32_e64 v40, 0, v107, s[18:19]
	v_pk_mul_f32 v[36:37], v[40:41], v[36:37] op_sel_hi:[0,1]
	v_cndmask_b32_e64 v42, v63, v47, s[14:15]
	v_cndmask_b32_e64 v43, v65, v66, s[8:9]
	;; [unrolled: 1-line block ×3, first 2 shown]
	v_pk_mul_f32 v[64:65], v[40:41], v[38:39] op_sel_hi:[0,1]
	v_cndmask_b32_e32 v38, v36, v37, vcc
	v_cndmask_b32_e64 v38, v38, v64, s[6:7]
	v_cndmask_b32_e64 v38, v38, v65, s[8:9]
	ds_bpermute_b32 v66, v105, v38
	v_cmp_le_i32_e64 s[18:19], s45, v97
	v_cndmask_b32_e64 v38, v67, v41, s[12:13]
	v_cndmask_b32_e64 v38, v38, v63, s[14:15]
	;; [unrolled: 1-line block ×3, first 2 shown]
	s_waitcnt lgkmcnt(0)
	v_cndmask_b32_e64 v69, v36, v66, s[10:11]
	v_cndmask_b32_e64 v36, 0, v107, s[18:19]
	v_pk_mul_f32 v[72:73], v[36:37], v[32:33] op_sel_hi:[0,1]
	v_pk_mul_f32 v[70:71], v[36:37], v[34:35] op_sel_hi:[0,1]
	v_cndmask_b32_e32 v32, v72, v73, vcc
	v_cndmask_b32_e64 v32, v32, v70, s[6:7]
	v_cndmask_b32_e64 v32, v32, v71, s[8:9]
	ds_bpermute_b32 v33, v105, v32
	v_cndmask_b32_e32 v68, v37, v66, vcc
	v_cndmask_b32_e64 v64, v64, v66, s[6:7]
	v_cndmask_b32_e64 v32, v69, v68, s[12:13]
	;; [unrolled: 1-line block ×5, first 2 shown]
	v_cmp_ne_u32_e32 vcc, 0, v93
	ds_bpermute_b32 v65, v105, v32
	s_waitcnt lgkmcnt(1)
	v_cndmask_b32_e64 v34, v71, v33, s[8:9]
	v_cndmask_b32_e64 v35, v70, v33, s[6:7]
	v_cndmask_b32_e32 v32, v73, v33, vcc
	v_cndmask_b32_e64 v33, v72, v33, s[10:11]
	v_cndmask_b32_e64 v37, v33, v32, s[12:13]
	;; [unrolled: 1-line block ×5, first 2 shown]
	ds_bpermute_b32 v42, v105, v42
	ds_bpermute_b32 v38, v105, v38
	;; [unrolled: 1-line block ×3, first 2 shown]
	v_add_u32_e32 v37, s67, v98
	v_cmp_gt_u32_e32 vcc, 48, v37
	s_and_saveexec_b64 s[18:19], vcc
	s_cbranch_execz .LBB286_42
; %bb.36:                               ;   in Loop: Header=BB286_7 Depth=1
	v_cmp_eq_u32_e64 s[8:9], 1, v94
	v_cmp_eq_u32_e64 s[10:11], 0, v94
	v_cmp_eq_u32_e32 vcc, 3, v94
	s_waitcnt lgkmcnt(2)
	v_cndmask_b32_e64 v45, v45, v42, s[8:9]
	s_waitcnt lgkmcnt(1)
	v_cndmask_b32_e64 v41, v41, v38, s[8:9]
	v_cndmask_b32_e64 v70, v68, v65, s[8:9]
	s_waitcnt lgkmcnt(0)
	v_cndmask_b32_e64 v72, v32, v66, s[8:9]
	s_mul_i32 s8, s65, s21
	s_ashr_i32 s9, s8, 31
	s_lshl_b64 s[8:9], s[8:9], 1
	v_cndmask_b32_e64 v61, v61, v42, s[10:11]
	v_cndmask_b32_e64 v67, v67, v38, s[10:11]
	;; [unrolled: 1-line block ×4, first 2 shown]
	s_add_u32 s10, s40, s8
	s_addc_u32 s11, s41, s9
	s_ashr_i32 s45, s44, 31
	v_cvt_f16_f32_e32 v61, v61
	v_cvt_f16_f32_sdwa v45, v45 dst_sel:WORD_1 dst_unused:UNUSED_PAD src0_sel:DWORD
	v_cvt_f16_f32_e32 v67, v67
	v_cvt_f16_f32_sdwa v41, v41 dst_sel:WORD_1 dst_unused:UNUSED_PAD src0_sel:DWORD
	s_lshl_b64 s[8:9], s[44:45], 1
	s_add_u32 s50, s10, s8
	s_addc_u32 s51, s11, s9
	v_lshl_add_u64 v[32:33], v[50:51], 1, s[50:51]
	v_or_b32_e32 v45, v45, v61
	v_or_b32_e32 v41, v41, v67
	;;#ASMSTART
	global_atomic_pk_add_f16 v[32:33], v45, off
	
	;;#ASMEND
	v_lshl_add_u64 v[68:69], v[32:33], 0, 32
	;;#ASMSTART
	global_atomic_pk_add_f16 v[68:69], v41, off
	
	;;#ASMEND
	v_cvt_f16_f32_e32 v41, v71
	v_cvt_f16_f32_sdwa v45, v70 dst_sel:WORD_1 dst_unused:UNUSED_PAD src0_sel:DWORD
	v_cvt_f16_f32_e32 v61, v73
	v_cvt_f16_f32_sdwa v67, v72 dst_sel:WORD_1 dst_unused:UNUSED_PAD src0_sel:DWORD
	v_cmp_eq_u32_e64 s[6:7], 2, v94
	v_lshl_add_u64 v[68:69], v[32:33], 0, 64
	v_or_b32_e32 v41, v45, v41
	v_cmp_gt_u32_e64 s[8:9], 46, v37
	;;#ASMSTART
	global_atomic_pk_add_f16 v[68:69], v41, off
	
	;;#ASMEND
	v_lshl_add_u64 v[68:69], v[32:33], 0, s[30:31]
	v_or_b32_e32 v41, v67, v61
	;;#ASMSTART
	global_atomic_pk_add_f16 v[68:69], v41, off
	
	;;#ASMEND
	s_and_b64 exec, exec, s[8:9]
	s_cbranch_execz .LBB286_42
; %bb.37:                               ;   in Loop: Header=BB286_7 Depth=1
	v_cndmask_b32_e32 v46, v46, v42, vcc
	v_cndmask_b32_e64 v42, v47, v42, s[6:7]
	v_cvt_f16_f32_e32 v42, v42
	v_cvt_f16_f32_sdwa v46, v46 dst_sel:WORD_1 dst_unused:UNUSED_PAD src0_sel:DWORD
	v_cndmask_b32_e32 v43, v43, v38, vcc
	v_cndmask_b32_e64 v38, v63, v38, s[6:7]
	v_cndmask_b32_e32 v39, v39, v65, vcc
	v_cndmask_b32_e64 v47, v64, v65, s[6:7]
	v_cndmask_b32_e32 v63, v34, v66, vcc
	v_or_b32_e32 v34, v46, v42
	v_cvt_f16_f32_e32 v38, v38
	v_cvt_f16_f32_sdwa v42, v43 dst_sel:WORD_1 dst_unused:UNUSED_PAD src0_sel:DWORD
	v_cvt_f16_f32_e32 v43, v47
	v_cvt_f16_f32_sdwa v39, v39 dst_sel:WORD_1 dst_unused:UNUSED_PAD src0_sel:DWORD
	v_lshl_add_u64 v[32:33], s[28:29], 2, v[32:33]
	v_or_b32_e32 v38, v42, v38
	v_mov_b32_e32 v61, v60
	v_cndmask_b32_e64 v64, v35, v66, s[6:7]
	;;#ASMSTART
	global_atomic_pk_add_f16 v[32:33], v34, off
	
	;;#ASMEND
	v_lshl_add_u64 v[34:35], v[32:33], 0, 32
	;;#ASMSTART
	global_atomic_pk_add_f16 v[34:35], v38, off
	
	;;#ASMEND
	v_or_b32_e32 v42, v39, v43
	v_mov_b32_e32 v38, v60
	v_mov_b32_e32 v39, v60
	v_pk_mul_f32 v[30:31], v[38:39], v[30:31]
	v_pk_mul_f32 v[38:39], v[60:61], v[28:29]
	v_cmp_eq_u32_e32 vcc, 1, v93
	v_mov_b32_e32 v45, v44
	v_lshl_add_u64 v[34:35], v[32:33], 0, 64
	v_cndmask_b32_e32 v28, v38, v39, vcc
	v_cmp_eq_u32_e64 s[6:7], 2, v93
	;;#ASMSTART
	global_atomic_pk_add_f16 v[34:35], v42, off
	
	;;#ASMEND
	v_lshl_add_u64 v[42:43], v[32:33], 0, s[30:31]
	v_mov_b32_e32 v32, v44
	v_mov_b32_e32 v33, v44
	v_cndmask_b32_e64 v28, v28, v30, s[6:7]
	v_cmp_eq_u32_e64 s[8:9], 3, v93
	v_pk_mul_f32 v[26:27], v[32:33], v[26:27]
	v_pk_mul_f32 v[32:33], v[44:45], v[24:25]
	v_cndmask_b32_e64 v28, v28, v31, s[8:9]
	v_cndmask_b32_e32 v24, v32, v33, vcc
	ds_bpermute_b32 v46, v105, v28
	v_cndmask_b32_e64 v24, v24, v26, s[6:7]
	v_cndmask_b32_e64 v24, v24, v27, s[8:9]
	ds_bpermute_b32 v35, v105, v24
	v_cmp_eq_u32_e64 s[10:11], 0, v93
	s_waitcnt lgkmcnt(1)
	v_cndmask_b32_e64 v28, v31, v46, s[8:9]
	v_cndmask_b32_e64 v29, v30, v46, s[6:7]
	v_cndmask_b32_e32 v30, v39, v46, vcc
	v_cndmask_b32_e64 v31, v38, v46, s[10:11]
	v_cmp_eq_u32_e64 s[12:13], 1, v94
	v_mov_b32_e32 v41, v40
	v_cmp_eq_u32_e64 s[14:15], 2, v94
	v_cndmask_b32_e64 v34, v31, v30, s[12:13]
	s_waitcnt lgkmcnt(0)
	v_cndmask_b32_e64 v25, v27, v35, s[8:9]
	v_cndmask_b32_e64 v24, v34, v29, s[14:15]
	;; [unrolled: 1-line block ×3, first 2 shown]
	v_cndmask_b32_e32 v27, v33, v35, vcc
	v_cndmask_b32_e64 v32, v32, v35, s[10:11]
	v_mov_b32_e32 v34, v40
	v_mov_b32_e32 v35, v40
	v_pk_mul_f32 v[38:39], v[40:41], v[20:21]
	v_pk_mul_f32 v[22:23], v[34:35], v[22:23]
	v_cndmask_b32_e32 v20, v38, v39, vcc
	v_cndmask_b32_e64 v20, v20, v22, s[6:7]
	v_cndmask_b32_e64 v20, v20, v23, s[8:9]
	ds_bpermute_b32 v33, v105, v20
	v_mov_b32_e32 v37, v36
	v_pk_mul_f32 v[46:47], v[36:37], v[16:17]
	v_cmp_eq_u32_e64 s[16:17], 3, v94
	v_cndmask_b32_e32 v16, v46, v47, vcc
	s_waitcnt lgkmcnt(0)
	v_cndmask_b32_e32 v34, v39, v33, vcc
	v_cndmask_b32_e64 v35, v38, v33, s[10:11]
	v_mov_b32_e32 v38, v36
	v_mov_b32_e32 v39, v36
	v_pk_mul_f32 v[38:39], v[38:39], v[18:19]
	v_cndmask_b32_e64 v22, v22, v33, s[6:7]
	v_cndmask_b32_e64 v16, v16, v38, s[6:7]
	;; [unrolled: 1-line block ×3, first 2 shown]
	ds_bpermute_b32 v17, v105, v16
	v_cndmask_b32_e64 v16, v35, v34, s[12:13]
	v_cndmask_b32_e64 v21, v23, v33, s[8:9]
	v_cndmask_b32_e64 v16, v16, v22, s[14:15]
	v_cndmask_b32_e64 v16, v16, v21, s[16:17]
	v_cmp_ne_u32_e32 vcc, 0, v93
	ds_bpermute_b32 v23, v105, v16
	s_waitcnt lgkmcnt(1)
	v_cndmask_b32_e64 v18, v39, v17, s[8:9]
	v_cndmask_b32_e64 v19, v38, v17, s[6:7]
	v_cndmask_b32_e32 v16, v47, v17, vcc
	v_cndmask_b32_e64 v17, v46, v17, s[10:11]
	v_cndmask_b32_e64 v20, v32, v27, s[12:13]
	;; [unrolled: 1-line block ×3, first 2 shown]
	v_cvt_f16_f32_e32 v64, v64
	v_cvt_f16_f32_sdwa v63, v63 dst_sel:WORD_1 dst_unused:UNUSED_PAD src0_sel:DWORD
	v_cndmask_b32_e64 v20, v20, v26, s[14:15]
	v_cndmask_b32_e64 v33, v33, v19, s[14:15]
	;; [unrolled: 1-line block ×5, first 2 shown]
	ds_bpermute_b32 v24, v105, v24
	ds_bpermute_b32 v20, v105, v20
	ds_bpermute_b32 v33, v105, v33
	v_or_b32_e32 v38, v63, v64
	;;#ASMSTART
	global_atomic_pk_add_f16 v[42:43], v38, off
	
	;;#ASMEND
	v_add_u32_e32 v38, s67, v99
	v_cmp_gt_u32_e32 vcc, 48, v38
	s_and_b64 exec, exec, vcc
	s_cbranch_execz .LBB286_42
; %bb.38:                               ;   in Loop: Header=BB286_7 Depth=1
	v_cmp_eq_u32_e64 s[8:9], 1, v94
	v_cmp_eq_u32_e64 s[10:11], 0, v94
	v_cmp_eq_u32_e32 vcc, 3, v94
	s_waitcnt lgkmcnt(2)
	v_cndmask_b32_e64 v30, v30, v24, s[8:9]
	v_cndmask_b32_e64 v31, v31, v24, s[10:11]
	s_waitcnt lgkmcnt(1)
	v_cndmask_b32_e64 v27, v27, v20, s[8:9]
	v_cndmask_b32_e64 v32, v32, v20, s[10:11]
	v_cvt_f16_f32_e32 v31, v31
	v_cvt_f16_f32_sdwa v30, v30 dst_sel:WORD_1 dst_unused:UNUSED_PAD src0_sel:DWORD
	v_cvt_f16_f32_e32 v32, v32
	v_cvt_f16_f32_sdwa v27, v27 dst_sel:WORD_1 dst_unused:UNUSED_PAD src0_sel:DWORD
	v_cndmask_b32_e64 v34, v34, v23, s[8:9]
	v_cndmask_b32_e64 v35, v35, v23, s[10:11]
	s_waitcnt lgkmcnt(0)
	v_cndmask_b32_e64 v39, v16, v33, s[8:9]
	v_cndmask_b32_e64 v42, v17, v33, s[10:11]
	v_lshl_add_u64 v[16:17], v[52:53], 1, s[50:51]
	v_or_b32_e32 v30, v30, v31
	v_or_b32_e32 v27, v27, v32
	;;#ASMSTART
	global_atomic_pk_add_f16 v[16:17], v30, off
	
	;;#ASMEND
	v_lshl_add_u64 v[30:31], v[16:17], 0, 32
	;;#ASMSTART
	global_atomic_pk_add_f16 v[30:31], v27, off
	
	;;#ASMEND
	v_cvt_f16_f32_e32 v27, v35
	v_cvt_f16_f32_sdwa v32, v34 dst_sel:WORD_1 dst_unused:UNUSED_PAD src0_sel:DWORD
	v_cvt_f16_f32_e32 v34, v42
	v_cvt_f16_f32_sdwa v35, v39 dst_sel:WORD_1 dst_unused:UNUSED_PAD src0_sel:DWORD
	v_cmp_eq_u32_e64 s[6:7], 2, v94
	v_lshl_add_u64 v[30:31], v[16:17], 0, 64
	v_or_b32_e32 v27, v32, v27
	v_cmp_gt_u32_e64 s[8:9], 46, v38
	;;#ASMSTART
	global_atomic_pk_add_f16 v[30:31], v27, off
	
	;;#ASMEND
	v_lshl_add_u64 v[30:31], v[16:17], 0, s[30:31]
	v_or_b32_e32 v27, v35, v34
	;;#ASMSTART
	global_atomic_pk_add_f16 v[30:31], v27, off
	
	;;#ASMEND
	s_and_b64 exec, exec, s[8:9]
	s_cbranch_execz .LBB286_42
; %bb.39:                               ;   in Loop: Header=BB286_7 Depth=1
	v_cndmask_b32_e32 v27, v28, v24, vcc
	v_cndmask_b32_e64 v24, v29, v24, s[6:7]
	v_cndmask_b32_e32 v21, v21, v23, vcc
	v_cndmask_b32_e64 v22, v22, v23, s[6:7]
	v_cvt_f16_f32_e32 v23, v24
	v_cvt_f16_f32_sdwa v24, v27 dst_sel:WORD_1 dst_unused:UNUSED_PAD src0_sel:DWORD
	v_cndmask_b32_e32 v25, v25, v20, vcc
	v_cndmask_b32_e64 v20, v26, v20, s[6:7]
	v_cndmask_b32_e32 v26, v18, v33, vcc
	v_or_b32_e32 v18, v24, v23
	v_cvt_f16_f32_e32 v20, v20
	v_cvt_f16_f32_sdwa v23, v25 dst_sel:WORD_1 dst_unused:UNUSED_PAD src0_sel:DWORD
	v_cvt_f16_f32_e32 v22, v22
	v_cvt_f16_f32_sdwa v21, v21 dst_sel:WORD_1 dst_unused:UNUSED_PAD src0_sel:DWORD
	v_lshl_add_u64 v[16:17], s[28:29], 2, v[16:17]
	v_or_b32_e32 v20, v23, v20
	v_cndmask_b32_e64 v27, v19, v33, s[6:7]
	;;#ASMSTART
	global_atomic_pk_add_f16 v[16:17], v18, off
	
	;;#ASMEND
	v_lshl_add_u64 v[18:19], v[16:17], 0, 32
	;;#ASMSTART
	global_atomic_pk_add_f16 v[18:19], v20, off
	
	;;#ASMEND
	v_or_b32_e32 v22, v21, v22
	v_mov_b32_e32 v20, v60
	v_mov_b32_e32 v21, v60
	v_pk_mul_f32 v[14:15], v[20:21], v[14:15]
	v_pk_mul_f32 v[20:21], v[60:61], v[12:13]
	v_cmp_eq_u32_e32 vcc, 1, v93
	v_lshl_add_u64 v[18:19], v[16:17], 0, 64
	v_cmp_eq_u32_e64 s[6:7], 2, v93
	v_cndmask_b32_e32 v12, v20, v21, vcc
	v_cmp_eq_u32_e64 s[8:9], 3, v93
	v_cndmask_b32_e64 v12, v12, v14, s[6:7]
	;;#ASMSTART
	global_atomic_pk_add_f16 v[18:19], v22, off
	
	;;#ASMEND
	v_lshl_add_u64 v[22:23], v[16:17], 0, s[30:31]
	v_mov_b32_e32 v16, v44
	v_mov_b32_e32 v17, v44
	v_pk_mul_f32 v[18:19], v[44:45], v[8:9]
	v_cndmask_b32_e64 v12, v12, v15, s[8:9]
	v_pk_mul_f32 v[10:11], v[16:17], v[10:11]
	v_cndmask_b32_e32 v8, v18, v19, vcc
	ds_bpermute_b32 v24, v105, v12
	v_cndmask_b32_e64 v8, v8, v10, s[6:7]
	v_cndmask_b32_e64 v8, v8, v11, s[8:9]
	ds_bpermute_b32 v17, v105, v8
	v_cmp_eq_u32_e64 s[10:11], 0, v93
	s_waitcnt lgkmcnt(1)
	v_cndmask_b32_e64 v12, v15, v24, s[8:9]
	v_cndmask_b32_e64 v13, v14, v24, s[6:7]
	v_cndmask_b32_e32 v14, v21, v24, vcc
	v_cndmask_b32_e64 v15, v20, v24, s[10:11]
	v_cmp_eq_u32_e64 s[12:13], 1, v94
	v_cmp_eq_u32_e64 s[14:15], 2, v94
	s_waitcnt lgkmcnt(0)
	v_cndmask_b32_e64 v9, v11, v17, s[8:9]
	v_cndmask_b32_e64 v20, v15, v14, s[12:13]
	;; [unrolled: 1-line block ×4, first 2 shown]
	v_cndmask_b32_e32 v16, v19, v17, vcc
	v_cndmask_b32_e64 v17, v18, v17, s[10:11]
	v_mov_b32_e32 v18, v40
	v_mov_b32_e32 v19, v40
	v_pk_mul_f32 v[20:21], v[40:41], v[0:1]
	v_pk_mul_f32 v[18:19], v[18:19], v[2:3]
	v_cndmask_b32_e32 v0, v20, v21, vcc
	v_cndmask_b32_e64 v0, v0, v18, s[6:7]
	v_cndmask_b32_e64 v0, v0, v19, s[8:9]
	ds_bpermute_b32 v1, v105, v0
	v_cndmask_b32_e64 v0, v17, v16, s[12:13]
	v_cmp_eq_u32_e64 s[16:17], 3, v94
	v_cndmask_b32_e64 v0, v0, v10, s[14:15]
	v_cvt_f16_f32_e32 v25, v27
	s_waitcnt lgkmcnt(0)
	v_cndmask_b32_e64 v3, v19, v1, s[8:9]
	v_cndmask_b32_e64 v11, v18, v1, s[6:7]
	v_mov_b32_e32 v18, v36
	v_mov_b32_e32 v19, v36
	v_pk_mul_f32 v[6:7], v[18:19], v[6:7]
	v_pk_mul_f32 v[18:19], v[36:37], v[4:5]
	v_cndmask_b32_e64 v0, v0, v9, s[16:17]
	v_cndmask_b32_e32 v4, v18, v19, vcc
	v_cndmask_b32_e64 v4, v4, v6, s[6:7]
	v_cndmask_b32_e64 v4, v4, v7, s[8:9]
	ds_bpermute_b32 v2, v105, v0
	v_cndmask_b32_e32 v0, v21, v1, vcc
	v_cndmask_b32_e64 v1, v20, v1, s[10:11]
	ds_bpermute_b32 v20, v105, v4
	v_cmp_ne_u32_e32 vcc, 0, v93
	v_cndmask_b32_e64 v4, v1, v0, s[12:13]
	v_cvt_f16_f32_sdwa v26, v26 dst_sel:WORD_1 dst_unused:UNUSED_PAD src0_sel:DWORD
	v_cndmask_b32_e64 v4, v4, v11, s[14:15]
	s_waitcnt lgkmcnt(0)
	v_cndmask_b32_e64 v5, v7, v20, s[8:9]
	v_cndmask_b32_e64 v6, v6, v20, s[6:7]
	v_cndmask_b32_e32 v19, v19, v20, vcc
	v_cndmask_b32_e64 v20, v18, v20, s[10:11]
	v_cndmask_b32_e64 v7, v20, v19, s[12:13]
	;; [unrolled: 1-line block ×6, first 2 shown]
	ds_bpermute_b32 v8, v105, v8
	ds_bpermute_b32 v4, v105, v4
	;; [unrolled: 1-line block ×3, first 2 shown]
	v_or_b32_e32 v18, v26, v25
	;;#ASMSTART
	global_atomic_pk_add_f16 v[22:23], v18, off
	
	;;#ASMEND
	v_add_u32_e32 v18, s67, v100
	v_cmp_gt_u32_e32 vcc, 48, v18
	s_and_b64 exec, exec, vcc
	s_cbranch_execz .LBB286_42
; %bb.40:                               ;   in Loop: Header=BB286_7 Depth=1
	v_cmp_eq_u32_e64 s[8:9], 1, v94
	v_cmp_eq_u32_e64 s[10:11], 0, v94
	v_cmp_eq_u32_e32 vcc, 3, v94
	s_waitcnt lgkmcnt(2)
	v_cndmask_b32_e64 v14, v14, v8, s[8:9]
	v_cndmask_b32_e64 v15, v15, v8, s[10:11]
	;; [unrolled: 1-line block ×4, first 2 shown]
	v_cvt_f16_f32_e32 v15, v15
	v_cvt_f16_f32_sdwa v14, v14 dst_sel:WORD_1 dst_unused:UNUSED_PAD src0_sel:DWORD
	v_cvt_f16_f32_e32 v17, v17
	v_cvt_f16_f32_sdwa v16, v16 dst_sel:WORD_1 dst_unused:UNUSED_PAD src0_sel:DWORD
	s_waitcnt lgkmcnt(1)
	v_cndmask_b32_e64 v21, v0, v4, s[8:9]
	v_cndmask_b32_e64 v22, v1, v4, s[10:11]
	v_lshl_add_u64 v[0:1], v[54:55], 1, s[50:51]
	v_or_b32_e32 v14, v14, v15
	v_or_b32_e32 v16, v16, v17
	s_waitcnt lgkmcnt(0)
	v_cndmask_b32_e64 v19, v19, v7, s[8:9]
	v_cndmask_b32_e64 v20, v20, v7, s[10:11]
	;;#ASMSTART
	global_atomic_pk_add_f16 v[0:1], v14, off
	
	;;#ASMEND
	v_lshl_add_u64 v[14:15], v[0:1], 0, 32
	;;#ASMSTART
	global_atomic_pk_add_f16 v[14:15], v16, off
	
	;;#ASMEND
	v_cvt_f16_f32_e32 v16, v22
	v_cvt_f16_f32_sdwa v17, v21 dst_sel:WORD_1 dst_unused:UNUSED_PAD src0_sel:DWORD
	v_cvt_f16_f32_e32 v20, v20
	v_cvt_f16_f32_sdwa v19, v19 dst_sel:WORD_1 dst_unused:UNUSED_PAD src0_sel:DWORD
	v_cmp_eq_u32_e64 s[6:7], 2, v94
	v_lshl_add_u64 v[14:15], v[0:1], 0, 64
	v_or_b32_e32 v16, v17, v16
	v_cmp_gt_u32_e64 s[8:9], 46, v18
	;;#ASMSTART
	global_atomic_pk_add_f16 v[14:15], v16, off
	
	;;#ASMEND
	v_lshl_add_u64 v[14:15], v[0:1], 0, s[30:31]
	v_or_b32_e32 v16, v19, v20
	;;#ASMSTART
	global_atomic_pk_add_f16 v[14:15], v16, off
	
	;;#ASMEND
	s_and_b64 exec, exec, s[8:9]
	s_cbranch_execz .LBB286_42
; %bb.41:                               ;   in Loop: Header=BB286_7 Depth=1
	v_cndmask_b32_e32 v12, v12, v8, vcc
	v_cndmask_b32_e64 v8, v13, v8, s[6:7]
	v_cndmask_b32_e32 v9, v9, v2, vcc
	v_cndmask_b32_e64 v2, v10, v2, s[6:7]
	v_cndmask_b32_e32 v10, v3, v4, vcc
	v_cndmask_b32_e32 v5, v5, v7, vcc
	v_cndmask_b32_e64 v6, v6, v7, s[6:7]
	v_cvt_f16_f32_e32 v3, v8
	v_cvt_f16_f32_sdwa v7, v12 dst_sel:WORD_1 dst_unused:UNUSED_PAD src0_sel:DWORD
	v_cvt_f16_f32_e32 v8, v2
	v_cvt_f16_f32_sdwa v9, v9 dst_sel:WORD_1 dst_unused:UNUSED_PAD src0_sel:DWORD
	v_cndmask_b32_e64 v4, v11, v4, s[6:7]
	v_lshl_add_u64 v[0:1], s[28:29], 2, v[0:1]
	v_or_b32_e32 v2, v7, v3
	v_or_b32_e32 v7, v9, v8
	;;#ASMSTART
	global_atomic_pk_add_f16 v[0:1], v2, off
	
	;;#ASMEND
	v_lshl_add_u64 v[2:3], v[0:1], 0, 32
	;;#ASMSTART
	global_atomic_pk_add_f16 v[2:3], v7, off
	
	;;#ASMEND
	v_cvt_f16_f32_e32 v4, v4
	v_cvt_f16_f32_sdwa v7, v10 dst_sel:WORD_1 dst_unused:UNUSED_PAD src0_sel:DWORD
	v_cvt_f16_f32_e32 v6, v6
	v_cvt_f16_f32_sdwa v5, v5 dst_sel:WORD_1 dst_unused:UNUSED_PAD src0_sel:DWORD
	v_lshl_add_u64 v[2:3], v[0:1], 0, 64
	v_or_b32_e32 v4, v7, v4
	;;#ASMSTART
	global_atomic_pk_add_f16 v[2:3], v4, off
	
	;;#ASMEND
	v_lshl_add_u64 v[0:1], v[0:1], 0, s[30:31]
	v_or_b32_e32 v2, v5, v6
	;;#ASMSTART
	global_atomic_pk_add_f16 v[0:1], v2, off
	
	;;#ASMEND
.LBB286_42:                             ;   in Loop: Header=BB286_7 Depth=1
	s_or_b64 exec, exec, s[18:19]
	v_subrev_u32_e32 v106, s68, v106
.LBB286_43:                             ;   in Loop: Header=BB286_7 Depth=1
	s_or_b64 exec, exec, s[48:49]
.LBB286_44:                             ;   in Loop: Header=BB286_7 Depth=1
	s_andn2_saveexec_b64 s[6:7], s[46:47]
	s_cbranch_execz .LBB286_53
; %bb.45:                               ;   in Loop: Header=BB286_7 Depth=1
	s_lshl_b32 s16, s68, 2
	v_cmp_gt_i32_e32 vcc, s16, v106
	s_and_saveexec_b64 s[8:9], vcc
	s_cbranch_execz .LBB286_52
; %bb.46:                               ;   in Loop: Header=BB286_7 Depth=1
	s_mul_i32 s10, s44, s23
	s_ashr_i32 s11, s10, 31
	s_waitcnt lgkmcnt(0)
	s_add_u32 s10, s38, s10
	s_addc_u32 s11, s39, s11
	s_ashr_i32 s12, s66, 31
	s_add_u32 s10, s10, s66
	s_addc_u32 s11, s11, s12
	v_lshl_add_u64 v[0:1], s[10:11], 0, v[58:59]
	v_lshl_add_u64 v[8:9], v[0:1], 0, v[56:57]
	s_mov_b64 s[10:11], 0
	s_branch .LBB286_48
.LBB286_47:                             ;   in Loop: Header=BB286_48 Depth=2
	s_or_b64 exec, exec, s[12:13]
	v_lshl_or_b32 v12, v10, 11, v102
	;;#ASMSTART
	s_waitcnt vmcnt(1)
	;;#ASMEND
	ds_write2_b32 v12, v4, v5 offset1:32
	ds_write2_b32 v12, v6, v7 offset0:64 offset1:96
	v_add_u32_e32 v4, 0x400, v12
	v_add_u32_e32 v106, s26, v106
	;;#ASMSTART
	s_waitcnt vmcnt(0)
	;;#ASMEND
	ds_write2_b32 v4, v0, v1 offset1:32
	ds_write2_b32 v4, v2, v3 offset0:64 offset1:96
	v_add_u32_e32 v0, 1, v90
	v_add_u32_e32 v62, s26, v10
	v_cmp_le_i32_e32 vcc, s16, v106
	ds_write_b32 v11, v0 offset:12
	v_add_u32_e32 v0, 2, v90
	s_or_b64 s[10:11], vcc, s[10:11]
	v_cmp_lt_i32_e32 vcc, 3, v62
	s_nop 1
	v_cndmask_b32_e32 v90, v90, v0, vcc
	s_andn2_b64 exec, exec, s[10:11]
	s_cbranch_execz .LBB286_51
.LBB286_48:                             ;   Parent Loop BB286_7 Depth=1
                                        ; =>  This Loop Header: Depth=2
                                        ;       Child Loop BB286_50 Depth 3
	v_cmp_gt_i32_e32 vcc, 4, v62
	s_nop 1
	v_cndmask_b32_e64 v0, -4, 0, vcc
	v_add_u32_e32 v10, v0, v62
	v_ashrrev_i32_e32 v0, 31, v106
	v_lshrrev_b32_e32 v0, 30, v0
	v_add_u32_e32 v0, v106, v0
	v_and_b32_e32 v1, -4, v0
	v_lshlrev_b32_e32 v0, 5, v0
	v_sub_u32_e32 v2, v106, v1
	v_and_b32_e32 v0, 0xffffff80, v0
	v_ashrrev_i32_e32 v1, 31, v0
	v_mul_lo_u32 v2, s57, v2
	v_lshl_add_u64 v[0:1], v[8:9], 0, v[0:1]
	v_ashrrev_i32_e32 v3, 31, v2
	v_lshl_add_u64 v[0:1], v[0:1], 0, v[2:3]
	v_lshlrev_b32_e32 v11, 2, v10
	;;#ASMSTART
	global_load_dwordx4 v[4:7], v[0:1], off offset:0   sc0 sc1 nt  
	global_load_dwordx4 v[0:3], v[0:1], off offset:64  sc0 sc1 nt  
	
	;;#ASMEND
	ds_read_b32 v12, v11 offset:14348
	v_add_u32_e32 v11, 0x3800, v11
	s_waitcnt lgkmcnt(0)
	v_cmp_ne_u32_e32 vcc, v12, v90
	s_and_saveexec_b64 s[12:13], vcc
	s_cbranch_execz .LBB286_47
; %bb.49:                               ;   in Loop: Header=BB286_48 Depth=2
	s_mov_b64 s[14:15], 0
.LBB286_50:                             ;   Parent Loop BB286_7 Depth=1
                                        ;     Parent Loop BB286_48 Depth=2
                                        ; =>    This Inner Loop Header: Depth=3
	;;#ASMSTART
	s_sleep 0
	;;#ASMEND
	ds_read_b32 v12, v11 offset:12
	s_waitcnt lgkmcnt(0)
	v_cmp_eq_u32_e32 vcc, v12, v90
	s_or_b64 s[14:15], vcc, s[14:15]
	s_andn2_b64 exec, exec, s[14:15]
	s_cbranch_execnz .LBB286_50
	s_branch .LBB286_47
.LBB286_51:                             ;   in Loop: Header=BB286_7 Depth=1
	s_or_b64 exec, exec, s[10:11]
.LBB286_52:                             ;   in Loop: Header=BB286_7 Depth=1
	s_or_b64 exec, exec, s[8:9]
	v_subrev_u32_e32 v106, s16, v106
.LBB286_53:                             ;   in Loop: Header=BB286_7 Depth=1
	s_or_b64 exec, exec, s[6:7]
.LBB286_54:                             ;   in Loop: Header=BB286_7 Depth=1
	s_andn2_saveexec_b64 s[6:7], s[34:35]
	s_cbranch_execz .LBB286_6
; %bb.55:                               ;   in Loop: Header=BB286_7 Depth=1
	s_mul_i32 s68, s68, 3
	v_cmp_gt_i32_e32 vcc, s68, v106
	s_and_saveexec_b64 s[8:9], vcc
	s_cbranch_execz .LBB286_5
; %bb.56:                               ;   in Loop: Header=BB286_7 Depth=1
	s_mul_i32 s65, s65, s22
	s_ashr_i32 s10, s65, 31
	s_waitcnt lgkmcnt(0)
	s_add_u32 s11, s36, s65
	v_add_u32_e32 v2, s67, v101
	s_addc_u32 s12, s37, s10
	s_ashr_i32 s13, s66, 31
	v_cmp_gt_u32_e32 vcc, 48, v2
	s_add_u32 s10, s11, s66
	s_addc_u32 s11, s12, s13
	v_cndmask_b32_e32 v0, 0, v103, vcc
	v_ashrrev_i32_e32 v1, 31, v0
	v_lshl_add_u64 v[0:1], s[10:11], 0, v[0:1]
	v_lshl_add_u64 v[8:9], v[0:1], 0, v[56:57]
	v_sub_u32_e32 v10, 47, v2
	s_mov_b64 s[10:11], 0
	s_branch .LBB286_58
.LBB286_57:                             ;   in Loop: Header=BB286_58 Depth=2
	s_or_b64 exec, exec, s[12:13]
	v_lshl_add_u32 v13, v11, 11, v104
	;;#ASMSTART
	s_waitcnt vmcnt(1)
	;;#ASMEND
	ds_write2_b32 v13, v4, v5 offset1:32
	ds_write2_b32 v13, v6, v7 offset0:64 offset1:96
	v_add_u32_e32 v4, 0x400, v13
	v_add_u32_e32 v106, s25, v106
	;;#ASMSTART
	s_waitcnt vmcnt(0)
	;;#ASMEND
	ds_write2_b32 v4, v0, v1 offset1:32
	ds_write2_b32 v4, v2, v3 offset0:64 offset1:96
	v_add_u32_e32 v0, 1, v90
	v_add_u32_e32 v62, s25, v11
	v_cmp_le_i32_e32 vcc, s68, v106
	ds_write_b32 v12, v0
	v_add_u32_e32 v0, 2, v90
	s_or_b64 s[10:11], vcc, s[10:11]
	v_cmp_lt_i32_e32 vcc, 2, v62
	s_nop 1
	v_cndmask_b32_e32 v90, v90, v0, vcc
	s_andn2_b64 exec, exec, s[10:11]
	s_cbranch_execz .LBB286_4
.LBB286_58:                             ;   Parent Loop BB286_7 Depth=1
                                        ; =>  This Loop Header: Depth=2
                                        ;       Child Loop BB286_60 Depth 3
	v_cmp_gt_i32_e32 vcc, 3, v62
	s_nop 1
	v_cndmask_b32_e64 v0, -3, 0, vcc
	v_add_u32_e32 v11, v0, v62
	v_mul_hi_i32 v0, v106, s64
	v_lshrrev_b32_e32 v1, 31, v0
	v_add_u32_e32 v0, v0, v1
	v_lshl_add_u32 v1, v0, 1, v0
	v_sub_u32_e32 v1, v106, v1
	v_lshlrev_b32_e32 v1, 4, v1
	v_cmp_le_i32_e32 vcc, v1, v10
	v_lshlrev_b32_e32 v0, 7, v0
	v_lshlrev_b32_e32 v12, 2, v11
	v_cndmask_b32_e32 v2, 0, v1, vcc
	v_ashrrev_i32_e32 v1, 31, v0
	v_mul_lo_u32 v2, v2, s22
	v_lshl_add_u64 v[0:1], v[8:9], 0, v[0:1]
	v_ashrrev_i32_e32 v3, 31, v2
	v_lshl_add_u64 v[0:1], v[0:1], 0, v[2:3]
	;;#ASMSTART
	global_load_dwordx4 v[4:7], v[0:1], off offset:0   
	global_load_dwordx4 v[0:3], v[0:1], off offset:64  
	
	;;#ASMEND
	ds_read_b32 v13, v12 offset:14336
	v_add_u32_e32 v12, 0x3800, v12
	s_waitcnt lgkmcnt(0)
	v_cmp_ne_u32_e32 vcc, v13, v90
	s_and_saveexec_b64 s[12:13], vcc
	s_cbranch_execz .LBB286_57
; %bb.59:                               ;   in Loop: Header=BB286_58 Depth=2
	s_mov_b64 s[14:15], 0
.LBB286_60:                             ;   Parent Loop BB286_7 Depth=1
                                        ;     Parent Loop BB286_58 Depth=2
                                        ; =>    This Inner Loop Header: Depth=3
	;;#ASMSTART
	s_sleep 0
	;;#ASMEND
	ds_read_b32 v13, v12
	s_waitcnt lgkmcnt(0)
	v_cmp_eq_u32_e32 vcc, v13, v90
	s_or_b64 s[14:15], vcc, s[14:15]
	s_andn2_b64 exec, exec, s[14:15]
	s_cbranch_execnz .LBB286_60
	s_branch .LBB286_57
.LBB286_61:
	s_endpgm
	.section	.rodata,"a",@progbits
	.p2align	6, 0x0
	.amdhsa_kernel _Z19_skinny_gemm_kernelILi3ELi4ELi1ELi16ELi4EEvPKhS1_P6__halfPKfiiiiiiii
		.amdhsa_group_segment_fixed_size 14364
		.amdhsa_private_segment_fixed_size 0
		.amdhsa_kernarg_size 64
		.amdhsa_user_sgpr_count 2
		.amdhsa_user_sgpr_dispatch_ptr 0
		.amdhsa_user_sgpr_queue_ptr 0
		.amdhsa_user_sgpr_kernarg_segment_ptr 1
		.amdhsa_user_sgpr_dispatch_id 0
		.amdhsa_user_sgpr_kernarg_preload_length 0
		.amdhsa_user_sgpr_kernarg_preload_offset 0
		.amdhsa_user_sgpr_private_segment_size 0
		.amdhsa_uses_dynamic_stack 0
		.amdhsa_enable_private_segment 0
		.amdhsa_system_sgpr_workgroup_id_x 1
		.amdhsa_system_sgpr_workgroup_id_y 0
		.amdhsa_system_sgpr_workgroup_id_z 0
		.amdhsa_system_sgpr_workgroup_info 0
		.amdhsa_system_vgpr_workitem_id 0
		.amdhsa_next_free_vgpr 116
		.amdhsa_next_free_sgpr 69
		.amdhsa_accum_offset 116
		.amdhsa_reserve_vcc 1
		.amdhsa_float_round_mode_32 0
		.amdhsa_float_round_mode_16_64 0
		.amdhsa_float_denorm_mode_32 3
		.amdhsa_float_denorm_mode_16_64 3
		.amdhsa_dx10_clamp 1
		.amdhsa_ieee_mode 1
		.amdhsa_fp16_overflow 0
		.amdhsa_tg_split 0
		.amdhsa_exception_fp_ieee_invalid_op 0
		.amdhsa_exception_fp_denorm_src 0
		.amdhsa_exception_fp_ieee_div_zero 0
		.amdhsa_exception_fp_ieee_overflow 0
		.amdhsa_exception_fp_ieee_underflow 0
		.amdhsa_exception_fp_ieee_inexact 0
		.amdhsa_exception_int_div_zero 0
	.end_amdhsa_kernel
	.section	.text._Z19_skinny_gemm_kernelILi3ELi4ELi1ELi16ELi4EEvPKhS1_P6__halfPKfiiiiiiii,"axG",@progbits,_Z19_skinny_gemm_kernelILi3ELi4ELi1ELi16ELi4EEvPKhS1_P6__halfPKfiiiiiiii,comdat
.Lfunc_end286:
	.size	_Z19_skinny_gemm_kernelILi3ELi4ELi1ELi16ELi4EEvPKhS1_P6__halfPKfiiiiiiii, .Lfunc_end286-_Z19_skinny_gemm_kernelILi3ELi4ELi1ELi16ELi4EEvPKhS1_P6__halfPKfiiiiiiii
                                        ; -- End function
	.set _Z19_skinny_gemm_kernelILi3ELi4ELi1ELi16ELi4EEvPKhS1_P6__halfPKfiiiiiiii.num_vgpr, 116
	.set _Z19_skinny_gemm_kernelILi3ELi4ELi1ELi16ELi4EEvPKhS1_P6__halfPKfiiiiiiii.num_agpr, 0
	.set _Z19_skinny_gemm_kernelILi3ELi4ELi1ELi16ELi4EEvPKhS1_P6__halfPKfiiiiiiii.numbered_sgpr, 69
	.set _Z19_skinny_gemm_kernelILi3ELi4ELi1ELi16ELi4EEvPKhS1_P6__halfPKfiiiiiiii.num_named_barrier, 0
	.set _Z19_skinny_gemm_kernelILi3ELi4ELi1ELi16ELi4EEvPKhS1_P6__halfPKfiiiiiiii.private_seg_size, 0
	.set _Z19_skinny_gemm_kernelILi3ELi4ELi1ELi16ELi4EEvPKhS1_P6__halfPKfiiiiiiii.uses_vcc, 1
	.set _Z19_skinny_gemm_kernelILi3ELi4ELi1ELi16ELi4EEvPKhS1_P6__halfPKfiiiiiiii.uses_flat_scratch, 0
	.set _Z19_skinny_gemm_kernelILi3ELi4ELi1ELi16ELi4EEvPKhS1_P6__halfPKfiiiiiiii.has_dyn_sized_stack, 0
	.set _Z19_skinny_gemm_kernelILi3ELi4ELi1ELi16ELi4EEvPKhS1_P6__halfPKfiiiiiiii.has_recursion, 0
	.set _Z19_skinny_gemm_kernelILi3ELi4ELi1ELi16ELi4EEvPKhS1_P6__halfPKfiiiiiiii.has_indirect_call, 0
	.section	.AMDGPU.csdata,"",@progbits
; Kernel info:
; codeLenInByte = 6992
; TotalNumSgprs: 75
; NumVgprs: 116
; NumAgprs: 0
; TotalNumVgprs: 116
; ScratchSize: 0
; MemoryBound: 0
; FloatMode: 240
; IeeeMode: 1
; LDSByteSize: 14364 bytes/workgroup (compile time only)
; SGPRBlocks: 9
; VGPRBlocks: 14
; NumSGPRsForWavesPerEU: 75
; NumVGPRsForWavesPerEU: 116
; AccumOffset: 116
; Occupancy: 4
; WaveLimiterHint : 0
; COMPUTE_PGM_RSRC2:SCRATCH_EN: 0
; COMPUTE_PGM_RSRC2:USER_SGPR: 2
; COMPUTE_PGM_RSRC2:TRAP_HANDLER: 0
; COMPUTE_PGM_RSRC2:TGID_X_EN: 1
; COMPUTE_PGM_RSRC2:TGID_Y_EN: 0
; COMPUTE_PGM_RSRC2:TGID_Z_EN: 0
; COMPUTE_PGM_RSRC2:TIDIG_COMP_CNT: 0
; COMPUTE_PGM_RSRC3_GFX90A:ACCUM_OFFSET: 28
; COMPUTE_PGM_RSRC3_GFX90A:TG_SPLIT: 0
	.section	.text._Z19_skinny_gemm_kernelILi3ELi4ELi1ELi16ELi8EEvPKhS1_P6__halfPKfiiiiiiii,"axG",@progbits,_Z19_skinny_gemm_kernelILi3ELi4ELi1ELi16ELi8EEvPKhS1_P6__halfPKfiiiiiiii,comdat
	.protected	_Z19_skinny_gemm_kernelILi3ELi4ELi1ELi16ELi8EEvPKhS1_P6__halfPKfiiiiiiii ; -- Begin function _Z19_skinny_gemm_kernelILi3ELi4ELi1ELi16ELi8EEvPKhS1_P6__halfPKfiiiiiiii
	.globl	_Z19_skinny_gemm_kernelILi3ELi4ELi1ELi16ELi8EEvPKhS1_P6__halfPKfiiiiiiii
	.p2align	8
	.type	_Z19_skinny_gemm_kernelILi3ELi4ELi1ELi16ELi8EEvPKhS1_P6__halfPKfiiiiiiii,@function
_Z19_skinny_gemm_kernelILi3ELi4ELi1ELi16ELi8EEvPKhS1_P6__halfPKfiiiiiiii: ; @_Z19_skinny_gemm_kernelILi3ELi4ELi1ELi16ELi8EEvPKhS1_P6__halfPKfiiiiiiii
; %bb.0:
	v_cmp_gt_u32_e32 vcc, 7, v0
	v_lshlrev_b32_e32 v1, 2, v0
	s_and_saveexec_b64 s[4:5], vcc
; %bb.1:
	v_mov_b32_e32 v2, 0
	ds_write_b32 v1, v2 offset:28672
; %bb.2:
	s_or_b64 exec, exec, s[4:5]
	s_load_dwordx8 s[20:27], s[0:1], 0x20
	s_waitcnt lgkmcnt(0)
	s_barrier
	s_add_i32 s3, s20, 47
	s_add_i32 s4, s21, 63
	s_mul_hi_i32 s3, s3, 0x2aaaaaab
	s_lshr_b32 s5, s3, 31
	s_ashr_i32 s33, s3, 3
	s_ashr_i32 s3, s4, 31
	s_lshr_b32 s3, s3, 26
	s_add_i32 s4, s4, s3
	s_add_i32 s33, s33, s5
	s_ashr_i32 s52, s4, 6
	s_mul_i32 s3, s52, s33
	s_mul_i32 s3, s3, s24
	s_add_i32 s4, s3, 0x12f
	s_mul_hi_i32 s4, s4, 0x6bca1af3
	s_lshr_b32 s5, s4, 31
	s_ashr_i32 s4, s4, 7
	s_add_i32 s4, s4, s5
	s_add_i32 s5, s2, 1
	s_mul_i32 s5, s4, s5
	v_cvt_f64_i32_e32 v[2:3], s3
	v_cvt_f64_u32_e32 v[4:5], s5
	v_min_f64 v[2:3], v[2:3], v[4:5]
	v_cvt_i32_f64_e32 v49, v[2:3]
	s_mul_i32 s53, s4, s2
	v_cmp_ge_i32_e32 vcc, s53, v49
	s_cbranch_vccnz .LBB287_61
; %bb.3:
	v_lshrrev_b32_e32 v2, 6, v0
	s_add_i32 s4, s26, s25
	s_load_dwordx8 s[36:43], s[0:1], 0x0
	v_cmp_le_i32_e64 s[0:1], s4, v2
	v_mov_b32_e32 v3, s25
	v_cmp_le_i32_e64 s[2:3], s25, v2
	v_mov_b32_e32 v4, s26
	v_cndmask_b32_e64 v4, 0, v4, s[0:1]
	v_cndmask_b32_e64 v3, 0, v3, s[2:3]
	s_abs_i32 s5, s24
	v_add_u32_e32 v3, v3, v4
	v_cvt_f32_u32_e32 v4, s5
	v_sub_u32_e32 v62, v2, v3
	s_ashr_i32 s6, s22, 31
	s_lshr_b32 s6, s6, 24
	v_rcp_iflag_f32_e32 v3, v4
	s_sub_i32 s9, 0, s5
	s_add_i32 s6, s22, s6
	s_ashr_i32 s6, s6, 8
	v_mul_f32_e32 v3, 0x4f7ffffe, v3
	v_cvt_u32_f32_e32 v3, v3
	s_abs_i32 s8, s6
	s_xor_b32 s7, s6, s24
	s_ashr_i32 s7, s7, 31
	v_readfirstlane_b32 s10, v3
	s_mul_i32 s9, s9, s10
	s_mul_hi_u32 s9, s10, s9
	s_add_i32 s10, s10, s9
	s_mul_hi_u32 s9, s8, s10
	s_mul_i32 s10, s9, s5
	s_sub_i32 s8, s8, s10
	s_add_i32 s10, s9, 1
	s_sub_i32 s11, s8, s5
	s_cmp_ge_u32 s8, s5
	s_cselect_b32 s9, s10, s9
	s_cselect_b32 s8, s11, s8
	s_add_i32 s10, s9, 1
	s_cmp_ge_u32 s8, s5
	s_cselect_b32 s5, s10, s9
	s_xor_b32 s5, s5, s7
	s_sub_i32 s54, s5, s7
	s_add_i32 s24, s24, -1
	s_mul_i32 s5, s54, s24
	s_add_i32 s4, s4, s27
	s_sub_i32 s55, s6, s5
	v_cmp_gt_i32_e64 s[4:5], s4, v2
	v_lshlrev_b32_e32 v2, 1, v0
	v_lshlrev_b32_e32 v3, 4, v0
	v_and_b32_e32 v1, 60, v1
	v_and_b32_e32 v2, 64, v2
	;; [unrolled: 1-line block ×3, first 2 shown]
	v_or3_b32 v117, v1, v2, v4
	v_and_b32_e32 v1, 1, v0
	v_lshrrev_b32_e32 v4, 2, v0
	v_and_b32_e32 v66, 14, v0
	v_and_or_b32 v67, v4, 12, v1
	v_mad_u64_u32 v[4:5], s[6:7], s21, v67, v[66:67]
	v_ashrrev_i32_e32 v5, 31, v4
	s_lshl_b32 s6, s21, 4
	scratch_store_dwordx2 off, v[4:5], off offset:12 ; 8-byte Folded Spill
	v_add_u32_e32 v4, s6, v4
	s_abs_i32 s56, s33
	v_ashrrev_i32_e32 v5, 31, v4
	v_and_b32_e32 v56, 48, v3
	v_cvt_f32_u32_e32 v3, s56
	scratch_store_dwordx2 off, v[4:5], off offset:28 ; 8-byte Folded Spill
	v_add_u32_e32 v4, s6, v4
	v_lshlrev_b32_e32 v2, 1, v1
	v_ashrrev_i32_e32 v5, 31, v4
	v_sub_u32_e32 v2, v0, v2
	v_bitop3_b32 v118, v0, 1, v0 bitop3:0xc
	v_bitop3_b32 v119, v0, 3, 1 bitop3:0x6c
	scratch_store_dwordx2 off, v[4:5], off offset:36 ; 8-byte Folded Spill
	v_bfe_u32 v48, v0, 2, 4
	v_and_b32_e32 v1, 60, v0
	v_lshlrev_b32_e32 v4, 8, v0
	v_lshlrev_b32_e32 v0, 6, v0
	v_and_b32_e32 v4, 0x200, v4
	v_rcp_iflag_f32_e32 v3, v3
	v_and_b32_e32 v0, 64, v0
	s_abs_i32 s58, s52
	v_or3_b32 v122, v1, v4, v0
	v_cvt_f32_u32_e32 v1, s58
	v_mul_f32_e32 v0, 0x4f7ffffe, v3
	v_cvt_u32_f32_e32 v0, v0
	s_sub_i32 s6, 0, s56
	v_rcp_iflag_f32_e32 v1, v1
	v_add_u32_e32 v2, 1, v2
	v_readfirstlane_b32 s7, v0
	s_mul_i32 s6, s6, s7
	v_mul_f32_e32 v0, 0x4f7ffffe, v1
	v_cvt_u32_f32_e32 v0, v0
	s_mul_hi_u32 s6, s7, s6
	s_add_i32 s60, s7, s6
	s_sub_i32 s6, 0, s58
	v_readfirstlane_b32 s7, v0
	v_mbcnt_lo_u32_b32 v0, -1, 0
	v_and_b32_e32 v2, 63, v2
	s_mul_i32 s6, s6, s7
	v_mbcnt_hi_u32_b32 v0, -1, v0
	v_mul_lo_u32 v68, s23, v48
	s_mul_hi_u32 s6, s7, s6
	v_and_or_b32 v0, v0, 64, v2
	v_cndmask_b32_e64 v116, 0, 1, s[0:1]
	s_ashr_i32 s29, s21, 31
	s_mov_b32 s28, s21
	v_ashrrev_i32_e32 v69, 31, v68
	v_mov_b32_e32 v57, 0
	s_lshl_b32 s57, s23, 4
	s_ashr_i32 s59, s33, 31
	s_ashr_i32 s61, s52, 31
	s_add_i32 s62, s7, s6
	s_movk_i32 s63, 0x3000
	s_mov_b64 s[30:31], 0x60
	s_mov_b32 s64, 0x55555556
	v_lshlrev_b32_e32 v123, 2, v0
	v_mov_b32_e32 v124, v62
	scratch_store_dwordx2 off, v[66:67], off ; 8-byte Folded Spill
	scratch_store_dword off, v67, off offset:8 ; 4-byte Folded Spill
	scratch_store_dwordx2 off, v[68:69], off offset:20 ; 8-byte Folded Spill
	s_branch .LBB287_7
.LBB287_4:                              ;   in Loop: Header=BB287_7 Depth=1
	s_or_b64 exec, exec, s[10:11]
.LBB287_5:                              ;   in Loop: Header=BB287_7 Depth=1
	s_or_b64 exec, exec, s[8:9]
	v_subrev_u32_e32 v124, s68, v124
.LBB287_6:                              ;   in Loop: Header=BB287_7 Depth=1
	s_or_b64 exec, exec, s[6:7]
	s_add_i32 s53, s53, 1
	v_cmp_ge_i32_e32 vcc, s53, v49
	s_cbranch_vccnz .LBB287_61
.LBB287_7:                              ; =>This Loop Header: Depth=1
                                        ;     Child Loop BB287_13 Depth 2
                                        ;       Child Loop BB287_15 Depth 3
                                        ;       Child Loop BB287_18 Depth 3
	;; [unrolled: 1-line block ×7, first 2 shown]
                                        ;     Child Loop BB287_48 Depth 2
                                        ;       Child Loop BB287_50 Depth 3
                                        ;     Child Loop BB287_58 Depth 2
                                        ;       Child Loop BB287_60 Depth 3
	s_abs_i32 s7, s53
	s_mul_hi_u32 s8, s7, s60
	s_mul_i32 s9, s8, s56
	s_ashr_i32 s6, s53, 31
	s_sub_i32 s7, s7, s9
	s_xor_b32 s6, s6, s59
	s_add_i32 s9, s8, 1
	s_sub_i32 s10, s7, s56
	s_cmp_ge_u32 s7, s56
	s_cselect_b32 s8, s9, s8
	s_cselect_b32 s7, s10, s7
	s_add_i32 s9, s8, 1
	s_cmp_ge_u32 s7, s56
	s_cselect_b32 s7, s9, s8
	s_xor_b32 s7, s7, s6
	s_sub_i32 s6, s7, s6
	s_abs_i32 s8, s6
	s_mul_hi_u32 s9, s8, s62
	s_mul_i32 s7, s6, s33
	s_mul_i32 s10, s9, s58
	s_sub_i32 s65, s53, s7
	s_ashr_i32 s7, s6, 31
	s_sub_i32 s8, s8, s10
	s_xor_b32 s7, s7, s61
	s_add_i32 s10, s9, 1
	s_sub_i32 s11, s8, s58
	s_cmp_ge_u32 s8, s58
	s_cselect_b32 s9, s10, s9
	s_cselect_b32 s8, s11, s8
	s_add_i32 s10, s9, 1
	s_cmp_ge_u32 s8, s58
	s_cselect_b32 s8, s10, s9
	s_xor_b32 s8, s8, s7
	s_sub_i32 s7, s8, s7
	s_mul_i32 s8, s7, s54
	s_lshl_b32 s66, s8, 8
	s_mul_i32 s65, s65, 48
	s_cmp_eq_u32 s7, s24
	s_cselect_b32 s68, s55, s54
	s_sub_i32 s8, s65, s20
	s_add_i32 s8, s8, 48
	s_max_i32 s67, s8, 0
	s_and_saveexec_b64 s[8:9], s[2:3]
	s_xor_b64 s[34:35], exec, s[8:9]
	s_cbranch_execz .LBB287_54
; %bb.8:                                ;   in Loop: Header=BB287_7 Depth=1
	s_mul_i32 s7, s7, s52
	s_sub_i32 s6, s6, s7
	s_lshl_b32 s6, s6, 6
	s_sub_i32 s45, s6, s21
	s_add_i32 s45, s45, 64
	s_max_i32 s7, s45, 0
	s_sub_i32 s44, s6, s7
	s_and_saveexec_b64 s[6:7], s[0:1]
	s_xor_b64 s[46:47], exec, s[6:7]
	s_cbranch_execz .LBB287_44
; %bb.9:                                ;   in Loop: Header=BB287_7 Depth=1
	s_and_saveexec_b64 s[48:49], s[4:5]
	s_cbranch_execz .LBB287_43
; %bb.10:                               ;   in Loop: Header=BB287_7 Depth=1
	s_waitcnt lgkmcnt(0)
	global_load_dword v125, v57, s[42:43]
	v_mov_b32_e32 v47, 0
	v_cmp_gt_i32_e32 vcc, s68, v124
	v_mov_b32_e32 v46, v47
	v_mov_b32_e32 v45, v47
	;; [unrolled: 1-line block ×47, first 2 shown]
	s_and_saveexec_b64 s[6:7], vcc
	s_cbranch_execz .LBB287_35
; %bb.11:                               ;   in Loop: Header=BB287_7 Depth=1
	v_mov_b32_e32 v8, 0
	s_mov_b64 s[8:9], 0
	v_mov_b32_e32 v9, v8
	v_mov_b32_e32 v10, v8
	v_mov_b32_e32 v11, v8
	v_mov_b32_e32 v0, v8
	v_mov_b32_e32 v1, v8
	v_mov_b32_e32 v2, v8
	v_mov_b32_e32 v3, v8
	v_mov_b32_e32 v4, v8
	v_mov_b32_e32 v5, v8
	v_mov_b32_e32 v6, v8
	v_mov_b32_e32 v7, v8
	v_mov_b32_e32 v12, v8
	v_mov_b32_e32 v13, v8
	v_mov_b32_e32 v14, v8
	v_mov_b32_e32 v15, v8
	v_mov_b32_e32 v16, v8
	v_mov_b32_e32 v17, v8
	v_mov_b32_e32 v18, v8
	v_mov_b32_e32 v19, v8
	v_mov_b32_e32 v20, v8
	v_mov_b32_e32 v21, v8
	v_mov_b32_e32 v22, v8
	v_mov_b32_e32 v23, v8
	v_mov_b32_e32 v24, v8
	v_mov_b32_e32 v25, v8
	v_mov_b32_e32 v26, v8
	v_mov_b32_e32 v27, v8
	v_mov_b32_e32 v28, v8
	v_mov_b32_e32 v29, v8
	v_mov_b32_e32 v30, v8
	v_mov_b32_e32 v31, v8
	v_mov_b32_e32 v32, v8
	v_mov_b32_e32 v33, v8
	v_mov_b32_e32 v34, v8
	v_mov_b32_e32 v35, v8
	v_mov_b32_e32 v36, v8
	v_mov_b32_e32 v37, v8
	v_mov_b32_e32 v38, v8
	v_mov_b32_e32 v39, v8
	v_mov_b32_e32 v40, v8
	v_mov_b32_e32 v41, v8
	v_mov_b32_e32 v42, v8
	v_mov_b32_e32 v43, v8
	v_mov_b32_e32 v44, v8
	v_mov_b32_e32 v45, v8
	v_mov_b32_e32 v46, v8
	v_mov_b32_e32 v47, v8
	s_branch .LBB287_13
.LBB287_12:                             ;   in Loop: Header=BB287_13 Depth=2
	s_or_b64 exec, exec, s[10:11]
	v_add_u32_e32 v52, 0x3000, v54
	ds_read2_b32 v[50:51], v52 offset1:32
	ds_read2_b32 v[52:53], v52 offset0:128 offset1:160
	v_add_u32_e32 v124, s27, v124
	s_waitcnt lgkmcnt(1)
	v_mfma_f32_16x16x32_fp8_fp8 v[32:35], v[60:61], v[50:51], v[32:35]
	v_add_u32_e32 v60, 0x3400, v54
	ds_read2_b32 v[58:59], v60 offset1:32
	ds_read2_b32 v[60:61], v60 offset0:128 offset1:160
	v_mfma_f32_16x16x32_fp8_fp8 v[16:19], v[76:77], v[50:51], v[16:19]
	v_mfma_f32_16x16x32_fp8_fp8 v[8:11], v[94:95], v[50:51], v[8:11]
	v_add_u32_e32 v50, 2, v116
	s_waitcnt lgkmcnt(2)
	v_mfma_f32_16x16x32_fp8_fp8 v[32:35], v[62:63], v[52:53], v[32:35]
	v_mfma_f32_16x16x32_fp8_fp8 v[16:19], v[78:79], v[52:53], v[16:19]
	;; [unrolled: 1-line block ×3, first 2 shown]
	s_waitcnt lgkmcnt(1)
	v_mfma_f32_16x16x32_fp8_fp8 v[32:35], v[68:69], v[58:59], v[32:35]
	v_add_u32_e32 v68, 0x3800, v54
	ds_read2_b32 v[62:63], v68 offset1:32
	v_add_u32_e32 v54, 0x3c00, v54
	v_mfma_f32_16x16x32_fp8_fp8 v[16:19], v[80:81], v[58:59], v[16:19]
	v_mfma_f32_16x16x32_fp8_fp8 v[8:11], v[112:113], v[58:59], v[8:11]
	s_waitcnt lgkmcnt(1)
	v_mfma_f32_16x16x32_fp8_fp8 v[32:35], v[64:65], v[60:61], v[32:35]
	ds_read2_b32 v[64:65], v68 offset0:128 offset1:160
	ds_read2_b32 v[68:69], v54 offset0:128 offset1:160
	v_mfma_f32_16x16x32_fp8_fp8 v[16:19], v[82:83], v[60:61], v[16:19]
	v_mfma_f32_16x16x32_fp8_fp8 v[8:11], v[114:115], v[60:61], v[8:11]
	s_waitcnt lgkmcnt(2)
	v_mfma_f32_16x16x32_fp8_fp8 v[32:35], v[70:71], v[62:63], v[32:35]
	v_mfma_f32_16x16x32_fp8_fp8 v[16:19], v[84:85], v[62:63], v[16:19]
	;; [unrolled: 1-line block ×3, first 2 shown]
	v_add_u32_e32 v62, s27, v126
	v_cmp_lt_i32_e32 vcc, 0, v62
	s_waitcnt lgkmcnt(1)
	v_mfma_f32_16x16x32_fp8_fp8 v[32:35], v[66:67], v[64:65], v[32:35]
	ds_read2_b32 v[66:67], v54 offset1:32
	v_cndmask_b32_e32 v116, v116, v50, vcc
	v_cmp_le_i32_e32 vcc, s68, v124
	v_mfma_f32_16x16x32_fp8_fp8 v[16:19], v[86:87], v[64:65], v[16:19]
	s_or_b64 s[8:9], vcc, s[8:9]
	;;#ASMSTART
	s_waitcnt lgkmcnt(0)
	;;#ASMEND
	ds_write_b32 v127, v55 offset:28696
	v_mfma_f32_16x16x32_fp8_fp8 v[8:11], v[102:103], v[64:65], v[8:11]
	s_waitcnt lgkmcnt(1)
	v_mfma_f32_16x16x32_fp8_fp8 v[32:35], v[72:73], v[66:67], v[32:35]
	v_mfma_f32_16x16x32_fp8_fp8 v[16:19], v[88:89], v[66:67], v[16:19]
	;; [unrolled: 1-line block ×6, first 2 shown]
	s_andn2_b64 exec, exec, s[8:9]
	s_cbranch_execz .LBB287_34
.LBB287_13:                             ;   Parent Loop BB287_7 Depth=1
                                        ; =>  This Loop Header: Depth=2
                                        ;       Child Loop BB287_15 Depth 3
                                        ;       Child Loop BB287_18 Depth 3
	;; [unrolled: 1-line block ×7, first 2 shown]
	v_cmp_lt_i32_e32 vcc, 0, v62
	s_nop 1
	v_subbrev_co_u32_e32 v126, vcc, 0, v62, vcc
	v_lshlrev_b32_e32 v127, 4, v126
	ds_read_b32 v50, v127 offset:28684
	s_waitcnt lgkmcnt(0)
	v_cmp_ne_u32_e32 vcc, v50, v116
	s_and_saveexec_b64 s[10:11], vcc
	s_cbranch_execz .LBB287_16
; %bb.14:                               ;   in Loop: Header=BB287_13 Depth=2
	s_mov_b64 s[12:13], 0
.LBB287_15:                             ;   Parent Loop BB287_7 Depth=1
                                        ;     Parent Loop BB287_13 Depth=2
                                        ; =>    This Inner Loop Header: Depth=3
	;;#ASMSTART
	s_sleep 0
	;;#ASMEND
	ds_read_b32 v50, v127 offset:28684
	s_waitcnt lgkmcnt(0)
	v_cmp_eq_u32_e32 vcc, v50, v116
	s_or_b64 s[12:13], vcc, s[12:13]
	s_andn2_b64 exec, exec, s[12:13]
	s_cbranch_execnz .LBB287_15
.LBB287_16:                             ;   in Loop: Header=BB287_13 Depth=2
	s_or_b64 exec, exec, s[10:11]
	v_lshl_or_b32 v54, v126, 14, v117
	v_add_u32_e32 v50, 0x400, v54
	ds_read2_b32 v[92:93], v54 offset1:32
	ds_read2_b32 v[98:99], v54 offset0:128 offset1:160
	ds_read2_b32 v[100:101], v50 offset1:32
	ds_read2_b32 v[102:103], v50 offset0:128 offset1:160
	v_add_u32_e32 v50, 0x800, v54
	ds_read2_b32 v[104:105], v50 offset1:32
	ds_read2_b32 v[106:107], v50 offset0:128 offset1:160
	v_add_u32_e32 v50, 0xc00, v54
	v_add_u32_e32 v55, 1, v116
	ds_read2_b32 v[110:111], v50 offset1:32
	ds_read2_b32 v[108:109], v50 offset0:128 offset1:160
	;;#ASMSTART
	s_waitcnt lgkmcnt(0)
	;;#ASMEND
	ds_write_b32 v127, v55 offset:28684
	v_mul_lo_u32 v52, v126, 12
	ds_read_b32 v50, v52 offset:28672
	s_waitcnt lgkmcnt(0)
	v_cmp_ne_u32_e32 vcc, v50, v116
	s_and_saveexec_b64 s[10:11], vcc
	s_cbranch_execz .LBB287_19
; %bb.17:                               ;   in Loop: Header=BB287_13 Depth=2
	s_mov_b64 s[12:13], 0
.LBB287_18:                             ;   Parent Loop BB287_7 Depth=1
                                        ;     Parent Loop BB287_13 Depth=2
                                        ; =>    This Inner Loop Header: Depth=3
	;;#ASMSTART
	s_sleep 0
	;;#ASMEND
	ds_read_b32 v50, v52 offset:28672
	s_waitcnt lgkmcnt(0)
	v_cmp_eq_u32_e32 vcc, v50, v116
	s_or_b64 s[12:13], vcc, s[12:13]
	s_andn2_b64 exec, exec, s[12:13]
	s_cbranch_execnz .LBB287_18
.LBB287_19:                             ;   in Loop: Header=BB287_13 Depth=2
	s_or_b64 exec, exec, s[10:11]
	v_mul_lo_u32 v50, v126, s63
	v_or_b32_e32 v51, 0x4000, v117
	v_add_u32_e32 v53, v51, v50
	ds_read2_b32 v[60:61], v53 offset1:32
	ds_read2_b32 v[62:63], v53 offset0:128 offset1:160
	v_add_u32_e32 v50, 0x400, v53
	ds_read2_b32 v[68:69], v50 offset1:32
	ds_read2_b32 v[64:65], v50 offset0:128 offset1:160
	;; [unrolled: 3-line block ×3, first 2 shown]
	s_waitcnt lgkmcnt(5)
	v_mfma_f32_16x16x32_fp8_fp8 v[44:47], v[60:61], v[92:93], v[44:47]
	v_add_u32_e32 v50, 0xc00, v53
	ds_read2_b32 v[72:73], v50 offset1:32
	ds_read2_b32 v[74:75], v50 offset0:128 offset1:160
	ds_read_b32 v50, v52 offset:28676
	s_waitcnt lgkmcnt(7)
	v_mfma_f32_16x16x32_fp8_fp8 v[44:47], v[62:63], v[98:99], v[44:47]
	ds_write_b32 v52, v55 offset:28672
	s_waitcnt lgkmcnt(1)
	v_cmp_ne_u32_e32 vcc, v50, v116
	v_mfma_f32_16x16x32_fp8_fp8 v[44:47], v[68:69], v[100:101], v[44:47]
	v_mfma_f32_16x16x32_fp8_fp8 v[44:47], v[64:65], v[102:103], v[44:47]
	;; [unrolled: 1-line block ×6, first 2 shown]
	s_and_saveexec_b64 s[10:11], vcc
	s_cbranch_execz .LBB287_22
; %bb.20:                               ;   in Loop: Header=BB287_13 Depth=2
	s_mov_b64 s[12:13], 0
.LBB287_21:                             ;   Parent Loop BB287_7 Depth=1
                                        ;     Parent Loop BB287_13 Depth=2
                                        ; =>    This Inner Loop Header: Depth=3
	;;#ASMSTART
	s_sleep 0
	;;#ASMEND
	ds_read_b32 v50, v52 offset:28676
	s_waitcnt lgkmcnt(0)
	v_cmp_eq_u32_e32 vcc, v50, v116
	s_or_b64 s[12:13], vcc, s[12:13]
	s_andn2_b64 exec, exec, s[12:13]
	s_cbranch_execnz .LBB287_21
.LBB287_22:                             ;   in Loop: Header=BB287_13 Depth=2
	s_or_b64 exec, exec, s[10:11]
	v_add_u32_e32 v50, 0x1000, v53
	ds_read2_b32 v[76:77], v50 offset1:32
	ds_read2_b32 v[78:79], v50 offset0:128 offset1:160
	v_add_u32_e32 v50, 0x1400, v53
	ds_read2_b32 v[80:81], v50 offset1:32
	ds_read2_b32 v[82:83], v50 offset0:128 offset1:160
	v_add_u32_e32 v50, 0x1800, v53
	s_waitcnt lgkmcnt(3)
	v_mfma_f32_16x16x32_fp8_fp8 v[28:31], v[76:77], v[92:93], v[28:31]
	ds_read2_b32 v[84:85], v50 offset1:32
	ds_read2_b32 v[86:87], v50 offset0:128 offset1:160
	v_add_u32_e32 v50, 0x1c00, v53
	ds_read2_b32 v[88:89], v50 offset1:32
	ds_read2_b32 v[90:91], v50 offset0:128 offset1:160
	s_waitcnt lgkmcnt(6)
	v_mfma_f32_16x16x32_fp8_fp8 v[28:31], v[78:79], v[98:99], v[28:31]
	ds_read_b32 v50, v52 offset:28680
	ds_write_b32 v52, v55 offset:28676
	s_waitcnt lgkmcnt(1)
	v_cmp_ne_u32_e32 vcc, v50, v116
	v_mfma_f32_16x16x32_fp8_fp8 v[28:31], v[80:81], v[100:101], v[28:31]
	v_mfma_f32_16x16x32_fp8_fp8 v[28:31], v[82:83], v[102:103], v[28:31]
	v_mfma_f32_16x16x32_fp8_fp8 v[28:31], v[84:85], v[104:105], v[28:31]
	v_mfma_f32_16x16x32_fp8_fp8 v[28:31], v[86:87], v[106:107], v[28:31]
	v_mfma_f32_16x16x32_fp8_fp8 v[28:31], v[88:89], v[110:111], v[28:31]
	v_mfma_f32_16x16x32_fp8_fp8 v[28:31], v[90:91], v[108:109], v[28:31]
	s_and_saveexec_b64 s[10:11], vcc
	s_cbranch_execz .LBB287_25
; %bb.23:                               ;   in Loop: Header=BB287_13 Depth=2
	s_mov_b64 s[12:13], 0
.LBB287_24:                             ;   Parent Loop BB287_7 Depth=1
                                        ;     Parent Loop BB287_13 Depth=2
                                        ; =>    This Inner Loop Header: Depth=3
	;;#ASMSTART
	s_sleep 0
	;;#ASMEND
	ds_read_b32 v50, v52 offset:28680
	s_waitcnt lgkmcnt(0)
	v_cmp_eq_u32_e32 vcc, v50, v116
	s_or_b64 s[12:13], vcc, s[12:13]
	s_andn2_b64 exec, exec, s[12:13]
	s_cbranch_execnz .LBB287_24
.LBB287_25:                             ;   in Loop: Header=BB287_13 Depth=2
	s_or_b64 exec, exec, s[10:11]
	v_add_u32_e32 v50, 0x2000, v53
	ds_read2_b32 v[94:95], v50 offset1:32
	ds_read2_b32 v[96:97], v50 offset0:128 offset1:160
	v_add_u32_e32 v50, 0x2400, v53
	ds_read2_b32 v[112:113], v50 offset1:32
	ds_read2_b32 v[114:115], v50 offset0:128 offset1:160
	s_waitcnt lgkmcnt(3)
	v_mfma_f32_16x16x32_fp8_fp8 v[12:15], v[94:95], v[92:93], v[12:15]
	v_add_u32_e32 v50, 0x2800, v53
	ds_write_b32 v52, v55 offset:28680
	s_waitcnt lgkmcnt(3)
	v_mfma_f32_16x16x32_fp8_fp8 v[12:15], v[96:97], v[98:99], v[12:15]
	s_waitcnt lgkmcnt(2)
	v_mfma_f32_16x16x32_fp8_fp8 v[12:15], v[112:113], v[100:101], v[12:15]
	ds_read2_b32 v[100:101], v50 offset1:32
	s_waitcnt lgkmcnt(2)
	v_mfma_f32_16x16x32_fp8_fp8 v[12:15], v[114:115], v[102:103], v[12:15]
	ds_read2_b32 v[102:103], v50 offset0:128 offset1:160
	v_add_u32_e32 v50, 0x2c00, v53
	ds_read2_b32 v[98:99], v50 offset1:32
	ds_read2_b32 v[92:93], v50 offset0:128 offset1:160
	s_waitcnt lgkmcnt(3)
	v_mfma_f32_16x16x32_fp8_fp8 v[12:15], v[100:101], v[104:105], v[12:15]
	ds_read_b32 v50, v127 offset:28688
	s_waitcnt lgkmcnt(0)
	v_cmp_ne_u32_e32 vcc, v50, v116
	v_mfma_f32_16x16x32_fp8_fp8 v[12:15], v[102:103], v[106:107], v[12:15]
	v_mfma_f32_16x16x32_fp8_fp8 v[12:15], v[98:99], v[110:111], v[12:15]
	;; [unrolled: 1-line block ×3, first 2 shown]
	s_and_saveexec_b64 s[10:11], vcc
	s_cbranch_execz .LBB287_28
; %bb.26:                               ;   in Loop: Header=BB287_13 Depth=2
	s_mov_b64 s[12:13], 0
.LBB287_27:                             ;   Parent Loop BB287_7 Depth=1
                                        ;     Parent Loop BB287_13 Depth=2
                                        ; =>    This Inner Loop Header: Depth=3
	;;#ASMSTART
	s_sleep 0
	;;#ASMEND
	ds_read_b32 v50, v127 offset:28688
	s_waitcnt lgkmcnt(0)
	v_cmp_eq_u32_e32 vcc, v50, v116
	s_or_b64 s[12:13], vcc, s[12:13]
	s_andn2_b64 exec, exec, s[12:13]
	s_cbranch_execnz .LBB287_27
.LBB287_28:                             ;   in Loop: Header=BB287_13 Depth=2
	s_or_b64 exec, exec, s[10:11]
	v_add_u32_e32 v50, 0x1000, v54
	ds_read2_b32 v[52:53], v50 offset1:32
	ds_read2_b32 v[104:105], v50 offset0:128 offset1:160
	v_add_u32_e32 v50, 0x1400, v54
	ds_read2_b32 v[106:107], v50 offset1:32
	ds_read2_b32 v[108:109], v50 offset0:128 offset1:160
	s_waitcnt lgkmcnt(3)
	v_mfma_f32_16x16x32_fp8_fp8 v[40:43], v[60:61], v[52:53], v[40:43]
	v_add_u32_e32 v50, 0x1800, v54
	ds_read2_b32 v[110:111], v50 offset1:32
	ds_read2_b32 v[50:51], v50 offset0:128 offset1:160
	v_mfma_f32_16x16x32_fp8_fp8 v[24:27], v[76:77], v[52:53], v[24:27]
	v_add_u32_e32 v120, 0x1c00, v54
	ds_read2_b32 v[58:59], v120 offset1:32
	ds_read2_b32 v[120:121], v120 offset0:128 offset1:160
	v_mfma_f32_16x16x32_fp8_fp8 v[4:7], v[94:95], v[52:53], v[4:7]
	;;#ASMSTART
	s_waitcnt lgkmcnt(0)
	;;#ASMEND
	ds_write_b32 v127, v55 offset:28688
	s_waitcnt lgkmcnt(7)
	v_mfma_f32_16x16x32_fp8_fp8 v[40:43], v[62:63], v[104:105], v[40:43]
	v_mfma_f32_16x16x32_fp8_fp8 v[24:27], v[78:79], v[104:105], v[24:27]
	v_mfma_f32_16x16x32_fp8_fp8 v[4:7], v[96:97], v[104:105], v[4:7]
	s_waitcnt lgkmcnt(6)
	v_mfma_f32_16x16x32_fp8_fp8 v[40:43], v[68:69], v[106:107], v[40:43]
	v_mfma_f32_16x16x32_fp8_fp8 v[24:27], v[80:81], v[106:107], v[24:27]
	v_mfma_f32_16x16x32_fp8_fp8 v[4:7], v[112:113], v[106:107], v[4:7]
	;; [unrolled: 4-line block ×5, first 2 shown]
	ds_read_b32 v50, v127 offset:28692
	s_waitcnt lgkmcnt(0)
	v_cmp_ne_u32_e32 vcc, v50, v116
	v_mfma_f32_16x16x32_fp8_fp8 v[40:43], v[72:73], v[58:59], v[40:43]
	v_mfma_f32_16x16x32_fp8_fp8 v[24:27], v[88:89], v[58:59], v[24:27]
	;; [unrolled: 1-line block ×6, first 2 shown]
	s_and_saveexec_b64 s[10:11], vcc
	s_cbranch_execz .LBB287_31
; %bb.29:                               ;   in Loop: Header=BB287_13 Depth=2
	s_mov_b64 s[12:13], 0
.LBB287_30:                             ;   Parent Loop BB287_7 Depth=1
                                        ;     Parent Loop BB287_13 Depth=2
                                        ; =>    This Inner Loop Header: Depth=3
	;;#ASMSTART
	s_sleep 0
	;;#ASMEND
	ds_read_b32 v50, v127 offset:28692
	s_waitcnt lgkmcnt(0)
	v_cmp_eq_u32_e32 vcc, v50, v116
	s_or_b64 s[12:13], vcc, s[12:13]
	s_andn2_b64 exec, exec, s[12:13]
	s_cbranch_execnz .LBB287_30
.LBB287_31:                             ;   in Loop: Header=BB287_13 Depth=2
	s_or_b64 exec, exec, s[10:11]
	v_add_u32_e32 v52, 0x2000, v54
	ds_read2_b32 v[50:51], v52 offset1:32
	ds_read2_b32 v[52:53], v52 offset0:128 offset1:160
	v_add_u32_e32 v104, 0x2400, v54
	ds_read2_b32 v[58:59], v104 offset1:32
	ds_read2_b32 v[104:105], v104 offset0:128 offset1:160
	s_waitcnt lgkmcnt(3)
	v_mfma_f32_16x16x32_fp8_fp8 v[36:39], v[60:61], v[50:51], v[36:39]
	v_add_u32_e32 v108, 0x2800, v54
	ds_read2_b32 v[106:107], v108 offset1:32
	ds_read2_b32 v[108:109], v108 offset0:128 offset1:160
	v_mfma_f32_16x16x32_fp8_fp8 v[20:23], v[76:77], v[50:51], v[20:23]
	v_add_u32_e32 v120, 0x2c00, v54
	ds_read2_b32 v[110:111], v120 offset1:32
	ds_read2_b32 v[120:121], v120 offset0:128 offset1:160
	v_mfma_f32_16x16x32_fp8_fp8 v[0:3], v[94:95], v[50:51], v[0:3]
	;;#ASMSTART
	s_waitcnt lgkmcnt(0)
	;;#ASMEND
	ds_read_b32 v50, v127 offset:28696
	ds_write_b32 v127, v55 offset:28692
	s_waitcnt lgkmcnt(8)
	v_mfma_f32_16x16x32_fp8_fp8 v[36:39], v[62:63], v[52:53], v[36:39]
	s_waitcnt lgkmcnt(1)
	v_cmp_ne_u32_e32 vcc, v50, v116
	v_mfma_f32_16x16x32_fp8_fp8 v[20:23], v[78:79], v[52:53], v[20:23]
	v_mfma_f32_16x16x32_fp8_fp8 v[0:3], v[96:97], v[52:53], v[0:3]
	;; [unrolled: 1-line block ×20, first 2 shown]
	s_and_saveexec_b64 s[10:11], vcc
	s_cbranch_execz .LBB287_12
; %bb.32:                               ;   in Loop: Header=BB287_13 Depth=2
	s_mov_b64 s[12:13], 0
.LBB287_33:                             ;   Parent Loop BB287_7 Depth=1
                                        ;     Parent Loop BB287_13 Depth=2
                                        ; =>    This Inner Loop Header: Depth=3
	;;#ASMSTART
	s_sleep 0
	;;#ASMEND
	ds_read_b32 v50, v127 offset:28696
	s_waitcnt lgkmcnt(0)
	v_cmp_eq_u32_e32 vcc, v50, v116
	s_or_b64 s[12:13], vcc, s[12:13]
	s_andn2_b64 exec, exec, s[12:13]
	s_cbranch_execnz .LBB287_33
	s_branch .LBB287_12
.LBB287_34:                             ;   in Loop: Header=BB287_7 Depth=1
	s_or_b64 exec, exec, s[8:9]
	scratch_load_dwordx2 v[66:67], off, off ; 8-byte Folded Reload
	scratch_load_dword v67, off, off offset:8 ; 4-byte Folded Reload
	scratch_load_dwordx2 v[68:69], off, off offset:20 ; 8-byte Folded Reload
.LBB287_35:                             ;   in Loop: Header=BB287_7 Depth=1
	s_or_b64 exec, exec, s[6:7]
	s_waitcnt vmcnt(2)
	v_cmp_le_i32_e32 vcc, s45, v66
	v_cmp_eq_u32_e64 s[6:7], 2, v118
	v_cmp_eq_u32_e64 s[8:9], 3, v118
	s_waitcnt vmcnt(0)
	v_cndmask_b32_e32 v60, 0, v125, vcc
	v_pk_mul_f32 v[44:45], v[60:61], v[44:45] op_sel_hi:[0,1]
	v_cmp_eq_u32_e32 vcc, 1, v118
	v_pk_mul_f32 v[50:51], v[60:61], v[46:47] op_sel_hi:[0,1]
	v_cmp_eq_u32_e64 s[10:11], 0, v118
	v_cndmask_b32_e32 v46, v44, v45, vcc
	v_cndmask_b32_e64 v46, v46, v50, s[6:7]
	v_cndmask_b32_e64 v46, v46, v51, s[8:9]
	ds_bpermute_b32 v52, v123, v46
	v_cmp_eq_u32_e64 s[12:13], 1, v119
	v_cmp_eq_u32_e64 s[16:17], 3, v119
	s_waitcnt lgkmcnt(0)
	v_cndmask_b32_e64 v54, v44, v52, s[10:11]
	v_or_b32_e32 v44, 16, v66
	v_cmp_le_i32_e64 s[14:15], s45, v44
	v_cndmask_b32_e32 v45, v45, v52, vcc
	v_cndmask_b32_e64 v46, v51, v52, s[8:9]
	v_cndmask_b32_e64 v44, 0, v125, s[14:15]
	v_pk_mul_f32 v[40:41], v[44:45], v[40:41] op_sel_hi:[0,1]
	v_cndmask_b32_e64 v47, v50, v52, s[6:7]
	v_pk_mul_f32 v[50:51], v[44:45], v[42:43] op_sel_hi:[0,1]
	v_cndmask_b32_e32 v42, v40, v41, vcc
	v_cndmask_b32_e64 v42, v42, v50, s[6:7]
	v_cndmask_b32_e64 v42, v42, v51, s[8:9]
	ds_bpermute_b32 v53, v123, v42
	v_cndmask_b32_e64 v52, v54, v45, s[12:13]
	v_cmp_eq_u32_e64 s[14:15], 2, v119
	s_waitcnt lgkmcnt(0)
	v_cndmask_b32_e64 v61, v40, v53, s[10:11]
	v_or_b32_e32 v40, 32, v66
	v_cmp_le_i32_e64 s[18:19], s45, v40
	v_cndmask_b32_e32 v41, v41, v53, vcc
	v_cndmask_b32_e64 v42, v52, v47, s[14:15]
	v_cndmask_b32_e64 v40, 0, v125, s[18:19]
	v_pk_mul_f32 v[36:37], v[40:41], v[36:37] op_sel_hi:[0,1]
	v_cndmask_b32_e64 v43, v51, v53, s[8:9]
	v_cndmask_b32_e64 v52, v50, v53, s[6:7]
	v_pk_mul_f32 v[50:51], v[40:41], v[38:39] op_sel_hi:[0,1]
	v_cndmask_b32_e32 v38, v36, v37, vcc
	v_cndmask_b32_e64 v38, v38, v50, s[6:7]
	v_cndmask_b32_e64 v38, v38, v51, s[8:9]
	ds_bpermute_b32 v55, v123, v38
	v_cndmask_b32_e64 v38, v61, v41, s[12:13]
	v_cndmask_b32_e64 v38, v38, v52, s[14:15]
	;; [unrolled: 1-line block ×4, first 2 shown]
	s_waitcnt lgkmcnt(0)
	v_cndmask_b32_e64 v65, v36, v55, s[10:11]
	v_or_b32_e32 v36, 48, v66
	v_cmp_le_i32_e64 s[18:19], s45, v36
	v_cndmask_b32_e64 v39, v51, v55, s[8:9]
	v_cndmask_b32_e64 v53, v50, v55, s[6:7]
	;; [unrolled: 1-line block ×3, first 2 shown]
	v_pk_mul_f32 v[58:59], v[36:37], v[32:33] op_sel_hi:[0,1]
	v_pk_mul_f32 v[50:51], v[36:37], v[34:35] op_sel_hi:[0,1]
	v_cndmask_b32_e32 v32, v58, v59, vcc
	v_cndmask_b32_e64 v32, v32, v50, s[6:7]
	v_cndmask_b32_e64 v32, v32, v51, s[8:9]
	ds_bpermute_b32 v33, v123, v32
	v_cndmask_b32_e32 v64, v37, v55, vcc
	v_cndmask_b32_e64 v32, v65, v64, s[12:13]
	v_cndmask_b32_e64 v32, v32, v53, s[14:15]
	;; [unrolled: 1-line block ×3, first 2 shown]
	v_cmp_ne_u32_e32 vcc, 0, v118
	ds_bpermute_b32 v55, v123, v32
	s_waitcnt lgkmcnt(1)
	v_cndmask_b32_e64 v34, v51, v33, s[8:9]
	v_cndmask_b32_e64 v35, v50, v33, s[6:7]
	v_cndmask_b32_e32 v32, v59, v33, vcc
	v_cndmask_b32_e64 v33, v58, v33, s[10:11]
	v_cndmask_b32_e64 v37, v33, v32, s[12:13]
	;; [unrolled: 1-line block ×4, first 2 shown]
	ds_bpermute_b32 v42, v123, v42
	ds_bpermute_b32 v38, v123, v38
	;; [unrolled: 1-line block ×3, first 2 shown]
	v_add_u32_e32 v37, s67, v67
	v_cmp_gt_u32_e32 vcc, 48, v37
	s_and_saveexec_b64 s[18:19], vcc
	s_cbranch_execz .LBB287_42
; %bb.36:                               ;   in Loop: Header=BB287_7 Depth=1
	v_cmp_eq_u32_e64 s[8:9], 1, v119
	v_cmp_eq_u32_e64 s[10:11], 0, v119
	v_cmp_eq_u32_e32 vcc, 3, v119
	s_waitcnt lgkmcnt(0)
	v_cndmask_b32_e64 v59, v32, v63, s[8:9]
	v_cndmask_b32_e64 v51, v61, v38, s[10:11]
	;; [unrolled: 1-line block ×3, first 2 shown]
	scratch_load_dwordx2 v[32:33], off, off offset:12 ; 8-byte Folded Reload
	v_cndmask_b32_e64 v45, v45, v42, s[8:9]
	v_cndmask_b32_e64 v50, v54, v42, s[10:11]
	;; [unrolled: 1-line block ×4, first 2 shown]
	s_mul_i32 s8, s65, s21
	s_ashr_i32 s9, s8, 31
	s_lshl_b64 s[8:9], s[8:9], 1
	v_cndmask_b32_e64 v58, v65, v55, s[10:11]
	s_add_u32 s10, s40, s8
	s_addc_u32 s11, s41, s9
	s_ashr_i32 s45, s44, 31
	v_cvt_f16_f32_e32 v50, v50
	v_cvt_f16_f32_sdwa v45, v45 dst_sel:WORD_1 dst_unused:UNUSED_PAD src0_sel:DWORD
	v_cvt_f16_f32_e32 v64, v51
	v_cvt_f16_f32_sdwa v41, v41 dst_sel:WORD_1 dst_unused:UNUSED_PAD src0_sel:DWORD
	s_lshl_b64 s[8:9], s[44:45], 1
	s_add_u32 s50, s10, s8
	s_addc_u32 s51, s11, s9
	v_or_b32_e32 v45, v45, v50
	v_or_b32_e32 v41, v41, v64
	v_cmp_eq_u32_e64 s[6:7], 2, v119
	v_cmp_gt_u32_e64 s[8:9], 46, v37
	s_waitcnt vmcnt(0)
	v_lshl_add_u64 v[32:33], v[32:33], 1, s[50:51]
	;;#ASMSTART
	global_atomic_pk_add_f16 v[32:33], v45, off
	
	;;#ASMEND
	v_lshl_add_u64 v[50:51], v[32:33], 0, 32
	;;#ASMSTART
	global_atomic_pk_add_f16 v[50:51], v41, off
	
	;;#ASMEND
	v_cvt_f16_f32_e32 v41, v58
	v_cvt_f16_f32_sdwa v45, v54 dst_sel:WORD_1 dst_unused:UNUSED_PAD src0_sel:DWORD
	v_cvt_f16_f32_e32 v54, v61
	v_cvt_f16_f32_sdwa v58, v59 dst_sel:WORD_1 dst_unused:UNUSED_PAD src0_sel:DWORD
	v_lshl_add_u64 v[50:51], v[32:33], 0, 64
	v_or_b32_e32 v41, v45, v41
	;;#ASMSTART
	global_atomic_pk_add_f16 v[50:51], v41, off
	
	;;#ASMEND
	v_lshl_add_u64 v[50:51], v[32:33], 0, s[30:31]
	v_or_b32_e32 v41, v58, v54
	;;#ASMSTART
	global_atomic_pk_add_f16 v[50:51], v41, off
	
	;;#ASMEND
	s_and_b64 exec, exec, s[8:9]
	s_cbranch_execz .LBB287_42
; %bb.37:                               ;   in Loop: Header=BB287_7 Depth=1
	v_cndmask_b32_e32 v46, v46, v42, vcc
	v_cndmask_b32_e64 v42, v47, v42, s[6:7]
	v_cvt_f16_f32_e32 v42, v42
	v_cvt_f16_f32_sdwa v46, v46 dst_sel:WORD_1 dst_unused:UNUSED_PAD src0_sel:DWORD
	v_cndmask_b32_e32 v43, v43, v38, vcc
	v_cndmask_b32_e64 v38, v52, v38, s[6:7]
	v_cndmask_b32_e32 v39, v39, v55, vcc
	v_cndmask_b32_e64 v47, v53, v55, s[6:7]
	v_cndmask_b32_e32 v50, v34, v63, vcc
	v_or_b32_e32 v34, v46, v42
	v_cvt_f16_f32_e32 v38, v38
	v_cvt_f16_f32_sdwa v42, v43 dst_sel:WORD_1 dst_unused:UNUSED_PAD src0_sel:DWORD
	v_cvt_f16_f32_e32 v43, v47
	v_cvt_f16_f32_sdwa v39, v39 dst_sel:WORD_1 dst_unused:UNUSED_PAD src0_sel:DWORD
	v_lshl_add_u64 v[32:33], s[28:29], 2, v[32:33]
	v_or_b32_e32 v38, v42, v38
	v_mov_b32_e32 v61, v60
	v_cndmask_b32_e64 v51, v35, v63, s[6:7]
	;;#ASMSTART
	global_atomic_pk_add_f16 v[32:33], v34, off
	
	;;#ASMEND
	v_lshl_add_u64 v[34:35], v[32:33], 0, 32
	;;#ASMSTART
	global_atomic_pk_add_f16 v[34:35], v38, off
	
	;;#ASMEND
	v_or_b32_e32 v42, v39, v43
	v_mov_b32_e32 v38, v60
	v_mov_b32_e32 v39, v60
	v_pk_mul_f32 v[30:31], v[38:39], v[30:31]
	v_pk_mul_f32 v[38:39], v[60:61], v[28:29]
	v_cmp_eq_u32_e32 vcc, 1, v118
	v_mov_b32_e32 v45, v44
	v_lshl_add_u64 v[34:35], v[32:33], 0, 64
	v_cndmask_b32_e32 v28, v38, v39, vcc
	v_cmp_eq_u32_e64 s[6:7], 2, v118
	;;#ASMSTART
	global_atomic_pk_add_f16 v[34:35], v42, off
	
	;;#ASMEND
	v_lshl_add_u64 v[42:43], v[32:33], 0, s[30:31]
	v_mov_b32_e32 v32, v44
	v_mov_b32_e32 v33, v44
	v_cndmask_b32_e64 v28, v28, v30, s[6:7]
	v_cmp_eq_u32_e64 s[8:9], 3, v118
	v_pk_mul_f32 v[26:27], v[32:33], v[26:27]
	v_pk_mul_f32 v[32:33], v[44:45], v[24:25]
	v_cndmask_b32_e64 v28, v28, v31, s[8:9]
	v_cndmask_b32_e32 v24, v32, v33, vcc
	ds_bpermute_b32 v46, v123, v28
	v_cndmask_b32_e64 v24, v24, v26, s[6:7]
	v_cndmask_b32_e64 v24, v24, v27, s[8:9]
	ds_bpermute_b32 v35, v123, v24
	v_cmp_eq_u32_e64 s[10:11], 0, v118
	s_waitcnt lgkmcnt(1)
	v_cndmask_b32_e64 v28, v31, v46, s[8:9]
	v_cndmask_b32_e64 v29, v30, v46, s[6:7]
	v_cndmask_b32_e32 v30, v39, v46, vcc
	v_cndmask_b32_e64 v31, v38, v46, s[10:11]
	v_cmp_eq_u32_e64 s[12:13], 1, v119
	v_mov_b32_e32 v41, v40
	v_cmp_eq_u32_e64 s[14:15], 2, v119
	v_cndmask_b32_e64 v34, v31, v30, s[12:13]
	s_waitcnt lgkmcnt(0)
	v_cndmask_b32_e64 v25, v27, v35, s[8:9]
	v_cndmask_b32_e64 v24, v34, v29, s[14:15]
	;; [unrolled: 1-line block ×3, first 2 shown]
	v_cndmask_b32_e32 v27, v33, v35, vcc
	v_cndmask_b32_e64 v32, v32, v35, s[10:11]
	v_mov_b32_e32 v34, v40
	v_mov_b32_e32 v35, v40
	v_pk_mul_f32 v[38:39], v[40:41], v[20:21]
	v_pk_mul_f32 v[22:23], v[34:35], v[22:23]
	v_cndmask_b32_e32 v20, v38, v39, vcc
	v_cndmask_b32_e64 v20, v20, v22, s[6:7]
	v_cndmask_b32_e64 v20, v20, v23, s[8:9]
	ds_bpermute_b32 v33, v123, v20
	v_mov_b32_e32 v37, v36
	v_pk_mul_f32 v[46:47], v[36:37], v[16:17]
	v_cmp_eq_u32_e64 s[16:17], 3, v119
	v_cndmask_b32_e32 v16, v46, v47, vcc
	s_waitcnt lgkmcnt(0)
	v_cndmask_b32_e32 v34, v39, v33, vcc
	v_cndmask_b32_e64 v35, v38, v33, s[10:11]
	v_mov_b32_e32 v38, v36
	v_mov_b32_e32 v39, v36
	v_pk_mul_f32 v[38:39], v[38:39], v[18:19]
	v_cndmask_b32_e64 v22, v22, v33, s[6:7]
	v_cndmask_b32_e64 v16, v16, v38, s[6:7]
	;; [unrolled: 1-line block ×3, first 2 shown]
	ds_bpermute_b32 v17, v123, v16
	v_cndmask_b32_e64 v16, v35, v34, s[12:13]
	v_cndmask_b32_e64 v21, v23, v33, s[8:9]
	;; [unrolled: 1-line block ×4, first 2 shown]
	v_cmp_ne_u32_e32 vcc, 0, v118
	ds_bpermute_b32 v23, v123, v16
	s_waitcnt lgkmcnt(1)
	v_cndmask_b32_e64 v18, v39, v17, s[8:9]
	v_cndmask_b32_e64 v19, v38, v17, s[6:7]
	v_cndmask_b32_e32 v16, v47, v17, vcc
	v_cndmask_b32_e64 v17, v46, v17, s[10:11]
	v_cvt_f16_f32_e32 v51, v51
	v_cvt_f16_f32_sdwa v50, v50 dst_sel:WORD_1 dst_unused:UNUSED_PAD src0_sel:DWORD
	v_cndmask_b32_e64 v20, v32, v27, s[12:13]
	v_cndmask_b32_e64 v33, v17, v16, s[12:13]
	;; [unrolled: 1-line block ×7, first 2 shown]
	ds_bpermute_b32 v24, v123, v24
	ds_bpermute_b32 v20, v123, v20
	;; [unrolled: 1-line block ×3, first 2 shown]
	v_or_b32_e32 v38, v50, v51
	;;#ASMSTART
	global_atomic_pk_add_f16 v[42:43], v38, off
	
	;;#ASMEND
	v_or_b32_e32 v38, 16, v67
	v_add_u32_e32 v38, s67, v38
	v_cmp_gt_u32_e32 vcc, 48, v38
	s_and_b64 exec, exec, vcc
	s_cbranch_execz .LBB287_42
; %bb.38:                               ;   in Loop: Header=BB287_7 Depth=1
	v_cmp_eq_u32_e64 s[8:9], 1, v119
	v_cmp_eq_u32_e64 s[10:11], 0, v119
	v_cmp_eq_u32_e32 vcc, 3, v119
	s_waitcnt lgkmcnt(0)
	v_cndmask_b32_e64 v39, v16, v33, s[8:9]
	v_cndmask_b32_e64 v42, v17, v33, s[10:11]
	scratch_load_dwordx2 v[16:17], off, off offset:28 ; 8-byte Folded Reload
	v_cndmask_b32_e64 v30, v30, v24, s[8:9]
	v_cndmask_b32_e64 v31, v31, v24, s[10:11]
	;; [unrolled: 1-line block ×4, first 2 shown]
	v_cvt_f16_f32_e32 v31, v31
	v_cvt_f16_f32_sdwa v30, v30 dst_sel:WORD_1 dst_unused:UNUSED_PAD src0_sel:DWORD
	v_cvt_f16_f32_e32 v32, v32
	v_cvt_f16_f32_sdwa v27, v27 dst_sel:WORD_1 dst_unused:UNUSED_PAD src0_sel:DWORD
	v_cndmask_b32_e64 v34, v34, v23, s[8:9]
	v_cndmask_b32_e64 v35, v35, v23, s[10:11]
	v_or_b32_e32 v30, v30, v31
	v_or_b32_e32 v27, v27, v32
	v_cvt_f16_f32_sdwa v32, v34 dst_sel:WORD_1 dst_unused:UNUSED_PAD src0_sel:DWORD
	v_cvt_f16_f32_e32 v34, v42
	v_cmp_eq_u32_e64 s[6:7], 2, v119
	v_cmp_gt_u32_e64 s[8:9], 46, v38
	s_waitcnt vmcnt(0)
	v_lshl_add_u64 v[16:17], v[16:17], 1, s[50:51]
	;;#ASMSTART
	global_atomic_pk_add_f16 v[16:17], v30, off
	
	;;#ASMEND
	v_lshl_add_u64 v[30:31], v[16:17], 0, 32
	;;#ASMSTART
	global_atomic_pk_add_f16 v[30:31], v27, off
	
	;;#ASMEND
	v_cvt_f16_f32_e32 v27, v35
	v_cvt_f16_f32_sdwa v35, v39 dst_sel:WORD_1 dst_unused:UNUSED_PAD src0_sel:DWORD
	v_lshl_add_u64 v[30:31], v[16:17], 0, 64
	v_or_b32_e32 v27, v32, v27
	;;#ASMSTART
	global_atomic_pk_add_f16 v[30:31], v27, off
	
	;;#ASMEND
	v_lshl_add_u64 v[30:31], v[16:17], 0, s[30:31]
	v_or_b32_e32 v27, v35, v34
	;;#ASMSTART
	global_atomic_pk_add_f16 v[30:31], v27, off
	
	;;#ASMEND
	s_and_b64 exec, exec, s[8:9]
	s_cbranch_execz .LBB287_42
; %bb.39:                               ;   in Loop: Header=BB287_7 Depth=1
	v_cndmask_b32_e32 v27, v28, v24, vcc
	v_cndmask_b32_e64 v24, v29, v24, s[6:7]
	v_cndmask_b32_e32 v21, v21, v23, vcc
	v_cndmask_b32_e64 v22, v22, v23, s[6:7]
	v_cvt_f16_f32_e32 v23, v24
	v_cvt_f16_f32_sdwa v24, v27 dst_sel:WORD_1 dst_unused:UNUSED_PAD src0_sel:DWORD
	v_cndmask_b32_e32 v25, v25, v20, vcc
	v_cndmask_b32_e64 v20, v26, v20, s[6:7]
	v_cndmask_b32_e32 v26, v18, v33, vcc
	v_or_b32_e32 v18, v24, v23
	v_cvt_f16_f32_e32 v20, v20
	v_cvt_f16_f32_sdwa v23, v25 dst_sel:WORD_1 dst_unused:UNUSED_PAD src0_sel:DWORD
	v_cvt_f16_f32_e32 v22, v22
	v_cvt_f16_f32_sdwa v21, v21 dst_sel:WORD_1 dst_unused:UNUSED_PAD src0_sel:DWORD
	v_lshl_add_u64 v[16:17], s[28:29], 2, v[16:17]
	v_or_b32_e32 v20, v23, v20
	v_cndmask_b32_e64 v27, v19, v33, s[6:7]
	;;#ASMSTART
	global_atomic_pk_add_f16 v[16:17], v18, off
	
	;;#ASMEND
	v_lshl_add_u64 v[18:19], v[16:17], 0, 32
	;;#ASMSTART
	global_atomic_pk_add_f16 v[18:19], v20, off
	
	;;#ASMEND
	v_or_b32_e32 v22, v21, v22
	v_mov_b32_e32 v20, v60
	v_mov_b32_e32 v21, v60
	v_pk_mul_f32 v[14:15], v[20:21], v[14:15]
	v_pk_mul_f32 v[20:21], v[60:61], v[12:13]
	v_cmp_eq_u32_e32 vcc, 1, v118
	v_lshl_add_u64 v[18:19], v[16:17], 0, 64
	v_cmp_eq_u32_e64 s[6:7], 2, v118
	v_cndmask_b32_e32 v12, v20, v21, vcc
	v_cmp_eq_u32_e64 s[8:9], 3, v118
	v_cndmask_b32_e64 v12, v12, v14, s[6:7]
	;;#ASMSTART
	global_atomic_pk_add_f16 v[18:19], v22, off
	
	;;#ASMEND
	v_lshl_add_u64 v[22:23], v[16:17], 0, s[30:31]
	v_mov_b32_e32 v16, v44
	v_mov_b32_e32 v17, v44
	v_pk_mul_f32 v[18:19], v[44:45], v[4:5]
	v_cndmask_b32_e64 v12, v12, v15, s[8:9]
	v_pk_mul_f32 v[6:7], v[16:17], v[6:7]
	v_cndmask_b32_e32 v4, v18, v19, vcc
	ds_bpermute_b32 v24, v123, v12
	v_cndmask_b32_e64 v4, v4, v6, s[6:7]
	v_cndmask_b32_e64 v4, v4, v7, s[8:9]
	ds_bpermute_b32 v17, v123, v4
	v_cmp_eq_u32_e64 s[10:11], 0, v118
	s_waitcnt lgkmcnt(1)
	v_cndmask_b32_e64 v12, v15, v24, s[8:9]
	v_cndmask_b32_e64 v13, v14, v24, s[6:7]
	v_cndmask_b32_e32 v14, v21, v24, vcc
	v_cndmask_b32_e64 v15, v20, v24, s[10:11]
	v_cmp_eq_u32_e64 s[12:13], 1, v119
	v_cmp_eq_u32_e64 s[14:15], 2, v119
	s_waitcnt lgkmcnt(0)
	v_cndmask_b32_e64 v5, v7, v17, s[8:9]
	v_cndmask_b32_e64 v20, v15, v14, s[12:13]
	;; [unrolled: 1-line block ×4, first 2 shown]
	v_cndmask_b32_e32 v16, v19, v17, vcc
	v_cndmask_b32_e64 v17, v18, v17, s[10:11]
	v_mov_b32_e32 v18, v40
	v_mov_b32_e32 v19, v40
	v_pk_mul_f32 v[20:21], v[40:41], v[0:1]
	v_pk_mul_f32 v[18:19], v[18:19], v[2:3]
	v_cndmask_b32_e32 v0, v20, v21, vcc
	v_cndmask_b32_e64 v0, v0, v18, s[6:7]
	v_cndmask_b32_e64 v0, v0, v19, s[8:9]
	ds_bpermute_b32 v1, v123, v0
	v_cndmask_b32_e64 v0, v17, v16, s[12:13]
	v_cmp_eq_u32_e64 s[16:17], 3, v119
	v_cndmask_b32_e64 v0, v0, v6, s[14:15]
	v_cvt_f16_f32_e32 v25, v27
	s_waitcnt lgkmcnt(0)
	v_cndmask_b32_e64 v3, v19, v1, s[8:9]
	v_cndmask_b32_e64 v7, v18, v1, s[6:7]
	v_mov_b32_e32 v18, v36
	v_mov_b32_e32 v19, v36
	v_pk_mul_f32 v[10:11], v[18:19], v[10:11]
	v_pk_mul_f32 v[18:19], v[36:37], v[8:9]
	v_cndmask_b32_e64 v0, v0, v5, s[16:17]
	v_cndmask_b32_e32 v8, v18, v19, vcc
	v_cndmask_b32_e64 v8, v8, v10, s[6:7]
	v_cndmask_b32_e64 v8, v8, v11, s[8:9]
	ds_bpermute_b32 v2, v123, v0
	v_cndmask_b32_e32 v0, v21, v1, vcc
	v_cndmask_b32_e64 v1, v20, v1, s[10:11]
	ds_bpermute_b32 v20, v123, v8
	v_cmp_ne_u32_e32 vcc, 0, v118
	v_cvt_f16_f32_sdwa v26, v26 dst_sel:WORD_1 dst_unused:UNUSED_PAD src0_sel:DWORD
	v_cndmask_b32_e64 v8, v1, v0, s[12:13]
	v_cndmask_b32_e64 v8, v8, v7, s[14:15]
	s_waitcnt lgkmcnt(0)
	v_cndmask_b32_e64 v9, v11, v20, s[8:9]
	v_cndmask_b32_e64 v10, v10, v20, s[6:7]
	v_cndmask_b32_e32 v19, v19, v20, vcc
	v_cndmask_b32_e64 v20, v18, v20, s[10:11]
	v_cndmask_b32_e64 v11, v20, v19, s[12:13]
	;; [unrolled: 1-line block ×6, first 2 shown]
	ds_bpermute_b32 v4, v123, v4
	ds_bpermute_b32 v8, v123, v8
	;; [unrolled: 1-line block ×3, first 2 shown]
	v_or_b32_e32 v18, v26, v25
	;;#ASMSTART
	global_atomic_pk_add_f16 v[22:23], v18, off
	
	;;#ASMEND
	v_or_b32_e32 v18, 32, v67
	v_add_u32_e32 v18, s67, v18
	v_cmp_gt_u32_e32 vcc, 48, v18
	s_and_b64 exec, exec, vcc
	s_cbranch_execz .LBB287_42
; %bb.40:                               ;   in Loop: Header=BB287_7 Depth=1
	v_cmp_eq_u32_e64 s[8:9], 1, v119
	v_cmp_eq_u32_e64 s[10:11], 0, v119
	v_cmp_eq_u32_e32 vcc, 3, v119
	s_waitcnt lgkmcnt(1)
	v_cndmask_b32_e64 v21, v0, v8, s[8:9]
	v_cndmask_b32_e64 v22, v1, v8, s[10:11]
	scratch_load_dwordx2 v[0:1], off, off offset:36 ; 8-byte Folded Reload
	v_cndmask_b32_e64 v14, v14, v4, s[8:9]
	v_cndmask_b32_e64 v15, v15, v4, s[10:11]
	;; [unrolled: 1-line block ×4, first 2 shown]
	v_cvt_f16_f32_e32 v15, v15
	v_cvt_f16_f32_sdwa v14, v14 dst_sel:WORD_1 dst_unused:UNUSED_PAD src0_sel:DWORD
	v_cvt_f16_f32_e32 v17, v17
	v_cvt_f16_f32_sdwa v16, v16 dst_sel:WORD_1 dst_unused:UNUSED_PAD src0_sel:DWORD
	s_waitcnt lgkmcnt(0)
	v_cndmask_b32_e64 v19, v19, v11, s[8:9]
	v_or_b32_e32 v14, v14, v15
	v_cndmask_b32_e64 v20, v20, v11, s[10:11]
	v_or_b32_e32 v16, v16, v17
	v_cvt_f16_f32_sdwa v17, v21 dst_sel:WORD_1 dst_unused:UNUSED_PAD src0_sel:DWORD
	v_cvt_f16_f32_e32 v20, v20
	v_cvt_f16_f32_sdwa v19, v19 dst_sel:WORD_1 dst_unused:UNUSED_PAD src0_sel:DWORD
	v_cmp_eq_u32_e64 s[6:7], 2, v119
	v_cmp_gt_u32_e64 s[8:9], 46, v18
	s_waitcnt vmcnt(0)
	v_lshl_add_u64 v[0:1], v[0:1], 1, s[50:51]
	;;#ASMSTART
	global_atomic_pk_add_f16 v[0:1], v14, off
	
	;;#ASMEND
	v_lshl_add_u64 v[14:15], v[0:1], 0, 32
	;;#ASMSTART
	global_atomic_pk_add_f16 v[14:15], v16, off
	
	;;#ASMEND
	v_cvt_f16_f32_e32 v16, v22
	v_lshl_add_u64 v[14:15], v[0:1], 0, 64
	v_or_b32_e32 v16, v17, v16
	;;#ASMSTART
	global_atomic_pk_add_f16 v[14:15], v16, off
	
	;;#ASMEND
	v_lshl_add_u64 v[14:15], v[0:1], 0, s[30:31]
	v_or_b32_e32 v16, v19, v20
	;;#ASMSTART
	global_atomic_pk_add_f16 v[14:15], v16, off
	
	;;#ASMEND
	s_and_b64 exec, exec, s[8:9]
	s_cbranch_execz .LBB287_42
; %bb.41:                               ;   in Loop: Header=BB287_7 Depth=1
	v_cndmask_b32_e32 v12, v12, v4, vcc
	v_cndmask_b32_e64 v4, v13, v4, s[6:7]
	v_cndmask_b32_e32 v5, v5, v2, vcc
	v_cndmask_b32_e64 v2, v6, v2, s[6:7]
	;; [unrolled: 2-line block ×4, first 2 shown]
	v_cvt_f16_f32_e32 v3, v4
	v_cvt_f16_f32_sdwa v4, v12 dst_sel:WORD_1 dst_unused:UNUSED_PAD src0_sel:DWORD
	v_cvt_f16_f32_e32 v10, v2
	v_cvt_f16_f32_sdwa v5, v5 dst_sel:WORD_1 dst_unused:UNUSED_PAD src0_sel:DWORD
	v_lshl_add_u64 v[0:1], s[28:29], 2, v[0:1]
	v_or_b32_e32 v2, v4, v3
	;;#ASMSTART
	global_atomic_pk_add_f16 v[0:1], v2, off
	
	;;#ASMEND
	v_or_b32_e32 v4, v5, v10
	v_lshl_add_u64 v[2:3], v[0:1], 0, 32
	;;#ASMSTART
	global_atomic_pk_add_f16 v[2:3], v4, off
	
	;;#ASMEND
	v_cvt_f16_f32_e32 v4, v7
	v_cvt_f16_f32_sdwa v5, v6 dst_sel:WORD_1 dst_unused:UNUSED_PAD src0_sel:DWORD
	v_cvt_f16_f32_e32 v6, v9
	v_cvt_f16_f32_sdwa v7, v8 dst_sel:WORD_1 dst_unused:UNUSED_PAD src0_sel:DWORD
	v_lshl_add_u64 v[2:3], v[0:1], 0, 64
	v_or_b32_e32 v4, v5, v4
	;;#ASMSTART
	global_atomic_pk_add_f16 v[2:3], v4, off
	
	;;#ASMEND
	v_lshl_add_u64 v[0:1], v[0:1], 0, s[30:31]
	v_or_b32_e32 v2, v7, v6
	;;#ASMSTART
	global_atomic_pk_add_f16 v[0:1], v2, off
	
	;;#ASMEND
.LBB287_42:                             ;   in Loop: Header=BB287_7 Depth=1
	s_or_b64 exec, exec, s[18:19]
	v_subrev_u32_e32 v124, s68, v124
.LBB287_43:                             ;   in Loop: Header=BB287_7 Depth=1
	s_or_b64 exec, exec, s[48:49]
.LBB287_44:                             ;   in Loop: Header=BB287_7 Depth=1
	s_andn2_saveexec_b64 s[6:7], s[46:47]
	s_cbranch_execz .LBB287_53
; %bb.45:                               ;   in Loop: Header=BB287_7 Depth=1
	s_lshl_b32 s16, s68, 2
	v_cmp_gt_i32_e32 vcc, s16, v124
	s_and_saveexec_b64 s[8:9], vcc
	s_cbranch_execz .LBB287_52
; %bb.46:                               ;   in Loop: Header=BB287_7 Depth=1
	s_mul_i32 s10, s44, s23
	s_ashr_i32 s11, s10, 31
	s_waitcnt lgkmcnt(0)
	s_add_u32 s10, s38, s10
	s_addc_u32 s11, s39, s11
	s_ashr_i32 s12, s66, 31
	s_add_u32 s10, s10, s66
	s_addc_u32 s11, s11, s12
	v_lshl_add_u64 v[0:1], s[10:11], 0, v[68:69]
	v_lshl_add_u64 v[16:17], v[0:1], 0, v[56:57]
	s_mov_b64 s[10:11], 0
	s_branch .LBB287_48
.LBB287_47:                             ;   in Loop: Header=BB287_48 Depth=2
	s_or_b64 exec, exec, s[12:13]
	v_lshl_or_b32 v20, v18, 12, v122
	;;#ASMSTART
	s_waitcnt vmcnt(3)
	;;#ASMEND
	ds_write2_b32 v20, v12, v13 offset1:32
	ds_write2_b32 v20, v14, v15 offset0:64 offset1:96
	v_add_u32_e32 v12, 0x400, v20
	;;#ASMSTART
	s_waitcnt vmcnt(2)
	;;#ASMEND
	ds_write2_b32 v12, v8, v9 offset1:32
	ds_write2_b32 v12, v10, v11 offset0:64 offset1:96
	v_add_u32_e32 v8, 0x800, v20
	;; [unrolled: 6-line block ×3, first 2 shown]
	v_add_u32_e32 v124, s26, v124
	;;#ASMSTART
	s_waitcnt vmcnt(0)
	;;#ASMEND
	ds_write2_b32 v4, v0, v1 offset1:32
	ds_write2_b32 v4, v2, v3 offset0:64 offset1:96
	v_add_u32_e32 v0, 1, v116
	v_add_u32_e32 v62, s26, v18
	v_cmp_le_i32_e32 vcc, s16, v124
	ds_write_b32 v19, v0 offset:12
	v_add_u32_e32 v0, 2, v116
	s_or_b64 s[10:11], vcc, s[10:11]
	v_cmp_lt_i32_e32 vcc, 3, v62
	s_nop 1
	v_cndmask_b32_e32 v116, v116, v0, vcc
	s_andn2_b64 exec, exec, s[10:11]
	s_cbranch_execz .LBB287_51
.LBB287_48:                             ;   Parent Loop BB287_7 Depth=1
                                        ; =>  This Loop Header: Depth=2
                                        ;       Child Loop BB287_50 Depth 3
	v_cmp_gt_i32_e32 vcc, 4, v62
	s_nop 1
	v_cndmask_b32_e64 v0, -4, 0, vcc
	v_add_u32_e32 v18, v0, v62
	v_ashrrev_i32_e32 v0, 31, v124
	v_lshrrev_b32_e32 v0, 30, v0
	v_add_u32_e32 v0, v124, v0
	v_and_b32_e32 v1, -4, v0
	v_lshlrev_b32_e32 v0, 6, v0
	v_sub_u32_e32 v2, v124, v1
	v_and_b32_e32 v0, 0xffffff00, v0
	v_ashrrev_i32_e32 v1, 31, v0
	v_mul_lo_u32 v2, s57, v2
	v_lshl_add_u64 v[0:1], v[16:17], 0, v[0:1]
	v_ashrrev_i32_e32 v3, 31, v2
	v_lshl_add_u64 v[0:1], v[0:1], 0, v[2:3]
	v_lshlrev_b32_e32 v19, 2, v18
	;;#ASMSTART
	global_load_dwordx4 v[12:15], v[0:1], off offset:0    sc0 sc1 nt  
	global_load_dwordx4 v[8:11], v[0:1], off offset:64   sc0 sc1 nt  
	global_load_dwordx4 v[4:7], v[0:1], off offset:128  sc0 sc1 nt  
	global_load_dwordx4 v[0:3], v[0:1], off offset:192  sc0 sc1 nt  
	
	;;#ASMEND
	ds_read_b32 v20, v19 offset:28684
	v_add_u32_e32 v19, 0x7000, v19
	s_waitcnt lgkmcnt(0)
	v_cmp_ne_u32_e32 vcc, v20, v116
	s_and_saveexec_b64 s[12:13], vcc
	s_cbranch_execz .LBB287_47
; %bb.49:                               ;   in Loop: Header=BB287_48 Depth=2
	s_mov_b64 s[14:15], 0
.LBB287_50:                             ;   Parent Loop BB287_7 Depth=1
                                        ;     Parent Loop BB287_48 Depth=2
                                        ; =>    This Inner Loop Header: Depth=3
	;;#ASMSTART
	s_sleep 0
	;;#ASMEND
	ds_read_b32 v20, v19 offset:12
	s_waitcnt lgkmcnt(0)
	v_cmp_eq_u32_e32 vcc, v20, v116
	s_or_b64 s[14:15], vcc, s[14:15]
	s_andn2_b64 exec, exec, s[14:15]
	s_cbranch_execnz .LBB287_50
	s_branch .LBB287_47
.LBB287_51:                             ;   in Loop: Header=BB287_7 Depth=1
	s_or_b64 exec, exec, s[10:11]
.LBB287_52:                             ;   in Loop: Header=BB287_7 Depth=1
	s_or_b64 exec, exec, s[8:9]
	v_subrev_u32_e32 v124, s16, v124
.LBB287_53:                             ;   in Loop: Header=BB287_7 Depth=1
	s_or_b64 exec, exec, s[6:7]
.LBB287_54:                             ;   in Loop: Header=BB287_7 Depth=1
	s_andn2_saveexec_b64 s[6:7], s[34:35]
	s_cbranch_execz .LBB287_6
; %bb.55:                               ;   in Loop: Header=BB287_7 Depth=1
	s_mul_i32 s68, s68, 3
	v_cmp_gt_i32_e32 vcc, s68, v124
	s_and_saveexec_b64 s[8:9], vcc
	s_cbranch_execz .LBB287_5
; %bb.56:                               ;   in Loop: Header=BB287_7 Depth=1
	s_mul_i32 s65, s65, s22
	s_ashr_i32 s10, s65, 31
	s_waitcnt lgkmcnt(0)
	s_add_u32 s11, s36, s65
	v_add_u32_e32 v2, s67, v48
	s_addc_u32 s12, s37, s10
	s_ashr_i32 s13, s66, 31
	v_mul_lo_u32 v0, s22, v48
	v_cmp_gt_u32_e32 vcc, 48, v2
	s_add_u32 s10, s11, s66
	s_addc_u32 s11, s12, s13
	v_cndmask_b32_e32 v0, 0, v0, vcc
	v_ashrrev_i32_e32 v1, 31, v0
	v_lshl_add_u64 v[0:1], s[10:11], 0, v[0:1]
	v_lshl_add_u64 v[16:17], v[0:1], 0, v[56:57]
	v_sub_u32_e32 v18, 47, v2
	s_mov_b64 s[10:11], 0
	s_branch .LBB287_58
.LBB287_57:                             ;   in Loop: Header=BB287_58 Depth=2
	s_or_b64 exec, exec, s[12:13]
	v_or_b32_e32 v21, 0x4000, v122
	v_lshl_add_u32 v21, v19, 12, v21
	;;#ASMSTART
	s_waitcnt vmcnt(3)
	;;#ASMEND
	ds_write2_b32 v21, v12, v13 offset1:32
	ds_write2_b32 v21, v14, v15 offset0:64 offset1:96
	v_add_u32_e32 v12, 0x400, v21
	;;#ASMSTART
	s_waitcnt vmcnt(2)
	;;#ASMEND
	ds_write2_b32 v12, v8, v9 offset1:32
	ds_write2_b32 v12, v10, v11 offset0:64 offset1:96
	v_add_u32_e32 v8, 0x800, v21
	;; [unrolled: 6-line block ×3, first 2 shown]
	v_add_u32_e32 v124, s25, v124
	;;#ASMSTART
	s_waitcnt vmcnt(0)
	;;#ASMEND
	ds_write2_b32 v4, v0, v1 offset1:32
	ds_write2_b32 v4, v2, v3 offset0:64 offset1:96
	v_add_u32_e32 v0, 1, v116
	v_add_u32_e32 v62, s25, v19
	v_cmp_le_i32_e32 vcc, s68, v124
	ds_write_b32 v20, v0
	v_add_u32_e32 v0, 2, v116
	s_or_b64 s[10:11], vcc, s[10:11]
	v_cmp_lt_i32_e32 vcc, 2, v62
	s_nop 1
	v_cndmask_b32_e32 v116, v116, v0, vcc
	s_andn2_b64 exec, exec, s[10:11]
	s_cbranch_execz .LBB287_4
.LBB287_58:                             ;   Parent Loop BB287_7 Depth=1
                                        ; =>  This Loop Header: Depth=2
                                        ;       Child Loop BB287_60 Depth 3
	v_cmp_gt_i32_e32 vcc, 3, v62
	s_nop 1
	v_cndmask_b32_e64 v0, -3, 0, vcc
	v_add_u32_e32 v19, v0, v62
	v_mul_hi_i32 v0, v124, s64
	v_lshrrev_b32_e32 v1, 31, v0
	v_add_u32_e32 v0, v0, v1
	v_lshl_add_u32 v1, v0, 1, v0
	v_sub_u32_e32 v1, v124, v1
	v_lshlrev_b32_e32 v1, 4, v1
	v_cmp_le_i32_e32 vcc, v1, v18
	v_lshlrev_b32_e32 v0, 8, v0
	v_lshlrev_b32_e32 v20, 2, v19
	v_cndmask_b32_e32 v2, 0, v1, vcc
	v_ashrrev_i32_e32 v1, 31, v0
	v_mul_lo_u32 v2, v2, s22
	v_lshl_add_u64 v[0:1], v[16:17], 0, v[0:1]
	v_ashrrev_i32_e32 v3, 31, v2
	v_lshl_add_u64 v[0:1], v[0:1], 0, v[2:3]
	;;#ASMSTART
	global_load_dwordx4 v[12:15], v[0:1], off offset:0    
	global_load_dwordx4 v[8:11], v[0:1], off offset:64   
	;; [unrolled: 1-line block ×4, first 2 shown]
	
	;;#ASMEND
	ds_read_b32 v21, v20 offset:28672
	v_add_u32_e32 v20, 0x7000, v20
	s_waitcnt lgkmcnt(0)
	v_cmp_ne_u32_e32 vcc, v21, v116
	s_and_saveexec_b64 s[12:13], vcc
	s_cbranch_execz .LBB287_57
; %bb.59:                               ;   in Loop: Header=BB287_58 Depth=2
	s_mov_b64 s[14:15], 0
.LBB287_60:                             ;   Parent Loop BB287_7 Depth=1
                                        ;     Parent Loop BB287_58 Depth=2
                                        ; =>    This Inner Loop Header: Depth=3
	;;#ASMSTART
	s_sleep 0
	;;#ASMEND
	ds_read_b32 v21, v20
	s_waitcnt lgkmcnt(0)
	v_cmp_eq_u32_e32 vcc, v21, v116
	s_or_b64 s[14:15], vcc, s[14:15]
	s_andn2_b64 exec, exec, s[14:15]
	s_cbranch_execnz .LBB287_60
	s_branch .LBB287_57
.LBB287_61:
	s_endpgm
	.section	.rodata,"a",@progbits
	.p2align	6, 0x0
	.amdhsa_kernel _Z19_skinny_gemm_kernelILi3ELi4ELi1ELi16ELi8EEvPKhS1_P6__halfPKfiiiiiiii
		.amdhsa_group_segment_fixed_size 28700
		.amdhsa_private_segment_fixed_size 48
		.amdhsa_kernarg_size 64
		.amdhsa_user_sgpr_count 2
		.amdhsa_user_sgpr_dispatch_ptr 0
		.amdhsa_user_sgpr_queue_ptr 0
		.amdhsa_user_sgpr_kernarg_segment_ptr 1
		.amdhsa_user_sgpr_dispatch_id 0
		.amdhsa_user_sgpr_kernarg_preload_length 0
		.amdhsa_user_sgpr_kernarg_preload_offset 0
		.amdhsa_user_sgpr_private_segment_size 0
		.amdhsa_uses_dynamic_stack 0
		.amdhsa_enable_private_segment 1
		.amdhsa_system_sgpr_workgroup_id_x 1
		.amdhsa_system_sgpr_workgroup_id_y 0
		.amdhsa_system_sgpr_workgroup_id_z 0
		.amdhsa_system_sgpr_workgroup_info 0
		.amdhsa_system_vgpr_workitem_id 0
		.amdhsa_next_free_vgpr 128
		.amdhsa_next_free_sgpr 69
		.amdhsa_accum_offset 128
		.amdhsa_reserve_vcc 1
		.amdhsa_float_round_mode_32 0
		.amdhsa_float_round_mode_16_64 0
		.amdhsa_float_denorm_mode_32 3
		.amdhsa_float_denorm_mode_16_64 3
		.amdhsa_dx10_clamp 1
		.amdhsa_ieee_mode 1
		.amdhsa_fp16_overflow 0
		.amdhsa_tg_split 0
		.amdhsa_exception_fp_ieee_invalid_op 0
		.amdhsa_exception_fp_denorm_src 0
		.amdhsa_exception_fp_ieee_div_zero 0
		.amdhsa_exception_fp_ieee_overflow 0
		.amdhsa_exception_fp_ieee_underflow 0
		.amdhsa_exception_fp_ieee_inexact 0
		.amdhsa_exception_int_div_zero 0
	.end_amdhsa_kernel
	.section	.text._Z19_skinny_gemm_kernelILi3ELi4ELi1ELi16ELi8EEvPKhS1_P6__halfPKfiiiiiiii,"axG",@progbits,_Z19_skinny_gemm_kernelILi3ELi4ELi1ELi16ELi8EEvPKhS1_P6__halfPKfiiiiiiii,comdat
.Lfunc_end287:
	.size	_Z19_skinny_gemm_kernelILi3ELi4ELi1ELi16ELi8EEvPKhS1_P6__halfPKfiiiiiiii, .Lfunc_end287-_Z19_skinny_gemm_kernelILi3ELi4ELi1ELi16ELi8EEvPKhS1_P6__halfPKfiiiiiiii
                                        ; -- End function
	.set _Z19_skinny_gemm_kernelILi3ELi4ELi1ELi16ELi8EEvPKhS1_P6__halfPKfiiiiiiii.num_vgpr, 128
	.set _Z19_skinny_gemm_kernelILi3ELi4ELi1ELi16ELi8EEvPKhS1_P6__halfPKfiiiiiiii.num_agpr, 0
	.set _Z19_skinny_gemm_kernelILi3ELi4ELi1ELi16ELi8EEvPKhS1_P6__halfPKfiiiiiiii.numbered_sgpr, 69
	.set _Z19_skinny_gemm_kernelILi3ELi4ELi1ELi16ELi8EEvPKhS1_P6__halfPKfiiiiiiii.num_named_barrier, 0
	.set _Z19_skinny_gemm_kernelILi3ELi4ELi1ELi16ELi8EEvPKhS1_P6__halfPKfiiiiiiii.private_seg_size, 48
	.set _Z19_skinny_gemm_kernelILi3ELi4ELi1ELi16ELi8EEvPKhS1_P6__halfPKfiiiiiiii.uses_vcc, 1
	.set _Z19_skinny_gemm_kernelILi3ELi4ELi1ELi16ELi8EEvPKhS1_P6__halfPKfiiiiiiii.uses_flat_scratch, 0
	.set _Z19_skinny_gemm_kernelILi3ELi4ELi1ELi16ELi8EEvPKhS1_P6__halfPKfiiiiiiii.has_dyn_sized_stack, 0
	.set _Z19_skinny_gemm_kernelILi3ELi4ELi1ELi16ELi8EEvPKhS1_P6__halfPKfiiiiiiii.has_recursion, 0
	.set _Z19_skinny_gemm_kernelILi3ELi4ELi1ELi16ELi8EEvPKhS1_P6__halfPKfiiiiiiii.has_indirect_call, 0
	.section	.AMDGPU.csdata,"",@progbits
; Kernel info:
; codeLenInByte = 8080
; TotalNumSgprs: 75
; NumVgprs: 128
; NumAgprs: 0
; TotalNumVgprs: 128
; ScratchSize: 48
; MemoryBound: 0
; FloatMode: 240
; IeeeMode: 1
; LDSByteSize: 28700 bytes/workgroup (compile time only)
; SGPRBlocks: 9
; VGPRBlocks: 15
; NumSGPRsForWavesPerEU: 75
; NumVGPRsForWavesPerEU: 128
; AccumOffset: 128
; Occupancy: 4
; WaveLimiterHint : 0
; COMPUTE_PGM_RSRC2:SCRATCH_EN: 1
; COMPUTE_PGM_RSRC2:USER_SGPR: 2
; COMPUTE_PGM_RSRC2:TRAP_HANDLER: 0
; COMPUTE_PGM_RSRC2:TGID_X_EN: 1
; COMPUTE_PGM_RSRC2:TGID_Y_EN: 0
; COMPUTE_PGM_RSRC2:TGID_Z_EN: 0
; COMPUTE_PGM_RSRC2:TIDIG_COMP_CNT: 0
; COMPUTE_PGM_RSRC3_GFX90A:ACCUM_OFFSET: 31
; COMPUTE_PGM_RSRC3_GFX90A:TG_SPLIT: 0
	.section	.text._Z19_skinny_gemm_kernelILi3ELi4ELi1ELi32ELi4EEvPKhS1_P6__halfPKfiiiiiiii,"axG",@progbits,_Z19_skinny_gemm_kernelILi3ELi4ELi1ELi32ELi4EEvPKhS1_P6__halfPKfiiiiiiii,comdat
	.protected	_Z19_skinny_gemm_kernelILi3ELi4ELi1ELi32ELi4EEvPKhS1_P6__halfPKfiiiiiiii ; -- Begin function _Z19_skinny_gemm_kernelILi3ELi4ELi1ELi32ELi4EEvPKhS1_P6__halfPKfiiiiiiii
	.globl	_Z19_skinny_gemm_kernelILi3ELi4ELi1ELi32ELi4EEvPKhS1_P6__halfPKfiiiiiiii
	.p2align	8
	.type	_Z19_skinny_gemm_kernelILi3ELi4ELi1ELi32ELi4EEvPKhS1_P6__halfPKfiiiiiiii,@function
_Z19_skinny_gemm_kernelILi3ELi4ELi1ELi32ELi4EEvPKhS1_P6__halfPKfiiiiiiii: ; @_Z19_skinny_gemm_kernelILi3ELi4ELi1ELi32ELi4EEvPKhS1_P6__halfPKfiiiiiiii
; %bb.0:
	v_cmp_gt_u32_e32 vcc, 7, v0
	s_and_saveexec_b64 s[4:5], vcc
; %bb.1:
	v_lshlrev_b32_e32 v1, 2, v0
	v_mov_b32_e32 v2, 0
	ds_write_b32 v1, v2 offset:14336
; %bb.2:
	s_or_b64 exec, exec, s[4:5]
	s_load_dwordx8 s[20:27], s[0:1], 0x20
	s_waitcnt lgkmcnt(0)
	s_barrier
	s_add_i32 s3, s20, 0x5f
	s_mul_hi_i32 s3, s3, 0x2aaaaaab
	s_add_i32 s4, s21, 0x7f
	s_lshr_b32 s5, s3, 31
	s_ashr_i32 s3, s3, 4
	s_add_i32 s12, s3, s5
	s_ashr_i32 s3, s4, 31
	s_lshr_b32 s3, s3, 25
	s_add_i32 s4, s4, s3
	s_ashr_i32 s14, s4, 7
	s_mul_i32 s3, s14, s12
	s_mul_i32 s3, s3, s24
	s_add_i32 s4, s3, 0x12f
	s_mul_hi_i32 s4, s4, 0x6bca1af3
	s_lshr_b32 s5, s4, 31
	s_ashr_i32 s4, s4, 7
	s_add_i32 s4, s4, s5
	s_add_i32 s5, s2, 1
	s_mul_i32 s5, s4, s5
	v_cvt_f64_i32_e32 v[2:3], s3
	v_cvt_f64_u32_e32 v[4:5], s5
	v_min_f64 v[2:3], v[2:3], v[4:5]
	v_cvt_i32_f64_e32 v78, v[2:3]
	s_mul_i32 s33, s4, s2
	v_cmp_ge_i32_e32 vcc, s33, v78
	s_cbranch_vccnz .LBB288_54
; %bb.3:
	s_load_dwordx8 s[72:79], s[0:1], 0x0
	v_lshrrev_b32_e32 v1, 6, v0
	s_add_i32 s0, s26, s25
	v_cmp_le_i32_e64 s[18:19], s0, v1
	v_mov_b32_e32 v2, s25
	v_cmp_le_i32_e64 s[28:29], s25, v1
	v_mov_b32_e32 v3, s26
	v_cndmask_b32_e64 v3, 0, v3, s[18:19]
	v_cndmask_b32_e64 v2, 0, v2, s[28:29]
	s_abs_i32 s1, s24
	v_add_u32_e32 v2, v2, v3
	v_cvt_f32_u32_e32 v3, s1
	v_sub_u32_e32 v72, v1, v2
	s_ashr_i32 s2, s22, 31
	s_lshr_b32 s2, s2, 26
	v_rcp_iflag_f32_e32 v2, v3
	s_sub_i32 s5, 0, s1
	s_add_i32 s2, s22, s2
	s_ashr_i32 s2, s2, 6
	v_mul_f32_e32 v2, 0x4f7ffffe, v2
	v_cvt_u32_f32_e32 v2, v2
	s_abs_i32 s4, s2
	s_xor_b32 s3, s2, s24
	s_ashr_i32 s3, s3, 31
	v_readfirstlane_b32 s6, v2
	s_mul_i32 s5, s5, s6
	s_mul_hi_u32 s5, s6, s5
	s_add_i32 s6, s6, s5
	s_mul_hi_u32 s5, s4, s6
	s_mul_i32 s6, s5, s1
	s_sub_i32 s4, s4, s6
	s_add_i32 s6, s5, 1
	s_sub_i32 s7, s4, s1
	s_cmp_ge_u32 s4, s1
	s_cselect_b32 s5, s6, s5
	s_cselect_b32 s4, s7, s4
	s_add_i32 s6, s5, 1
	s_cmp_ge_u32 s4, s1
	s_cselect_b32 s1, s6, s5
	s_add_i32 s0, s0, s27
	v_and_b32_e32 v80, 31, v0
	v_lshrrev_b32_e32 v2, 3, v0
	v_cmp_gt_i32_e64 s[34:35], s0, v1
	v_lshlrev_b32_e32 v1, 2, v80
	v_and_b32_e32 v3, 4, v2
	v_lshlrev_b32_e32 v2, 6, v3
	v_or_b32_e32 v4, 0x2000, v1
	v_and_b32_e32 v5, 1, v0
	v_or_b32_e32 v81, v4, v2
	v_or_b32_e32 v82, v1, v2
	v_lshlrev_b32_e32 v2, 1, v5
	v_lshrrev_b32_e32 v7, 1, v0
	s_abs_i32 s97, s12
	v_sub_u32_e32 v2, v0, v2
	v_and_b32_e32 v66, 16, v7
	v_cvt_f32_u32_e32 v7, s97
	v_add_u32_e32 v2, 1, v2
	v_and_b32_e32 v6, 63, v2
	v_bitop3_b32 v83, v0, 1, v0 bitop3:0xc
	v_bitop3_b32 v84, v0, 3, 1 bitop3:0x6c
	;; [unrolled: 1-line block ×8, first 2 shown]
	v_and_b32_e32 v2, 30, v0
	v_lshlrev_b32_e32 v0, 4, v0
                                        ; implicit-def: $vgpr127 : SGPR spill to VGPR lane
	v_and_b32_e32 v0, 0x200, v0
	v_writelane_b32 v127, s12, 0
	v_or_b32_e32 v94, v1, v0
	v_rcp_iflag_f32_e32 v1, v7
	v_writelane_b32 v127, s14, 1
	s_waitcnt lgkmcnt(0)
	v_writelane_b32 v127, s72, 2
	s_abs_i32 s98, s14
	v_or_b32_e32 v96, v4, v0
	v_writelane_b32 v127, s73, 3
	v_writelane_b32 v127, s74, 4
	v_mul_f32_e32 v0, 0x4f7ffffe, v1
	v_cvt_f32_u32_e32 v1, s98
	v_writelane_b32 v127, s75, 5
	v_writelane_b32 v127, s76, 6
	;; [unrolled: 1-line block ×4, first 2 shown]
	v_cvt_u32_f32_e32 v0, v0
	v_rcp_iflag_f32_e32 v1, v1
	v_writelane_b32 v127, s79, 9
	v_cndmask_b32_e64 v79, 0, 1, s[18:19]
	s_xor_b32 s1, s1, s3
	v_writelane_b32 v127, s18, 10
	s_sub_i32 s15, s1, s3
	s_add_i32 s30, s24, -1
	v_writelane_b32 v127, s19, 11
	s_mul_i32 s1, s15, s30
	v_writelane_b32 v127, s28, 12
	s_sub_i32 s31, s2, s1
	v_readfirstlane_b32 s1, v0
	v_mul_f32_e32 v0, 0x4f7ffffe, v1
	v_writelane_b32 v127, s29, 13
	v_cvt_u32_f32_e32 v0, v0
	v_writelane_b32 v127, s15, 14
	s_sub_i32 s0, 0, s97
	v_writelane_b32 v127, s30, 15
	s_mul_i32 s0, s0, s1
	v_writelane_b32 v127, s31, 16
	s_mul_hi_u32 s0, s1, s0
	v_writelane_b32 v127, s34, 17
	s_ashr_i32 s36, s12, 31
	s_add_i32 s37, s1, s0
	s_sub_i32 s0, 0, s98
	v_readfirstlane_b32 s1, v0
	v_writelane_b32 v127, s35, 18
	s_mul_i32 s0, s0, s1
	v_mbcnt_lo_u32_b32 v0, -1, 0
	v_writelane_b32 v127, s36, 19
	s_ashr_i32 s38, s14, 31
	s_mul_hi_u32 s0, s1, s0
	v_mbcnt_hi_u32_b32 v0, -1, v0
	v_writelane_b32 v127, s37, 20
	v_mov_b32_e32 v65, 0
	v_mul_lo_u32 v68, s23, v80
	v_or_b32_e32 v97, v5, v3
	s_add_i32 s39, s1, s0
	v_and_or_b32 v0, v0, 64, v6
	v_writelane_b32 v127, s38, 21
	v_ashrrev_i32_e32 v69, 31, v68
	v_mov_b32_e32 v67, v65
	s_lshl_b32 s24, s23, 5
	v_mul_lo_u32 v95, s22, v80
	v_or_b32_e32 v98, 2, v97
	v_lshlrev_b32_e32 v64, 1, v2
	v_lshlrev_b32_e32 v99, 2, v0
	v_mov_b32_e32 v100, v72
	v_writelane_b32 v127, s39, 22
	s_branch .LBB288_7
.LBB288_4:                              ;   in Loop: Header=BB288_7 Depth=1
	s_or_b64 exec, exec, s[4:5]
.LBB288_5:                              ;   in Loop: Header=BB288_7 Depth=1
	s_or_b64 exec, exec, s[2:3]
	v_subrev_u32_e32 v100, s10, v100
.LBB288_6:                              ;   in Loop: Header=BB288_7 Depth=1
	s_or_b64 exec, exec, s[0:1]
	s_add_i32 s33, s33, 1
	v_cmp_ge_i32_e32 vcc, s33, v78
	s_cbranch_vccnz .LBB288_54
.LBB288_7:                              ; =>This Loop Header: Depth=1
                                        ;     Child Loop BB288_13 Depth 2
                                        ;       Child Loop BB288_15 Depth 3
                                        ;       Child Loop BB288_18 Depth 3
	;; [unrolled: 1-line block ×5, first 2 shown]
                                        ;     Child Loop BB288_32 Depth 2
                                        ;     Child Loop BB288_41 Depth 2
                                        ;       Child Loop BB288_43 Depth 3
                                        ;     Child Loop BB288_51 Depth 2
                                        ;       Child Loop BB288_53 Depth 3
	s_abs_i32 s1, s33
	s_mul_hi_u32 s2, s1, s37
	s_mul_i32 s3, s2, s97
	s_ashr_i32 s0, s33, 31
	s_sub_i32 s1, s1, s3
	s_xor_b32 s0, s0, s36
	s_add_i32 s3, s2, 1
	s_sub_i32 s4, s1, s97
	s_cmp_ge_u32 s1, s97
	s_cselect_b32 s2, s3, s2
	s_cselect_b32 s1, s4, s1
	s_add_i32 s3, s2, 1
	s_cmp_ge_u32 s1, s97
	s_cselect_b32 s1, s3, s2
	s_xor_b32 s1, s1, s0
	s_sub_i32 s0, s1, s0
	s_abs_i32 s2, s0
	s_mul_hi_u32 s3, s2, s39
	s_mul_i32 s1, s0, s12
	s_mul_i32 s4, s3, s98
	s_sub_i32 s99, s33, s1
	s_ashr_i32 s1, s0, 31
	s_sub_i32 s2, s2, s4
	s_xor_b32 s1, s1, s38
	s_add_i32 s4, s3, 1
	s_sub_i32 s5, s2, s98
	s_cmp_ge_u32 s2, s98
	s_cselect_b32 s3, s4, s3
	s_cselect_b32 s2, s5, s2
	s_add_i32 s4, s3, 1
	s_cmp_ge_u32 s2, s98
	s_cselect_b32 s2, s4, s3
	s_xor_b32 s2, s2, s1
	s_sub_i32 s1, s2, s1
	s_mul_i32 s2, s1, s15
	s_lshl_b32 s44, s2, 6
	s_mulk_i32 s99, 0x60
	s_cmp_eq_u32 s1, s30
	s_cselect_b32 s4, s31, s15
	s_sub_i32 s2, s99, s20
	s_addk_i32 s2, 0x60
	s_max_i32 s96, s2, 0
	s_and_saveexec_b64 s[2:3], s[28:29]
	s_xor_b64 s[46:47], exec, s[2:3]
	s_cbranch_execz .LBB288_47
; %bb.8:                                ;   in Loop: Header=BB288_7 Depth=1
	s_mul_i32 s1, s1, s14
	s_sub_i32 s0, s0, s1
	s_lshl_b32 s0, s0, 7
	s_sub_i32 s5, s0, s21
	s_addk_i32 s5, 0x80
	s_max_i32 s1, s5, 0
	s_sub_i32 s0, s0, s1
	s_and_saveexec_b64 s[2:3], s[18:19]
	s_xor_b64 s[2:3], exec, s[2:3]
	s_cbranch_execz .LBB288_37
; %bb.9:                                ;   in Loop: Header=BB288_7 Depth=1
	s_and_saveexec_b64 s[48:49], s[34:35]
	s_cbranch_execz .LBB288_36
; %bb.10:                               ;   in Loop: Header=BB288_7 Depth=1
	global_load_dword v101, v65, s[78:79]
	v_mov_b32_e32 v63, 0
	v_cmp_gt_i32_e32 vcc, s4, v100
	v_mov_b32_e32 v62, v63
	v_mov_b32_e32 v61, v63
	;; [unrolled: 1-line block ×63, first 2 shown]
	s_and_saveexec_b64 s[6:7], vcc
	s_cbranch_execz .LBB288_29
; %bb.11:                               ;   in Loop: Header=BB288_7 Depth=1
	v_mov_b32_e32 v0, 0
	s_mov_b64 s[8:9], 0
	v_mov_b32_e32 v1, v0
	v_mov_b32_e32 v2, v0
	;; [unrolled: 1-line block ×63, first 2 shown]
	s_branch .LBB288_13
.LBB288_12:                             ;   in Loop: Header=BB288_13 Depth=2
	s_or_b64 exec, exec, s[10:11]
	v_add_u32_e32 v108, 0x1800, v105
	ds_read2_b32 v[106:107], v108 offset1:32
	v_add_u32_e32 v100, s27, v100
	s_waitcnt lgkmcnt(0)
	v_mfma_f32_32x32x16_fp8_fp8 v[0:15], v[76:77], v[106:107], v[0:15]
	ds_read2_b32 v[76:77], v108 offset0:128 offset1:160
	s_waitcnt lgkmcnt(0)
	v_mfma_f32_32x32x16_fp8_fp8 v[0:15], v[74:75], v[76:77], v[0:15]
	v_add_u32_e32 v76, 0x1c00, v105
	ds_read2_b32 v[74:75], v76 offset1:32
	ds_read2_b32 v[76:77], v76 offset0:128 offset1:160
	ds_write_b32 v103, v104 offset:14364
	s_waitcnt lgkmcnt(2)
	v_mfma_f32_32x32x16_fp8_fp8 v[0:15], v[72:73], v[74:75], v[0:15]
	v_add_u32_e32 v72, s27, v102
	v_add_u32_e32 v73, 2, v79
	v_cmp_lt_i32_e32 vcc, 0, v72
	s_nop 1
	v_cndmask_b32_e32 v79, v79, v73, vcc
	v_cmp_le_i32_e32 vcc, s4, v100
	s_waitcnt lgkmcnt(1)
	v_mfma_f32_32x32x16_fp8_fp8 v[0:15], v[70:71], v[76:77], v[0:15]
	s_or_b64 s[8:9], vcc, s[8:9]
	s_andn2_b64 exec, exec, s[8:9]
	s_cbranch_execz .LBB288_28
.LBB288_13:                             ;   Parent Loop BB288_7 Depth=1
                                        ; =>  This Loop Header: Depth=2
                                        ;       Child Loop BB288_15 Depth 3
                                        ;       Child Loop BB288_18 Depth 3
	;; [unrolled: 1-line block ×5, first 2 shown]
	v_cmp_lt_i32_e32 vcc, 0, v72
	s_nop 1
	v_subbrev_co_u32_e32 v102, vcc, 0, v72, vcc
	v_lshlrev_b32_e32 v103, 5, v102
	ds_read_b32 v70, v103 offset:14336
	s_waitcnt lgkmcnt(0)
	v_cmp_ne_u32_e32 vcc, v70, v79
	s_and_saveexec_b64 s[10:11], vcc
	s_cbranch_execz .LBB288_16
; %bb.14:                               ;   in Loop: Header=BB288_13 Depth=2
	s_mov_b64 s[12:13], 0
.LBB288_15:                             ;   Parent Loop BB288_7 Depth=1
                                        ;     Parent Loop BB288_13 Depth=2
                                        ; =>    This Inner Loop Header: Depth=3
	;;#ASMSTART
	s_sleep 0
	;;#ASMEND
	ds_read_b32 v70, v103 offset:14336
	s_waitcnt lgkmcnt(0)
	v_cmp_eq_u32_e32 vcc, v70, v79
	s_or_b64 s[12:13], vcc, s[12:13]
	s_andn2_b64 exec, exec, s[12:13]
	s_cbranch_execnz .LBB288_15
.LBB288_16:                             ;   in Loop: Header=BB288_13 Depth=2
	s_or_b64 exec, exec, s[10:11]
	v_lshl_add_u32 v70, v102, 11, v81
	ds_read2_b32 v[76:77], v70 offset1:32
	ds_read2_b32 v[74:75], v70 offset0:128 offset1:160
	v_add_u32_e32 v70, 0x400, v70
	ds_read2_b32 v[72:73], v70 offset1:32
	ds_read_b32 v105, v103 offset:14340
	ds_read2_b32 v[70:71], v70 offset0:128 offset1:160
	v_add_u32_e32 v104, 1, v79
	ds_write_b32 v103, v104 offset:14336
	s_waitcnt lgkmcnt(2)
	v_cmp_ne_u32_e32 vcc, v105, v79
	s_and_saveexec_b64 s[10:11], vcc
	s_cbranch_execz .LBB288_19
; %bb.17:                               ;   in Loop: Header=BB288_13 Depth=2
	s_mov_b64 s[12:13], 0
.LBB288_18:                             ;   Parent Loop BB288_7 Depth=1
                                        ;     Parent Loop BB288_13 Depth=2
                                        ; =>    This Inner Loop Header: Depth=3
	;;#ASMSTART
	s_sleep 0
	;;#ASMEND
	ds_read_b32 v105, v103 offset:14340
	s_waitcnt lgkmcnt(0)
	v_cmp_eq_u32_e32 vcc, v105, v79
	s_or_b64 s[12:13], vcc, s[12:13]
	s_andn2_b64 exec, exec, s[12:13]
	s_cbranch_execnz .LBB288_18
.LBB288_19:                             ;   in Loop: Header=BB288_13 Depth=2
	s_or_b64 exec, exec, s[10:11]
	v_lshlrev_b32_e32 v105, 13, v102
	v_or_b32_e32 v108, v82, v105
	ds_read2_b32 v[106:107], v108 offset1:32
	ds_write_b32 v103, v104 offset:14340
	s_waitcnt lgkmcnt(1)
	v_mfma_f32_32x32x16_fp8_fp8 v[48:63], v[76:77], v[106:107], v[48:63]
	ds_read2_b32 v[106:107], v108 offset0:128 offset1:160
	v_add_u32_e32 v108, 0x400, v108
	s_waitcnt lgkmcnt(0)
	v_mfma_f32_32x32x16_fp8_fp8 v[48:63], v[74:75], v[106:107], v[48:63]
	ds_read2_b32 v[106:107], v108 offset1:32
	s_waitcnt lgkmcnt(0)
	v_mfma_f32_32x32x16_fp8_fp8 v[48:63], v[72:73], v[106:107], v[48:63]
	ds_read2_b32 v[106:107], v108 offset0:128 offset1:160
	ds_read_b32 v108, v103 offset:14348
	s_waitcnt lgkmcnt(0)
	v_cmp_ne_u32_e32 vcc, v108, v79
	v_mfma_f32_32x32x16_fp8_fp8 v[48:63], v[70:71], v[106:107], v[48:63]
	s_and_saveexec_b64 s[10:11], vcc
	s_cbranch_execz .LBB288_22
; %bb.20:                               ;   in Loop: Header=BB288_13 Depth=2
	s_mov_b64 s[12:13], 0
.LBB288_21:                             ;   Parent Loop BB288_7 Depth=1
                                        ;     Parent Loop BB288_13 Depth=2
                                        ; =>    This Inner Loop Header: Depth=3
	;;#ASMSTART
	s_sleep 0
	;;#ASMEND
	ds_read_b32 v106, v103 offset:14348
	s_waitcnt lgkmcnt(0)
	v_cmp_eq_u32_e32 vcc, v106, v79
	s_or_b64 s[12:13], vcc, s[12:13]
	s_andn2_b64 exec, exec, s[12:13]
	s_cbranch_execnz .LBB288_21
.LBB288_22:                             ;   in Loop: Header=BB288_13 Depth=2
	s_or_b64 exec, exec, s[10:11]
	v_add_u32_e32 v105, v82, v105
	v_add_u32_e32 v108, 0x800, v105
	ds_read2_b32 v[106:107], v108 offset1:32
	ds_write_b32 v103, v104 offset:14348
	s_waitcnt lgkmcnt(1)
	v_mfma_f32_32x32x16_fp8_fp8 v[32:47], v[76:77], v[106:107], v[32:47]
	ds_read2_b32 v[106:107], v108 offset0:128 offset1:160
	v_add_u32_e32 v108, 0xc00, v105
	s_waitcnt lgkmcnt(0)
	v_mfma_f32_32x32x16_fp8_fp8 v[32:47], v[74:75], v[106:107], v[32:47]
	ds_read2_b32 v[106:107], v108 offset1:32
	s_waitcnt lgkmcnt(0)
	v_mfma_f32_32x32x16_fp8_fp8 v[32:47], v[72:73], v[106:107], v[32:47]
	ds_read2_b32 v[106:107], v108 offset0:128 offset1:160
	ds_read_b32 v108, v103 offset:14356
	s_waitcnt lgkmcnt(0)
	v_cmp_ne_u32_e32 vcc, v108, v79
	v_mfma_f32_32x32x16_fp8_fp8 v[32:47], v[70:71], v[106:107], v[32:47]
	s_and_saveexec_b64 s[10:11], vcc
	s_cbranch_execz .LBB288_25
; %bb.23:                               ;   in Loop: Header=BB288_13 Depth=2
	s_mov_b64 s[12:13], 0
.LBB288_24:                             ;   Parent Loop BB288_7 Depth=1
                                        ;     Parent Loop BB288_13 Depth=2
                                        ; =>    This Inner Loop Header: Depth=3
	;;#ASMSTART
	s_sleep 0
	;;#ASMEND
	ds_read_b32 v106, v103 offset:14356
	s_waitcnt lgkmcnt(0)
	v_cmp_eq_u32_e32 vcc, v106, v79
	s_or_b64 s[12:13], vcc, s[12:13]
	s_andn2_b64 exec, exec, s[12:13]
	s_cbranch_execnz .LBB288_24
.LBB288_25:                             ;   in Loop: Header=BB288_13 Depth=2
	s_or_b64 exec, exec, s[10:11]
	v_add_u32_e32 v108, 0x1000, v105
	ds_read2_b32 v[106:107], v108 offset1:32
	s_waitcnt lgkmcnt(0)
	v_mfma_f32_32x32x16_fp8_fp8 v[16:31], v[76:77], v[106:107], v[16:31]
	ds_read2_b32 v[106:107], v108 offset0:128 offset1:160
	v_add_u32_e32 v108, 0x1400, v105
	s_waitcnt lgkmcnt(0)
	v_mfma_f32_32x32x16_fp8_fp8 v[16:31], v[74:75], v[106:107], v[16:31]
	ds_read2_b32 v[106:107], v108 offset1:32
	s_waitcnt lgkmcnt(0)
	v_mfma_f32_32x32x16_fp8_fp8 v[16:31], v[72:73], v[106:107], v[16:31]
	ds_read_b32 v109, v103 offset:14364
	ds_read2_b32 v[106:107], v108 offset0:128 offset1:160
	ds_write_b32 v103, v104 offset:14356
	s_waitcnt lgkmcnt(2)
	v_cmp_ne_u32_e32 vcc, v109, v79
	s_waitcnt lgkmcnt(1)
	v_mfma_f32_32x32x16_fp8_fp8 v[16:31], v[70:71], v[106:107], v[16:31]
	s_and_saveexec_b64 s[10:11], vcc
	s_cbranch_execz .LBB288_12
; %bb.26:                               ;   in Loop: Header=BB288_13 Depth=2
	s_mov_b64 s[12:13], 0
.LBB288_27:                             ;   Parent Loop BB288_7 Depth=1
                                        ;     Parent Loop BB288_13 Depth=2
                                        ; =>    This Inner Loop Header: Depth=3
	;;#ASMSTART
	s_sleep 0
	;;#ASMEND
	ds_read_b32 v106, v103 offset:14364
	s_waitcnt lgkmcnt(0)
	v_cmp_eq_u32_e32 vcc, v106, v79
	s_or_b64 s[12:13], vcc, s[12:13]
	s_andn2_b64 exec, exec, s[12:13]
	s_cbranch_execnz .LBB288_27
	s_branch .LBB288_12
.LBB288_28:                             ;   in Loop: Header=BB288_7 Depth=1
	s_or_b64 exec, exec, s[8:9]
.LBB288_29:                             ;   in Loop: Header=BB288_7 Depth=1
	v_writelane_b32 v127, s48, 23
	s_nop 1
	v_writelane_b32 v127, s49, 24
	v_writelane_b32 v127, s46, 25
	s_nop 1
	v_writelane_b32 v127, s47, 26
	v_writelane_b32 v127, s44, 27
	s_or_b64 exec, exec, s[6:7]
	v_cmp_le_i32_e32 vcc, s5, v80
	v_cmp_eq_u32_e64 s[64:65], 1, v83
	v_cmp_eq_u32_e64 s[30:31], 2, v83
	s_waitcnt vmcnt(0)
	v_cndmask_b32_e32 v70, 0, v101, vcc
	v_pk_mul_f32 v[48:49], v[70:71], v[48:49] op_sel_hi:[0,1]
	v_pk_mul_f32 v[62:63], v[70:71], v[62:63] op_sel_hi:[0,1]
	;; [unrolled: 1-line block ×8, first 2 shown]
	v_cndmask_b32_e64 v70, v48, v49, s[64:65]
	v_cndmask_b32_e64 v70, v70, v50, s[30:31]
	v_cmp_eq_u32_e64 s[40:41], 3, v83
	v_cmp_eq_u32_e64 s[42:43], 4, v83
	v_cmp_eq_u32_e64 s[44:45], 5, v83
	v_cndmask_b32_e64 v70, v70, v51, s[40:41]
	v_cndmask_b32_e64 v70, v70, v52, s[42:43]
	v_cndmask_b32_e64 v70, v70, v53, s[44:45]
	v_cmp_eq_u32_e64 s[46:47], 6, v83
	v_cmp_eq_u32_e64 s[48:49], 7, v83
	v_cmp_eq_u32_e64 s[50:51], 8, v83
	v_cndmask_b32_e64 v70, v70, v54, s[46:47]
	;; [unrolled: 6-line block ×4, first 2 shown]
	v_cndmask_b32_e64 v70, v70, v61, s[60:61]
	v_cndmask_b32_e64 v70, v70, v62, s[62:63]
	v_cmp_eq_u32_e64 s[66:67], 15, v83
	s_mul_i32 s6, s99, s21
	s_ashr_i32 s7, s6, 31
	v_cndmask_b32_e64 v70, v70, v63, s[66:67]
	ds_bpermute_b32 v70, v99, v70
	s_lshl_b64 s[6:7], s[6:7], 1
	v_cmp_eq_u32_e64 s[36:37], 0, v83
	s_add_u32 s70, s76, s6
	v_cmp_eq_u32_e32 vcc, 1, v84
	s_waitcnt lgkmcnt(0)
	v_cndmask_b32_e64 v63, v63, v70, s[66:67]
	v_cndmask_b32_e64 v62, v62, v70, s[62:63]
	;; [unrolled: 1-line block ×16, first 2 shown]
	s_addc_u32 s71, s77, s7
	v_cndmask_b32_e32 v48, v70, v103, vcc
	v_cmp_eq_u32_e64 s[6:7], 2, v84
	v_cmp_eq_u32_e64 s[8:9], 3, v84
	v_cmp_eq_u32_e64 s[10:11], 4, v84
	v_cndmask_b32_e64 v48, v48, v102, s[6:7]
	v_cndmask_b32_e64 v48, v48, v77, s[8:9]
	v_cndmask_b32_e64 v48, v48, v76, s[10:11]
	v_cmp_eq_u32_e64 s[12:13], 5, v84
	v_cmp_eq_u32_e64 s[14:15], 6, v84
	v_cmp_eq_u32_e64 s[16:17], 7, v84
	v_cndmask_b32_e64 v48, v48, v75, s[12:13]
	v_cndmask_b32_e64 v48, v48, v74, s[14:15]
	v_cndmask_b32_e64 v48, v48, v73, s[16:17]
	;; [unrolled: 6-line block ×4, first 2 shown]
	v_cmp_eq_u32_e64 s[34:35], 14, v84
	v_cmp_eq_u32_e64 s[38:39], 15, v84
	s_ashr_i32 s1, s0, 31
	v_cndmask_b32_e64 v48, v48, v62, s[34:35]
	v_cndmask_b32_e64 v48, v48, v63, s[38:39]
	ds_bpermute_b32 v71, v99, v48
	s_lshl_b64 s[68:69], s[0:1], 1
	s_add_u32 s68, s70, s68
	s_addc_u32 s69, s71, s69
	v_writelane_b32 v127, s68, 28
	v_or_b32_e32 v48, 32, v80
	s_waitcnt lgkmcnt(0)
	v_cndmask_b32_e64 v55, v57, v71, s[76:77]
	v_writelane_b32 v127, s69, 29
	v_cndmask_b32_e64 v57, v73, v71, s[16:17]
	v_cmp_le_i32_e64 s[68:69], s5, v48
	v_or_b32_e32 v73, 64, v80
	v_cndmask_b32_e64 v49, v63, v71, s[38:39]
	v_cndmask_b32_e64 v48, 0, v101, s[68:69]
	v_cmp_le_i32_e64 s[68:69], s5, v73
	v_or_b32_e32 v73, 0x60, v80
	v_cndmask_b32_e64 v54, v58, v71, s[78:79]
	v_cndmask_b32_e64 v58, v74, v71, s[14:15]
	;; [unrolled: 1-line block ×3, first 2 shown]
	v_cmp_le_i32_e64 s[70:71], s5, v73
	v_cmp_eq_u32_e64 s[68:69], 0, v84
	v_pk_mul_f32 v[32:33], v[48:49], v[32:33] op_sel_hi:[0,1]
	v_pk_mul_f32 v[30:31], v[74:75], v[30:31] op_sel_hi:[0,1]
	;; [unrolled: 1-line block ×9, first 2 shown]
	v_cndmask_b32_e64 v74, 0, v101, s[70:71]
	v_cndmask_b32_e64 v50, v62, v71, s[34:35]
	;; [unrolled: 1-line block ×10, first 2 shown]
	v_cndmask_b32_e32 v63, v103, v71, vcc
	v_cndmask_b32_e64 v70, v70, v71, s[68:69]
	v_pk_mul_f32 v[46:47], v[48:49], v[46:47] op_sel_hi:[0,1]
	v_pk_mul_f32 v[44:45], v[48:49], v[44:45] op_sel_hi:[0,1]
	;; [unrolled: 1-line block ×7, first 2 shown]
	v_cndmask_b32_e64 v48, v32, v33, s[64:65]
	v_cndmask_b32_e64 v71, v16, v17, s[64:65]
	v_pk_mul_f32 v[0:1], v[74:75], v[0:1] op_sel_hi:[0,1]
	v_cndmask_b32_e64 v48, v48, v34, s[30:31]
	v_cndmask_b32_e64 v71, v71, v18, s[30:31]
	v_pk_mul_f32 v[14:15], v[74:75], v[14:15] op_sel_hi:[0,1]
	v_pk_mul_f32 v[12:13], v[74:75], v[12:13] op_sel_hi:[0,1]
	;; [unrolled: 1-line block ×7, first 2 shown]
	v_cndmask_b32_e64 v74, v0, v1, s[64:65]
	v_cndmask_b32_e64 v48, v48, v35, s[40:41]
	v_cndmask_b32_e64 v71, v71, v19, s[40:41]
	v_cndmask_b32_e64 v74, v74, v2, s[30:31]
	v_cndmask_b32_e64 v48, v48, v36, s[42:43]
	v_cndmask_b32_e64 v71, v71, v20, s[42:43]
	v_cndmask_b32_e64 v74, v74, v3, s[40:41]
	v_cndmask_b32_e64 v48, v48, v37, s[44:45]
	v_cndmask_b32_e64 v71, v71, v21, s[44:45]
	v_cndmask_b32_e64 v74, v74, v4, s[42:43]
	v_cndmask_b32_e64 v48, v48, v38, s[46:47]
	v_cndmask_b32_e64 v71, v71, v22, s[46:47]
	v_cndmask_b32_e64 v74, v74, v5, s[44:45]
	v_cndmask_b32_e64 v48, v48, v39, s[48:49]
	v_cndmask_b32_e64 v71, v71, v23, s[48:49]
	v_cndmask_b32_e64 v74, v74, v6, s[46:47]
	v_cndmask_b32_e64 v48, v48, v40, s[50:51]
	v_cndmask_b32_e64 v71, v71, v24, s[50:51]
	v_cndmask_b32_e64 v74, v74, v7, s[48:49]
	v_cndmask_b32_e64 v48, v48, v41, s[52:53]
	v_cndmask_b32_e64 v71, v71, v25, s[52:53]
	v_cndmask_b32_e64 v74, v74, v8, s[50:51]
	v_cndmask_b32_e64 v48, v48, v42, s[54:55]
	v_cndmask_b32_e64 v71, v71, v26, s[54:55]
	v_cndmask_b32_e64 v74, v74, v9, s[52:53]
	v_cndmask_b32_e64 v48, v48, v43, s[56:57]
	v_cndmask_b32_e64 v71, v71, v27, s[56:57]
	v_cndmask_b32_e64 v74, v74, v10, s[54:55]
	v_cndmask_b32_e64 v48, v48, v44, s[58:59]
	v_cndmask_b32_e64 v71, v71, v28, s[58:59]
	v_cndmask_b32_e64 v74, v74, v11, s[56:57]
	v_cndmask_b32_e64 v48, v48, v45, s[60:61]
	v_cndmask_b32_e64 v71, v71, v29, s[60:61]
	v_cndmask_b32_e64 v74, v74, v12, s[58:59]
	v_cndmask_b32_e64 v48, v48, v46, s[62:63]
	v_cndmask_b32_e64 v71, v71, v30, s[62:63]
	v_cndmask_b32_e64 v74, v74, v13, s[60:61]
	v_cndmask_b32_e64 v48, v48, v47, s[66:67]
	v_cndmask_b32_e64 v71, v71, v31, s[66:67]
	v_cndmask_b32_e64 v74, v74, v14, s[62:63]
	ds_bpermute_b32 v48, v99, v48
	ds_bpermute_b32 v71, v99, v71
	v_cndmask_b32_e64 v74, v74, v15, s[66:67]
	ds_bpermute_b32 v74, v99, v74
	v_cmp_eq_u32_e64 s[70:71], 1, v85
	s_waitcnt lgkmcnt(2)
	v_cndmask_b32_e64 v33, v33, v48, s[64:65]
	s_waitcnt lgkmcnt(1)
	v_cndmask_b32_e64 v17, v17, v71, s[64:65]
	v_cndmask_b32_e64 v73, v70, v63, s[70:71]
	v_cmp_eq_u32_e64 s[64:65], 2, v85
	v_cndmask_b32_e64 v47, v47, v48, s[66:67]
	v_cndmask_b32_e64 v31, v31, v71, s[66:67]
	;; [unrolled: 1-line block ×3, first 2 shown]
	s_waitcnt lgkmcnt(0)
	v_cndmask_b32_e64 v15, v15, v74, s[66:67]
	v_cmp_eq_u32_e64 s[66:67], 3, v85
	v_cndmask_b32_e64 v46, v46, v48, s[62:63]
	v_cndmask_b32_e64 v30, v30, v71, s[62:63]
	v_cndmask_b32_e64 v73, v73, v61, s[66:67]
	v_cndmask_b32_e64 v14, v14, v74, s[62:63]
	v_cmp_eq_u32_e64 s[62:63], 4, v85
	v_cndmask_b32_e64 v45, v45, v48, s[60:61]
	v_cndmask_b32_e64 v29, v29, v71, s[60:61]
	v_cndmask_b32_e64 v73, v73, v60, s[62:63]
	;; [unrolled: 5-line block ×4, first 2 shown]
	v_cndmask_b32_e64 v11, v11, v74, s[56:57]
	v_cmp_eq_u32_e64 s[56:57], 7, v85
	v_cmp_eq_u32_e64 s[72:73], 8, v85
	v_cndmask_b32_e64 v41, v41, v48, s[52:53]
	v_cndmask_b32_e64 v73, v73, v57, s[56:57]
	;; [unrolled: 1-line block ×5, first 2 shown]
	v_cmp_eq_u32_e64 s[52:53], 9, v85
	v_cmp_eq_u32_e64 s[74:75], 10, v85
	v_cndmask_b32_e64 v42, v42, v48, s[54:55]
	v_cndmask_b32_e64 v73, v73, v55, s[52:53]
	;; [unrolled: 1-line block ×5, first 2 shown]
	v_cmp_eq_u32_e64 s[54:55], 11, v85
	v_cndmask_b32_e64 v39, v39, v48, s[48:49]
	v_cndmask_b32_e64 v23, v23, v71, s[48:49]
	v_cndmask_b32_e64 v7, v7, v74, s[48:49]
	v_cndmask_b32_e64 v73, v73, v53, s[54:55]
	v_cmp_eq_u32_e64 s[48:49], 12, v85
	v_cndmask_b32_e64 v37, v37, v48, s[44:45]
	v_cndmask_b32_e64 v21, v21, v71, s[44:45]
	v_cndmask_b32_e64 v73, v73, v52, s[48:49]
	v_cndmask_b32_e64 v5, v5, v74, s[44:45]
	;; [unrolled: 5-line block ×4, first 2 shown]
	v_cmp_eq_u32_e64 s[42:43], 15, v85
	v_cndmask_b32_e64 v34, v34, v48, s[30:31]
	v_cndmask_b32_e64 v18, v18, v71, s[30:31]
	;; [unrolled: 1-line block ×3, first 2 shown]
	ds_bpermute_b32 v73, v99, v73
	v_cndmask_b32_e64 v2, v2, v74, s[30:31]
	v_cmp_ne_u32_e64 s[30:31], 0, v83
	v_cndmask_b32_e64 v32, v32, v48, s[36:37]
	v_cndmask_b32_e64 v40, v40, v48, s[50:51]
	;; [unrolled: 1-line block ×6, first 2 shown]
	v_cmp_eq_u32_e64 s[50:51], 0, v85
	v_cndmask_b32_e32 v48, v32, v33, vcc
	v_cndmask_b32_e64 v0, v0, v74, s[36:37]
	s_waitcnt lgkmcnt(0)
	v_cndmask_b32_e64 v49, v49, v73, s[42:43]
	v_cndmask_b32_e64 v50, v50, v73, s[46:47]
	;; [unrolled: 1-line block ×17, first 2 shown]
	v_cndmask_b32_e32 v73, v0, v1, vcc
	v_cndmask_b32_e64 v3, v3, v74, s[40:41]
	v_cndmask_b32_e64 v48, v48, v35, s[8:9]
	;; [unrolled: 1-line block ×22, first 2 shown]
	v_cndmask_b32_e32 v71, v16, v17, vcc
	v_cndmask_b32_e64 v73, v73, v11, s[80:81]
	v_cndmask_b32_e64 v48, v48, v45, s[28:29]
	;; [unrolled: 1-line block ×10, first 2 shown]
	ds_bpermute_b32 v48, v99, v48
	v_cndmask_b32_e64 v71, v71, v21, s[12:13]
	v_cndmask_b32_e64 v73, v73, v15, s[38:39]
	;; [unrolled: 1-line block ×3, first 2 shown]
	ds_bpermute_b32 v73, v99, v73
	v_cndmask_b32_e64 v71, v71, v23, s[16:17]
	v_cndmask_b32_e64 v71, v71, v24, s[18:19]
	;; [unrolled: 1-line block ×4, first 2 shown]
	s_waitcnt lgkmcnt(1)
	v_cndmask_b32_e32 v33, v33, v48, vcc
	v_cndmask_b32_e64 v32, v32, v48, s[68:69]
	v_cndmask_b32_e64 v71, v71, v27, s[80:81]
	;; [unrolled: 1-line block ×16, first 2 shown]
	s_waitcnt lgkmcnt(0)
	v_cndmask_b32_e32 v1, v1, v73, vcc
	v_cndmask_b32_e64 v48, v32, v33, s[70:71]
	v_cndmask_b32_e64 v0, v0, v73, s[68:69]
	;; [unrolled: 1-line block ×28, first 2 shown]
	ds_bpermute_b32 v71, v99, v71
	v_cndmask_b32_e64 v48, v48, v38, s[58:59]
	v_cndmask_b32_e64 v73, v73, v5, s[60:61]
	;; [unrolled: 1-line block ×8, first 2 shown]
	v_cmp_eq_u32_e64 s[30:31], 1, v86
	v_cndmask_b32_e64 v48, v48, v42, s[74:75]
	v_cndmask_b32_e64 v73, v73, v9, s[52:53]
	;; [unrolled: 1-line block ×3, first 2 shown]
	v_cmp_eq_u32_e64 s[36:37], 2, v86
	s_waitcnt lgkmcnt(0)
	v_cndmask_b32_e32 v17, v17, v71, vcc
	v_cndmask_b32_e64 v48, v48, v43, s[54:55]
	v_cndmask_b32_e64 v16, v16, v71, s[68:69]
	v_cndmask_b32_e64 v73, v73, v10, s[74:75]
	v_cndmask_b32_e64 v31, v31, v71, s[38:39]
	v_cndmask_b32_e64 v74, v74, v62, s[36:37]
	v_cndmask_b32_e64 v30, v30, v71, s[34:35]
	v_cmp_eq_u32_e64 s[34:35], 3, v86
	v_cndmask_b32_e64 v29, v29, v71, s[28:29]
	v_cndmask_b32_e64 v28, v28, v71, s[82:83]
	;; [unrolled: 1-line block ×16, first 2 shown]
	v_cmp_eq_u32_e64 s[40:41], 4, v86
	v_cndmask_b32_e64 v48, v48, v45, s[44:45]
	v_cndmask_b32_e64 v71, v71, v18, s[64:65]
	v_cndmask_b32_e64 v73, v73, v12, s[48:49]
	v_cndmask_b32_e64 v74, v74, v60, s[40:41]
	v_cmp_eq_u32_e64 s[84:85], 5, v86
	v_cndmask_b32_e64 v48, v48, v46, s[46:47]
	v_cndmask_b32_e64 v71, v71, v19, s[66:67]
	v_cndmask_b32_e64 v73, v73, v13, s[44:45]
	v_cndmask_b32_e64 v74, v74, v59, s[84:85]
	;; [unrolled: 5-line block ×3, first 2 shown]
	v_cmp_eq_u32_e64 s[78:79], 7, v86
	ds_bpermute_b32 v48, v99, v48
	v_cndmask_b32_e64 v71, v71, v21, s[60:61]
	v_cndmask_b32_e64 v73, v73, v15, s[42:43]
	;; [unrolled: 1-line block ×3, first 2 shown]
	v_cmp_eq_u32_e64 s[92:93], 8, v86
	v_cndmask_b32_e64 v71, v71, v22, s[58:59]
	ds_bpermute_b32 v73, v99, v73
	v_cndmask_b32_e64 v74, v74, v56, s[92:93]
	v_cmp_eq_u32_e64 s[18:19], 9, v86
	v_cndmask_b32_e64 v71, v71, v23, s[56:57]
	v_cmp_eq_u32_e64 s[16:17], 10, v86
	v_cndmask_b32_e64 v74, v74, v55, s[18:19]
	v_cndmask_b32_e64 v71, v71, v24, s[72:73]
	;; [unrolled: 1-line block ×3, first 2 shown]
	v_cmp_eq_u32_e64 s[14:15], 11, v86
	v_cndmask_b32_e64 v71, v71, v25, s[52:53]
	v_cmp_eq_u32_e64 s[12:13], 12, v86
	v_cndmask_b32_e64 v74, v74, v53, s[14:15]
	v_cndmask_b32_e64 v71, v71, v26, s[74:75]
	s_waitcnt lgkmcnt(1)
	v_cndmask_b32_e64 v33, v33, v48, s[70:71]
	v_cndmask_b32_e64 v32, v32, v48, s[50:51]
	;; [unrolled: 1-line block ×3, first 2 shown]
	v_cmp_eq_u32_e64 s[38:39], 13, v86
	v_cndmask_b32_e64 v71, v71, v27, s[54:55]
	v_cndmask_b32_e64 v47, v47, v48, s[42:43]
	;; [unrolled: 1-line block ×15, first 2 shown]
	s_waitcnt lgkmcnt(0)
	v_cndmask_b32_e64 v1, v1, v73, s[70:71]
	v_cndmask_b32_e64 v48, v32, v33, s[30:31]
	;; [unrolled: 1-line block ×4, first 2 shown]
	v_cmp_eq_u32_e64 s[8:9], 14, v86
	v_cndmask_b32_e64 v71, v71, v28, s[48:49]
	v_cndmask_b32_e64 v15, v15, v73, s[42:43]
	;; [unrolled: 1-line block ×18, first 2 shown]
	v_cmp_eq_u32_e64 s[6:7], 15, v86
	v_cndmask_b32_e64 v71, v71, v29, s[44:45]
	v_cndmask_b32_e64 v48, v48, v35, s[34:35]
	;; [unrolled: 1-line block ×7, first 2 shown]
	ds_bpermute_b32 v74, v99, v74
	v_cndmask_b32_e64 v71, v71, v31, s[42:43]
	v_cndmask_b32_e64 v48, v48, v37, s[84:85]
	;; [unrolled: 1-line block ×3, first 2 shown]
	ds_bpermute_b32 v71, v99, v71
	v_cndmask_b32_e64 v48, v48, v38, s[88:89]
	v_cndmask_b32_e64 v73, v73, v5, s[84:85]
	;; [unrolled: 1-line block ×6, first 2 shown]
	v_cmp_eq_u32_e64 s[10:11], 0, v86
	v_cndmask_b32_e64 v48, v48, v41, s[18:19]
	v_cndmask_b32_e64 v73, v73, v8, s[92:93]
	s_waitcnt lgkmcnt(1)
	v_cndmask_b32_e64 v63, v63, v74, s[30:31]
	v_cndmask_b32_e64 v70, v70, v74, s[10:11]
	v_cmp_eq_u32_e64 s[28:29], 1, v87
	v_cndmask_b32_e64 v48, v48, v42, s[16:17]
	v_cndmask_b32_e64 v73, v73, v9, s[18:19]
	;; [unrolled: 1-line block ×17, first 2 shown]
	s_waitcnt lgkmcnt(0)
	v_cndmask_b32_e64 v31, v31, v71, s[42:43]
	v_cmp_eq_u32_e64 s[42:43], 2, v87
	v_cndmask_b32_e64 v17, v17, v71, s[70:71]
	v_cndmask_b32_e64 v48, v48, v43, s[14:15]
	;; [unrolled: 1-line block ×6, first 2 shown]
	v_cmp_eq_u32_e64 s[46:47], 3, v87
	v_cndmask_b32_e64 v29, v29, v71, s[44:45]
	v_cndmask_b32_e64 v28, v28, v71, s[48:49]
	;; [unrolled: 1-line block ×16, first 2 shown]
	v_cmp_eq_u32_e64 s[44:45], 4, v87
	v_cndmask_b32_e64 v48, v48, v45, s[38:39]
	v_cndmask_b32_e64 v71, v71, v18, s[36:37]
	v_cndmask_b32_e64 v73, v73, v12, s[12:13]
	v_cndmask_b32_e64 v74, v74, v60, s[44:45]
	v_cmp_eq_u32_e64 s[48:49], 5, v87
	v_cndmask_b32_e64 v48, v48, v46, s[8:9]
	v_cndmask_b32_e64 v71, v71, v19, s[34:35]
	v_cndmask_b32_e64 v73, v73, v13, s[38:39]
	v_cndmask_b32_e64 v74, v74, v59, s[48:49]
	;; [unrolled: 5-line block ×3, first 2 shown]
	v_cmp_eq_u32_e64 s[68:69], 7, v87
	ds_bpermute_b32 v48, v99, v48
	v_cndmask_b32_e64 v71, v71, v21, s[84:85]
	v_cndmask_b32_e64 v73, v73, v15, s[6:7]
	;; [unrolled: 1-line block ×3, first 2 shown]
	v_cmp_eq_u32_e64 s[74:75], 8, v87
	v_cndmask_b32_e64 v71, v71, v22, s[88:89]
	ds_bpermute_b32 v73, v99, v73
	v_cndmask_b32_e64 v74, v74, v56, s[74:75]
	v_cmp_eq_u32_e64 s[72:73], 9, v87
	v_cndmask_b32_e64 v71, v71, v23, s[78:79]
	v_cmp_eq_u32_e64 s[76:77], 10, v87
	v_cndmask_b32_e64 v74, v74, v55, s[72:73]
	v_cndmask_b32_e64 v71, v71, v24, s[92:93]
	;; [unrolled: 1-line block ×3, first 2 shown]
	v_cmp_eq_u32_e64 s[80:81], 11, v87
	v_cndmask_b32_e64 v71, v71, v25, s[18:19]
	v_cmp_eq_u32_e64 s[60:61], 12, v87
	v_cndmask_b32_e64 v74, v74, v53, s[80:81]
	v_cndmask_b32_e64 v71, v71, v26, s[16:17]
	s_waitcnt lgkmcnt(1)
	v_cndmask_b32_e64 v33, v33, v48, s[30:31]
	v_cndmask_b32_e64 v32, v32, v48, s[10:11]
	;; [unrolled: 1-line block ×3, first 2 shown]
	v_cmp_eq_u32_e64 s[82:83], 13, v87
	v_cndmask_b32_e64 v71, v71, v27, s[14:15]
	v_cndmask_b32_e64 v34, v34, v48, s[36:37]
	s_waitcnt lgkmcnt(0)
	v_cndmask_b32_e64 v102, v1, v73, s[30:31]
	v_cndmask_b32_e64 v1, v32, v33, s[28:29]
	;; [unrolled: 1-line block ×3, first 2 shown]
	v_cmp_eq_u32_e64 s[86:87], 14, v87
	v_cndmask_b32_e64 v71, v71, v28, s[12:13]
	v_cndmask_b32_e64 v35, v35, v48, s[34:35]
	;; [unrolled: 1-line block ×4, first 2 shown]
	v_cmp_eq_u32_e64 s[90:91], 15, v87
	v_cndmask_b32_e64 v71, v71, v29, s[38:39]
	v_cndmask_b32_e64 v36, v36, v48, s[40:41]
	;; [unrolled: 1-line block ×7, first 2 shown]
	ds_bpermute_b32 v74, v99, v74
	v_cndmask_b32_e64 v71, v71, v31, s[6:7]
	v_cndmask_b32_e64 v38, v38, v48, s[88:89]
	;; [unrolled: 1-line block ×3, first 2 shown]
	ds_bpermute_b32 v71, v99, v71
	v_cndmask_b32_e64 v39, v39, v48, s[78:79]
	v_cndmask_b32_e64 v1, v1, v38, s[54:55]
	;; [unrolled: 1-line block ×6, first 2 shown]
	v_cmp_eq_u32_e64 s[52:53], 0, v87
	v_cndmask_b32_e64 v42, v42, v48, s[16:17]
	v_cndmask_b32_e64 v1, v1, v41, s[72:73]
	s_waitcnt lgkmcnt(1)
	v_cndmask_b32_e64 v63, v63, v74, s[28:29]
	v_cndmask_b32_e64 v70, v70, v74, s[52:53]
	v_cmp_eq_u32_e32 vcc, 1, v88
	v_cndmask_b32_e64 v43, v43, v48, s[14:15]
	v_cndmask_b32_e64 v1, v1, v42, s[76:77]
	;; [unrolled: 1-line block ×16, first 2 shown]
	v_cndmask_b32_e32 v74, v70, v63, vcc
	v_cndmask_b32_e64 v47, v47, v48, s[6:7]
	s_waitcnt lgkmcnt(0)
	v_cndmask_b32_e64 v31, v31, v71, s[6:7]
	v_cndmask_b32_e64 v15, v15, v73, s[6:7]
	v_cmp_eq_u32_e64 s[6:7], 2, v88
	v_cndmask_b32_e64 v44, v44, v48, s[12:13]
	v_cndmask_b32_e64 v1, v1, v43, s[80:81]
	;; [unrolled: 1-line block ×6, first 2 shown]
	v_cmp_eq_u32_e64 s[8:9], 3, v88
	v_cndmask_b32_e64 v45, v45, v48, s[38:39]
	v_cndmask_b32_e64 v1, v1, v44, s[60:61]
	;; [unrolled: 1-line block ×5, first 2 shown]
	v_cmp_eq_u32_e64 s[38:39], 4, v88
	v_cndmask_b32_e64 v1, v1, v45, s[82:83]
	v_cmp_eq_u32_e64 s[50:51], 5, v88
	v_cndmask_b32_e64 v74, v74, v60, s[38:39]
	v_cndmask_b32_e64 v1, v1, v46, s[86:87]
	;; [unrolled: 1-line block ×5, first 2 shown]
	v_cmp_eq_u32_e64 s[56:57], 6, v88
	v_cndmask_b32_e64 v10, v10, v73, s[16:17]
	v_cndmask_b32_e64 v9, v9, v73, s[18:19]
	;; [unrolled: 1-line block ×14, first 2 shown]
	v_cmp_eq_u32_e64 s[58:59], 7, v88
	v_cndmask_b32_e64 v18, v18, v71, s[36:37]
	ds_bpermute_b32 v48, v99, v1
	v_cndmask_b32_e64 v1, v16, v101, s[28:29]
	v_cndmask_b32_e64 v0, v73, v102, s[28:29]
	v_cndmask_b32_e64 v74, v74, v57, s[58:59]
	v_cmp_eq_u32_e64 s[64:65], 8, v88
	v_cndmask_b32_e64 v19, v19, v71, s[34:35]
	v_cndmask_b32_e64 v1, v1, v18, s[42:43]
	v_cndmask_b32_e64 v0, v0, v2, s[42:43]
	v_cndmask_b32_e64 v74, v74, v56, s[64:65]
	v_cmp_eq_u32_e64 s[70:71], 9, v88
	v_cndmask_b32_e64 v20, v20, v71, s[40:41]
	v_cndmask_b32_e64 v1, v1, v19, s[46:47]
	v_cndmask_b32_e64 v0, v0, v3, s[46:47]
	v_cndmask_b32_e64 v74, v74, v55, s[70:71]
	v_cndmask_b32_e64 v23, v23, v71, s[78:79]
	v_cmp_eq_u32_e64 s[78:79], 10, v88
	v_cndmask_b32_e64 v21, v21, v71, s[84:85]
	;; [unrolled: 6-line block ×3, first 2 shown]
	v_cndmask_b32_e64 v0, v0, v5, s[48:49]
	v_cndmask_b32_e64 v74, v74, v53, s[66:67]
	v_cmp_eq_u32_e64 s[62:63], 12, v88
	v_cndmask_b32_e64 v1, v1, v22, s[54:55]
	v_cndmask_b32_e64 v0, v0, v6, s[54:55]
	v_cndmask_b32_e64 v24, v24, v71, s[92:93]
	v_cndmask_b32_e64 v74, v74, v52, s[62:63]
	v_cmp_eq_u32_e64 s[84:85], 13, v88
	v_cndmask_b32_e64 v1, v1, v23, s[68:69]
	v_cndmask_b32_e64 v0, v0, v7, s[68:69]
	;; [unrolled: 5-line block ×4, first 2 shown]
	v_cndmask_b32_e64 v27, v27, v71, s[14:15]
	v_cndmask_b32_e64 v74, v74, v49, s[92:93]
	;; [unrolled: 1-line block ×5, first 2 shown]
	ds_bpermute_b32 v74, v99, v74
	v_cndmask_b32_e64 v1, v1, v27, s[80:81]
	v_cndmask_b32_e64 v0, v0, v11, s[80:81]
	;; [unrolled: 1-line block ×8, first 2 shown]
	v_cmp_eq_u32_e64 s[94:95], 0, v88
	v_cndmask_b32_e64 v1, v1, v31, s[90:91]
	v_cndmask_b32_e64 v0, v0, v15, s[90:91]
	s_waitcnt lgkmcnt(0)
	v_cndmask_b32_e64 v49, v49, v74, s[92:93]
	v_cndmask_b32_e64 v50, v50, v74, s[88:89]
	;; [unrolled: 1-line block ×14, first 2 shown]
	v_cndmask_b32_e32 v63, v63, v74, vcc
	v_cndmask_b32_e64 v70, v70, v74, s[94:95]
	ds_bpermute_b32 v71, v99, v1
	ds_bpermute_b32 v74, v99, v0
	v_cndmask_b32_e64 v57, v35, v48, s[46:47]
	v_cndmask_b32_e64 v93, v36, v48, s[44:45]
	;; [unrolled: 1-line block ×3, first 2 shown]
	s_waitcnt lgkmcnt(1)
	v_cndmask_b32_e64 v107, v29, v71, s[82:83]
	s_waitcnt lgkmcnt(0)
	v_cndmask_b32_e64 v110, v12, v74, s[60:61]
	v_cndmask_b32_e64 v12, v33, v48, s[28:29]
	;; [unrolled: 1-line block ×7, first 2 shown]
	v_cndmask_b32_e32 v19, v29, v12, vcc
	v_cndmask_b32_e64 v19, v19, v4, s[6:7]
	v_cndmask_b32_e64 v19, v19, v57, s[8:9]
	;; [unrolled: 1-line block ×30, first 2 shown]
	ds_bpermute_b32 v30, v99, v19
	v_cndmask_b32_e32 v19, v16, v13, vcc
	v_cndmask_b32_e64 v19, v19, v5, s[6:7]
	v_cndmask_b32_e64 v55, v20, v71, s[44:45]
	;; [unrolled: 1-line block ×17, first 2 shown]
	v_cmp_eq_u32_e64 s[10:11], 1, v89
	v_cndmask_b32_e64 v109, v28, v71, s[60:61]
	v_cndmask_b32_e64 v19, v19, v111, s[66:67]
	;; [unrolled: 1-line block ×3, first 2 shown]
	v_cmp_eq_u32_e64 s[12:13], 2, v89
	v_cndmask_b32_e64 v19, v19, v109, s[62:63]
	v_cmp_eq_u32_e64 s[14:15], 3, v89
	v_cndmask_b32_e64 v0, v0, v62, s[12:13]
	v_cndmask_b32_e64 v19, v19, v107, s[84:85]
	;; [unrolled: 1-line block ×4, first 2 shown]
	v_cmp_eq_u32_e64 s[16:17], 4, v89
	v_cndmask_b32_e64 v19, v19, v105, s[88:89]
	v_cndmask_b32_e64 v106, v14, v74, s[86:87]
	;; [unrolled: 1-line block ×3, first 2 shown]
	v_cmp_eq_u32_e64 s[18:19], 5, v89
	v_cndmask_b32_e64 v14, v102, v74, s[28:29]
	v_cndmask_b32_e64 v19, v19, v103, s[92:93]
	;; [unrolled: 1-line block ×5, first 2 shown]
	v_cmp_eq_u32_e64 s[80:81], 6, v89
	v_cndmask_b32_e64 v125, v6, v74, s[54:55]
	v_cndmask_b32_e64 v6, v2, v74, s[42:43]
	ds_bpermute_b32 v20, v99, v19
	v_cndmask_b32_e32 v19, v21, v14, vcc
	v_cndmask_b32_e64 v0, v0, v58, s[80:81]
	v_cndmask_b32_e64 v114, v10, v74, s[76:77]
	v_cmp_eq_u32_e64 s[76:77], 7, v89
	v_cndmask_b32_e64 v3, v3, v74, s[46:47]
	v_cndmask_b32_e64 v19, v19, v6, s[6:7]
	;; [unrolled: 1-line block ×4, first 2 shown]
	v_cmp_eq_u32_e64 s[72:73], 8, v89
	v_cndmask_b32_e64 v19, v19, v3, s[8:9]
	v_cmp_eq_u32_e64 s[30:31], 9, v89
	v_cndmask_b32_e64 v0, v0, v76, s[72:73]
	v_cndmask_b32_e64 v19, v19, v56, s[38:39]
	v_cndmask_b32_e64 v0, v0, v75, s[30:31]
	v_cmp_eq_u32_e64 s[34:35], 10, v89
	v_cndmask_b32_e64 v19, v19, v92, s[50:51]
	v_cndmask_b32_e64 v122, v7, v74, s[68:69]
	;; [unrolled: 4-line block ×3, first 2 shown]
	v_cndmask_b32_e64 v0, v0, v53, s[36:37]
	v_cmp_eq_u32_e64 s[40:41], 12, v89
	v_cndmask_b32_e64 v19, v19, v122, s[58:59]
	v_cmp_eq_u32_e64 s[44:45], 13, v89
	v_cndmask_b32_e64 v0, v0, v52, s[40:41]
	v_cndmask_b32_e64 v19, v19, v119, s[64:65]
	;; [unrolled: 1-line block ×3, first 2 shown]
	v_cmp_eq_u32_e64 s[46:47], 14, v89
	v_cndmask_b32_e64 v19, v19, v116, s[70:71]
	v_cmp_eq_u32_e64 s[42:43], 15, v89
	v_cndmask_b32_e64 v0, v0, v50, s[46:47]
	v_cndmask_b32_e64 v19, v19, v114, s[78:79]
	v_cndmask_b32_e64 v0, v0, v49, s[42:43]
	v_cndmask_b32_e64 v19, v19, v112, s[66:67]
	ds_bpermute_b32 v0, v99, v0
	v_cndmask_b32_e64 v19, v19, v110, s[62:63]
	v_cndmask_b32_e64 v19, v19, v108, s[84:85]
	;; [unrolled: 1-line block ×4, first 2 shown]
	v_cmp_eq_u32_e64 s[28:29], 0, v89
	ds_bpermute_b32 v28, v99, v19
	s_waitcnt lgkmcnt(1)
	v_cndmask_b32_e64 v7, v49, v0, s[42:43]
	v_cndmask_b32_e64 v8, v50, v0, s[46:47]
	;; [unrolled: 1-line block ×16, first 2 shown]
	v_cmp_eq_u32_e64 s[48:49], 1, v90
	v_cmp_eq_u32_e64 s[52:53], 2, v90
	;; [unrolled: 1-line block ×3, first 2 shown]
	v_cndmask_b32_e64 v33, v0, v18, s[48:49]
	v_cndmask_b32_e64 v34, v33, v17, s[52:53]
	;; [unrolled: 1-line block ×3, first 2 shown]
	v_cmp_eq_u32_e64 s[60:61], 4, v90
	v_cndmask_b32_e64 v58, v44, v30, s[62:63]
	v_cndmask_b32_e64 v38, v109, v20, s[62:63]
	;; [unrolled: 1-line block ×3, first 2 shown]
	s_waitcnt lgkmcnt(0)
	v_cndmask_b32_e64 v35, v110, v28, s[62:63]
	v_cmp_eq_u32_e64 s[62:63], 5, v90
	v_cndmask_b32_e64 v59, v43, v30, s[66:67]
	v_cndmask_b32_e64 v48, v112, v28, s[66:67]
	;; [unrolled: 1-line block ×4, first 2 shown]
	v_cmp_eq_u32_e64 s[66:67], 6, v90
	v_cmp_eq_u32_e64 s[68:69], 7, v90
	v_cndmask_b32_e64 v60, v42, v30, s[78:79]
	v_cndmask_b32_e64 v43, v40, v26, s[66:67]
	;; [unrolled: 1-line block ×6, first 2 shown]
	v_cmp_eq_u32_e64 s[70:71], 8, v90
	v_cndmask_b32_e64 v62, v117, v30, s[64:65]
	v_cndmask_b32_e64 v51, v119, v28, s[64:65]
	v_cndmask_b32_e64 v43, v42, v24, s[70:71]
	v_cndmask_b32_e64 v42, v118, v20, s[64:65]
	v_cmp_eq_u32_e64 s[64:65], 9, v90
	v_cndmask_b32_e64 v63, v120, v30, s[58:59]
	v_cndmask_b32_e64 v52, v122, v28, s[58:59]
	v_cndmask_b32_e64 v44, v43, v23, s[64:65]
	v_cndmask_b32_e64 v43, v121, v20, s[58:59]
	;; [unrolled: 5-line block ×3, first 2 shown]
	v_cndmask_b32_e64 v44, v124, v20, s[56:57]
	v_cndmask_b32_e64 v53, v125, v28, s[56:57]
	v_cmp_eq_u32_e64 s[56:57], 11, v90
	v_cndmask_b32_e64 v73, v126, v30, s[50:51]
	v_cndmask_b32_e64 v54, v92, v28, s[50:51]
	v_cndmask_b32_e64 v71, v45, v11, s[56:57]
	v_cndmask_b32_e64 v45, v91, v20, s[50:51]
	v_cmp_eq_u32_e64 s[50:51], 12, v90
	v_cndmask_b32_e64 v74, v93, v30, s[38:39]
	v_cndmask_b32_e64 v75, v55, v20, s[38:39]
	;; [unrolled: 5-line block ×4, first 2 shown]
	v_cndmask_b32_e64 v3, v56, v8, s[8:9]
	v_cndmask_b32_e64 v56, v4, v30, s[6:7]
	v_cmp_eq_u32_e64 s[6:7], 15, v90
	v_cndmask_b32_e32 v93, v12, v30, vcc
	v_cndmask_b32_e64 v46, v46, v30, s[88:89]
	v_cndmask_b32_e64 v3, v3, v7, s[6:7]
	ds_bpermute_b32 v92, v99, v3
	v_cndmask_b32_e32 v101, v13, v20, vcc
	v_cndmask_b32_e32 v102, v14, v28, vcc
	v_cndmask_b32_e64 v16, v16, v20, s[94:95]
	v_cndmask_b32_e64 v40, v113, v20, s[78:79]
	s_waitcnt lgkmcnt(0)
	v_cndmask_b32_e64 v12, v10, v92, s[50:51]
	v_cndmask_b32_e64 v10, v22, v92, s[58:59]
	;; [unrolled: 1-line block ×20, first 2 shown]
	ds_bpermute_b32 v23, v99, v3
	v_cndmask_b32_e64 v6, v26, v92, s[66:67]
	v_cndmask_b32_e64 v4, v1, v92, s[60:61]
	;; [unrolled: 1-line block ×4, first 2 shown]
	s_waitcnt lgkmcnt(0)
	v_cndmask_b32_e64 v18, v46, v23, s[46:47]
	v_cndmask_b32_e64 v26, v59, v23, s[36:37]
	v_cndmask_b32_e64 v46, v60, v23, s[34:35]
	v_cndmask_b32_e64 v59, v63, v23, s[76:77]
	v_cndmask_b32_e64 v60, v70, v23, s[80:81]
	v_cndmask_b32_e64 v63, v93, v23, s[10:11]
	v_cndmask_b32_e64 v70, v22, v23, s[28:29]
	v_cndmask_b32_e64 v56, v56, v23, s[12:13]
	v_cndmask_b32_e64 v22, v70, v63, s[48:49]
	v_cndmask_b32_e64 v57, v57, v23, s[14:15]
	v_cndmask_b32_e64 v22, v22, v56, s[52:53]
	v_cndmask_b32_e64 v7, v25, v92, s[68:69]
	v_cndmask_b32_e64 v25, v58, v23, s[40:41]
	v_cndmask_b32_e64 v58, v62, v23, s[72:73]
	v_cndmask_b32_e64 v62, v74, v23, s[16:17]
	v_cndmask_b32_e64 v22, v22, v57, s[54:55]
	v_cndmask_b32_e64 v14, v8, v92, s[8:9]
	v_cndmask_b32_e64 v8, v24, v92, s[70:71]
	v_cndmask_b32_e64 v24, v47, v23, s[44:45]
	v_cndmask_b32_e64 v47, v61, v23, s[30:31]
	v_cndmask_b32_e64 v61, v73, v23, s[18:19]
	v_cndmask_b32_e64 v22, v22, v62, s[60:61]
	v_cndmask_b32_e64 v22, v22, v61, s[62:63]
	v_cndmask_b32_e64 v22, v22, v60, s[66:67]
	v_cndmask_b32_e64 v22, v22, v59, s[68:69]
	v_cndmask_b32_e64 v22, v22, v58, s[70:71]
	v_cndmask_b32_e64 v22, v22, v47, s[64:65]
	v_cndmask_b32_e64 v22, v22, v46, s[58:59]
	v_cndmask_b32_e64 v22, v22, v26, s[56:57]
	v_cndmask_b32_e64 v22, v22, v25, s[50:51]
	v_cndmask_b32_e64 v22, v22, v24, s[38:39]
	v_cndmask_b32_e64 v3, v2, v92, s[54:55]
	v_cndmask_b32_e64 v2, v17, v92, s[52:53]
	v_cndmask_b32_e64 v17, v31, v23, s[42:43]
	v_cndmask_b32_e64 v22, v22, v18, s[8:9]
	v_cndmask_b32_e64 v22, v22, v17, s[6:7]
	ds_bpermute_b32 v73, v99, v22
	v_cndmask_b32_e64 v37, v107, v20, s[84:85]
	v_cndmask_b32_e64 v36, v105, v20, s[88:89]
	;; [unrolled: 1-line block ×3, first 2 shown]
	v_cmp_eq_u32_e32 vcc, 0, v90
	s_waitcnt lgkmcnt(0)
	v_cndmask_b32_e64 v31, v17, v73, s[6:7]
	v_cndmask_b32_e64 v17, v16, v101, s[10:11]
	;; [unrolled: 1-line block ×16, first 2 shown]
	ds_bpermute_b32 v17, v99, v17
	v_cndmask_b32_e64 v11, v11, v92, s[56:57]
	v_cndmask_b32_e64 v5, v27, v92, s[62:63]
	v_cndmask_b32_e32 v0, v0, v92, vcc
	v_cndmask_b32_e64 v20, v62, v73, s[60:61]
	s_waitcnt lgkmcnt(0)
	v_cndmask_b32_e64 v62, v75, v17, s[16:17]
	v_cndmask_b32_e64 v75, v77, v17, s[12:13]
	;; [unrolled: 1-line block ×39, first 2 shown]
	ds_bpermute_b32 v93, v99, v16
	v_cndmask_b32_e64 v32, v104, v28, s[92:93]
	v_cndmask_b32_e64 v33, v106, v28, s[88:89]
	;; [unrolled: 1-line block ×6, first 2 shown]
	s_waitcnt lgkmcnt(0)
	v_cndmask_b32_e64 v47, v46, v93, s[6:7]
	v_cndmask_b32_e64 v46, v36, v93, s[8:9]
	;; [unrolled: 1-line block ×19, first 2 shown]
	ds_bpermute_b32 v56, v99, v36
	v_cndmask_b32_e64 v19, v57, v73, s[54:55]
	v_cndmask_b32_e64 v17, v63, v73, s[48:49]
	v_cndmask_b32_e32 v16, v70, v73, vcc
	v_cndmask_b32_e64 v44, v38, v93, s[50:51]
	s_waitcnt lgkmcnt(0)
	v_cndmask_b32_e64 v101, v102, v56, s[10:11]
	v_cndmask_b32_e64 v74, v74, v56, s[28:29]
	;; [unrolled: 1-line block ×36, first 2 shown]
	ds_bpermute_b32 v102, v99, v32
	v_cndmask_b32_e64 v36, v62, v93, s[60:61]
	v_cndmask_b32_e64 v33, v77, v93, s[48:49]
	v_readlane_b32 s18, v127, 10
	v_readlane_b32 s28, v127, 12
	s_waitcnt lgkmcnt(0)
	v_cndmask_b32_e64 v63, v57, v102, s[6:7]
	v_readlane_b32 s6, v127, 28
	v_cndmask_b32_e64 v62, v58, v102, s[8:9]
	v_cndmask_b32_e64 v58, v49, v102, s[58:59]
	;; [unrolled: 1-line block ×3, first 2 shown]
	v_readlane_b32 s7, v127, 29
	v_readlane_b32 s34, v127, 17
	;; [unrolled: 1-line block ×4, first 2 shown]
	v_subrev_u32_e32 v100, s4, v100
	s_mov_b32 s1, 0
	v_cndmask_b32_e64 v45, v37, v93, s[38:39]
	v_cndmask_b32_e64 v41, v41, v93, s[64:65]
	;; [unrolled: 1-line block ×5, first 2 shown]
	v_cndmask_b32_e32 v32, v92, v93, vcc
	v_cndmask_b32_e64 v61, v59, v102, s[38:39]
	v_cndmask_b32_e64 v60, v60, v102, s[50:51]
	;; [unrolled: 1-line block ×11, first 2 shown]
	v_cndmask_b32_e32 v48, v74, v102, vcc
	v_lshl_add_u64 v[70:71], s[6:7], 0, v[64:65]
	s_mov_b64 s[6:7], 0
	s_mov_b32 s5, 0
	v_readlane_b32 s19, v127, 11
	v_readlane_b32 s29, v127, 13
	;; [unrolled: 1-line block ×9, first 2 shown]
	s_mov_b64 s[40:41], 0x80
	s_mov_b64 s[42:43], 0xc0
	v_readlane_b32 s44, v127, 27
	v_readlane_b32 s47, v127, 26
	;; [unrolled: 1-line block ×3, first 2 shown]
                                        ; implicit-def: $sgpr8_sgpr9
	s_branch .LBB288_32
.LBB288_30:                             ;   in Loop: Header=BB288_32 Depth=2
	s_or_b64 exec, exec, s[12:13]
	s_andn2_b64 s[8:9], s[8:9], exec
	s_and_b64 s[12:13], s[14:15], exec
	s_or_b64 s[8:9], s[8:9], s[12:13]
.LBB288_31:                             ;   in Loop: Header=BB288_32 Depth=2
	s_or_b64 exec, exec, s[10:11]
	s_and_b64 s[10:11], exec, s[8:9]
	s_or_b64 s[6:7], s[10:11], s[6:7]
	s_andn2_b64 exec, exec, s[6:7]
	s_cbranch_execz .LBB288_35
.LBB288_32:                             ;   Parent Loop BB288_7 Depth=1
                                        ; =>  This Inner Loop Header: Depth=2
	s_and_b32 s12, s1, 24
	v_or_b32_e32 v73, s12, v97
	v_add_u32_e32 v74, s96, v73
	v_cmp_gt_u32_e32 vcc, 32, v74
	s_or_b64 s[8:9], s[8:9], exec
	s_and_saveexec_b64 s[10:11], vcc
	s_cbranch_execz .LBB288_31
; %bb.33:                               ;   in Loop: Header=BB288_32 Depth=2
	s_add_i32 s13, s5, 1
	s_set_gpr_idx_on s5, gpr_idx(SRC0)
	v_mov_b32_e32 v74, v0
	s_set_gpr_idx_off
	v_cvt_f16_f32_e32 v76, v74
	s_set_gpr_idx_on s13, gpr_idx(SRC0)
	v_mov_b32_e32 v74, v0
	s_set_gpr_idx_off
	v_cvt_f16_f32_sdwa v77, v74 dst_sel:WORD_1 dst_unused:UNUSED_PAD src0_sel:DWORD
	v_mul_lo_u32 v74, v73, s21
	v_ashrrev_i32_e32 v75, 31, v74
	v_lshl_add_u64 v[74:75], v[74:75], 1, v[70:71]
	v_or_b32_e32 v73, v77, v76
	;;#ASMSTART
	global_atomic_pk_add_f16 v[74:75], v73, off
	
	;;#ASMEND
	s_set_gpr_idx_on s5, gpr_idx(SRC0)
	v_mov_b32_e32 v73, v16
	s_set_gpr_idx_off
	v_cvt_f16_f32_e32 v73, v73
	s_set_gpr_idx_on s13, gpr_idx(SRC0)
	v_mov_b32_e32 v76, v16
	s_set_gpr_idx_off
	v_cvt_f16_f32_sdwa v91, v76 dst_sel:WORD_1 dst_unused:UNUSED_PAD src0_sel:DWORD
	v_lshl_add_u64 v[76:77], v[74:75], 0, 64
	s_mov_b64 s[14:15], -1
	v_or_b32_e32 v73, v91, v73
	;;#ASMSTART
	global_atomic_pk_add_f16 v[76:77], v73, off
	
	;;#ASMEND
	s_set_gpr_idx_on s5, gpr_idx(SRC0)
	v_mov_b32_e32 v73, v32
	s_set_gpr_idx_off
	v_cvt_f16_f32_e32 v73, v73
	s_set_gpr_idx_on s13, gpr_idx(SRC0)
	v_mov_b32_e32 v76, v32
	s_set_gpr_idx_off
	v_cvt_f16_f32_sdwa v91, v76 dst_sel:WORD_1 dst_unused:UNUSED_PAD src0_sel:DWORD
	v_lshl_add_u64 v[76:77], v[74:75], 0, s[40:41]
	v_lshl_add_u64 v[74:75], v[74:75], 0, s[42:43]
	v_or_b32_e32 v73, v91, v73
	;;#ASMSTART
	global_atomic_pk_add_f16 v[76:77], v73, off
	
	;;#ASMEND
	s_set_gpr_idx_on s5, gpr_idx(SRC0)
	v_mov_b32_e32 v73, v48
	s_set_gpr_idx_off
	v_cvt_f16_f32_e32 v73, v73
	s_set_gpr_idx_on s13, gpr_idx(SRC0)
	v_mov_b32_e32 v76, v48
	s_set_gpr_idx_off
	v_cvt_f16_f32_sdwa v76, v76 dst_sel:WORD_1 dst_unused:UNUSED_PAD src0_sel:DWORD
	s_nop 0
	v_or_b32_e32 v73, v76, v73
	;;#ASMSTART
	global_atomic_pk_add_f16 v[74:75], v73, off
	
	;;#ASMEND
	v_or_b32_e32 v73, s12, v98
	v_add_u32_e32 v74, s96, v73
	v_cmp_gt_u32_e32 vcc, 32, v74
	s_and_saveexec_b64 s[12:13], vcc
	s_cbranch_execz .LBB288_30
; %bb.34:                               ;   in Loop: Header=BB288_32 Depth=2
	s_add_i32 s14, s5, 2
	s_add_i32 s15, s5, 3
	s_set_gpr_idx_on s14, gpr_idx(SRC0)
	v_mov_b32_e32 v74, v0
	s_set_gpr_idx_off
	v_cvt_f16_f32_e32 v76, v74
	s_set_gpr_idx_on s15, gpr_idx(SRC0)
	v_mov_b32_e32 v74, v0
	s_set_gpr_idx_off
	v_cvt_f16_f32_sdwa v77, v74 dst_sel:WORD_1 dst_unused:UNUSED_PAD src0_sel:DWORD
	v_mul_lo_u32 v74, v73, s21
	v_ashrrev_i32_e32 v75, 31, v74
	v_lshl_add_u64 v[74:75], v[74:75], 1, v[70:71]
	v_or_b32_e32 v73, v77, v76
	;;#ASMSTART
	global_atomic_pk_add_f16 v[74:75], v73, off
	
	;;#ASMEND
	s_set_gpr_idx_on s14, gpr_idx(SRC0)
	v_mov_b32_e32 v73, v16
	s_set_gpr_idx_off
	v_cvt_f16_f32_e32 v73, v73
	s_set_gpr_idx_on s15, gpr_idx(SRC0)
	v_mov_b32_e32 v76, v16
	s_set_gpr_idx_off
	v_cvt_f16_f32_sdwa v91, v76 dst_sel:WORD_1 dst_unused:UNUSED_PAD src0_sel:DWORD
	v_lshl_add_u64 v[76:77], v[74:75], 0, 64
	s_add_i32 s5, s5, 4
	s_add_i32 s1, s1, 8
	v_or_b32_e32 v73, v91, v73
	;;#ASMSTART
	global_atomic_pk_add_f16 v[76:77], v73, off
	
	;;#ASMEND
	s_set_gpr_idx_on s14, gpr_idx(SRC0)
	v_mov_b32_e32 v73, v32
	s_set_gpr_idx_off
	v_cvt_f16_f32_e32 v73, v73
	s_set_gpr_idx_on s15, gpr_idx(SRC0)
	v_mov_b32_e32 v76, v32
	s_set_gpr_idx_off
	v_cvt_f16_f32_sdwa v91, v76 dst_sel:WORD_1 dst_unused:UNUSED_PAD src0_sel:DWORD
	v_lshl_add_u64 v[76:77], v[74:75], 0, s[40:41]
	s_cmp_eq_u32 s5, 16
	v_lshl_add_u64 v[74:75], v[74:75], 0, s[42:43]
	v_or_b32_e32 v73, v91, v73
	;;#ASMSTART
	global_atomic_pk_add_f16 v[76:77], v73, off
	
	;;#ASMEND
	s_set_gpr_idx_on s14, gpr_idx(SRC0)
	v_mov_b32_e32 v73, v48
	s_set_gpr_idx_off
	v_cvt_f16_f32_e32 v73, v73
	s_set_gpr_idx_on s15, gpr_idx(SRC0)
	v_mov_b32_e32 v76, v48
	s_set_gpr_idx_off
	v_cvt_f16_f32_sdwa v76, v76 dst_sel:WORD_1 dst_unused:UNUSED_PAD src0_sel:DWORD
	s_cselect_b64 s[14:15], -1, 0
	s_orn2_b64 s[14:15], s[14:15], exec
	v_or_b32_e32 v73, v76, v73
	;;#ASMSTART
	global_atomic_pk_add_f16 v[74:75], v73, off
	
	;;#ASMEND
	s_branch .LBB288_30
.LBB288_35:                             ;   in Loop: Header=BB288_7 Depth=1
	s_or_b64 exec, exec, s[6:7]
	v_readlane_b32 s72, v127, 2
	v_readlane_b32 s12, v127, 0
	v_readlane_b32 s14, v127, 1
	v_readlane_b32 s73, v127, 3
	v_readlane_b32 s74, v127, 4
	v_readlane_b32 s75, v127, 5
	v_readlane_b32 s76, v127, 6
	v_readlane_b32 s77, v127, 7
	v_readlane_b32 s78, v127, 8
	v_readlane_b32 s79, v127, 9
	v_readlane_b32 s15, v127, 14
.LBB288_36:                             ;   in Loop: Header=BB288_7 Depth=1
	s_or_b64 exec, exec, s[48:49]
.LBB288_37:                             ;   in Loop: Header=BB288_7 Depth=1
	s_andn2_saveexec_b64 s[2:3], s[2:3]
	s_cbranch_execz .LBB288_46
; %bb.38:                               ;   in Loop: Header=BB288_7 Depth=1
	s_lshl_b32 s5, s4, 2
	v_cmp_gt_i32_e32 vcc, s5, v100
	s_and_saveexec_b64 s[6:7], vcc
	s_cbranch_execz .LBB288_45
; %bb.39:                               ;   in Loop: Header=BB288_7 Depth=1
	s_mul_i32 s0, s0, s23
	s_ashr_i32 s1, s0, 31
	s_add_u32 s0, s74, s0
	s_addc_u32 s1, s75, s1
	s_ashr_i32 s8, s44, 31
	s_add_u32 s0, s0, s44
	s_addc_u32 s1, s1, s8
	v_lshl_add_u64 v[0:1], s[0:1], 0, v[68:69]
	v_lshl_add_u64 v[8:9], v[0:1], 0, v[66:67]
	s_mov_b64 s[0:1], 0
	s_branch .LBB288_41
.LBB288_40:                             ;   in Loop: Header=BB288_41 Depth=2
	s_or_b64 exec, exec, s[8:9]
	v_lshl_or_b32 v12, v10, 11, v94
	;;#ASMSTART
	s_waitcnt vmcnt(1)
	;;#ASMEND
	ds_write2_b32 v12, v4, v5 offset1:32
	ds_write2_b32 v12, v6, v7 offset0:64 offset1:96
	v_add_u32_e32 v4, 0x400, v12
	v_add_u32_e32 v100, s26, v100
	;;#ASMSTART
	s_waitcnt vmcnt(0)
	;;#ASMEND
	ds_write2_b32 v4, v0, v1 offset1:32
	ds_write2_b32 v4, v2, v3 offset0:64 offset1:96
	v_add_u32_e32 v0, 1, v79
	v_add_u32_e32 v72, s26, v10
	v_cmp_le_i32_e32 vcc, s5, v100
	ds_write_b32 v11, v0 offset:12
	v_add_u32_e32 v0, 2, v79
	s_or_b64 s[0:1], vcc, s[0:1]
	v_cmp_lt_i32_e32 vcc, 3, v72
	s_nop 1
	v_cndmask_b32_e32 v79, v79, v0, vcc
	s_andn2_b64 exec, exec, s[0:1]
	s_cbranch_execz .LBB288_44
.LBB288_41:                             ;   Parent Loop BB288_7 Depth=1
                                        ; =>  This Loop Header: Depth=2
                                        ;       Child Loop BB288_43 Depth 3
	v_cmp_gt_i32_e32 vcc, 4, v72
	s_nop 1
	v_cndmask_b32_e64 v0, -4, 0, vcc
	v_add_u32_e32 v10, v0, v72
	v_ashrrev_i32_e32 v0, 31, v100
	v_lshrrev_b32_e32 v0, 30, v0
	v_add_u32_e32 v0, v100, v0
	v_and_b32_e32 v1, -4, v0
	v_lshlrev_b32_e32 v0, 4, v0
	v_sub_u32_e32 v2, v100, v1
	v_and_b32_e32 v0, 0xffffffc0, v0
	v_ashrrev_i32_e32 v1, 31, v0
	v_mul_lo_u32 v2, s24, v2
	v_lshl_add_u64 v[0:1], v[8:9], 0, v[0:1]
	v_ashrrev_i32_e32 v3, 31, v2
	v_lshl_add_u64 v[0:1], v[0:1], 0, v[2:3]
	v_lshlrev_b32_e32 v11, 2, v10
	;;#ASMSTART
	global_load_dwordx4 v[4:7], v[0:1], off offset:0   sc0 sc1 nt  
	global_load_dwordx4 v[0:3], v[0:1], off offset:32  sc0 sc1 nt  
	
	;;#ASMEND
	ds_read_b32 v12, v11 offset:14348
	v_add_u32_e32 v11, 0x3800, v11
	s_waitcnt lgkmcnt(0)
	v_cmp_ne_u32_e32 vcc, v12, v79
	s_and_saveexec_b64 s[8:9], vcc
	s_cbranch_execz .LBB288_40
; %bb.42:                               ;   in Loop: Header=BB288_41 Depth=2
	s_mov_b64 s[10:11], 0
.LBB288_43:                             ;   Parent Loop BB288_7 Depth=1
                                        ;     Parent Loop BB288_41 Depth=2
                                        ; =>    This Inner Loop Header: Depth=3
	;;#ASMSTART
	s_sleep 0
	;;#ASMEND
	ds_read_b32 v12, v11 offset:12
	s_waitcnt lgkmcnt(0)
	v_cmp_eq_u32_e32 vcc, v12, v79
	s_or_b64 s[10:11], vcc, s[10:11]
	s_andn2_b64 exec, exec, s[10:11]
	s_cbranch_execnz .LBB288_43
	s_branch .LBB288_40
.LBB288_44:                             ;   in Loop: Header=BB288_7 Depth=1
	s_or_b64 exec, exec, s[0:1]
.LBB288_45:                             ;   in Loop: Header=BB288_7 Depth=1
	s_or_b64 exec, exec, s[6:7]
	v_subrev_u32_e32 v100, s5, v100
.LBB288_46:                             ;   in Loop: Header=BB288_7 Depth=1
	s_or_b64 exec, exec, s[2:3]
.LBB288_47:                             ;   in Loop: Header=BB288_7 Depth=1
	s_andn2_saveexec_b64 s[0:1], s[46:47]
	s_cbranch_execz .LBB288_6
; %bb.48:                               ;   in Loop: Header=BB288_7 Depth=1
	s_mul_i32 s10, s4, 3
	v_cmp_gt_i32_e32 vcc, s10, v100
	s_and_saveexec_b64 s[2:3], vcc
	s_cbranch_execz .LBB288_5
; %bb.49:                               ;   in Loop: Header=BB288_7 Depth=1
	s_mul_i32 s99, s99, s22
	s_ashr_i32 s4, s99, 31
	s_add_u32 s5, s72, s99
	s_addc_u32 s6, s73, s4
	s_ashr_i32 s7, s44, 31
	s_add_u32 s4, s5, s44
	s_addc_u32 s5, s6, s7
	v_add_u32_e32 v2, s96, v80
	s_movk_i32 s6, 0x60
	v_cmp_gt_u32_e32 vcc, s6, v2
	v_sub_u32_e32 v10, 0x5f, v2
	s_nop 0
	v_cndmask_b32_e32 v0, 0, v95, vcc
	v_ashrrev_i32_e32 v1, 31, v0
	v_lshl_add_u64 v[0:1], s[4:5], 0, v[0:1]
	v_lshl_add_u64 v[8:9], v[0:1], 0, v[66:67]
	s_mov_b64 s[4:5], 0
	s_branch .LBB288_51
.LBB288_50:                             ;   in Loop: Header=BB288_51 Depth=2
	s_or_b64 exec, exec, s[6:7]
	v_lshl_add_u32 v13, v11, 11, v96
	;;#ASMSTART
	s_waitcnt vmcnt(1)
	;;#ASMEND
	ds_write2_b32 v13, v4, v5 offset1:32
	ds_write2_b32 v13, v6, v7 offset0:64 offset1:96
	v_add_u32_e32 v4, 0x400, v13
	v_add_u32_e32 v100, s25, v100
	;;#ASMSTART
	s_waitcnt vmcnt(0)
	;;#ASMEND
	ds_write2_b32 v4, v0, v1 offset1:32
	ds_write2_b32 v4, v2, v3 offset0:64 offset1:96
	v_add_u32_e32 v0, 1, v79
	v_add_u32_e32 v72, s25, v11
	v_cmp_le_i32_e32 vcc, s10, v100
	ds_write_b32 v12, v0
	v_add_u32_e32 v0, 2, v79
	s_or_b64 s[4:5], vcc, s[4:5]
	v_cmp_lt_i32_e32 vcc, 2, v72
	s_nop 1
	v_cndmask_b32_e32 v79, v79, v0, vcc
	s_andn2_b64 exec, exec, s[4:5]
	s_cbranch_execz .LBB288_4
.LBB288_51:                             ;   Parent Loop BB288_7 Depth=1
                                        ; =>  This Loop Header: Depth=2
                                        ;       Child Loop BB288_53 Depth 3
	v_cmp_gt_i32_e32 vcc, 3, v72
	s_mov_b32 s6, 0x55555556
	s_nop 0
	v_cndmask_b32_e64 v0, -3, 0, vcc
	v_add_u32_e32 v11, v0, v72
	v_mul_hi_i32 v0, v100, s6
	v_lshrrev_b32_e32 v1, 31, v0
	v_add_u32_e32 v0, v0, v1
	v_lshl_add_u32 v1, v0, 1, v0
	v_sub_u32_e32 v1, v100, v1
	v_lshlrev_b32_e32 v1, 5, v1
	v_cmp_le_i32_e32 vcc, v1, v10
	v_lshlrev_b32_e32 v0, 6, v0
	v_lshlrev_b32_e32 v12, 2, v11
	v_cndmask_b32_e32 v2, 0, v1, vcc
	v_ashrrev_i32_e32 v1, 31, v0
	v_mul_lo_u32 v2, v2, s22
	v_lshl_add_u64 v[0:1], v[8:9], 0, v[0:1]
	v_ashrrev_i32_e32 v3, 31, v2
	v_lshl_add_u64 v[0:1], v[0:1], 0, v[2:3]
	;;#ASMSTART
	global_load_dwordx4 v[4:7], v[0:1], off offset:0   
	global_load_dwordx4 v[0:3], v[0:1], off offset:32  
	
	;;#ASMEND
	ds_read_b32 v13, v12 offset:14336
	v_add_u32_e32 v12, 0x3800, v12
	s_waitcnt lgkmcnt(0)
	v_cmp_ne_u32_e32 vcc, v13, v79
	s_and_saveexec_b64 s[6:7], vcc
	s_cbranch_execz .LBB288_50
; %bb.52:                               ;   in Loop: Header=BB288_51 Depth=2
	s_mov_b64 s[8:9], 0
.LBB288_53:                             ;   Parent Loop BB288_7 Depth=1
                                        ;     Parent Loop BB288_51 Depth=2
                                        ; =>    This Inner Loop Header: Depth=3
	;;#ASMSTART
	s_sleep 0
	;;#ASMEND
	ds_read_b32 v13, v12
	s_waitcnt lgkmcnt(0)
	v_cmp_eq_u32_e32 vcc, v13, v79
	s_or_b64 s[8:9], vcc, s[8:9]
	s_andn2_b64 exec, exec, s[8:9]
	s_cbranch_execnz .LBB288_53
	s_branch .LBB288_50
.LBB288_54:
	s_endpgm
	.section	.rodata,"a",@progbits
	.p2align	6, 0x0
	.amdhsa_kernel _Z19_skinny_gemm_kernelILi3ELi4ELi1ELi32ELi4EEvPKhS1_P6__halfPKfiiiiiiii
		.amdhsa_group_segment_fixed_size 14364
		.amdhsa_private_segment_fixed_size 0
		.amdhsa_kernarg_size 64
		.amdhsa_user_sgpr_count 2
		.amdhsa_user_sgpr_dispatch_ptr 0
		.amdhsa_user_sgpr_queue_ptr 0
		.amdhsa_user_sgpr_kernarg_segment_ptr 1
		.amdhsa_user_sgpr_dispatch_id 0
		.amdhsa_user_sgpr_kernarg_preload_length 0
		.amdhsa_user_sgpr_kernarg_preload_offset 0
		.amdhsa_user_sgpr_private_segment_size 0
		.amdhsa_uses_dynamic_stack 0
		.amdhsa_enable_private_segment 0
		.amdhsa_system_sgpr_workgroup_id_x 1
		.amdhsa_system_sgpr_workgroup_id_y 0
		.amdhsa_system_sgpr_workgroup_id_z 0
		.amdhsa_system_sgpr_workgroup_info 0
		.amdhsa_system_vgpr_workitem_id 0
		.amdhsa_next_free_vgpr 128
		.amdhsa_next_free_sgpr 100
		.amdhsa_accum_offset 128
		.amdhsa_reserve_vcc 1
		.amdhsa_float_round_mode_32 0
		.amdhsa_float_round_mode_16_64 0
		.amdhsa_float_denorm_mode_32 3
		.amdhsa_float_denorm_mode_16_64 3
		.amdhsa_dx10_clamp 1
		.amdhsa_ieee_mode 1
		.amdhsa_fp16_overflow 0
		.amdhsa_tg_split 0
		.amdhsa_exception_fp_ieee_invalid_op 0
		.amdhsa_exception_fp_denorm_src 0
		.amdhsa_exception_fp_ieee_div_zero 0
		.amdhsa_exception_fp_ieee_overflow 0
		.amdhsa_exception_fp_ieee_underflow 0
		.amdhsa_exception_fp_ieee_inexact 0
		.amdhsa_exception_int_div_zero 0
	.end_amdhsa_kernel
	.section	.text._Z19_skinny_gemm_kernelILi3ELi4ELi1ELi32ELi4EEvPKhS1_P6__halfPKfiiiiiiii,"axG",@progbits,_Z19_skinny_gemm_kernelILi3ELi4ELi1ELi32ELi4EEvPKhS1_P6__halfPKfiiiiiiii,comdat
.Lfunc_end288:
	.size	_Z19_skinny_gemm_kernelILi3ELi4ELi1ELi32ELi4EEvPKhS1_P6__halfPKfiiiiiiii, .Lfunc_end288-_Z19_skinny_gemm_kernelILi3ELi4ELi1ELi32ELi4EEvPKhS1_P6__halfPKfiiiiiiii
                                        ; -- End function
	.set _Z19_skinny_gemm_kernelILi3ELi4ELi1ELi32ELi4EEvPKhS1_P6__halfPKfiiiiiiii.num_vgpr, 128
	.set _Z19_skinny_gemm_kernelILi3ELi4ELi1ELi32ELi4EEvPKhS1_P6__halfPKfiiiiiiii.num_agpr, 0
	.set _Z19_skinny_gemm_kernelILi3ELi4ELi1ELi32ELi4EEvPKhS1_P6__halfPKfiiiiiiii.numbered_sgpr, 100
	.set _Z19_skinny_gemm_kernelILi3ELi4ELi1ELi32ELi4EEvPKhS1_P6__halfPKfiiiiiiii.num_named_barrier, 0
	.set _Z19_skinny_gemm_kernelILi3ELi4ELi1ELi32ELi4EEvPKhS1_P6__halfPKfiiiiiiii.private_seg_size, 0
	.set _Z19_skinny_gemm_kernelILi3ELi4ELi1ELi32ELi4EEvPKhS1_P6__halfPKfiiiiiiii.uses_vcc, 1
	.set _Z19_skinny_gemm_kernelILi3ELi4ELi1ELi32ELi4EEvPKhS1_P6__halfPKfiiiiiiii.uses_flat_scratch, 0
	.set _Z19_skinny_gemm_kernelILi3ELi4ELi1ELi32ELi4EEvPKhS1_P6__halfPKfiiiiiiii.has_dyn_sized_stack, 0
	.set _Z19_skinny_gemm_kernelILi3ELi4ELi1ELi32ELi4EEvPKhS1_P6__halfPKfiiiiiiii.has_recursion, 0
	.set _Z19_skinny_gemm_kernelILi3ELi4ELi1ELi32ELi4EEvPKhS1_P6__halfPKfiiiiiiii.has_indirect_call, 0
	.section	.AMDGPU.csdata,"",@progbits
; Kernel info:
; codeLenInByte = 14164
; TotalNumSgprs: 106
; NumVgprs: 128
; NumAgprs: 0
; TotalNumVgprs: 128
; ScratchSize: 0
; MemoryBound: 0
; FloatMode: 240
; IeeeMode: 1
; LDSByteSize: 14364 bytes/workgroup (compile time only)
; SGPRBlocks: 13
; VGPRBlocks: 15
; NumSGPRsForWavesPerEU: 106
; NumVGPRsForWavesPerEU: 128
; AccumOffset: 128
; Occupancy: 4
; WaveLimiterHint : 0
; COMPUTE_PGM_RSRC2:SCRATCH_EN: 0
; COMPUTE_PGM_RSRC2:USER_SGPR: 2
; COMPUTE_PGM_RSRC2:TRAP_HANDLER: 0
; COMPUTE_PGM_RSRC2:TGID_X_EN: 1
; COMPUTE_PGM_RSRC2:TGID_Y_EN: 0
; COMPUTE_PGM_RSRC2:TGID_Z_EN: 0
; COMPUTE_PGM_RSRC2:TIDIG_COMP_CNT: 0
; COMPUTE_PGM_RSRC3_GFX90A:ACCUM_OFFSET: 31
; COMPUTE_PGM_RSRC3_GFX90A:TG_SPLIT: 0
	.section	.text._Z19_skinny_gemm_kernelILi3ELi4ELi1ELi32ELi8EEvPKhS1_P6__halfPKfiiiiiiii,"axG",@progbits,_Z19_skinny_gemm_kernelILi3ELi4ELi1ELi32ELi8EEvPKhS1_P6__halfPKfiiiiiiii,comdat
	.protected	_Z19_skinny_gemm_kernelILi3ELi4ELi1ELi32ELi8EEvPKhS1_P6__halfPKfiiiiiiii ; -- Begin function _Z19_skinny_gemm_kernelILi3ELi4ELi1ELi32ELi8EEvPKhS1_P6__halfPKfiiiiiiii
	.globl	_Z19_skinny_gemm_kernelILi3ELi4ELi1ELi32ELi8EEvPKhS1_P6__halfPKfiiiiiiii
	.p2align	8
	.type	_Z19_skinny_gemm_kernelILi3ELi4ELi1ELi32ELi8EEvPKhS1_P6__halfPKfiiiiiiii,@function
_Z19_skinny_gemm_kernelILi3ELi4ELi1ELi32ELi8EEvPKhS1_P6__halfPKfiiiiiiii: ; @_Z19_skinny_gemm_kernelILi3ELi4ELi1ELi32ELi8EEvPKhS1_P6__halfPKfiiiiiiii
; %bb.0:
	v_cmp_gt_u32_e32 vcc, 7, v0
	s_and_saveexec_b64 s[4:5], vcc
; %bb.1:
	v_lshlrev_b32_e32 v1, 2, v0
	v_mov_b32_e32 v2, 0
	ds_write_b32 v1, v2 offset:28672
; %bb.2:
	s_or_b64 exec, exec, s[4:5]
	s_load_dwordx8 s[20:27], s[0:1], 0x20
	s_waitcnt lgkmcnt(0)
	s_barrier
	s_add_i32 s3, s20, 0x5f
	s_mul_hi_i32 s3, s3, 0x2aaaaaab
	s_add_i32 s4, s21, 0x7f
	s_lshr_b32 s5, s3, 31
	s_ashr_i32 s3, s3, 4
	s_add_i32 s12, s3, s5
	s_ashr_i32 s3, s4, 31
	s_lshr_b32 s3, s3, 25
	s_add_i32 s4, s4, s3
	s_ashr_i32 s14, s4, 7
	s_mul_i32 s3, s14, s12
	s_mul_i32 s3, s3, s24
	s_add_i32 s4, s3, 0x12f
	s_mul_hi_i32 s4, s4, 0x6bca1af3
	s_lshr_b32 s5, s4, 31
	s_ashr_i32 s4, s4, 7
	s_add_i32 s4, s4, s5
	s_add_i32 s5, s2, 1
	s_mul_i32 s5, s4, s5
	v_cvt_f64_i32_e32 v[2:3], s3
	v_cvt_f64_u32_e32 v[4:5], s5
	v_min_f64 v[2:3], v[2:3], v[4:5]
	v_cvt_i32_f64_e32 v86, v[2:3]
	s_mul_i32 s33, s4, s2
	v_cmp_ge_i32_e32 vcc, s33, v86
	s_cbranch_vccnz .LBB289_54
; %bb.3:
	s_load_dwordx8 s[72:79], s[0:1], 0x0
	v_lshrrev_b32_e32 v1, 6, v0
	s_add_i32 s0, s26, s25
	v_cmp_le_i32_e64 s[18:19], s0, v1
	v_mov_b32_e32 v2, s25
	v_cmp_le_i32_e64 s[28:29], s25, v1
	v_mov_b32_e32 v3, s26
	v_cndmask_b32_e64 v3, 0, v3, s[18:19]
	v_cndmask_b32_e64 v2, 0, v2, s[28:29]
	s_abs_i32 s1, s24
	v_add_u32_e32 v2, v2, v3
	v_cvt_f32_u32_e32 v3, s1
	v_sub_u32_e32 v72, v1, v2
	s_ashr_i32 s2, s22, 31
	s_lshr_b32 s2, s2, 25
	v_rcp_iflag_f32_e32 v2, v3
	s_sub_i32 s5, 0, s1
	s_add_i32 s2, s22, s2
	s_ashr_i32 s2, s2, 7
	v_mul_f32_e32 v2, 0x4f7ffffe, v2
	v_cvt_u32_f32_e32 v2, v2
	s_abs_i32 s4, s2
	s_xor_b32 s3, s2, s24
	s_ashr_i32 s3, s3, 31
	v_readfirstlane_b32 s6, v2
	s_mul_i32 s5, s5, s6
	s_mul_hi_u32 s5, s6, s5
	s_add_i32 s6, s6, s5
	s_mul_hi_u32 s5, s4, s6
	s_mul_i32 s6, s5, s1
	s_sub_i32 s4, s4, s6
	s_add_i32 s6, s5, 1
	s_sub_i32 s7, s4, s1
	s_cmp_ge_u32 s4, s1
	s_cselect_b32 s5, s6, s5
	s_cselect_b32 s4, s7, s4
	s_add_i32 s6, s5, 1
	s_cmp_ge_u32 s4, s1
	s_cselect_b32 s1, s6, s5
	s_add_i32 s0, s0, s27
	v_and_b32_e32 v88, 31, v0
	v_lshrrev_b32_e32 v2, 3, v0
	v_cmp_gt_i32_e64 s[34:35], s0, v1
	v_lshlrev_b32_e32 v1, 2, v88
	v_and_b32_e32 v3, 4, v2
	v_lshlrev_b32_e32 v2, 6, v3
	v_or_b32_e32 v4, 0x4000, v1
	v_and_b32_e32 v5, 1, v0
	v_or_b32_e32 v89, v4, v2
	v_or_b32_e32 v90, v1, v2
	v_lshlrev_b32_e32 v2, 1, v5
	v_lshrrev_b32_e32 v7, 1, v0
	s_abs_i32 s97, s12
	v_sub_u32_e32 v2, v0, v2
	v_and_b32_e32 v66, 16, v7
	v_cvt_f32_u32_e32 v7, s97
	v_add_u32_e32 v2, 1, v2
	v_and_b32_e32 v6, 63, v2
	v_bitop3_b32 v91, v0, 1, v0 bitop3:0xc
	v_bitop3_b32 v92, v0, 3, 1 bitop3:0x6c
	;; [unrolled: 1-line block ×8, first 2 shown]
	v_and_b32_e32 v2, 30, v0
	v_lshlrev_b32_e32 v0, 4, v0
                                        ; implicit-def: $vgpr127 : SGPR spill to VGPR lane
	v_and_b32_e32 v0, 0x200, v0
	v_writelane_b32 v127, s12, 0
	v_or_b32_e32 v102, v1, v0
	v_rcp_iflag_f32_e32 v1, v7
	v_writelane_b32 v127, s14, 1
	s_waitcnt lgkmcnt(0)
	v_writelane_b32 v127, s72, 2
	s_abs_i32 s98, s14
	v_or_b32_e32 v104, v4, v0
	v_writelane_b32 v127, s73, 3
	v_writelane_b32 v127, s74, 4
	v_mul_f32_e32 v0, 0x4f7ffffe, v1
	v_cvt_f32_u32_e32 v1, s98
	v_writelane_b32 v127, s75, 5
	v_writelane_b32 v127, s76, 6
	;; [unrolled: 1-line block ×4, first 2 shown]
	v_cvt_u32_f32_e32 v0, v0
	v_rcp_iflag_f32_e32 v1, v1
	v_writelane_b32 v127, s79, 9
	v_cndmask_b32_e64 v87, 0, 1, s[18:19]
	s_xor_b32 s1, s1, s3
	v_writelane_b32 v127, s18, 10
	s_sub_i32 s15, s1, s3
	s_add_i32 s30, s24, -1
	v_writelane_b32 v127, s19, 11
	s_mul_i32 s1, s15, s30
	v_writelane_b32 v127, s28, 12
	s_sub_i32 s31, s2, s1
	v_readfirstlane_b32 s1, v0
	v_mul_f32_e32 v0, 0x4f7ffffe, v1
	v_writelane_b32 v127, s29, 13
	v_cvt_u32_f32_e32 v0, v0
	v_writelane_b32 v127, s15, 14
	s_sub_i32 s0, 0, s97
	v_writelane_b32 v127, s30, 15
	s_mul_i32 s0, s0, s1
	v_writelane_b32 v127, s31, 16
	s_mul_hi_u32 s0, s1, s0
	v_writelane_b32 v127, s34, 17
	s_ashr_i32 s36, s12, 31
	s_add_i32 s37, s1, s0
	s_sub_i32 s0, 0, s98
	v_readfirstlane_b32 s1, v0
	v_writelane_b32 v127, s35, 18
	s_mul_i32 s0, s0, s1
	v_mbcnt_lo_u32_b32 v0, -1, 0
	v_writelane_b32 v127, s36, 19
	s_ashr_i32 s38, s14, 31
	s_mul_hi_u32 s0, s1, s0
	v_mbcnt_hi_u32_b32 v0, -1, v0
	v_writelane_b32 v127, s37, 20
	v_mov_b32_e32 v65, 0
	v_mul_lo_u32 v68, s23, v88
	v_or_b32_e32 v105, v5, v3
	s_add_i32 s39, s1, s0
	v_and_or_b32 v0, v0, 64, v6
	v_writelane_b32 v127, s38, 21
	v_ashrrev_i32_e32 v69, 31, v68
	v_mov_b32_e32 v67, v65
	s_lshl_b32 s24, s23, 5
	v_mul_lo_u32 v103, s22, v88
	v_or_b32_e32 v106, 2, v105
	v_lshlrev_b32_e32 v64, 1, v2
	v_lshlrev_b32_e32 v107, 2, v0
	v_mov_b32_e32 v108, v72
	v_writelane_b32 v127, s39, 22
	s_branch .LBB289_7
.LBB289_4:                              ;   in Loop: Header=BB289_7 Depth=1
	s_or_b64 exec, exec, s[4:5]
.LBB289_5:                              ;   in Loop: Header=BB289_7 Depth=1
	s_or_b64 exec, exec, s[2:3]
	v_subrev_u32_e32 v108, s10, v108
.LBB289_6:                              ;   in Loop: Header=BB289_7 Depth=1
	s_or_b64 exec, exec, s[0:1]
	s_add_i32 s33, s33, 1
	v_cmp_ge_i32_e32 vcc, s33, v86
	s_cbranch_vccnz .LBB289_54
.LBB289_7:                              ; =>This Loop Header: Depth=1
                                        ;     Child Loop BB289_13 Depth 2
                                        ;       Child Loop BB289_15 Depth 3
                                        ;       Child Loop BB289_18 Depth 3
	;; [unrolled: 1-line block ×5, first 2 shown]
                                        ;     Child Loop BB289_32 Depth 2
                                        ;     Child Loop BB289_41 Depth 2
                                        ;       Child Loop BB289_43 Depth 3
                                        ;     Child Loop BB289_51 Depth 2
                                        ;       Child Loop BB289_53 Depth 3
	s_abs_i32 s1, s33
	s_mul_hi_u32 s2, s1, s37
	s_mul_i32 s3, s2, s97
	s_ashr_i32 s0, s33, 31
	s_sub_i32 s1, s1, s3
	s_xor_b32 s0, s0, s36
	s_add_i32 s3, s2, 1
	s_sub_i32 s4, s1, s97
	s_cmp_ge_u32 s1, s97
	s_cselect_b32 s2, s3, s2
	s_cselect_b32 s1, s4, s1
	s_add_i32 s3, s2, 1
	s_cmp_ge_u32 s1, s97
	s_cselect_b32 s1, s3, s2
	s_xor_b32 s1, s1, s0
	s_sub_i32 s0, s1, s0
	s_abs_i32 s2, s0
	s_mul_hi_u32 s3, s2, s39
	s_mul_i32 s1, s0, s12
	s_mul_i32 s4, s3, s98
	s_sub_i32 s99, s33, s1
	s_ashr_i32 s1, s0, 31
	s_sub_i32 s2, s2, s4
	s_xor_b32 s1, s1, s38
	s_add_i32 s4, s3, 1
	s_sub_i32 s5, s2, s98
	s_cmp_ge_u32 s2, s98
	s_cselect_b32 s3, s4, s3
	s_cselect_b32 s2, s5, s2
	s_add_i32 s4, s3, 1
	s_cmp_ge_u32 s2, s98
	s_cselect_b32 s2, s4, s3
	s_xor_b32 s2, s2, s1
	s_sub_i32 s1, s2, s1
	s_mul_i32 s2, s1, s15
	s_lshl_b32 s44, s2, 7
	s_mulk_i32 s99, 0x60
	s_cmp_eq_u32 s1, s30
	s_cselect_b32 s4, s31, s15
	s_sub_i32 s2, s99, s20
	s_addk_i32 s2, 0x60
	s_max_i32 s96, s2, 0
	s_and_saveexec_b64 s[2:3], s[28:29]
	s_xor_b64 s[46:47], exec, s[2:3]
	s_cbranch_execz .LBB289_47
; %bb.8:                                ;   in Loop: Header=BB289_7 Depth=1
	s_mul_i32 s1, s1, s14
	s_sub_i32 s0, s0, s1
	s_lshl_b32 s0, s0, 7
	s_sub_i32 s5, s0, s21
	s_addk_i32 s5, 0x80
	s_max_i32 s1, s5, 0
	s_sub_i32 s0, s0, s1
	s_and_saveexec_b64 s[2:3], s[18:19]
	s_xor_b64 s[2:3], exec, s[2:3]
	s_cbranch_execz .LBB289_37
; %bb.9:                                ;   in Loop: Header=BB289_7 Depth=1
	s_and_saveexec_b64 s[48:49], s[34:35]
	s_cbranch_execz .LBB289_36
; %bb.10:                               ;   in Loop: Header=BB289_7 Depth=1
	global_load_dword v109, v65, s[78:79]
	v_mov_b32_e32 v63, 0
	v_cmp_gt_i32_e32 vcc, s4, v108
	v_mov_b32_e32 v62, v63
	v_mov_b32_e32 v61, v63
	;; [unrolled: 1-line block ×63, first 2 shown]
	s_and_saveexec_b64 s[6:7], vcc
	s_cbranch_execz .LBB289_29
; %bb.11:                               ;   in Loop: Header=BB289_7 Depth=1
	v_mov_b32_e32 v0, 0
	s_mov_b64 s[8:9], 0
	v_mov_b32_e32 v1, v0
	v_mov_b32_e32 v2, v0
	;; [unrolled: 1-line block ×63, first 2 shown]
	s_branch .LBB289_13
.LBB289_12:                             ;   in Loop: Header=BB289_13 Depth=2
	s_or_b64 exec, exec, s[10:11]
	v_add_u32_e32 v116, 0x3000, v113
	ds_read2_b32 v[114:115], v116 offset1:32
	v_add_u32_e32 v108, s27, v108
	s_waitcnt lgkmcnt(0)
	v_mfma_f32_32x32x16_fp8_fp8 v[0:15], v[84:85], v[114:115], v[0:15]
	ds_read2_b32 v[84:85], v116 offset0:128 offset1:160
	s_waitcnt lgkmcnt(0)
	v_mfma_f32_32x32x16_fp8_fp8 v[0:15], v[82:83], v[84:85], v[0:15]
	v_add_u32_e32 v84, 0x3400, v113
	ds_read2_b32 v[82:83], v84 offset1:32
	s_waitcnt lgkmcnt(0)
	v_mfma_f32_32x32x16_fp8_fp8 v[0:15], v[80:81], v[82:83], v[0:15]
	ds_read2_b32 v[80:81], v84 offset0:128 offset1:160
	s_waitcnt lgkmcnt(0)
	v_mfma_f32_32x32x16_fp8_fp8 v[0:15], v[78:79], v[80:81], v[0:15]
	v_add_u32_e32 v80, 0x3800, v113
	ds_read2_b32 v[78:79], v80 offset1:32
	;; [unrolled: 7-line block ×3, first 2 shown]
	ds_read2_b32 v[76:77], v76 offset0:128 offset1:160
	ds_write_b32 v111, v112 offset:28700
	s_waitcnt lgkmcnt(2)
	v_mfma_f32_32x32x16_fp8_fp8 v[0:15], v[72:73], v[74:75], v[0:15]
	v_add_u32_e32 v72, s27, v110
	v_add_u32_e32 v73, 2, v87
	v_cmp_lt_i32_e32 vcc, 0, v72
	s_nop 1
	v_cndmask_b32_e32 v87, v87, v73, vcc
	v_cmp_le_i32_e32 vcc, s4, v108
	s_waitcnt lgkmcnt(1)
	v_mfma_f32_32x32x16_fp8_fp8 v[0:15], v[70:71], v[76:77], v[0:15]
	s_or_b64 s[8:9], vcc, s[8:9]
	s_andn2_b64 exec, exec, s[8:9]
	s_cbranch_execz .LBB289_28
.LBB289_13:                             ;   Parent Loop BB289_7 Depth=1
                                        ; =>  This Loop Header: Depth=2
                                        ;       Child Loop BB289_15 Depth 3
                                        ;       Child Loop BB289_18 Depth 3
	;; [unrolled: 1-line block ×5, first 2 shown]
	v_cmp_lt_i32_e32 vcc, 0, v72
	s_nop 1
	v_subbrev_co_u32_e32 v110, vcc, 0, v72, vcc
	v_lshlrev_b32_e32 v111, 5, v110
	ds_read_b32 v70, v111 offset:28672
	s_waitcnt lgkmcnt(0)
	v_cmp_ne_u32_e32 vcc, v70, v87
	s_and_saveexec_b64 s[10:11], vcc
	s_cbranch_execz .LBB289_16
; %bb.14:                               ;   in Loop: Header=BB289_13 Depth=2
	s_mov_b64 s[12:13], 0
.LBB289_15:                             ;   Parent Loop BB289_7 Depth=1
                                        ;     Parent Loop BB289_13 Depth=2
                                        ; =>    This Inner Loop Header: Depth=3
	;;#ASMSTART
	s_sleep 0
	;;#ASMEND
	ds_read_b32 v70, v111 offset:28672
	s_waitcnt lgkmcnt(0)
	v_cmp_eq_u32_e32 vcc, v70, v87
	s_or_b64 s[12:13], vcc, s[12:13]
	s_andn2_b64 exec, exec, s[12:13]
	s_cbranch_execnz .LBB289_15
.LBB289_16:                             ;   in Loop: Header=BB289_13 Depth=2
	s_or_b64 exec, exec, s[10:11]
	v_lshl_add_u32 v70, v110, 12, v89
	v_add_u32_e32 v71, 0x400, v70
	ds_read2_b32 v[84:85], v70 offset1:32
	ds_read2_b32 v[82:83], v70 offset0:128 offset1:160
	ds_read2_b32 v[80:81], v71 offset1:32
	ds_read2_b32 v[78:79], v71 offset0:128 offset1:160
	v_add_u32_e32 v71, 0x800, v70
	v_add_u32_e32 v70, 0xc00, v70
	ds_read2_b32 v[76:77], v71 offset1:32
	ds_read2_b32 v[74:75], v71 offset0:128 offset1:160
	ds_read2_b32 v[72:73], v70 offset1:32
	ds_read_b32 v113, v111 offset:28676
	ds_read2_b32 v[70:71], v70 offset0:128 offset1:160
	v_add_u32_e32 v112, 1, v87
	ds_write_b32 v111, v112 offset:28672
	s_waitcnt lgkmcnt(2)
	v_cmp_ne_u32_e32 vcc, v113, v87
	s_and_saveexec_b64 s[10:11], vcc
	s_cbranch_execz .LBB289_19
; %bb.17:                               ;   in Loop: Header=BB289_13 Depth=2
	s_mov_b64 s[12:13], 0
.LBB289_18:                             ;   Parent Loop BB289_7 Depth=1
                                        ;     Parent Loop BB289_13 Depth=2
                                        ; =>    This Inner Loop Header: Depth=3
	;;#ASMSTART
	s_sleep 0
	;;#ASMEND
	ds_read_b32 v113, v111 offset:28676
	s_waitcnt lgkmcnt(0)
	v_cmp_eq_u32_e32 vcc, v113, v87
	s_or_b64 s[12:13], vcc, s[12:13]
	s_andn2_b64 exec, exec, s[12:13]
	s_cbranch_execnz .LBB289_18
.LBB289_19:                             ;   in Loop: Header=BB289_13 Depth=2
	s_or_b64 exec, exec, s[10:11]
	v_lshl_or_b32 v113, v110, 14, v90
	ds_read2_b32 v[114:115], v113 offset1:32
	v_add_u32_e32 v116, 0x400, v113
	s_waitcnt lgkmcnt(0)
	v_mfma_f32_32x32x16_fp8_fp8 v[48:63], v[84:85], v[114:115], v[48:63]
	ds_read2_b32 v[114:115], v113 offset0:128 offset1:160
	s_waitcnt lgkmcnt(0)
	v_mfma_f32_32x32x16_fp8_fp8 v[48:63], v[82:83], v[114:115], v[48:63]
	ds_read2_b32 v[114:115], v116 offset1:32
	s_waitcnt lgkmcnt(0)
	v_mfma_f32_32x32x16_fp8_fp8 v[48:63], v[80:81], v[114:115], v[48:63]
	ds_read2_b32 v[114:115], v116 offset0:128 offset1:160
	v_add_u32_e32 v116, 0x800, v113
	s_waitcnt lgkmcnt(0)
	v_mfma_f32_32x32x16_fp8_fp8 v[48:63], v[78:79], v[114:115], v[48:63]
	ds_read2_b32 v[114:115], v116 offset1:32
	s_waitcnt lgkmcnt(0)
	v_mfma_f32_32x32x16_fp8_fp8 v[48:63], v[76:77], v[114:115], v[48:63]
	ds_read2_b32 v[114:115], v116 offset0:128 offset1:160
	v_add_u32_e32 v116, 0xc00, v113
	s_waitcnt lgkmcnt(0)
	v_mfma_f32_32x32x16_fp8_fp8 v[48:63], v[74:75], v[114:115], v[48:63]
	ds_read2_b32 v[114:115], v116 offset1:32
	s_waitcnt lgkmcnt(0)
	v_mfma_f32_32x32x16_fp8_fp8 v[48:63], v[72:73], v[114:115], v[48:63]
	ds_read_b32 v117, v111 offset:28684
	ds_read2_b32 v[114:115], v116 offset0:128 offset1:160
	ds_write_b32 v111, v112 offset:28676
	s_waitcnt lgkmcnt(2)
	v_cmp_ne_u32_e32 vcc, v117, v87
	s_waitcnt lgkmcnt(1)
	v_mfma_f32_32x32x16_fp8_fp8 v[48:63], v[70:71], v[114:115], v[48:63]
	s_and_saveexec_b64 s[10:11], vcc
	s_cbranch_execz .LBB289_22
; %bb.20:                               ;   in Loop: Header=BB289_13 Depth=2
	s_mov_b64 s[12:13], 0
.LBB289_21:                             ;   Parent Loop BB289_7 Depth=1
                                        ;     Parent Loop BB289_13 Depth=2
                                        ; =>    This Inner Loop Header: Depth=3
	;;#ASMSTART
	s_sleep 0
	;;#ASMEND
	ds_read_b32 v114, v111 offset:28684
	s_waitcnt lgkmcnt(0)
	v_cmp_eq_u32_e32 vcc, v114, v87
	s_or_b64 s[12:13], vcc, s[12:13]
	s_andn2_b64 exec, exec, s[12:13]
	s_cbranch_execnz .LBB289_21
.LBB289_22:                             ;   in Loop: Header=BB289_13 Depth=2
	s_or_b64 exec, exec, s[10:11]
	v_add_u32_e32 v116, 0x1000, v113
	ds_read2_b32 v[114:115], v116 offset1:32
	s_waitcnt lgkmcnt(0)
	v_mfma_f32_32x32x16_fp8_fp8 v[32:47], v[84:85], v[114:115], v[32:47]
	ds_read2_b32 v[114:115], v116 offset0:128 offset1:160
	v_add_u32_e32 v116, 0x1400, v113
	s_waitcnt lgkmcnt(0)
	v_mfma_f32_32x32x16_fp8_fp8 v[32:47], v[82:83], v[114:115], v[32:47]
	ds_read2_b32 v[114:115], v116 offset1:32
	s_waitcnt lgkmcnt(0)
	v_mfma_f32_32x32x16_fp8_fp8 v[32:47], v[80:81], v[114:115], v[32:47]
	ds_read2_b32 v[114:115], v116 offset0:128 offset1:160
	v_add_u32_e32 v116, 0x1800, v113
	s_waitcnt lgkmcnt(0)
	v_mfma_f32_32x32x16_fp8_fp8 v[32:47], v[78:79], v[114:115], v[32:47]
	;; [unrolled: 7-line block ×3, first 2 shown]
	ds_read2_b32 v[114:115], v116 offset1:32
	s_waitcnt lgkmcnt(0)
	v_mfma_f32_32x32x16_fp8_fp8 v[32:47], v[72:73], v[114:115], v[32:47]
	ds_read_b32 v117, v111 offset:28692
	ds_read2_b32 v[114:115], v116 offset0:128 offset1:160
	ds_write_b32 v111, v112 offset:28684
	s_waitcnt lgkmcnt(2)
	v_cmp_ne_u32_e32 vcc, v117, v87
	s_waitcnt lgkmcnt(1)
	v_mfma_f32_32x32x16_fp8_fp8 v[32:47], v[70:71], v[114:115], v[32:47]
	s_and_saveexec_b64 s[10:11], vcc
	s_cbranch_execz .LBB289_25
; %bb.23:                               ;   in Loop: Header=BB289_13 Depth=2
	s_mov_b64 s[12:13], 0
.LBB289_24:                             ;   Parent Loop BB289_7 Depth=1
                                        ;     Parent Loop BB289_13 Depth=2
                                        ; =>    This Inner Loop Header: Depth=3
	;;#ASMSTART
	s_sleep 0
	;;#ASMEND
	ds_read_b32 v114, v111 offset:28692
	s_waitcnt lgkmcnt(0)
	v_cmp_eq_u32_e32 vcc, v114, v87
	s_or_b64 s[12:13], vcc, s[12:13]
	s_andn2_b64 exec, exec, s[12:13]
	s_cbranch_execnz .LBB289_24
.LBB289_25:                             ;   in Loop: Header=BB289_13 Depth=2
	s_or_b64 exec, exec, s[10:11]
	v_add_u32_e32 v116, 0x2000, v113
	ds_read2_b32 v[114:115], v116 offset1:32
	s_waitcnt lgkmcnt(0)
	v_mfma_f32_32x32x16_fp8_fp8 v[16:31], v[84:85], v[114:115], v[16:31]
	ds_read2_b32 v[114:115], v116 offset0:128 offset1:160
	v_add_u32_e32 v116, 0x2400, v113
	s_waitcnt lgkmcnt(0)
	v_mfma_f32_32x32x16_fp8_fp8 v[16:31], v[82:83], v[114:115], v[16:31]
	ds_read2_b32 v[114:115], v116 offset1:32
	s_waitcnt lgkmcnt(0)
	v_mfma_f32_32x32x16_fp8_fp8 v[16:31], v[80:81], v[114:115], v[16:31]
	ds_read2_b32 v[114:115], v116 offset0:128 offset1:160
	v_add_u32_e32 v116, 0x2800, v113
	s_waitcnt lgkmcnt(0)
	v_mfma_f32_32x32x16_fp8_fp8 v[16:31], v[78:79], v[114:115], v[16:31]
	;; [unrolled: 7-line block ×3, first 2 shown]
	ds_read2_b32 v[114:115], v116 offset1:32
	s_waitcnt lgkmcnt(0)
	v_mfma_f32_32x32x16_fp8_fp8 v[16:31], v[72:73], v[114:115], v[16:31]
	ds_read_b32 v117, v111 offset:28700
	ds_read2_b32 v[114:115], v116 offset0:128 offset1:160
	ds_write_b32 v111, v112 offset:28692
	s_waitcnt lgkmcnt(2)
	v_cmp_ne_u32_e32 vcc, v117, v87
	s_waitcnt lgkmcnt(1)
	v_mfma_f32_32x32x16_fp8_fp8 v[16:31], v[70:71], v[114:115], v[16:31]
	s_and_saveexec_b64 s[10:11], vcc
	s_cbranch_execz .LBB289_12
; %bb.26:                               ;   in Loop: Header=BB289_13 Depth=2
	s_mov_b64 s[12:13], 0
.LBB289_27:                             ;   Parent Loop BB289_7 Depth=1
                                        ;     Parent Loop BB289_13 Depth=2
                                        ; =>    This Inner Loop Header: Depth=3
	;;#ASMSTART
	s_sleep 0
	;;#ASMEND
	ds_read_b32 v114, v111 offset:28700
	s_waitcnt lgkmcnt(0)
	v_cmp_eq_u32_e32 vcc, v114, v87
	s_or_b64 s[12:13], vcc, s[12:13]
	s_andn2_b64 exec, exec, s[12:13]
	s_cbranch_execnz .LBB289_27
	s_branch .LBB289_12
.LBB289_28:                             ;   in Loop: Header=BB289_7 Depth=1
	s_or_b64 exec, exec, s[8:9]
.LBB289_29:                             ;   in Loop: Header=BB289_7 Depth=1
	v_writelane_b32 v127, s48, 23
	s_nop 1
	v_writelane_b32 v127, s49, 24
	v_writelane_b32 v127, s46, 25
	s_nop 1
	v_writelane_b32 v127, s47, 26
	v_writelane_b32 v127, s44, 27
	s_or_b64 exec, exec, s[6:7]
	v_cmp_le_i32_e32 vcc, s5, v88
	v_cmp_eq_u32_e64 s[64:65], 1, v91
	v_cmp_eq_u32_e64 s[30:31], 2, v91
	s_waitcnt vmcnt(0)
	v_cndmask_b32_e32 v70, 0, v109, vcc
	v_pk_mul_f32 v[48:49], v[70:71], v[48:49] op_sel_hi:[0,1]
	v_pk_mul_f32 v[62:63], v[70:71], v[62:63] op_sel_hi:[0,1]
	;; [unrolled: 1-line block ×8, first 2 shown]
	v_cndmask_b32_e64 v70, v48, v49, s[64:65]
	v_cndmask_b32_e64 v70, v70, v50, s[30:31]
	v_cmp_eq_u32_e64 s[40:41], 3, v91
	v_cmp_eq_u32_e64 s[42:43], 4, v91
	v_cmp_eq_u32_e64 s[44:45], 5, v91
	v_cndmask_b32_e64 v70, v70, v51, s[40:41]
	v_cndmask_b32_e64 v70, v70, v52, s[42:43]
	v_cndmask_b32_e64 v70, v70, v53, s[44:45]
	v_cmp_eq_u32_e64 s[46:47], 6, v91
	v_cmp_eq_u32_e64 s[48:49], 7, v91
	v_cmp_eq_u32_e64 s[50:51], 8, v91
	v_cndmask_b32_e64 v70, v70, v54, s[46:47]
	;; [unrolled: 6-line block ×4, first 2 shown]
	v_cndmask_b32_e64 v70, v70, v61, s[60:61]
	v_cndmask_b32_e64 v70, v70, v62, s[62:63]
	v_cmp_eq_u32_e64 s[66:67], 15, v91
	s_mul_i32 s6, s99, s21
	s_ashr_i32 s7, s6, 31
	v_cndmask_b32_e64 v70, v70, v63, s[66:67]
	ds_bpermute_b32 v70, v107, v70
	s_lshl_b64 s[6:7], s[6:7], 1
	v_cmp_eq_u32_e64 s[36:37], 0, v91
	s_add_u32 s70, s76, s6
	v_cmp_eq_u32_e32 vcc, 1, v92
	s_waitcnt lgkmcnt(0)
	v_cndmask_b32_e64 v63, v63, v70, s[66:67]
	v_cndmask_b32_e64 v62, v62, v70, s[62:63]
	;; [unrolled: 1-line block ×16, first 2 shown]
	s_addc_u32 s71, s77, s7
	v_cndmask_b32_e32 v48, v70, v79, vcc
	v_cmp_eq_u32_e64 s[6:7], 2, v92
	v_cmp_eq_u32_e64 s[8:9], 3, v92
	v_cmp_eq_u32_e64 s[10:11], 4, v92
	v_cndmask_b32_e64 v48, v48, v78, s[6:7]
	v_cndmask_b32_e64 v48, v48, v77, s[8:9]
	v_cndmask_b32_e64 v48, v48, v76, s[10:11]
	v_cmp_eq_u32_e64 s[12:13], 5, v92
	v_cmp_eq_u32_e64 s[14:15], 6, v92
	v_cmp_eq_u32_e64 s[16:17], 7, v92
	v_cndmask_b32_e64 v48, v48, v75, s[12:13]
	v_cndmask_b32_e64 v48, v48, v74, s[14:15]
	v_cndmask_b32_e64 v48, v48, v73, s[16:17]
	;; [unrolled: 6-line block ×4, first 2 shown]
	v_cmp_eq_u32_e64 s[34:35], 14, v92
	v_cmp_eq_u32_e64 s[38:39], 15, v92
	s_ashr_i32 s1, s0, 31
	v_cndmask_b32_e64 v48, v48, v62, s[34:35]
	v_cndmask_b32_e64 v48, v48, v63, s[38:39]
	ds_bpermute_b32 v71, v107, v48
	s_lshl_b64 s[68:69], s[0:1], 1
	s_add_u32 s68, s70, s68
	s_addc_u32 s69, s71, s69
	v_writelane_b32 v127, s68, 28
	v_or_b32_e32 v48, 32, v88
	s_waitcnt lgkmcnt(0)
	v_cndmask_b32_e64 v55, v57, v71, s[76:77]
	v_writelane_b32 v127, s69, 29
	v_cndmask_b32_e64 v57, v73, v71, s[16:17]
	v_cmp_le_i32_e64 s[68:69], s5, v48
	v_or_b32_e32 v73, 64, v88
	v_cndmask_b32_e64 v49, v63, v71, s[38:39]
	v_cndmask_b32_e64 v48, 0, v109, s[68:69]
	v_cmp_le_i32_e64 s[68:69], s5, v73
	v_or_b32_e32 v73, 0x60, v88
	v_cndmask_b32_e64 v54, v58, v71, s[78:79]
	v_cndmask_b32_e64 v58, v74, v71, s[14:15]
	;; [unrolled: 1-line block ×3, first 2 shown]
	v_cmp_le_i32_e64 s[70:71], s5, v73
	v_cmp_eq_u32_e64 s[68:69], 0, v92
	v_pk_mul_f32 v[32:33], v[48:49], v[32:33] op_sel_hi:[0,1]
	v_pk_mul_f32 v[30:31], v[74:75], v[30:31] op_sel_hi:[0,1]
	;; [unrolled: 1-line block ×9, first 2 shown]
	v_cndmask_b32_e64 v74, 0, v109, s[70:71]
	v_cndmask_b32_e64 v50, v62, v71, s[34:35]
	;; [unrolled: 1-line block ×10, first 2 shown]
	v_cndmask_b32_e32 v63, v79, v71, vcc
	v_cndmask_b32_e64 v70, v70, v71, s[68:69]
	v_pk_mul_f32 v[46:47], v[48:49], v[46:47] op_sel_hi:[0,1]
	v_pk_mul_f32 v[44:45], v[48:49], v[44:45] op_sel_hi:[0,1]
	;; [unrolled: 1-line block ×7, first 2 shown]
	v_cndmask_b32_e64 v48, v32, v33, s[64:65]
	v_cndmask_b32_e64 v71, v16, v17, s[64:65]
	v_pk_mul_f32 v[0:1], v[74:75], v[0:1] op_sel_hi:[0,1]
	v_cndmask_b32_e64 v48, v48, v34, s[30:31]
	v_cndmask_b32_e64 v71, v71, v18, s[30:31]
	v_pk_mul_f32 v[14:15], v[74:75], v[14:15] op_sel_hi:[0,1]
	v_pk_mul_f32 v[12:13], v[74:75], v[12:13] op_sel_hi:[0,1]
	v_pk_mul_f32 v[10:11], v[74:75], v[10:11] op_sel_hi:[0,1]
	v_pk_mul_f32 v[8:9], v[74:75], v[8:9] op_sel_hi:[0,1]
	v_pk_mul_f32 v[6:7], v[74:75], v[6:7] op_sel_hi:[0,1]
	v_pk_mul_f32 v[4:5], v[74:75], v[4:5] op_sel_hi:[0,1]
	v_pk_mul_f32 v[2:3], v[74:75], v[2:3] op_sel_hi:[0,1]
	v_cndmask_b32_e64 v74, v0, v1, s[64:65]
	v_cndmask_b32_e64 v48, v48, v35, s[40:41]
	;; [unrolled: 1-line block ×40, first 2 shown]
	ds_bpermute_b32 v48, v107, v48
	ds_bpermute_b32 v71, v107, v71
	v_cndmask_b32_e64 v74, v74, v15, s[66:67]
	ds_bpermute_b32 v74, v107, v74
	v_cmp_eq_u32_e64 s[70:71], 1, v93
	s_waitcnt lgkmcnt(2)
	v_cndmask_b32_e64 v33, v33, v48, s[64:65]
	s_waitcnt lgkmcnt(1)
	v_cndmask_b32_e64 v17, v17, v71, s[64:65]
	v_cndmask_b32_e64 v73, v70, v63, s[70:71]
	v_cmp_eq_u32_e64 s[64:65], 2, v93
	v_cndmask_b32_e64 v47, v47, v48, s[66:67]
	v_cndmask_b32_e64 v31, v31, v71, s[66:67]
	;; [unrolled: 1-line block ×3, first 2 shown]
	s_waitcnt lgkmcnt(0)
	v_cndmask_b32_e64 v15, v15, v74, s[66:67]
	v_cmp_eq_u32_e64 s[66:67], 3, v93
	v_cndmask_b32_e64 v46, v46, v48, s[62:63]
	v_cndmask_b32_e64 v30, v30, v71, s[62:63]
	v_cndmask_b32_e64 v73, v73, v61, s[66:67]
	v_cndmask_b32_e64 v14, v14, v74, s[62:63]
	v_cmp_eq_u32_e64 s[62:63], 4, v93
	v_cndmask_b32_e64 v45, v45, v48, s[60:61]
	v_cndmask_b32_e64 v29, v29, v71, s[60:61]
	v_cndmask_b32_e64 v73, v73, v60, s[62:63]
	;; [unrolled: 5-line block ×4, first 2 shown]
	v_cndmask_b32_e64 v11, v11, v74, s[56:57]
	v_cmp_eq_u32_e64 s[56:57], 7, v93
	v_cmp_eq_u32_e64 s[72:73], 8, v93
	v_cndmask_b32_e64 v41, v41, v48, s[52:53]
	v_cndmask_b32_e64 v73, v73, v57, s[56:57]
	;; [unrolled: 1-line block ×5, first 2 shown]
	v_cmp_eq_u32_e64 s[52:53], 9, v93
	v_cmp_eq_u32_e64 s[74:75], 10, v93
	v_cndmask_b32_e64 v42, v42, v48, s[54:55]
	v_cndmask_b32_e64 v73, v73, v55, s[52:53]
	;; [unrolled: 1-line block ×5, first 2 shown]
	v_cmp_eq_u32_e64 s[54:55], 11, v93
	v_cndmask_b32_e64 v39, v39, v48, s[48:49]
	v_cndmask_b32_e64 v23, v23, v71, s[48:49]
	v_cndmask_b32_e64 v7, v7, v74, s[48:49]
	v_cndmask_b32_e64 v73, v73, v53, s[54:55]
	v_cmp_eq_u32_e64 s[48:49], 12, v93
	v_cndmask_b32_e64 v37, v37, v48, s[44:45]
	v_cndmask_b32_e64 v21, v21, v71, s[44:45]
	v_cndmask_b32_e64 v73, v73, v52, s[48:49]
	v_cndmask_b32_e64 v5, v5, v74, s[44:45]
	;; [unrolled: 5-line block ×4, first 2 shown]
	v_cmp_eq_u32_e64 s[42:43], 15, v93
	v_cndmask_b32_e64 v34, v34, v48, s[30:31]
	v_cndmask_b32_e64 v18, v18, v71, s[30:31]
	;; [unrolled: 1-line block ×3, first 2 shown]
	ds_bpermute_b32 v73, v107, v73
	v_cndmask_b32_e64 v2, v2, v74, s[30:31]
	v_cmp_ne_u32_e64 s[30:31], 0, v91
	v_cndmask_b32_e64 v32, v32, v48, s[36:37]
	v_cndmask_b32_e64 v40, v40, v48, s[50:51]
	;; [unrolled: 1-line block ×6, first 2 shown]
	v_cmp_eq_u32_e64 s[50:51], 0, v93
	v_cndmask_b32_e32 v48, v32, v33, vcc
	v_cndmask_b32_e64 v0, v0, v74, s[36:37]
	s_waitcnt lgkmcnt(0)
	v_cndmask_b32_e64 v49, v49, v73, s[42:43]
	v_cndmask_b32_e64 v50, v50, v73, s[46:47]
	;; [unrolled: 1-line block ×17, first 2 shown]
	v_cndmask_b32_e32 v73, v0, v1, vcc
	v_cndmask_b32_e64 v3, v3, v74, s[40:41]
	v_cndmask_b32_e64 v48, v48, v35, s[8:9]
	;; [unrolled: 1-line block ×22, first 2 shown]
	v_cndmask_b32_e32 v71, v16, v17, vcc
	v_cndmask_b32_e64 v73, v73, v11, s[80:81]
	v_cndmask_b32_e64 v48, v48, v45, s[28:29]
	;; [unrolled: 1-line block ×10, first 2 shown]
	ds_bpermute_b32 v48, v107, v48
	v_cndmask_b32_e64 v71, v71, v21, s[12:13]
	v_cndmask_b32_e64 v73, v73, v15, s[38:39]
	;; [unrolled: 1-line block ×3, first 2 shown]
	ds_bpermute_b32 v73, v107, v73
	v_cndmask_b32_e64 v71, v71, v23, s[16:17]
	v_cndmask_b32_e64 v71, v71, v24, s[18:19]
	;; [unrolled: 1-line block ×4, first 2 shown]
	s_waitcnt lgkmcnt(1)
	v_cndmask_b32_e32 v33, v33, v48, vcc
	v_cndmask_b32_e64 v32, v32, v48, s[68:69]
	v_cndmask_b32_e64 v71, v71, v27, s[80:81]
	;; [unrolled: 1-line block ×16, first 2 shown]
	s_waitcnt lgkmcnt(0)
	v_cndmask_b32_e32 v1, v1, v73, vcc
	v_cndmask_b32_e64 v48, v32, v33, s[70:71]
	v_cndmask_b32_e64 v0, v0, v73, s[68:69]
	v_cndmask_b32_e64 v71, v71, v28, s[82:83]
	v_cndmask_b32_e64 v15, v15, v73, s[38:39]
	v_cndmask_b32_e64 v14, v14, v73, s[34:35]
	v_cndmask_b32_e64 v13, v13, v73, s[28:29]
	v_cndmask_b32_e64 v12, v12, v73, s[82:83]
	v_cndmask_b32_e64 v11, v11, v73, s[80:81]
	v_cndmask_b32_e64 v10, v10, v73, s[78:79]
	v_cndmask_b32_e64 v9, v9, v73, s[76:77]
	v_cndmask_b32_e64 v8, v8, v73, s[18:19]
	v_cndmask_b32_e64 v7, v7, v73, s[16:17]
	v_cndmask_b32_e64 v6, v6, v73, s[14:15]
	v_cndmask_b32_e64 v5, v5, v73, s[12:13]
	v_cndmask_b32_e64 v4, v4, v73, s[10:11]
	v_cndmask_b32_e64 v3, v3, v73, s[8:9]
	v_cndmask_b32_e64 v2, v2, v73, s[6:7]
	v_cndmask_b32_e64 v48, v48, v34, s[64:65]
	v_cndmask_b32_e64 v73, v0, v1, s[70:71]
	v_cndmask_b32_e64 v71, v71, v29, s[28:29]
	v_cndmask_b32_e64 v48, v48, v35, s[66:67]
	v_cndmask_b32_e64 v73, v73, v2, s[64:65]
	v_cndmask_b32_e64 v71, v71, v30, s[34:35]
	v_cndmask_b32_e64 v48, v48, v36, s[62:63]
	v_cndmask_b32_e64 v73, v73, v3, s[66:67]
	v_cndmask_b32_e64 v71, v71, v31, s[38:39]
	v_cndmask_b32_e64 v48, v48, v37, s[60:61]
	v_cndmask_b32_e64 v73, v73, v4, s[62:63]
	ds_bpermute_b32 v71, v107, v71
	v_cndmask_b32_e64 v48, v48, v38, s[58:59]
	v_cndmask_b32_e64 v73, v73, v5, s[60:61]
	;; [unrolled: 1-line block ×8, first 2 shown]
	v_cmp_eq_u32_e64 s[30:31], 1, v94
	v_cndmask_b32_e64 v48, v48, v42, s[74:75]
	v_cndmask_b32_e64 v73, v73, v9, s[52:53]
	;; [unrolled: 1-line block ×3, first 2 shown]
	v_cmp_eq_u32_e64 s[36:37], 2, v94
	s_waitcnt lgkmcnt(0)
	v_cndmask_b32_e32 v17, v17, v71, vcc
	v_cndmask_b32_e64 v48, v48, v43, s[54:55]
	v_cndmask_b32_e64 v16, v16, v71, s[68:69]
	;; [unrolled: 1-line block ×6, first 2 shown]
	v_cmp_eq_u32_e64 s[34:35], 3, v94
	v_cndmask_b32_e64 v29, v29, v71, s[28:29]
	v_cndmask_b32_e64 v28, v28, v71, s[82:83]
	;; [unrolled: 1-line block ×16, first 2 shown]
	v_cmp_eq_u32_e64 s[40:41], 4, v94
	v_cndmask_b32_e64 v48, v48, v45, s[44:45]
	v_cndmask_b32_e64 v71, v71, v18, s[64:65]
	v_cndmask_b32_e64 v73, v73, v12, s[48:49]
	v_cndmask_b32_e64 v74, v74, v60, s[40:41]
	v_cmp_eq_u32_e64 s[84:85], 5, v94
	v_cndmask_b32_e64 v48, v48, v46, s[46:47]
	v_cndmask_b32_e64 v71, v71, v19, s[66:67]
	v_cndmask_b32_e64 v73, v73, v13, s[44:45]
	v_cndmask_b32_e64 v74, v74, v59, s[84:85]
	;; [unrolled: 5-line block ×3, first 2 shown]
	v_cmp_eq_u32_e64 s[78:79], 7, v94
	ds_bpermute_b32 v48, v107, v48
	v_cndmask_b32_e64 v71, v71, v21, s[60:61]
	v_cndmask_b32_e64 v73, v73, v15, s[42:43]
	;; [unrolled: 1-line block ×3, first 2 shown]
	v_cmp_eq_u32_e64 s[92:93], 8, v94
	v_cndmask_b32_e64 v71, v71, v22, s[58:59]
	ds_bpermute_b32 v73, v107, v73
	v_cndmask_b32_e64 v74, v74, v56, s[92:93]
	v_cmp_eq_u32_e64 s[18:19], 9, v94
	v_cndmask_b32_e64 v71, v71, v23, s[56:57]
	v_cmp_eq_u32_e64 s[16:17], 10, v94
	v_cndmask_b32_e64 v74, v74, v55, s[18:19]
	v_cndmask_b32_e64 v71, v71, v24, s[72:73]
	;; [unrolled: 1-line block ×3, first 2 shown]
	v_cmp_eq_u32_e64 s[14:15], 11, v94
	v_cndmask_b32_e64 v71, v71, v25, s[52:53]
	v_cmp_eq_u32_e64 s[12:13], 12, v94
	v_cndmask_b32_e64 v74, v74, v53, s[14:15]
	v_cndmask_b32_e64 v71, v71, v26, s[74:75]
	s_waitcnt lgkmcnt(1)
	v_cndmask_b32_e64 v33, v33, v48, s[70:71]
	v_cndmask_b32_e64 v32, v32, v48, s[50:51]
	;; [unrolled: 1-line block ×3, first 2 shown]
	v_cmp_eq_u32_e64 s[38:39], 13, v94
	v_cndmask_b32_e64 v71, v71, v27, s[54:55]
	v_cndmask_b32_e64 v47, v47, v48, s[42:43]
	;; [unrolled: 1-line block ×15, first 2 shown]
	s_waitcnt lgkmcnt(0)
	v_cndmask_b32_e64 v1, v1, v73, s[70:71]
	v_cndmask_b32_e64 v48, v32, v33, s[30:31]
	;; [unrolled: 1-line block ×4, first 2 shown]
	v_cmp_eq_u32_e64 s[8:9], 14, v94
	v_cndmask_b32_e64 v71, v71, v28, s[48:49]
	v_cndmask_b32_e64 v15, v15, v73, s[42:43]
	;; [unrolled: 1-line block ×18, first 2 shown]
	v_cmp_eq_u32_e64 s[6:7], 15, v94
	v_cndmask_b32_e64 v71, v71, v29, s[44:45]
	v_cndmask_b32_e64 v48, v48, v35, s[34:35]
	;; [unrolled: 1-line block ×7, first 2 shown]
	ds_bpermute_b32 v74, v107, v74
	v_cndmask_b32_e64 v71, v71, v31, s[42:43]
	v_cndmask_b32_e64 v48, v48, v37, s[84:85]
	;; [unrolled: 1-line block ×3, first 2 shown]
	ds_bpermute_b32 v71, v107, v71
	v_cndmask_b32_e64 v48, v48, v38, s[88:89]
	v_cndmask_b32_e64 v73, v73, v5, s[84:85]
	;; [unrolled: 1-line block ×6, first 2 shown]
	v_cmp_eq_u32_e64 s[10:11], 0, v94
	v_cndmask_b32_e64 v48, v48, v41, s[18:19]
	v_cndmask_b32_e64 v73, v73, v8, s[92:93]
	s_waitcnt lgkmcnt(1)
	v_cndmask_b32_e64 v63, v63, v74, s[30:31]
	v_cndmask_b32_e64 v70, v70, v74, s[10:11]
	v_cmp_eq_u32_e64 s[28:29], 1, v95
	v_cndmask_b32_e64 v48, v48, v42, s[16:17]
	v_cndmask_b32_e64 v73, v73, v9, s[18:19]
	v_cndmask_b32_e64 v49, v49, v74, s[6:7]
	v_cndmask_b32_e64 v50, v50, v74, s[8:9]
	v_cndmask_b32_e64 v51, v51, v74, s[38:39]
	v_cndmask_b32_e64 v52, v52, v74, s[12:13]
	v_cndmask_b32_e64 v53, v53, v74, s[14:15]
	v_cndmask_b32_e64 v54, v54, v74, s[16:17]
	v_cndmask_b32_e64 v55, v55, v74, s[18:19]
	v_cndmask_b32_e64 v56, v56, v74, s[92:93]
	v_cndmask_b32_e64 v57, v57, v74, s[78:79]
	v_cndmask_b32_e64 v58, v58, v74, s[88:89]
	v_cndmask_b32_e64 v59, v59, v74, s[84:85]
	v_cndmask_b32_e64 v60, v60, v74, s[40:41]
	v_cndmask_b32_e64 v61, v61, v74, s[34:35]
	v_cndmask_b32_e64 v62, v62, v74, s[36:37]
	v_cndmask_b32_e64 v74, v70, v63, s[28:29]
	s_waitcnt lgkmcnt(0)
	v_cndmask_b32_e64 v31, v31, v71, s[42:43]
	v_cmp_eq_u32_e64 s[42:43], 2, v95
	v_cndmask_b32_e64 v17, v17, v71, s[70:71]
	v_cndmask_b32_e64 v48, v48, v43, s[14:15]
	;; [unrolled: 1-line block ×6, first 2 shown]
	v_cmp_eq_u32_e64 s[46:47], 3, v95
	v_cndmask_b32_e64 v29, v29, v71, s[44:45]
	v_cndmask_b32_e64 v28, v28, v71, s[48:49]
	;; [unrolled: 1-line block ×16, first 2 shown]
	v_cmp_eq_u32_e64 s[44:45], 4, v95
	v_cndmask_b32_e64 v48, v48, v45, s[38:39]
	v_cndmask_b32_e64 v71, v71, v18, s[36:37]
	v_cndmask_b32_e64 v73, v73, v12, s[12:13]
	v_cndmask_b32_e64 v74, v74, v60, s[44:45]
	v_cmp_eq_u32_e64 s[48:49], 5, v95
	v_cndmask_b32_e64 v48, v48, v46, s[8:9]
	v_cndmask_b32_e64 v71, v71, v19, s[34:35]
	v_cndmask_b32_e64 v73, v73, v13, s[38:39]
	v_cndmask_b32_e64 v74, v74, v59, s[48:49]
	;; [unrolled: 5-line block ×3, first 2 shown]
	v_cmp_eq_u32_e64 s[68:69], 7, v95
	ds_bpermute_b32 v48, v107, v48
	v_cndmask_b32_e64 v71, v71, v21, s[84:85]
	v_cndmask_b32_e64 v73, v73, v15, s[6:7]
	;; [unrolled: 1-line block ×3, first 2 shown]
	v_cmp_eq_u32_e64 s[74:75], 8, v95
	v_cndmask_b32_e64 v71, v71, v22, s[88:89]
	ds_bpermute_b32 v73, v107, v73
	v_cndmask_b32_e64 v74, v74, v56, s[74:75]
	v_cmp_eq_u32_e64 s[72:73], 9, v95
	v_cndmask_b32_e64 v71, v71, v23, s[78:79]
	v_cmp_eq_u32_e64 s[76:77], 10, v95
	v_cndmask_b32_e64 v74, v74, v55, s[72:73]
	v_cndmask_b32_e64 v71, v71, v24, s[92:93]
	;; [unrolled: 1-line block ×3, first 2 shown]
	v_cmp_eq_u32_e64 s[80:81], 11, v95
	v_cndmask_b32_e64 v71, v71, v25, s[18:19]
	v_cmp_eq_u32_e64 s[60:61], 12, v95
	v_cndmask_b32_e64 v74, v74, v53, s[80:81]
	v_cndmask_b32_e64 v71, v71, v26, s[16:17]
	s_waitcnt lgkmcnt(1)
	v_cndmask_b32_e64 v33, v33, v48, s[30:31]
	v_cndmask_b32_e64 v32, v32, v48, s[10:11]
	;; [unrolled: 1-line block ×3, first 2 shown]
	v_cmp_eq_u32_e64 s[82:83], 13, v95
	v_cndmask_b32_e64 v71, v71, v27, s[14:15]
	v_cndmask_b32_e64 v34, v34, v48, s[36:37]
	s_waitcnt lgkmcnt(0)
	v_cndmask_b32_e64 v79, v1, v73, s[30:31]
	v_cndmask_b32_e64 v1, v32, v33, s[28:29]
	;; [unrolled: 1-line block ×3, first 2 shown]
	v_cmp_eq_u32_e64 s[86:87], 14, v95
	v_cndmask_b32_e64 v71, v71, v28, s[12:13]
	v_cndmask_b32_e64 v35, v35, v48, s[34:35]
	v_cndmask_b32_e64 v1, v1, v34, s[42:43]
	v_cndmask_b32_e64 v74, v74, v50, s[86:87]
	v_cmp_eq_u32_e64 s[90:91], 15, v95
	v_cndmask_b32_e64 v71, v71, v29, s[38:39]
	v_cndmask_b32_e64 v36, v36, v48, s[40:41]
	;; [unrolled: 1-line block ×7, first 2 shown]
	ds_bpermute_b32 v74, v107, v74
	v_cndmask_b32_e64 v71, v71, v31, s[6:7]
	v_cndmask_b32_e64 v38, v38, v48, s[88:89]
	v_cndmask_b32_e64 v1, v1, v37, s[48:49]
	ds_bpermute_b32 v71, v107, v71
	v_cndmask_b32_e64 v39, v39, v48, s[78:79]
	v_cndmask_b32_e64 v1, v1, v38, s[54:55]
	;; [unrolled: 1-line block ×6, first 2 shown]
	v_cmp_eq_u32_e64 s[52:53], 0, v95
	v_cndmask_b32_e64 v42, v42, v48, s[16:17]
	v_cndmask_b32_e64 v1, v1, v41, s[72:73]
	s_waitcnt lgkmcnt(1)
	v_cndmask_b32_e64 v63, v63, v74, s[28:29]
	v_cndmask_b32_e64 v70, v70, v74, s[52:53]
	v_cmp_eq_u32_e32 vcc, 1, v96
	v_cndmask_b32_e64 v43, v43, v48, s[14:15]
	v_cndmask_b32_e64 v1, v1, v42, s[76:77]
	;; [unrolled: 1-line block ×16, first 2 shown]
	v_cndmask_b32_e32 v74, v70, v63, vcc
	v_cndmask_b32_e64 v47, v47, v48, s[6:7]
	s_waitcnt lgkmcnt(0)
	v_cndmask_b32_e64 v31, v31, v71, s[6:7]
	v_cndmask_b32_e64 v15, v15, v73, s[6:7]
	v_cmp_eq_u32_e64 s[6:7], 2, v96
	v_cndmask_b32_e64 v44, v44, v48, s[12:13]
	v_cndmask_b32_e64 v1, v1, v43, s[80:81]
	;; [unrolled: 1-line block ×6, first 2 shown]
	v_cmp_eq_u32_e64 s[8:9], 3, v96
	v_cndmask_b32_e64 v45, v45, v48, s[38:39]
	v_cndmask_b32_e64 v1, v1, v44, s[60:61]
	;; [unrolled: 1-line block ×5, first 2 shown]
	v_cmp_eq_u32_e64 s[38:39], 4, v96
	v_cndmask_b32_e64 v1, v1, v45, s[82:83]
	v_cmp_eq_u32_e64 s[50:51], 5, v96
	v_cndmask_b32_e64 v74, v74, v60, s[38:39]
	v_cndmask_b32_e64 v1, v1, v46, s[86:87]
	;; [unrolled: 1-line block ×5, first 2 shown]
	v_cmp_eq_u32_e64 s[56:57], 6, v96
	v_cndmask_b32_e64 v10, v10, v73, s[16:17]
	v_cndmask_b32_e64 v9, v9, v73, s[18:19]
	;; [unrolled: 1-line block ×14, first 2 shown]
	v_cmp_eq_u32_e64 s[58:59], 7, v96
	v_cndmask_b32_e64 v18, v18, v71, s[36:37]
	ds_bpermute_b32 v48, v107, v1
	v_cndmask_b32_e64 v1, v16, v78, s[28:29]
	v_cndmask_b32_e64 v0, v73, v79, s[28:29]
	;; [unrolled: 1-line block ×3, first 2 shown]
	v_cmp_eq_u32_e64 s[64:65], 8, v96
	v_cndmask_b32_e64 v19, v19, v71, s[34:35]
	v_cndmask_b32_e64 v1, v1, v18, s[42:43]
	v_cndmask_b32_e64 v0, v0, v2, s[42:43]
	v_cndmask_b32_e64 v74, v74, v56, s[64:65]
	v_cmp_eq_u32_e64 s[70:71], 9, v96
	v_cndmask_b32_e64 v20, v20, v71, s[40:41]
	v_cndmask_b32_e64 v1, v1, v19, s[46:47]
	v_cndmask_b32_e64 v0, v0, v3, s[46:47]
	v_cndmask_b32_e64 v74, v74, v55, s[70:71]
	v_cndmask_b32_e64 v23, v23, v71, s[78:79]
	v_cmp_eq_u32_e64 s[78:79], 10, v96
	v_cndmask_b32_e64 v21, v21, v71, s[84:85]
	;; [unrolled: 6-line block ×3, first 2 shown]
	v_cndmask_b32_e64 v0, v0, v5, s[48:49]
	v_cndmask_b32_e64 v74, v74, v53, s[66:67]
	v_cmp_eq_u32_e64 s[62:63], 12, v96
	v_cndmask_b32_e64 v1, v1, v22, s[54:55]
	v_cndmask_b32_e64 v0, v0, v6, s[54:55]
	v_cndmask_b32_e64 v24, v24, v71, s[92:93]
	v_cndmask_b32_e64 v74, v74, v52, s[62:63]
	v_cmp_eq_u32_e64 s[84:85], 13, v96
	v_cndmask_b32_e64 v1, v1, v23, s[68:69]
	v_cndmask_b32_e64 v0, v0, v7, s[68:69]
	;; [unrolled: 5-line block ×4, first 2 shown]
	v_cndmask_b32_e64 v27, v27, v71, s[14:15]
	v_cndmask_b32_e64 v74, v74, v49, s[92:93]
	;; [unrolled: 1-line block ×5, first 2 shown]
	ds_bpermute_b32 v74, v107, v74
	v_cndmask_b32_e64 v1, v1, v27, s[80:81]
	v_cndmask_b32_e64 v0, v0, v11, s[80:81]
	;; [unrolled: 1-line block ×8, first 2 shown]
	v_cmp_eq_u32_e64 s[94:95], 0, v96
	v_cndmask_b32_e64 v1, v1, v31, s[90:91]
	v_cndmask_b32_e64 v0, v0, v15, s[90:91]
	s_waitcnt lgkmcnt(0)
	v_cndmask_b32_e64 v49, v49, v74, s[92:93]
	v_cndmask_b32_e64 v50, v50, v74, s[88:89]
	;; [unrolled: 1-line block ×14, first 2 shown]
	v_cndmask_b32_e32 v63, v63, v74, vcc
	v_cndmask_b32_e64 v70, v70, v74, s[94:95]
	ds_bpermute_b32 v71, v107, v1
	ds_bpermute_b32 v74, v107, v0
	v_cndmask_b32_e64 v57, v35, v48, s[46:47]
	v_cndmask_b32_e64 v101, v36, v48, s[44:45]
	;; [unrolled: 1-line block ×3, first 2 shown]
	s_waitcnt lgkmcnt(1)
	v_cndmask_b32_e64 v84, v29, v71, s[82:83]
	s_waitcnt lgkmcnt(0)
	v_cndmask_b32_e64 v110, v12, v74, s[60:61]
	v_cndmask_b32_e64 v12, v33, v48, s[28:29]
	;; [unrolled: 1-line block ×7, first 2 shown]
	v_cndmask_b32_e32 v19, v29, v12, vcc
	v_cndmask_b32_e64 v19, v19, v4, s[6:7]
	v_cndmask_b32_e64 v19, v19, v57, s[8:9]
	;; [unrolled: 1-line block ×30, first 2 shown]
	ds_bpermute_b32 v30, v107, v19
	v_cndmask_b32_e32 v19, v16, v13, vcc
	v_cndmask_b32_e64 v19, v19, v5, s[6:7]
	v_cndmask_b32_e64 v55, v20, v71, s[44:45]
	;; [unrolled: 1-line block ×17, first 2 shown]
	v_cmp_eq_u32_e64 s[10:11], 1, v97
	v_cndmask_b32_e64 v109, v28, v71, s[60:61]
	v_cndmask_b32_e64 v19, v19, v111, s[66:67]
	;; [unrolled: 1-line block ×3, first 2 shown]
	v_cmp_eq_u32_e64 s[12:13], 2, v97
	v_cndmask_b32_e64 v19, v19, v109, s[62:63]
	v_cmp_eq_u32_e64 s[14:15], 3, v97
	v_cndmask_b32_e64 v0, v0, v62, s[12:13]
	v_cndmask_b32_e64 v19, v19, v84, s[84:85]
	;; [unrolled: 1-line block ×4, first 2 shown]
	v_cmp_eq_u32_e64 s[16:17], 4, v97
	v_cndmask_b32_e64 v19, v19, v82, s[88:89]
	v_cndmask_b32_e64 v83, v14, v74, s[86:87]
	v_cndmask_b32_e64 v0, v0, v60, s[16:17]
	v_cmp_eq_u32_e64 s[18:19], 5, v97
	v_cndmask_b32_e64 v14, v79, v74, s[28:29]
	v_cndmask_b32_e64 v19, v19, v80, s[92:93]
	v_cndmask_b32_e64 v21, v73, v74, s[52:53]
	v_cndmask_b32_e64 v0, v0, v59, s[18:19]
	v_cndmask_b32_e64 v112, v11, v74, s[80:81]
	v_cmp_eq_u32_e64 s[80:81], 6, v97
	v_cndmask_b32_e64 v125, v6, v74, s[54:55]
	v_cndmask_b32_e64 v6, v2, v74, s[42:43]
	ds_bpermute_b32 v20, v107, v19
	v_cndmask_b32_e32 v19, v21, v14, vcc
	v_cndmask_b32_e64 v0, v0, v58, s[80:81]
	v_cndmask_b32_e64 v114, v10, v74, s[76:77]
	v_cmp_eq_u32_e64 s[76:77], 7, v97
	v_cndmask_b32_e64 v3, v3, v74, s[46:47]
	v_cndmask_b32_e64 v19, v19, v6, s[6:7]
	;; [unrolled: 1-line block ×4, first 2 shown]
	v_cmp_eq_u32_e64 s[72:73], 8, v97
	v_cndmask_b32_e64 v19, v19, v3, s[8:9]
	v_cmp_eq_u32_e64 s[30:31], 9, v97
	v_cndmask_b32_e64 v0, v0, v76, s[72:73]
	v_cndmask_b32_e64 v19, v19, v56, s[38:39]
	v_cndmask_b32_e64 v0, v0, v75, s[30:31]
	v_cmp_eq_u32_e64 s[34:35], 10, v97
	v_cndmask_b32_e64 v19, v19, v100, s[50:51]
	v_cndmask_b32_e64 v122, v7, v74, s[68:69]
	;; [unrolled: 4-line block ×3, first 2 shown]
	v_cndmask_b32_e64 v0, v0, v53, s[36:37]
	v_cmp_eq_u32_e64 s[40:41], 12, v97
	v_cndmask_b32_e64 v19, v19, v122, s[58:59]
	v_cmp_eq_u32_e64 s[44:45], 13, v97
	v_cndmask_b32_e64 v0, v0, v52, s[40:41]
	v_cndmask_b32_e64 v19, v19, v119, s[64:65]
	;; [unrolled: 1-line block ×3, first 2 shown]
	v_cmp_eq_u32_e64 s[46:47], 14, v97
	v_cndmask_b32_e64 v19, v19, v116, s[70:71]
	v_cmp_eq_u32_e64 s[42:43], 15, v97
	v_cndmask_b32_e64 v0, v0, v50, s[46:47]
	v_cndmask_b32_e64 v19, v19, v114, s[78:79]
	;; [unrolled: 1-line block ×4, first 2 shown]
	ds_bpermute_b32 v0, v107, v0
	v_cndmask_b32_e64 v19, v19, v110, s[62:63]
	v_cndmask_b32_e64 v19, v19, v85, s[84:85]
	;; [unrolled: 1-line block ×4, first 2 shown]
	v_cmp_eq_u32_e64 s[28:29], 0, v97
	ds_bpermute_b32 v28, v107, v19
	s_waitcnt lgkmcnt(1)
	v_cndmask_b32_e64 v7, v49, v0, s[42:43]
	v_cndmask_b32_e64 v8, v50, v0, s[46:47]
	;; [unrolled: 1-line block ×16, first 2 shown]
	v_cmp_eq_u32_e64 s[48:49], 1, v98
	v_cmp_eq_u32_e64 s[52:53], 2, v98
	;; [unrolled: 1-line block ×3, first 2 shown]
	v_cndmask_b32_e64 v33, v0, v18, s[48:49]
	v_cndmask_b32_e64 v34, v33, v17, s[52:53]
	;; [unrolled: 1-line block ×3, first 2 shown]
	v_cmp_eq_u32_e64 s[60:61], 4, v98
	v_cndmask_b32_e64 v58, v44, v30, s[62:63]
	v_cndmask_b32_e64 v38, v109, v20, s[62:63]
	;; [unrolled: 1-line block ×3, first 2 shown]
	s_waitcnt lgkmcnt(0)
	v_cndmask_b32_e64 v35, v110, v28, s[62:63]
	v_cmp_eq_u32_e64 s[62:63], 5, v98
	v_cndmask_b32_e64 v59, v43, v30, s[66:67]
	v_cndmask_b32_e64 v48, v112, v28, s[66:67]
	;; [unrolled: 1-line block ×4, first 2 shown]
	v_cmp_eq_u32_e64 s[66:67], 6, v98
	v_cmp_eq_u32_e64 s[68:69], 7, v98
	v_cndmask_b32_e64 v60, v42, v30, s[78:79]
	v_cndmask_b32_e64 v43, v40, v26, s[66:67]
	;; [unrolled: 1-line block ×6, first 2 shown]
	v_cmp_eq_u32_e64 s[70:71], 8, v98
	v_cndmask_b32_e64 v62, v117, v30, s[64:65]
	v_cndmask_b32_e64 v51, v119, v28, s[64:65]
	v_cndmask_b32_e64 v43, v42, v24, s[70:71]
	v_cndmask_b32_e64 v42, v118, v20, s[64:65]
	v_cmp_eq_u32_e64 s[64:65], 9, v98
	v_cndmask_b32_e64 v63, v120, v30, s[58:59]
	v_cndmask_b32_e64 v52, v122, v28, s[58:59]
	v_cndmask_b32_e64 v44, v43, v23, s[64:65]
	v_cndmask_b32_e64 v43, v121, v20, s[58:59]
	;; [unrolled: 5-line block ×3, first 2 shown]
	v_cndmask_b32_e64 v44, v124, v20, s[56:57]
	v_cndmask_b32_e64 v53, v125, v28, s[56:57]
	v_cmp_eq_u32_e64 s[56:57], 11, v98
	v_cndmask_b32_e64 v73, v126, v30, s[50:51]
	v_cndmask_b32_e64 v54, v100, v28, s[50:51]
	v_cndmask_b32_e64 v71, v45, v11, s[56:57]
	v_cndmask_b32_e64 v45, v99, v20, s[50:51]
	v_cmp_eq_u32_e64 s[50:51], 12, v98
	v_cndmask_b32_e64 v74, v101, v30, s[38:39]
	v_cndmask_b32_e64 v75, v55, v20, s[38:39]
	v_cndmask_b32_e64 v71, v71, v10, s[50:51]
	v_cndmask_b32_e64 v55, v56, v28, s[38:39]
	v_cmp_eq_u32_e64 s[38:39], 13, v98
	v_cndmask_b32_e64 v57, v57, v30, s[8:9]
	v_cndmask_b32_e64 v76, v3, v28, s[8:9]
	v_cndmask_b32_e64 v56, v71, v9, s[38:39]
	v_cndmask_b32_e64 v71, v15, v20, s[8:9]
	v_cmp_eq_u32_e64 s[8:9], 14, v98
	v_cndmask_b32_e64 v77, v5, v20, s[6:7]
	v_cndmask_b32_e64 v78, v6, v28, s[6:7]
	v_cndmask_b32_e64 v3, v56, v8, s[8:9]
	v_cndmask_b32_e64 v56, v4, v30, s[6:7]
	v_cmp_eq_u32_e64 s[6:7], 15, v98
	v_cndmask_b32_e64 v19, v80, v20, s[92:93]
	v_cndmask_b32_e32 v80, v12, v30, vcc
	v_cndmask_b32_e64 v3, v3, v7, s[6:7]
	ds_bpermute_b32 v79, v107, v3
	v_cndmask_b32_e64 v46, v46, v30, s[88:89]
	v_cndmask_b32_e64 v32, v81, v28, s[92:93]
	v_cndmask_b32_e32 v81, v13, v20, vcc
	v_cndmask_b32_e64 v36, v82, v20, s[88:89]
	s_waitcnt lgkmcnt(0)
	v_cndmask_b32_e64 v12, v10, v79, s[50:51]
	v_cndmask_b32_e64 v10, v22, v79, s[58:59]
	;; [unrolled: 1-line block ×20, first 2 shown]
	ds_bpermute_b32 v23, v107, v3
	v_cndmask_b32_e64 v6, v26, v79, s[66:67]
	v_cndmask_b32_e64 v4, v1, v79, s[60:61]
	;; [unrolled: 1-line block ×4, first 2 shown]
	s_waitcnt lgkmcnt(0)
	v_cndmask_b32_e64 v18, v46, v23, s[46:47]
	v_cndmask_b32_e64 v26, v59, v23, s[36:37]
	;; [unrolled: 1-line block ×16, first 2 shown]
	v_cndmask_b32_e32 v82, v14, v28, vcc
	v_cndmask_b32_e64 v14, v8, v79, s[8:9]
	v_cndmask_b32_e64 v8, v24, v79, s[70:71]
	;; [unrolled: 1-line block ×20, first 2 shown]
	ds_bpermute_b32 v73, v107, v22
	v_cndmask_b32_e64 v16, v16, v20, s[94:95]
	v_cndmask_b32_e64 v40, v113, v20, s[78:79]
	;; [unrolled: 1-line block ×3, first 2 shown]
	v_cmp_eq_u32_e32 vcc, 0, v98
	s_waitcnt lgkmcnt(0)
	v_cndmask_b32_e64 v31, v17, v73, s[6:7]
	v_cndmask_b32_e64 v17, v16, v81, s[10:11]
	;; [unrolled: 1-line block ×16, first 2 shown]
	ds_bpermute_b32 v17, v107, v17
	v_cndmask_b32_e64 v11, v11, v79, s[56:57]
	v_cndmask_b32_e64 v5, v27, v79, s[62:63]
	v_cndmask_b32_e32 v0, v0, v79, vcc
	v_cndmask_b32_e64 v20, v62, v73, s[60:61]
	s_waitcnt lgkmcnt(0)
	v_cndmask_b32_e64 v62, v75, v17, s[16:17]
	v_cndmask_b32_e64 v75, v77, v17, s[12:13]
	;; [unrolled: 1-line block ×39, first 2 shown]
	ds_bpermute_b32 v80, v107, v16
	v_cndmask_b32_e64 v33, v83, v28, s[88:89]
	v_cndmask_b32_e64 v34, v85, v28, s[84:85]
	;; [unrolled: 1-line block ×5, first 2 shown]
	s_waitcnt lgkmcnt(0)
	v_cndmask_b32_e64 v47, v46, v80, s[6:7]
	v_cndmask_b32_e64 v46, v36, v80, s[8:9]
	;; [unrolled: 1-line block ×19, first 2 shown]
	ds_bpermute_b32 v56, v107, v36
	v_cndmask_b32_e64 v19, v57, v73, s[54:55]
	v_cndmask_b32_e64 v17, v63, v73, s[48:49]
	v_cndmask_b32_e32 v16, v70, v73, vcc
	v_cndmask_b32_e64 v44, v38, v80, s[50:51]
	s_waitcnt lgkmcnt(0)
	v_cndmask_b32_e64 v81, v82, v56, s[10:11]
	v_cndmask_b32_e64 v74, v74, v56, s[28:29]
	v_cndmask_b32_e64 v57, v32, v56, s[42:43]
	v_cndmask_b32_e64 v78, v78, v56, s[12:13]
	v_cndmask_b32_e64 v32, v74, v81, s[48:49]
	v_cndmask_b32_e64 v76, v76, v56, s[14:15]
	v_cndmask_b32_e64 v32, v32, v78, s[52:53]
	v_cndmask_b32_e64 v73, v55, v56, s[16:17]
	v_cndmask_b32_e64 v32, v32, v76, s[54:55]
	v_cndmask_b32_e64 v70, v54, v56, s[18:19]
	v_cndmask_b32_e64 v32, v32, v73, s[60:61]
	v_cndmask_b32_e64 v53, v53, v56, s[80:81]
	v_cndmask_b32_e64 v32, v32, v70, s[62:63]
	v_cndmask_b32_e64 v52, v52, v56, s[76:77]
	v_cndmask_b32_e64 v32, v32, v53, s[66:67]
	v_cndmask_b32_e64 v51, v51, v56, s[72:73]
	v_cndmask_b32_e64 v32, v32, v52, s[68:69]
	v_cndmask_b32_e64 v50, v50, v56, s[30:31]
	v_cndmask_b32_e64 v32, v32, v51, s[70:71]
	v_cndmask_b32_e64 v49, v49, v56, s[34:35]
	v_cndmask_b32_e64 v32, v32, v50, s[64:65]
	v_cndmask_b32_e64 v48, v48, v56, s[36:37]
	v_cndmask_b32_e64 v32, v32, v49, s[58:59]
	v_cndmask_b32_e64 v38, v60, v80, s[66:67]
	v_cndmask_b32_e64 v60, v35, v56, s[40:41]
	v_cndmask_b32_e64 v32, v32, v48, s[56:57]
	v_cndmask_b32_e64 v43, v39, v80, s[56:57]
	v_cndmask_b32_e64 v39, v59, v80, s[68:69]
	v_cndmask_b32_e64 v59, v34, v56, s[44:45]
	v_cndmask_b32_e64 v32, v32, v60, s[50:51]
	v_cndmask_b32_e64 v42, v40, v80, s[58:59]
	v_cndmask_b32_e64 v40, v58, v80, s[70:71]
	v_cndmask_b32_e64 v58, v33, v56, s[46:47]
	v_cndmask_b32_e64 v32, v32, v59, s[38:39]
	v_cndmask_b32_e64 v32, v32, v58, s[8:9]
	v_cndmask_b32_e64 v32, v32, v57, s[6:7]
	ds_bpermute_b32 v82, v107, v32
	v_cndmask_b32_e64 v36, v62, v80, s[60:61]
	v_cndmask_b32_e64 v33, v77, v80, s[48:49]
	v_readlane_b32 s18, v127, 10
	v_readlane_b32 s28, v127, 12
	s_waitcnt lgkmcnt(0)
	v_cndmask_b32_e64 v63, v57, v82, s[6:7]
	v_readlane_b32 s6, v127, 28
	v_cndmask_b32_e64 v62, v58, v82, s[8:9]
	v_cndmask_b32_e64 v58, v49, v82, s[58:59]
	;; [unrolled: 1-line block ×3, first 2 shown]
	v_readlane_b32 s7, v127, 29
	v_readlane_b32 s34, v127, 17
	;; [unrolled: 1-line block ×4, first 2 shown]
	v_subrev_u32_e32 v108, s4, v108
	s_mov_b32 s1, 0
	v_cndmask_b32_e64 v45, v37, v80, s[38:39]
	v_cndmask_b32_e64 v41, v41, v80, s[64:65]
	;; [unrolled: 1-line block ×5, first 2 shown]
	v_cndmask_b32_e32 v32, v79, v80, vcc
	v_cndmask_b32_e64 v61, v59, v82, s[38:39]
	v_cndmask_b32_e64 v60, v60, v82, s[50:51]
	;; [unrolled: 1-line block ×11, first 2 shown]
	v_cndmask_b32_e32 v48, v74, v82, vcc
	v_lshl_add_u64 v[70:71], s[6:7], 0, v[64:65]
	s_mov_b64 s[6:7], 0
	s_mov_b32 s5, 0
	v_readlane_b32 s19, v127, 11
	v_readlane_b32 s29, v127, 13
	v_readlane_b32 s30, v127, 15
	v_readlane_b32 s31, v127, 16
	v_readlane_b32 s35, v127, 18
	v_readlane_b32 s36, v127, 19
	v_readlane_b32 s37, v127, 20
	v_readlane_b32 s38, v127, 21
	v_readlane_b32 s39, v127, 22
	s_mov_b64 s[40:41], 0x80
	s_mov_b64 s[42:43], 0xc0
	v_readlane_b32 s44, v127, 27
	v_readlane_b32 s47, v127, 26
	;; [unrolled: 1-line block ×3, first 2 shown]
                                        ; implicit-def: $sgpr8_sgpr9
	s_branch .LBB289_32
.LBB289_30:                             ;   in Loop: Header=BB289_32 Depth=2
	s_or_b64 exec, exec, s[12:13]
	s_andn2_b64 s[8:9], s[8:9], exec
	s_and_b64 s[12:13], s[14:15], exec
	s_or_b64 s[8:9], s[8:9], s[12:13]
.LBB289_31:                             ;   in Loop: Header=BB289_32 Depth=2
	s_or_b64 exec, exec, s[10:11]
	s_and_b64 s[10:11], exec, s[8:9]
	s_or_b64 s[6:7], s[10:11], s[6:7]
	s_andn2_b64 exec, exec, s[6:7]
	s_cbranch_execz .LBB289_35
.LBB289_32:                             ;   Parent Loop BB289_7 Depth=1
                                        ; =>  This Inner Loop Header: Depth=2
	s_and_b32 s12, s1, 24
	v_or_b32_e32 v73, s12, v105
	v_add_u32_e32 v74, s96, v73
	v_cmp_gt_u32_e32 vcc, 32, v74
	s_or_b64 s[8:9], s[8:9], exec
	s_and_saveexec_b64 s[10:11], vcc
	s_cbranch_execz .LBB289_31
; %bb.33:                               ;   in Loop: Header=BB289_32 Depth=2
	s_add_i32 s13, s5, 1
	s_set_gpr_idx_on s5, gpr_idx(SRC0)
	v_mov_b32_e32 v74, v0
	s_set_gpr_idx_off
	v_cvt_f16_f32_e32 v76, v74
	s_set_gpr_idx_on s13, gpr_idx(SRC0)
	v_mov_b32_e32 v74, v0
	s_set_gpr_idx_off
	v_cvt_f16_f32_sdwa v77, v74 dst_sel:WORD_1 dst_unused:UNUSED_PAD src0_sel:DWORD
	v_mul_lo_u32 v74, v73, s21
	v_ashrrev_i32_e32 v75, 31, v74
	v_lshl_add_u64 v[74:75], v[74:75], 1, v[70:71]
	v_or_b32_e32 v73, v77, v76
	;;#ASMSTART
	global_atomic_pk_add_f16 v[74:75], v73, off
	
	;;#ASMEND
	s_set_gpr_idx_on s5, gpr_idx(SRC0)
	v_mov_b32_e32 v73, v16
	s_set_gpr_idx_off
	v_cvt_f16_f32_e32 v73, v73
	s_set_gpr_idx_on s13, gpr_idx(SRC0)
	v_mov_b32_e32 v76, v16
	s_set_gpr_idx_off
	v_cvt_f16_f32_sdwa v78, v76 dst_sel:WORD_1 dst_unused:UNUSED_PAD src0_sel:DWORD
	v_lshl_add_u64 v[76:77], v[74:75], 0, 64
	s_mov_b64 s[14:15], -1
	v_or_b32_e32 v73, v78, v73
	;;#ASMSTART
	global_atomic_pk_add_f16 v[76:77], v73, off
	
	;;#ASMEND
	s_set_gpr_idx_on s5, gpr_idx(SRC0)
	v_mov_b32_e32 v73, v32
	s_set_gpr_idx_off
	v_cvt_f16_f32_e32 v73, v73
	s_set_gpr_idx_on s13, gpr_idx(SRC0)
	v_mov_b32_e32 v76, v32
	s_set_gpr_idx_off
	v_cvt_f16_f32_sdwa v78, v76 dst_sel:WORD_1 dst_unused:UNUSED_PAD src0_sel:DWORD
	v_lshl_add_u64 v[76:77], v[74:75], 0, s[40:41]
	v_lshl_add_u64 v[74:75], v[74:75], 0, s[42:43]
	v_or_b32_e32 v73, v78, v73
	;;#ASMSTART
	global_atomic_pk_add_f16 v[76:77], v73, off
	
	;;#ASMEND
	s_set_gpr_idx_on s5, gpr_idx(SRC0)
	v_mov_b32_e32 v73, v48
	s_set_gpr_idx_off
	v_cvt_f16_f32_e32 v73, v73
	s_set_gpr_idx_on s13, gpr_idx(SRC0)
	v_mov_b32_e32 v76, v48
	s_set_gpr_idx_off
	v_cvt_f16_f32_sdwa v76, v76 dst_sel:WORD_1 dst_unused:UNUSED_PAD src0_sel:DWORD
	s_nop 0
	v_or_b32_e32 v73, v76, v73
	;;#ASMSTART
	global_atomic_pk_add_f16 v[74:75], v73, off
	
	;;#ASMEND
	v_or_b32_e32 v73, s12, v106
	v_add_u32_e32 v74, s96, v73
	v_cmp_gt_u32_e32 vcc, 32, v74
	s_and_saveexec_b64 s[12:13], vcc
	s_cbranch_execz .LBB289_30
; %bb.34:                               ;   in Loop: Header=BB289_32 Depth=2
	s_add_i32 s14, s5, 2
	s_add_i32 s15, s5, 3
	s_set_gpr_idx_on s14, gpr_idx(SRC0)
	v_mov_b32_e32 v74, v0
	s_set_gpr_idx_off
	v_cvt_f16_f32_e32 v76, v74
	s_set_gpr_idx_on s15, gpr_idx(SRC0)
	v_mov_b32_e32 v74, v0
	s_set_gpr_idx_off
	v_cvt_f16_f32_sdwa v77, v74 dst_sel:WORD_1 dst_unused:UNUSED_PAD src0_sel:DWORD
	v_mul_lo_u32 v74, v73, s21
	v_ashrrev_i32_e32 v75, 31, v74
	v_lshl_add_u64 v[74:75], v[74:75], 1, v[70:71]
	v_or_b32_e32 v73, v77, v76
	;;#ASMSTART
	global_atomic_pk_add_f16 v[74:75], v73, off
	
	;;#ASMEND
	s_set_gpr_idx_on s14, gpr_idx(SRC0)
	v_mov_b32_e32 v73, v16
	s_set_gpr_idx_off
	v_cvt_f16_f32_e32 v73, v73
	s_set_gpr_idx_on s15, gpr_idx(SRC0)
	v_mov_b32_e32 v76, v16
	s_set_gpr_idx_off
	v_cvt_f16_f32_sdwa v78, v76 dst_sel:WORD_1 dst_unused:UNUSED_PAD src0_sel:DWORD
	v_lshl_add_u64 v[76:77], v[74:75], 0, 64
	s_add_i32 s5, s5, 4
	s_add_i32 s1, s1, 8
	v_or_b32_e32 v73, v78, v73
	;;#ASMSTART
	global_atomic_pk_add_f16 v[76:77], v73, off
	
	;;#ASMEND
	s_set_gpr_idx_on s14, gpr_idx(SRC0)
	v_mov_b32_e32 v73, v32
	s_set_gpr_idx_off
	v_cvt_f16_f32_e32 v73, v73
	s_set_gpr_idx_on s15, gpr_idx(SRC0)
	v_mov_b32_e32 v76, v32
	s_set_gpr_idx_off
	v_cvt_f16_f32_sdwa v78, v76 dst_sel:WORD_1 dst_unused:UNUSED_PAD src0_sel:DWORD
	v_lshl_add_u64 v[76:77], v[74:75], 0, s[40:41]
	s_cmp_eq_u32 s5, 16
	v_lshl_add_u64 v[74:75], v[74:75], 0, s[42:43]
	v_or_b32_e32 v73, v78, v73
	;;#ASMSTART
	global_atomic_pk_add_f16 v[76:77], v73, off
	
	;;#ASMEND
	s_set_gpr_idx_on s14, gpr_idx(SRC0)
	v_mov_b32_e32 v73, v48
	s_set_gpr_idx_off
	v_cvt_f16_f32_e32 v73, v73
	s_set_gpr_idx_on s15, gpr_idx(SRC0)
	v_mov_b32_e32 v76, v48
	s_set_gpr_idx_off
	v_cvt_f16_f32_sdwa v76, v76 dst_sel:WORD_1 dst_unused:UNUSED_PAD src0_sel:DWORD
	s_cselect_b64 s[14:15], -1, 0
	s_orn2_b64 s[14:15], s[14:15], exec
	v_or_b32_e32 v73, v76, v73
	;;#ASMSTART
	global_atomic_pk_add_f16 v[74:75], v73, off
	
	;;#ASMEND
	s_branch .LBB289_30
.LBB289_35:                             ;   in Loop: Header=BB289_7 Depth=1
	s_or_b64 exec, exec, s[6:7]
	v_readlane_b32 s72, v127, 2
	v_readlane_b32 s12, v127, 0
	;; [unrolled: 1-line block ×11, first 2 shown]
.LBB289_36:                             ;   in Loop: Header=BB289_7 Depth=1
	s_or_b64 exec, exec, s[48:49]
.LBB289_37:                             ;   in Loop: Header=BB289_7 Depth=1
	s_andn2_saveexec_b64 s[2:3], s[2:3]
	s_cbranch_execz .LBB289_46
; %bb.38:                               ;   in Loop: Header=BB289_7 Depth=1
	s_lshl_b32 s5, s4, 2
	v_cmp_gt_i32_e32 vcc, s5, v108
	s_and_saveexec_b64 s[6:7], vcc
	s_cbranch_execz .LBB289_45
; %bb.39:                               ;   in Loop: Header=BB289_7 Depth=1
	s_mul_i32 s0, s0, s23
	s_ashr_i32 s1, s0, 31
	s_add_u32 s0, s74, s0
	s_addc_u32 s1, s75, s1
	s_ashr_i32 s8, s44, 31
	s_add_u32 s0, s0, s44
	s_addc_u32 s1, s1, s8
	v_lshl_add_u64 v[0:1], s[0:1], 0, v[68:69]
	v_lshl_add_u64 v[16:17], v[0:1], 0, v[66:67]
	s_mov_b64 s[0:1], 0
	s_branch .LBB289_41
.LBB289_40:                             ;   in Loop: Header=BB289_41 Depth=2
	s_or_b64 exec, exec, s[8:9]
	v_lshl_or_b32 v20, v18, 12, v102
	;;#ASMSTART
	s_waitcnt vmcnt(3)
	;;#ASMEND
	ds_write2_b32 v20, v12, v13 offset1:32
	ds_write2_b32 v20, v14, v15 offset0:64 offset1:96
	v_add_u32_e32 v12, 0x400, v20
	;;#ASMSTART
	s_waitcnt vmcnt(2)
	;;#ASMEND
	ds_write2_b32 v12, v8, v9 offset1:32
	ds_write2_b32 v12, v10, v11 offset0:64 offset1:96
	v_add_u32_e32 v8, 0x800, v20
	;; [unrolled: 6-line block ×3, first 2 shown]
	v_add_u32_e32 v108, s26, v108
	;;#ASMSTART
	s_waitcnt vmcnt(0)
	;;#ASMEND
	ds_write2_b32 v4, v0, v1 offset1:32
	ds_write2_b32 v4, v2, v3 offset0:64 offset1:96
	v_add_u32_e32 v0, 1, v87
	v_add_u32_e32 v72, s26, v18
	v_cmp_le_i32_e32 vcc, s5, v108
	ds_write_b32 v19, v0 offset:12
	v_add_u32_e32 v0, 2, v87
	s_or_b64 s[0:1], vcc, s[0:1]
	v_cmp_lt_i32_e32 vcc, 3, v72
	s_nop 1
	v_cndmask_b32_e32 v87, v87, v0, vcc
	s_andn2_b64 exec, exec, s[0:1]
	s_cbranch_execz .LBB289_44
.LBB289_41:                             ;   Parent Loop BB289_7 Depth=1
                                        ; =>  This Loop Header: Depth=2
                                        ;       Child Loop BB289_43 Depth 3
	v_cmp_gt_i32_e32 vcc, 4, v72
	s_nop 1
	v_cndmask_b32_e64 v0, -4, 0, vcc
	v_add_u32_e32 v18, v0, v72
	v_ashrrev_i32_e32 v0, 31, v108
	v_lshrrev_b32_e32 v0, 30, v0
	v_add_u32_e32 v0, v108, v0
	v_and_b32_e32 v1, -4, v0
	v_lshlrev_b32_e32 v0, 5, v0
	v_sub_u32_e32 v2, v108, v1
	v_and_b32_e32 v0, 0xffffff80, v0
	v_ashrrev_i32_e32 v1, 31, v0
	v_mul_lo_u32 v2, s24, v2
	v_lshl_add_u64 v[0:1], v[16:17], 0, v[0:1]
	v_ashrrev_i32_e32 v3, 31, v2
	v_lshl_add_u64 v[0:1], v[0:1], 0, v[2:3]
	v_lshlrev_b32_e32 v19, 2, v18
	;;#ASMSTART
	global_load_dwordx4 v[12:15], v[0:1], off offset:0   sc0 sc1 nt  
	global_load_dwordx4 v[8:11], v[0:1], off offset:32  sc0 sc1 nt  
	global_load_dwordx4 v[4:7], v[0:1], off offset:64  sc0 sc1 nt  
	;; [unrolled: 1-line block ×3, first 2 shown]
	
	;;#ASMEND
	ds_read_b32 v20, v19 offset:28684
	v_add_u32_e32 v19, 0x7000, v19
	s_waitcnt lgkmcnt(0)
	v_cmp_ne_u32_e32 vcc, v20, v87
	s_and_saveexec_b64 s[8:9], vcc
	s_cbranch_execz .LBB289_40
; %bb.42:                               ;   in Loop: Header=BB289_41 Depth=2
	s_mov_b64 s[10:11], 0
.LBB289_43:                             ;   Parent Loop BB289_7 Depth=1
                                        ;     Parent Loop BB289_41 Depth=2
                                        ; =>    This Inner Loop Header: Depth=3
	;;#ASMSTART
	s_sleep 0
	;;#ASMEND
	ds_read_b32 v20, v19 offset:12
	s_waitcnt lgkmcnt(0)
	v_cmp_eq_u32_e32 vcc, v20, v87
	s_or_b64 s[10:11], vcc, s[10:11]
	s_andn2_b64 exec, exec, s[10:11]
	s_cbranch_execnz .LBB289_43
	s_branch .LBB289_40
.LBB289_44:                             ;   in Loop: Header=BB289_7 Depth=1
	s_or_b64 exec, exec, s[0:1]
.LBB289_45:                             ;   in Loop: Header=BB289_7 Depth=1
	s_or_b64 exec, exec, s[6:7]
	v_subrev_u32_e32 v108, s5, v108
.LBB289_46:                             ;   in Loop: Header=BB289_7 Depth=1
	s_or_b64 exec, exec, s[2:3]
.LBB289_47:                             ;   in Loop: Header=BB289_7 Depth=1
	s_andn2_saveexec_b64 s[0:1], s[46:47]
	s_cbranch_execz .LBB289_6
; %bb.48:                               ;   in Loop: Header=BB289_7 Depth=1
	s_mul_i32 s10, s4, 3
	v_cmp_gt_i32_e32 vcc, s10, v108
	s_and_saveexec_b64 s[2:3], vcc
	s_cbranch_execz .LBB289_5
; %bb.49:                               ;   in Loop: Header=BB289_7 Depth=1
	s_mul_i32 s99, s99, s22
	s_ashr_i32 s4, s99, 31
	s_add_u32 s5, s72, s99
	s_addc_u32 s6, s73, s4
	s_ashr_i32 s7, s44, 31
	s_add_u32 s4, s5, s44
	s_addc_u32 s5, s6, s7
	v_add_u32_e32 v2, s96, v88
	s_movk_i32 s6, 0x60
	v_cmp_gt_u32_e32 vcc, s6, v2
	v_sub_u32_e32 v18, 0x5f, v2
	s_nop 0
	v_cndmask_b32_e32 v0, 0, v103, vcc
	v_ashrrev_i32_e32 v1, 31, v0
	v_lshl_add_u64 v[0:1], s[4:5], 0, v[0:1]
	v_lshl_add_u64 v[16:17], v[0:1], 0, v[66:67]
	s_mov_b64 s[4:5], 0
	s_branch .LBB289_51
.LBB289_50:                             ;   in Loop: Header=BB289_51 Depth=2
	s_or_b64 exec, exec, s[6:7]
	v_lshl_add_u32 v21, v19, 12, v104
	;;#ASMSTART
	s_waitcnt vmcnt(3)
	;;#ASMEND
	ds_write2_b32 v21, v12, v13 offset1:32
	ds_write2_b32 v21, v14, v15 offset0:64 offset1:96
	v_add_u32_e32 v12, 0x400, v21
	;;#ASMSTART
	s_waitcnt vmcnt(2)
	;;#ASMEND
	ds_write2_b32 v12, v8, v9 offset1:32
	ds_write2_b32 v12, v10, v11 offset0:64 offset1:96
	v_add_u32_e32 v8, 0x800, v21
	;; [unrolled: 6-line block ×3, first 2 shown]
	v_add_u32_e32 v108, s25, v108
	;;#ASMSTART
	s_waitcnt vmcnt(0)
	;;#ASMEND
	ds_write2_b32 v4, v0, v1 offset1:32
	ds_write2_b32 v4, v2, v3 offset0:64 offset1:96
	v_add_u32_e32 v0, 1, v87
	v_add_u32_e32 v72, s25, v19
	v_cmp_le_i32_e32 vcc, s10, v108
	ds_write_b32 v20, v0
	v_add_u32_e32 v0, 2, v87
	s_or_b64 s[4:5], vcc, s[4:5]
	v_cmp_lt_i32_e32 vcc, 2, v72
	s_nop 1
	v_cndmask_b32_e32 v87, v87, v0, vcc
	s_andn2_b64 exec, exec, s[4:5]
	s_cbranch_execz .LBB289_4
.LBB289_51:                             ;   Parent Loop BB289_7 Depth=1
                                        ; =>  This Loop Header: Depth=2
                                        ;       Child Loop BB289_53 Depth 3
	v_cmp_gt_i32_e32 vcc, 3, v72
	s_mov_b32 s6, 0x55555556
	s_nop 0
	v_cndmask_b32_e64 v0, -3, 0, vcc
	v_add_u32_e32 v19, v0, v72
	v_mul_hi_i32 v0, v108, s6
	v_lshrrev_b32_e32 v1, 31, v0
	v_add_u32_e32 v0, v0, v1
	v_lshl_add_u32 v1, v0, 1, v0
	v_sub_u32_e32 v1, v108, v1
	v_lshlrev_b32_e32 v1, 5, v1
	v_cmp_le_i32_e32 vcc, v1, v18
	v_lshlrev_b32_e32 v0, 7, v0
	v_lshlrev_b32_e32 v20, 2, v19
	v_cndmask_b32_e32 v2, 0, v1, vcc
	v_ashrrev_i32_e32 v1, 31, v0
	v_mul_lo_u32 v2, v2, s22
	v_lshl_add_u64 v[0:1], v[16:17], 0, v[0:1]
	v_ashrrev_i32_e32 v3, 31, v2
	v_lshl_add_u64 v[0:1], v[0:1], 0, v[2:3]
	;;#ASMSTART
	global_load_dwordx4 v[12:15], v[0:1], off offset:0   
	global_load_dwordx4 v[8:11], v[0:1], off offset:32  
	;; [unrolled: 1-line block ×4, first 2 shown]
	
	;;#ASMEND
	ds_read_b32 v21, v20 offset:28672
	v_add_u32_e32 v20, 0x7000, v20
	s_waitcnt lgkmcnt(0)
	v_cmp_ne_u32_e32 vcc, v21, v87
	s_and_saveexec_b64 s[6:7], vcc
	s_cbranch_execz .LBB289_50
; %bb.52:                               ;   in Loop: Header=BB289_51 Depth=2
	s_mov_b64 s[8:9], 0
.LBB289_53:                             ;   Parent Loop BB289_7 Depth=1
                                        ;     Parent Loop BB289_51 Depth=2
                                        ; =>    This Inner Loop Header: Depth=3
	;;#ASMSTART
	s_sleep 0
	;;#ASMEND
	ds_read_b32 v21, v20
	s_waitcnt lgkmcnt(0)
	v_cmp_eq_u32_e32 vcc, v21, v87
	s_or_b64 s[8:9], vcc, s[8:9]
	s_andn2_b64 exec, exec, s[8:9]
	s_cbranch_execnz .LBB289_53
	s_branch .LBB289_50
.LBB289_54:
	s_endpgm
	.section	.rodata,"a",@progbits
	.p2align	6, 0x0
	.amdhsa_kernel _Z19_skinny_gemm_kernelILi3ELi4ELi1ELi32ELi8EEvPKhS1_P6__halfPKfiiiiiiii
		.amdhsa_group_segment_fixed_size 28700
		.amdhsa_private_segment_fixed_size 0
		.amdhsa_kernarg_size 64
		.amdhsa_user_sgpr_count 2
		.amdhsa_user_sgpr_dispatch_ptr 0
		.amdhsa_user_sgpr_queue_ptr 0
		.amdhsa_user_sgpr_kernarg_segment_ptr 1
		.amdhsa_user_sgpr_dispatch_id 0
		.amdhsa_user_sgpr_kernarg_preload_length 0
		.amdhsa_user_sgpr_kernarg_preload_offset 0
		.amdhsa_user_sgpr_private_segment_size 0
		.amdhsa_uses_dynamic_stack 0
		.amdhsa_enable_private_segment 0
		.amdhsa_system_sgpr_workgroup_id_x 1
		.amdhsa_system_sgpr_workgroup_id_y 0
		.amdhsa_system_sgpr_workgroup_id_z 0
		.amdhsa_system_sgpr_workgroup_info 0
		.amdhsa_system_vgpr_workitem_id 0
		.amdhsa_next_free_vgpr 128
		.amdhsa_next_free_sgpr 100
		.amdhsa_accum_offset 128
		.amdhsa_reserve_vcc 1
		.amdhsa_float_round_mode_32 0
		.amdhsa_float_round_mode_16_64 0
		.amdhsa_float_denorm_mode_32 3
		.amdhsa_float_denorm_mode_16_64 3
		.amdhsa_dx10_clamp 1
		.amdhsa_ieee_mode 1
		.amdhsa_fp16_overflow 0
		.amdhsa_tg_split 0
		.amdhsa_exception_fp_ieee_invalid_op 0
		.amdhsa_exception_fp_denorm_src 0
		.amdhsa_exception_fp_ieee_div_zero 0
		.amdhsa_exception_fp_ieee_overflow 0
		.amdhsa_exception_fp_ieee_underflow 0
		.amdhsa_exception_fp_ieee_inexact 0
		.amdhsa_exception_int_div_zero 0
	.end_amdhsa_kernel
	.section	.text._Z19_skinny_gemm_kernelILi3ELi4ELi1ELi32ELi8EEvPKhS1_P6__halfPKfiiiiiiii,"axG",@progbits,_Z19_skinny_gemm_kernelILi3ELi4ELi1ELi32ELi8EEvPKhS1_P6__halfPKfiiiiiiii,comdat
.Lfunc_end289:
	.size	_Z19_skinny_gemm_kernelILi3ELi4ELi1ELi32ELi8EEvPKhS1_P6__halfPKfiiiiiiii, .Lfunc_end289-_Z19_skinny_gemm_kernelILi3ELi4ELi1ELi32ELi8EEvPKhS1_P6__halfPKfiiiiiiii
                                        ; -- End function
	.set _Z19_skinny_gemm_kernelILi3ELi4ELi1ELi32ELi8EEvPKhS1_P6__halfPKfiiiiiiii.num_vgpr, 128
	.set _Z19_skinny_gemm_kernelILi3ELi4ELi1ELi32ELi8EEvPKhS1_P6__halfPKfiiiiiiii.num_agpr, 0
	.set _Z19_skinny_gemm_kernelILi3ELi4ELi1ELi32ELi8EEvPKhS1_P6__halfPKfiiiiiiii.numbered_sgpr, 100
	.set _Z19_skinny_gemm_kernelILi3ELi4ELi1ELi32ELi8EEvPKhS1_P6__halfPKfiiiiiiii.num_named_barrier, 0
	.set _Z19_skinny_gemm_kernelILi3ELi4ELi1ELi32ELi8EEvPKhS1_P6__halfPKfiiiiiiii.private_seg_size, 0
	.set _Z19_skinny_gemm_kernelILi3ELi4ELi1ELi32ELi8EEvPKhS1_P6__halfPKfiiiiiiii.uses_vcc, 1
	.set _Z19_skinny_gemm_kernelILi3ELi4ELi1ELi32ELi8EEvPKhS1_P6__halfPKfiiiiiiii.uses_flat_scratch, 0
	.set _Z19_skinny_gemm_kernelILi3ELi4ELi1ELi32ELi8EEvPKhS1_P6__halfPKfiiiiiiii.has_dyn_sized_stack, 0
	.set _Z19_skinny_gemm_kernelILi3ELi4ELi1ELi32ELi8EEvPKhS1_P6__halfPKfiiiiiiii.has_recursion, 0
	.set _Z19_skinny_gemm_kernelILi3ELi4ELi1ELi32ELi8EEvPKhS1_P6__halfPKfiiiiiiii.has_indirect_call, 0
	.section	.AMDGPU.csdata,"",@progbits
; Kernel info:
; codeLenInByte = 14824
; TotalNumSgprs: 106
; NumVgprs: 128
; NumAgprs: 0
; TotalNumVgprs: 128
; ScratchSize: 0
; MemoryBound: 0
; FloatMode: 240
; IeeeMode: 1
; LDSByteSize: 28700 bytes/workgroup (compile time only)
; SGPRBlocks: 13
; VGPRBlocks: 15
; NumSGPRsForWavesPerEU: 106
; NumVGPRsForWavesPerEU: 128
; AccumOffset: 128
; Occupancy: 4
; WaveLimiterHint : 0
; COMPUTE_PGM_RSRC2:SCRATCH_EN: 0
; COMPUTE_PGM_RSRC2:USER_SGPR: 2
; COMPUTE_PGM_RSRC2:TRAP_HANDLER: 0
; COMPUTE_PGM_RSRC2:TGID_X_EN: 1
; COMPUTE_PGM_RSRC2:TGID_Y_EN: 0
; COMPUTE_PGM_RSRC2:TGID_Z_EN: 0
; COMPUTE_PGM_RSRC2:TIDIG_COMP_CNT: 0
; COMPUTE_PGM_RSRC3_GFX90A:ACCUM_OFFSET: 31
; COMPUTE_PGM_RSRC3_GFX90A:TG_SPLIT: 0
	.section	.text._Z19_skinny_gemm_kernelILi3ELi4ELi2ELi16ELi4EEvPKhS1_P6__halfPKfiiiiiiii,"axG",@progbits,_Z19_skinny_gemm_kernelILi3ELi4ELi2ELi16ELi4EEvPKhS1_P6__halfPKfiiiiiiii,comdat
	.protected	_Z19_skinny_gemm_kernelILi3ELi4ELi2ELi16ELi4EEvPKhS1_P6__halfPKfiiiiiiii ; -- Begin function _Z19_skinny_gemm_kernelILi3ELi4ELi2ELi16ELi4EEvPKhS1_P6__halfPKfiiiiiiii
	.globl	_Z19_skinny_gemm_kernelILi3ELi4ELi2ELi16ELi4EEvPKhS1_P6__halfPKfiiiiiiii
	.p2align	8
	.type	_Z19_skinny_gemm_kernelILi3ELi4ELi2ELi16ELi4EEvPKhS1_P6__halfPKfiiiiiiii,@function
_Z19_skinny_gemm_kernelILi3ELi4ELi2ELi16ELi4EEvPKhS1_P6__halfPKfiiiiiiii: ; @_Z19_skinny_gemm_kernelILi3ELi4ELi2ELi16ELi4EEvPKhS1_P6__halfPKfiiiiiiii
; %bb.0:
	v_cmp_gt_u32_e32 vcc, 14, v0
	v_lshlrev_b32_e32 v1, 2, v0
	s_and_saveexec_b64 s[4:5], vcc
; %bb.1:
	v_mov_b32_e32 v2, 0
	ds_write_b32 v1, v2 offset:28672
; %bb.2:
	s_or_b64 exec, exec, s[4:5]
	s_load_dwordx8 s[20:27], s[0:1], 0x20
	s_waitcnt lgkmcnt(0)
	s_barrier
	s_add_i32 s3, s20, 47
	s_add_i32 s4, s21, 63
	s_mul_hi_i32 s3, s3, 0x2aaaaaab
	s_lshr_b32 s5, s3, 31
	s_ashr_i32 s33, s3, 3
	s_ashr_i32 s3, s4, 31
	s_lshr_b32 s3, s3, 26
	s_add_i32 s4, s4, s3
	s_add_i32 s33, s33, s5
	s_ashr_i32 s52, s4, 6
	s_mul_i32 s3, s52, s33
	s_mul_i32 s3, s3, s24
	s_add_i32 s4, s3, 0x12f
	s_mul_hi_i32 s4, s4, 0x6bca1af3
	s_lshr_b32 s5, s4, 31
	s_ashr_i32 s4, s4, 7
	s_add_i32 s4, s4, s5
	s_add_i32 s5, s2, 1
	s_mul_i32 s5, s4, s5
	v_cvt_f64_i32_e32 v[2:3], s3
	v_cvt_f64_u32_e32 v[4:5], s5
	v_min_f64 v[2:3], v[2:3], v[4:5]
	v_cvt_i32_f64_e32 v49, v[2:3]
	s_mul_i32 s53, s4, s2
	v_cmp_ge_i32_e32 vcc, s53, v49
	s_cbranch_vccnz .LBB290_61
; %bb.3:
	v_lshrrev_b32_e32 v2, 6, v0
	s_add_i32 s4, s26, s25
	s_load_dwordx8 s[36:43], s[0:1], 0x0
	v_cmp_le_i32_e64 s[0:1], s4, v2
	v_mov_b32_e32 v3, s25
	v_cmp_le_i32_e64 s[2:3], s25, v2
	v_mov_b32_e32 v4, s26
	v_cndmask_b32_e64 v4, 0, v4, s[0:1]
	v_cndmask_b32_e64 v3, 0, v3, s[2:3]
	s_abs_i32 s5, s24
	v_add_u32_e32 v3, v3, v4
	v_cvt_f32_u32_e32 v4, s5
	v_sub_u32_e32 v62, v2, v3
	s_ashr_i32 s6, s22, 31
	s_lshr_b32 s6, s6, 25
	v_rcp_iflag_f32_e32 v3, v4
	s_sub_i32 s9, 0, s5
	s_add_i32 s6, s22, s6
	s_ashr_i32 s6, s6, 7
	v_mul_f32_e32 v3, 0x4f7ffffe, v3
	v_cvt_u32_f32_e32 v3, v3
	s_abs_i32 s8, s6
	s_xor_b32 s7, s6, s24
	s_ashr_i32 s7, s7, 31
	v_readfirstlane_b32 s10, v3
	s_mul_i32 s9, s9, s10
	s_mul_hi_u32 s9, s10, s9
	s_add_i32 s10, s10, s9
	s_mul_hi_u32 s9, s8, s10
	s_mul_i32 s10, s9, s5
	s_sub_i32 s8, s8, s10
	s_add_i32 s10, s9, 1
	s_sub_i32 s11, s8, s5
	s_cmp_ge_u32 s8, s5
	s_cselect_b32 s9, s10, s9
	s_cselect_b32 s8, s11, s8
	s_add_i32 s10, s9, 1
	s_cmp_ge_u32 s8, s5
	s_cselect_b32 s5, s10, s9
	s_xor_b32 s5, s5, s7
	s_sub_i32 s54, s5, s7
	s_add_i32 s24, s24, -1
	s_mul_i32 s5, s54, s24
	s_add_i32 s4, s4, s27
	s_sub_i32 s55, s6, s5
	v_cmp_gt_i32_e64 s[4:5], s4, v2
	v_lshlrev_b32_e32 v2, 1, v0
	v_lshlrev_b32_e32 v3, 4, v0
	v_and_b32_e32 v1, 60, v1
	v_and_b32_e32 v2, 64, v2
	;; [unrolled: 1-line block ×3, first 2 shown]
	v_or3_b32 v91, v1, v2, v4
	v_and_b32_e32 v1, 1, v0
	v_lshrrev_b32_e32 v4, 2, v0
	s_abs_i32 s56, s33
	v_and_or_b32 v98, v4, 12, v1
	v_cvt_f32_u32_e32 v4, s56
	v_lshlrev_b32_e32 v2, 1, v1
	v_and_b32_e32 v48, 14, v0
	v_sub_u32_e32 v2, v0, v2
	v_bitop3_b32 v93, v0, 1, v0 bitop3:0xc
	v_bitop3_b32 v94, v0, 3, 1 bitop3:0x6c
	v_and_b32_e32 v56, 48, v3
	v_bfe_u32 v101, v0, 2, 4
	v_and_b32_e32 v1, 60, v0
	v_lshlrev_b32_e32 v3, 8, v0
	v_lshlrev_b32_e32 v0, 6, v0
	v_and_b32_e32 v3, 0x200, v3
	v_and_b32_e32 v0, 64, v0
	v_or3_b32 v102, v1, v3, v0
	v_rcp_iflag_f32_e32 v0, v4
	s_abs_i32 s58, s52
	v_cvt_f32_u32_e32 v1, s58
	v_mad_u64_u32 v[50:51], s[6:7], s21, v98, v[48:49]
	v_mul_f32_e32 v0, 0x4f7ffffe, v0
	v_cvt_u32_f32_e32 v0, v0
	v_rcp_iflag_f32_e32 v1, v1
	s_lshl_b32 s6, s21, 4
	v_add_u32_e32 v52, s6, v50
	v_readfirstlane_b32 s7, v0
	v_mul_f32_e32 v0, 0x4f7ffffe, v1
	v_cvt_u32_f32_e32 v0, v0
	v_add_u32_e32 v54, s6, v52
	s_sub_i32 s6, 0, s56
	s_mul_i32 s6, s6, s7
	s_mul_hi_u32 s6, s7, s6
	v_add_u32_e32 v2, 1, v2
	s_add_i32 s60, s7, s6
	s_sub_i32 s6, 0, s58
	v_readfirstlane_b32 s7, v0
	v_mbcnt_lo_u32_b32 v0, -1, 0
	v_and_b32_e32 v2, 63, v2
	s_mul_i32 s6, s6, s7
	v_mbcnt_hi_u32_b32 v0, -1, v0
	v_mul_lo_u32 v58, s23, v101
	s_mul_hi_u32 s6, s7, s6
	v_and_or_b32 v0, v0, 64, v2
	v_cndmask_b32_e64 v90, 0, 1, s[0:1]
	v_or_b32_e32 v92, 0x4000, v91
	s_ashr_i32 s29, s21, 31
	s_mov_b32 s28, s21
	v_or_b32_e32 v95, 16, v48
	v_or_b32_e32 v96, 32, v48
	;; [unrolled: 1-line block ×3, first 2 shown]
	v_ashrrev_i32_e32 v51, 31, v50
	v_or_b32_e32 v99, 16, v98
	v_ashrrev_i32_e32 v53, 31, v52
	v_or_b32_e32 v100, 32, v98
	v_ashrrev_i32_e32 v55, 31, v54
	v_ashrrev_i32_e32 v59, 31, v58
	v_mov_b32_e32 v57, 0
	s_lshl_b32 s57, s23, 4
	v_mul_lo_u32 v103, s22, v101
	v_or_b32_e32 v104, 0x4000, v102
	s_ashr_i32 s59, s33, 31
	s_ashr_i32 s61, s52, 31
	s_add_i32 s62, s7, s6
	s_movk_i32 s63, 0x1800
	s_mov_b64 s[30:31], 0x60
	s_mov_b32 s64, 0x55555556
	v_lshlrev_b32_e32 v105, 2, v0
	v_mov_b32_e32 v106, v62
	s_branch .LBB290_7
.LBB290_4:                              ;   in Loop: Header=BB290_7 Depth=1
	s_or_b64 exec, exec, s[10:11]
.LBB290_5:                              ;   in Loop: Header=BB290_7 Depth=1
	s_or_b64 exec, exec, s[8:9]
	v_subrev_u32_e32 v106, s68, v106
.LBB290_6:                              ;   in Loop: Header=BB290_7 Depth=1
	s_or_b64 exec, exec, s[6:7]
	s_add_i32 s53, s53, 1
	v_cmp_ge_i32_e32 vcc, s53, v49
	s_cbranch_vccnz .LBB290_61
.LBB290_7:                              ; =>This Loop Header: Depth=1
                                        ;     Child Loop BB290_13 Depth 2
                                        ;       Child Loop BB290_15 Depth 3
                                        ;       Child Loop BB290_18 Depth 3
	;; [unrolled: 1-line block ×7, first 2 shown]
                                        ;     Child Loop BB290_48 Depth 2
                                        ;       Child Loop BB290_50 Depth 3
                                        ;     Child Loop BB290_58 Depth 2
                                        ;       Child Loop BB290_60 Depth 3
	s_abs_i32 s7, s53
	s_mul_hi_u32 s8, s7, s60
	s_mul_i32 s9, s8, s56
	s_ashr_i32 s6, s53, 31
	s_sub_i32 s7, s7, s9
	s_xor_b32 s6, s6, s59
	s_add_i32 s9, s8, 1
	s_sub_i32 s10, s7, s56
	s_cmp_ge_u32 s7, s56
	s_cselect_b32 s8, s9, s8
	s_cselect_b32 s7, s10, s7
	s_add_i32 s9, s8, 1
	s_cmp_ge_u32 s7, s56
	s_cselect_b32 s7, s9, s8
	s_xor_b32 s7, s7, s6
	s_sub_i32 s6, s7, s6
	s_abs_i32 s8, s6
	s_mul_hi_u32 s9, s8, s62
	s_mul_i32 s7, s6, s33
	s_mul_i32 s10, s9, s58
	s_sub_i32 s65, s53, s7
	s_ashr_i32 s7, s6, 31
	s_sub_i32 s8, s8, s10
	s_xor_b32 s7, s7, s61
	s_add_i32 s10, s9, 1
	s_sub_i32 s11, s8, s58
	s_cmp_ge_u32 s8, s58
	s_cselect_b32 s9, s10, s9
	s_cselect_b32 s8, s11, s8
	s_add_i32 s10, s9, 1
	s_cmp_ge_u32 s8, s58
	s_cselect_b32 s8, s10, s9
	s_xor_b32 s8, s8, s7
	s_sub_i32 s7, s8, s7
	s_mul_i32 s8, s7, s54
	s_lshl_b32 s66, s8, 7
	s_mul_i32 s65, s65, 48
	s_cmp_eq_u32 s7, s24
	s_cselect_b32 s68, s55, s54
	s_sub_i32 s8, s65, s20
	s_add_i32 s8, s8, 48
	s_max_i32 s67, s8, 0
	s_and_saveexec_b64 s[8:9], s[2:3]
	s_xor_b64 s[34:35], exec, s[8:9]
	s_cbranch_execz .LBB290_54
; %bb.8:                                ;   in Loop: Header=BB290_7 Depth=1
	s_mul_i32 s7, s7, s52
	s_sub_i32 s6, s6, s7
	s_lshl_b32 s6, s6, 6
	s_sub_i32 s45, s6, s21
	s_add_i32 s45, s45, 64
	s_max_i32 s7, s45, 0
	s_sub_i32 s44, s6, s7
	s_and_saveexec_b64 s[6:7], s[0:1]
	s_xor_b64 s[46:47], exec, s[6:7]
	s_cbranch_execz .LBB290_44
; %bb.9:                                ;   in Loop: Header=BB290_7 Depth=1
	s_and_saveexec_b64 s[48:49], s[4:5]
	s_cbranch_execz .LBB290_43
; %bb.10:                               ;   in Loop: Header=BB290_7 Depth=1
	s_waitcnt lgkmcnt(0)
	global_load_dword v107, v57, s[42:43]
	v_mov_b32_e32 v47, 0
	v_cmp_gt_i32_e32 vcc, s68, v106
	v_mov_b32_e32 v46, v47
	v_mov_b32_e32 v45, v47
	;; [unrolled: 1-line block ×47, first 2 shown]
	s_and_saveexec_b64 s[6:7], vcc
	s_cbranch_execz .LBB290_35
; %bb.11:                               ;   in Loop: Header=BB290_7 Depth=1
	v_mov_b32_e32 v4, 0
	s_mov_b64 s[8:9], 0
	v_mov_b32_e32 v5, v4
	v_mov_b32_e32 v6, v4
	;; [unrolled: 1-line block ×47, first 2 shown]
	s_branch .LBB290_13
.LBB290_12:                             ;   in Loop: Header=BB290_13 Depth=2
	s_or_b64 exec, exec, s[10:11]
	v_add_u32_e32 v85, 0x1800, v84
	ds_read2_b32 v[86:87], v85 offset1:32
	v_add_u32_e32 v88, 0x1c00, v84
	v_add_u32_e32 v106, s27, v106
	s_waitcnt lgkmcnt(0)
	v_mfma_f32_16x16x32_fp8_fp8 v[32:35], v[60:61], v[86:87], v[32:35]
	ds_read2_b32 v[60:61], v85 offset0:128 offset1:160
	ds_read2_b32 v[84:85], v88 offset1:32
	v_mfma_f32_16x16x32_fp8_fp8 v[16:19], v[68:69], v[86:87], v[16:19]
	v_mfma_f32_16x16x32_fp8_fp8 v[4:7], v[78:79], v[86:87], v[4:7]
	s_waitcnt lgkmcnt(1)
	v_mfma_f32_16x16x32_fp8_fp8 v[32:35], v[62:63], v[60:61], v[32:35]
	v_add_u32_e32 v62, s27, v108
	v_cmp_lt_i32_e32 vcc, 1, v62
	v_mfma_f32_16x16x32_fp8_fp8 v[16:19], v[72:73], v[60:61], v[16:19]
	v_mfma_f32_16x16x32_fp8_fp8 v[4:7], v[80:81], v[60:61], v[4:7]
	v_add_u32_e32 v60, 2, v90
	v_cndmask_b32_e32 v90, v90, v60, vcc
	v_cmp_le_i32_e32 vcc, s68, v106
	s_waitcnt lgkmcnt(0)
	v_mfma_f32_16x16x32_fp8_fp8 v[32:35], v[64:65], v[84:85], v[32:35]
	ds_read2_b32 v[64:65], v88 offset0:128 offset1:160
	s_or_b64 s[8:9], vcc, s[8:9]
	;;#ASMSTART
	s_waitcnt lgkmcnt(0)
	;;#ASMEND
	v_mfma_f32_16x16x32_fp8_fp8 v[16:19], v[74:75], v[84:85], v[16:19]
	ds_write_b32 v109, v110 offset:28708
	v_mfma_f32_16x16x32_fp8_fp8 v[4:7], v[82:83], v[84:85], v[4:7]
	s_waitcnt lgkmcnt(1)
	v_mfma_f32_16x16x32_fp8_fp8 v[32:35], v[66:67], v[64:65], v[32:35]
	v_mfma_f32_16x16x32_fp8_fp8 v[16:19], v[76:77], v[64:65], v[16:19]
	;; [unrolled: 1-line block ×3, first 2 shown]
	s_andn2_b64 exec, exec, s[8:9]
	s_cbranch_execz .LBB290_34
.LBB290_13:                             ;   Parent Loop BB290_7 Depth=1
                                        ; =>  This Loop Header: Depth=2
                                        ;       Child Loop BB290_15 Depth 3
                                        ;       Child Loop BB290_18 Depth 3
	;; [unrolled: 1-line block ×7, first 2 shown]
	v_cmp_gt_i32_e32 vcc, 2, v62
	s_nop 1
	v_cndmask_b32_e64 v60, -2, 0, vcc
	v_add_u32_e32 v108, v60, v62
	v_lshlrev_b32_e32 v109, 4, v108
	ds_read_b32 v60, v109 offset:28696
	s_waitcnt lgkmcnt(0)
	v_cmp_ne_u32_e32 vcc, v60, v90
	s_and_saveexec_b64 s[10:11], vcc
	s_cbranch_execz .LBB290_16
; %bb.14:                               ;   in Loop: Header=BB290_13 Depth=2
	s_mov_b64 s[12:13], 0
.LBB290_15:                             ;   Parent Loop BB290_7 Depth=1
                                        ;     Parent Loop BB290_13 Depth=2
                                        ; =>    This Inner Loop Header: Depth=3
	;;#ASMSTART
	s_sleep 0
	;;#ASMEND
	ds_read_b32 v60, v109 offset:28696
	s_waitcnt lgkmcnt(0)
	v_cmp_eq_u32_e32 vcc, v60, v90
	s_or_b64 s[12:13], vcc, s[12:13]
	s_andn2_b64 exec, exec, s[12:13]
	s_cbranch_execnz .LBB290_15
.LBB290_16:                             ;   in Loop: Header=BB290_13 Depth=2
	s_or_b64 exec, exec, s[10:11]
	v_lshlrev_b32_e32 v111, 13, v108
	v_or_b32_e32 v60, v91, v111
	ds_read2_b32 v[70:71], v60 offset1:32
	ds_read2_b32 v[84:85], v60 offset0:128 offset1:160
	v_add_u32_e32 v60, 0x400, v60
	v_add_u32_e32 v110, 1, v90
	ds_read2_b32 v[88:89], v60 offset1:32
	ds_read2_b32 v[86:87], v60 offset0:128 offset1:160
	;;#ASMSTART
	s_waitcnt lgkmcnt(0)
	;;#ASMEND
	ds_write_b32 v109, v110 offset:28696
	v_mul_lo_u32 v112, v108, 12
	ds_read_b32 v60, v112 offset:28672
	s_waitcnt lgkmcnt(0)
	v_cmp_ne_u32_e32 vcc, v60, v90
	s_and_saveexec_b64 s[10:11], vcc
	s_cbranch_execz .LBB290_19
; %bb.17:                               ;   in Loop: Header=BB290_13 Depth=2
	s_mov_b64 s[12:13], 0
.LBB290_18:                             ;   Parent Loop BB290_7 Depth=1
                                        ;     Parent Loop BB290_13 Depth=2
                                        ; =>    This Inner Loop Header: Depth=3
	;;#ASMSTART
	s_sleep 0
	;;#ASMEND
	ds_read_b32 v60, v112 offset:28672
	s_waitcnt lgkmcnt(0)
	v_cmp_eq_u32_e32 vcc, v60, v90
	s_or_b64 s[12:13], vcc, s[12:13]
	s_andn2_b64 exec, exec, s[12:13]
	s_cbranch_execnz .LBB290_18
.LBB290_19:                             ;   in Loop: Header=BB290_13 Depth=2
	s_or_b64 exec, exec, s[10:11]
	v_mul_lo_u32 v60, v108, s63
	v_add_u32_e32 v82, v92, v60
	ds_read2_b32 v[60:61], v82 offset1:32
	ds_read2_b32 v[62:63], v82 offset0:128 offset1:160
	v_add_u32_e32 v66, 0x400, v82
	ds_read2_b32 v[64:65], v66 offset1:32
	ds_read2_b32 v[66:67], v66 offset0:128 offset1:160
	ds_read_b32 v68, v112 offset:28676
	ds_write_b32 v112, v110 offset:28672
	s_waitcnt lgkmcnt(5)
	v_mfma_f32_16x16x32_fp8_fp8 v[44:47], v[60:61], v[70:71], v[44:47]
	s_waitcnt lgkmcnt(1)
	v_cmp_ne_u32_e32 vcc, v68, v90
	v_mfma_f32_16x16x32_fp8_fp8 v[44:47], v[62:63], v[84:85], v[44:47]
	v_mfma_f32_16x16x32_fp8_fp8 v[44:47], v[64:65], v[88:89], v[44:47]
	;; [unrolled: 1-line block ×3, first 2 shown]
	s_and_saveexec_b64 s[10:11], vcc
	s_cbranch_execz .LBB290_22
; %bb.20:                               ;   in Loop: Header=BB290_13 Depth=2
	s_mov_b64 s[12:13], 0
.LBB290_21:                             ;   Parent Loop BB290_7 Depth=1
                                        ;     Parent Loop BB290_13 Depth=2
                                        ; =>    This Inner Loop Header: Depth=3
	;;#ASMSTART
	s_sleep 0
	;;#ASMEND
	ds_read_b32 v68, v112 offset:28676
	s_waitcnt lgkmcnt(0)
	v_cmp_eq_u32_e32 vcc, v68, v90
	s_or_b64 s[12:13], vcc, s[12:13]
	s_andn2_b64 exec, exec, s[12:13]
	s_cbranch_execnz .LBB290_21
.LBB290_22:                             ;   in Loop: Header=BB290_13 Depth=2
	s_or_b64 exec, exec, s[10:11]
	v_add_u32_e32 v72, 0x800, v82
	ds_read2_b32 v[68:69], v72 offset1:32
	ds_read2_b32 v[72:73], v72 offset0:128 offset1:160
	v_add_u32_e32 v76, 0xc00, v82
	ds_read2_b32 v[74:75], v76 offset1:32
	ds_read2_b32 v[76:77], v76 offset0:128 offset1:160
	ds_read_b32 v78, v112 offset:28680
	ds_write_b32 v112, v110 offset:28676
	s_waitcnt lgkmcnt(5)
	v_mfma_f32_16x16x32_fp8_fp8 v[28:31], v[68:69], v[70:71], v[28:31]
	s_waitcnt lgkmcnt(1)
	v_cmp_ne_u32_e32 vcc, v78, v90
	v_mfma_f32_16x16x32_fp8_fp8 v[28:31], v[72:73], v[84:85], v[28:31]
	v_mfma_f32_16x16x32_fp8_fp8 v[28:31], v[74:75], v[88:89], v[28:31]
	v_mfma_f32_16x16x32_fp8_fp8 v[28:31], v[76:77], v[86:87], v[28:31]
	s_and_saveexec_b64 s[10:11], vcc
	s_cbranch_execz .LBB290_25
; %bb.23:                               ;   in Loop: Header=BB290_13 Depth=2
	s_mov_b64 s[12:13], 0
.LBB290_24:                             ;   Parent Loop BB290_7 Depth=1
                                        ;     Parent Loop BB290_13 Depth=2
                                        ; =>    This Inner Loop Header: Depth=3
	;;#ASMSTART
	s_sleep 0
	;;#ASMEND
	ds_read_b32 v78, v112 offset:28680
	s_waitcnt lgkmcnt(0)
	v_cmp_eq_u32_e32 vcc, v78, v90
	s_or_b64 s[12:13], vcc, s[12:13]
	s_andn2_b64 exec, exec, s[12:13]
	s_cbranch_execnz .LBB290_24
.LBB290_25:                             ;   in Loop: Header=BB290_13 Depth=2
	s_or_b64 exec, exec, s[10:11]
	v_add_u32_e32 v80, 0x1000, v82
	ds_read2_b32 v[78:79], v80 offset1:32
	ds_read2_b32 v[80:81], v80 offset0:128 offset1:160
	v_add_u32_e32 v113, 0x1400, v82
	ds_read2_b32 v[82:83], v113 offset1:32
	ds_write_b32 v112, v110 offset:28680
	s_waitcnt lgkmcnt(3)
	v_mfma_f32_16x16x32_fp8_fp8 v[12:15], v[78:79], v[70:71], v[12:15]
	ds_read2_b32 v[70:71], v113 offset0:128 offset1:160
	s_waitcnt lgkmcnt(3)
	v_mfma_f32_16x16x32_fp8_fp8 v[12:15], v[80:81], v[84:85], v[12:15]
	ds_read_b32 v84, v109 offset:28700
	s_waitcnt lgkmcnt(0)
	v_cmp_ne_u32_e32 vcc, v84, v90
	v_mfma_f32_16x16x32_fp8_fp8 v[12:15], v[82:83], v[88:89], v[12:15]
	v_mfma_f32_16x16x32_fp8_fp8 v[12:15], v[70:71], v[86:87], v[12:15]
	s_and_saveexec_b64 s[10:11], vcc
	s_cbranch_execz .LBB290_28
; %bb.26:                               ;   in Loop: Header=BB290_13 Depth=2
	s_mov_b64 s[12:13], 0
.LBB290_27:                             ;   Parent Loop BB290_7 Depth=1
                                        ;     Parent Loop BB290_13 Depth=2
                                        ; =>    This Inner Loop Header: Depth=3
	;;#ASMSTART
	s_sleep 0
	;;#ASMEND
	ds_read_b32 v84, v109 offset:28700
	s_waitcnt lgkmcnt(0)
	v_cmp_eq_u32_e32 vcc, v84, v90
	s_or_b64 s[12:13], vcc, s[12:13]
	s_andn2_b64 exec, exec, s[12:13]
	s_cbranch_execnz .LBB290_27
.LBB290_28:                             ;   in Loop: Header=BB290_13 Depth=2
	s_or_b64 exec, exec, s[10:11]
	v_add_u32_e32 v84, v91, v111
	v_add_u32_e32 v85, 0x800, v84
	ds_read2_b32 v[86:87], v85 offset1:32
	ds_read2_b32 v[88:89], v85 offset0:128 offset1:160
	v_add_u32_e32 v85, 0xc00, v84
	ds_read2_b32 v[112:113], v85 offset1:32
	ds_read2_b32 v[114:115], v85 offset0:128 offset1:160
	s_waitcnt lgkmcnt(3)
	v_mfma_f32_16x16x32_fp8_fp8 v[40:43], v[60:61], v[86:87], v[40:43]
	;;#ASMSTART
	s_waitcnt lgkmcnt(0)
	;;#ASMEND
	ds_read_b32 v85, v109 offset:28704
	ds_write_b32 v109, v110 offset:28700
	v_mfma_f32_16x16x32_fp8_fp8 v[24:27], v[68:69], v[86:87], v[24:27]
	s_waitcnt lgkmcnt(1)
	v_cmp_ne_u32_e32 vcc, v85, v90
	v_mfma_f32_16x16x32_fp8_fp8 v[8:11], v[78:79], v[86:87], v[8:11]
	v_mfma_f32_16x16x32_fp8_fp8 v[40:43], v[62:63], v[88:89], v[40:43]
	;; [unrolled: 1-line block ×10, first 2 shown]
	s_and_saveexec_b64 s[10:11], vcc
	s_cbranch_execz .LBB290_31
; %bb.29:                               ;   in Loop: Header=BB290_13 Depth=2
	s_mov_b64 s[12:13], 0
.LBB290_30:                             ;   Parent Loop BB290_7 Depth=1
                                        ;     Parent Loop BB290_13 Depth=2
                                        ; =>    This Inner Loop Header: Depth=3
	;;#ASMSTART
	s_sleep 0
	;;#ASMEND
	ds_read_b32 v85, v109 offset:28704
	s_waitcnt lgkmcnt(0)
	v_cmp_eq_u32_e32 vcc, v85, v90
	s_or_b64 s[12:13], vcc, s[12:13]
	s_andn2_b64 exec, exec, s[12:13]
	s_cbranch_execnz .LBB290_30
.LBB290_31:                             ;   in Loop: Header=BB290_13 Depth=2
	s_or_b64 exec, exec, s[10:11]
	v_add_u32_e32 v85, 0x1000, v84
	ds_read2_b32 v[86:87], v85 offset1:32
	ds_read2_b32 v[88:89], v85 offset0:128 offset1:160
	v_add_u32_e32 v85, 0x1400, v84
	ds_read2_b32 v[112:113], v85 offset1:32
	ds_read2_b32 v[114:115], v85 offset0:128 offset1:160
	s_waitcnt lgkmcnt(3)
	v_mfma_f32_16x16x32_fp8_fp8 v[36:39], v[60:61], v[86:87], v[36:39]
	;;#ASMSTART
	s_waitcnt lgkmcnt(0)
	;;#ASMEND
	ds_read_b32 v85, v109 offset:28708
	ds_write_b32 v109, v110 offset:28704
	v_mfma_f32_16x16x32_fp8_fp8 v[20:23], v[68:69], v[86:87], v[20:23]
	s_waitcnt lgkmcnt(1)
	v_cmp_ne_u32_e32 vcc, v85, v90
	v_mfma_f32_16x16x32_fp8_fp8 v[0:3], v[78:79], v[86:87], v[0:3]
	v_mfma_f32_16x16x32_fp8_fp8 v[36:39], v[62:63], v[88:89], v[36:39]
	;; [unrolled: 1-line block ×10, first 2 shown]
	s_and_saveexec_b64 s[10:11], vcc
	s_cbranch_execz .LBB290_12
; %bb.32:                               ;   in Loop: Header=BB290_13 Depth=2
	s_mov_b64 s[12:13], 0
.LBB290_33:                             ;   Parent Loop BB290_7 Depth=1
                                        ;     Parent Loop BB290_13 Depth=2
                                        ; =>    This Inner Loop Header: Depth=3
	;;#ASMSTART
	s_sleep 0
	;;#ASMEND
	ds_read_b32 v85, v109 offset:28708
	s_waitcnt lgkmcnt(0)
	v_cmp_eq_u32_e32 vcc, v85, v90
	s_or_b64 s[12:13], vcc, s[12:13]
	s_andn2_b64 exec, exec, s[12:13]
	s_cbranch_execnz .LBB290_33
	s_branch .LBB290_12
.LBB290_34:                             ;   in Loop: Header=BB290_7 Depth=1
	s_or_b64 exec, exec, s[8:9]
.LBB290_35:                             ;   in Loop: Header=BB290_7 Depth=1
	s_or_b64 exec, exec, s[6:7]
	v_cmp_le_i32_e32 vcc, s45, v48
	v_cmp_eq_u32_e64 s[6:7], 2, v93
	v_cmp_eq_u32_e64 s[8:9], 3, v93
	s_waitcnt vmcnt(0)
	v_cndmask_b32_e32 v60, 0, v107, vcc
	v_pk_mul_f32 v[44:45], v[60:61], v[44:45] op_sel_hi:[0,1]
	v_cmp_eq_u32_e32 vcc, 1, v93
	v_pk_mul_f32 v[64:65], v[60:61], v[46:47] op_sel_hi:[0,1]
	v_cmp_eq_u32_e64 s[10:11], 0, v93
	v_cndmask_b32_e32 v46, v44, v45, vcc
	v_cndmask_b32_e64 v46, v46, v64, s[6:7]
	v_cndmask_b32_e64 v46, v46, v65, s[8:9]
	ds_bpermute_b32 v61, v105, v46
	v_cmp_le_i32_e64 s[14:15], s45, v95
	v_cmp_le_i32_e64 s[18:19], s45, v96
	v_cmp_eq_u32_e64 s[12:13], 1, v94
	v_cmp_eq_u32_e64 s[16:17], 3, v94
	s_waitcnt lgkmcnt(0)
	v_cndmask_b32_e64 v46, v65, v61, s[8:9]
	v_cndmask_b32_e64 v47, v64, v61, s[6:7]
	v_cndmask_b32_e32 v45, v45, v61, vcc
	v_cndmask_b32_e64 v61, v44, v61, s[10:11]
	v_cndmask_b32_e64 v44, 0, v107, s[14:15]
	v_pk_mul_f32 v[40:41], v[44:45], v[40:41] op_sel_hi:[0,1]
	v_pk_mul_f32 v[64:65], v[44:45], v[42:43] op_sel_hi:[0,1]
	v_cndmask_b32_e32 v42, v40, v41, vcc
	v_cndmask_b32_e64 v42, v42, v64, s[6:7]
	v_cndmask_b32_e64 v42, v42, v65, s[8:9]
	ds_bpermute_b32 v66, v105, v42
	v_cndmask_b32_e64 v63, v61, v45, s[12:13]
	v_cmp_eq_u32_e64 s[14:15], 2, v94
	s_waitcnt lgkmcnt(0)
	v_cndmask_b32_e32 v41, v41, v66, vcc
	v_cndmask_b32_e64 v67, v40, v66, s[10:11]
	v_cndmask_b32_e64 v40, 0, v107, s[18:19]
	v_pk_mul_f32 v[36:37], v[40:41], v[36:37] op_sel_hi:[0,1]
	v_cndmask_b32_e64 v42, v63, v47, s[14:15]
	v_cndmask_b32_e64 v43, v65, v66, s[8:9]
	;; [unrolled: 1-line block ×3, first 2 shown]
	v_pk_mul_f32 v[64:65], v[40:41], v[38:39] op_sel_hi:[0,1]
	v_cndmask_b32_e32 v38, v36, v37, vcc
	v_cndmask_b32_e64 v38, v38, v64, s[6:7]
	v_cndmask_b32_e64 v38, v38, v65, s[8:9]
	ds_bpermute_b32 v66, v105, v38
	v_cmp_le_i32_e64 s[18:19], s45, v97
	v_cndmask_b32_e64 v38, v67, v41, s[12:13]
	v_cndmask_b32_e64 v38, v38, v63, s[14:15]
	;; [unrolled: 1-line block ×3, first 2 shown]
	s_waitcnt lgkmcnt(0)
	v_cndmask_b32_e64 v69, v36, v66, s[10:11]
	v_cndmask_b32_e64 v36, 0, v107, s[18:19]
	v_pk_mul_f32 v[72:73], v[36:37], v[32:33] op_sel_hi:[0,1]
	v_pk_mul_f32 v[70:71], v[36:37], v[34:35] op_sel_hi:[0,1]
	v_cndmask_b32_e32 v32, v72, v73, vcc
	v_cndmask_b32_e64 v32, v32, v70, s[6:7]
	v_cndmask_b32_e64 v32, v32, v71, s[8:9]
	ds_bpermute_b32 v33, v105, v32
	v_cndmask_b32_e32 v68, v37, v66, vcc
	v_cndmask_b32_e64 v64, v64, v66, s[6:7]
	v_cndmask_b32_e64 v32, v69, v68, s[12:13]
	;; [unrolled: 1-line block ×5, first 2 shown]
	v_cmp_ne_u32_e32 vcc, 0, v93
	ds_bpermute_b32 v65, v105, v32
	s_waitcnt lgkmcnt(1)
	v_cndmask_b32_e64 v34, v71, v33, s[8:9]
	v_cndmask_b32_e64 v35, v70, v33, s[6:7]
	v_cndmask_b32_e32 v32, v73, v33, vcc
	v_cndmask_b32_e64 v33, v72, v33, s[10:11]
	v_cndmask_b32_e64 v37, v33, v32, s[12:13]
	;; [unrolled: 1-line block ×5, first 2 shown]
	ds_bpermute_b32 v42, v105, v42
	ds_bpermute_b32 v38, v105, v38
	;; [unrolled: 1-line block ×3, first 2 shown]
	v_add_u32_e32 v37, s67, v98
	v_cmp_gt_u32_e32 vcc, 48, v37
	s_and_saveexec_b64 s[18:19], vcc
	s_cbranch_execz .LBB290_42
; %bb.36:                               ;   in Loop: Header=BB290_7 Depth=1
	v_cmp_eq_u32_e64 s[8:9], 1, v94
	v_cmp_eq_u32_e64 s[10:11], 0, v94
	v_cmp_eq_u32_e32 vcc, 3, v94
	s_waitcnt lgkmcnt(2)
	v_cndmask_b32_e64 v45, v45, v42, s[8:9]
	s_waitcnt lgkmcnt(1)
	v_cndmask_b32_e64 v41, v41, v38, s[8:9]
	v_cndmask_b32_e64 v70, v68, v65, s[8:9]
	s_waitcnt lgkmcnt(0)
	v_cndmask_b32_e64 v72, v32, v66, s[8:9]
	s_mul_i32 s8, s65, s21
	s_ashr_i32 s9, s8, 31
	s_lshl_b64 s[8:9], s[8:9], 1
	v_cndmask_b32_e64 v61, v61, v42, s[10:11]
	v_cndmask_b32_e64 v67, v67, v38, s[10:11]
	;; [unrolled: 1-line block ×4, first 2 shown]
	s_add_u32 s10, s40, s8
	s_addc_u32 s11, s41, s9
	s_ashr_i32 s45, s44, 31
	v_cvt_f16_f32_e32 v61, v61
	v_cvt_f16_f32_sdwa v45, v45 dst_sel:WORD_1 dst_unused:UNUSED_PAD src0_sel:DWORD
	v_cvt_f16_f32_e32 v67, v67
	v_cvt_f16_f32_sdwa v41, v41 dst_sel:WORD_1 dst_unused:UNUSED_PAD src0_sel:DWORD
	s_lshl_b64 s[8:9], s[44:45], 1
	s_add_u32 s50, s10, s8
	s_addc_u32 s51, s11, s9
	v_lshl_add_u64 v[32:33], v[50:51], 1, s[50:51]
	v_or_b32_e32 v45, v45, v61
	v_or_b32_e32 v41, v41, v67
	;;#ASMSTART
	global_atomic_pk_add_f16 v[32:33], v45, off
	
	;;#ASMEND
	v_lshl_add_u64 v[68:69], v[32:33], 0, 32
	;;#ASMSTART
	global_atomic_pk_add_f16 v[68:69], v41, off
	
	;;#ASMEND
	v_cvt_f16_f32_e32 v41, v71
	v_cvt_f16_f32_sdwa v45, v70 dst_sel:WORD_1 dst_unused:UNUSED_PAD src0_sel:DWORD
	v_cvt_f16_f32_e32 v61, v73
	v_cvt_f16_f32_sdwa v67, v72 dst_sel:WORD_1 dst_unused:UNUSED_PAD src0_sel:DWORD
	v_cmp_eq_u32_e64 s[6:7], 2, v94
	v_lshl_add_u64 v[68:69], v[32:33], 0, 64
	v_or_b32_e32 v41, v45, v41
	v_cmp_gt_u32_e64 s[8:9], 46, v37
	;;#ASMSTART
	global_atomic_pk_add_f16 v[68:69], v41, off
	
	;;#ASMEND
	v_lshl_add_u64 v[68:69], v[32:33], 0, s[30:31]
	v_or_b32_e32 v41, v67, v61
	;;#ASMSTART
	global_atomic_pk_add_f16 v[68:69], v41, off
	
	;;#ASMEND
	s_and_b64 exec, exec, s[8:9]
	s_cbranch_execz .LBB290_42
; %bb.37:                               ;   in Loop: Header=BB290_7 Depth=1
	v_cndmask_b32_e32 v46, v46, v42, vcc
	v_cndmask_b32_e64 v42, v47, v42, s[6:7]
	v_cvt_f16_f32_e32 v42, v42
	v_cvt_f16_f32_sdwa v46, v46 dst_sel:WORD_1 dst_unused:UNUSED_PAD src0_sel:DWORD
	v_cndmask_b32_e32 v43, v43, v38, vcc
	v_cndmask_b32_e64 v38, v63, v38, s[6:7]
	v_cndmask_b32_e32 v39, v39, v65, vcc
	v_cndmask_b32_e64 v47, v64, v65, s[6:7]
	v_cndmask_b32_e32 v63, v34, v66, vcc
	v_or_b32_e32 v34, v46, v42
	v_cvt_f16_f32_e32 v38, v38
	v_cvt_f16_f32_sdwa v42, v43 dst_sel:WORD_1 dst_unused:UNUSED_PAD src0_sel:DWORD
	v_cvt_f16_f32_e32 v43, v47
	v_cvt_f16_f32_sdwa v39, v39 dst_sel:WORD_1 dst_unused:UNUSED_PAD src0_sel:DWORD
	v_lshl_add_u64 v[32:33], s[28:29], 2, v[32:33]
	v_or_b32_e32 v38, v42, v38
	v_mov_b32_e32 v61, v60
	v_cndmask_b32_e64 v64, v35, v66, s[6:7]
	;;#ASMSTART
	global_atomic_pk_add_f16 v[32:33], v34, off
	
	;;#ASMEND
	v_lshl_add_u64 v[34:35], v[32:33], 0, 32
	;;#ASMSTART
	global_atomic_pk_add_f16 v[34:35], v38, off
	
	;;#ASMEND
	v_or_b32_e32 v42, v39, v43
	v_mov_b32_e32 v38, v60
	v_mov_b32_e32 v39, v60
	v_pk_mul_f32 v[30:31], v[38:39], v[30:31]
	v_pk_mul_f32 v[38:39], v[60:61], v[28:29]
	v_cmp_eq_u32_e32 vcc, 1, v93
	v_mov_b32_e32 v45, v44
	v_lshl_add_u64 v[34:35], v[32:33], 0, 64
	v_cndmask_b32_e32 v28, v38, v39, vcc
	v_cmp_eq_u32_e64 s[6:7], 2, v93
	;;#ASMSTART
	global_atomic_pk_add_f16 v[34:35], v42, off
	
	;;#ASMEND
	v_lshl_add_u64 v[42:43], v[32:33], 0, s[30:31]
	v_mov_b32_e32 v32, v44
	v_mov_b32_e32 v33, v44
	v_cndmask_b32_e64 v28, v28, v30, s[6:7]
	v_cmp_eq_u32_e64 s[8:9], 3, v93
	v_pk_mul_f32 v[26:27], v[32:33], v[26:27]
	v_pk_mul_f32 v[32:33], v[44:45], v[24:25]
	v_cndmask_b32_e64 v28, v28, v31, s[8:9]
	v_cndmask_b32_e32 v24, v32, v33, vcc
	ds_bpermute_b32 v46, v105, v28
	v_cndmask_b32_e64 v24, v24, v26, s[6:7]
	v_cndmask_b32_e64 v24, v24, v27, s[8:9]
	ds_bpermute_b32 v35, v105, v24
	v_cmp_eq_u32_e64 s[10:11], 0, v93
	s_waitcnt lgkmcnt(1)
	v_cndmask_b32_e64 v28, v31, v46, s[8:9]
	v_cndmask_b32_e64 v29, v30, v46, s[6:7]
	v_cndmask_b32_e32 v30, v39, v46, vcc
	v_cndmask_b32_e64 v31, v38, v46, s[10:11]
	v_cmp_eq_u32_e64 s[12:13], 1, v94
	v_mov_b32_e32 v41, v40
	v_cmp_eq_u32_e64 s[14:15], 2, v94
	v_cndmask_b32_e64 v34, v31, v30, s[12:13]
	s_waitcnt lgkmcnt(0)
	v_cndmask_b32_e64 v25, v27, v35, s[8:9]
	v_cndmask_b32_e64 v24, v34, v29, s[14:15]
	;; [unrolled: 1-line block ×3, first 2 shown]
	v_cndmask_b32_e32 v27, v33, v35, vcc
	v_cndmask_b32_e64 v32, v32, v35, s[10:11]
	v_mov_b32_e32 v34, v40
	v_mov_b32_e32 v35, v40
	v_pk_mul_f32 v[38:39], v[40:41], v[20:21]
	v_pk_mul_f32 v[22:23], v[34:35], v[22:23]
	v_cndmask_b32_e32 v20, v38, v39, vcc
	v_cndmask_b32_e64 v20, v20, v22, s[6:7]
	v_cndmask_b32_e64 v20, v20, v23, s[8:9]
	ds_bpermute_b32 v33, v105, v20
	v_mov_b32_e32 v37, v36
	v_pk_mul_f32 v[46:47], v[36:37], v[16:17]
	v_cmp_eq_u32_e64 s[16:17], 3, v94
	v_cndmask_b32_e32 v16, v46, v47, vcc
	s_waitcnt lgkmcnt(0)
	v_cndmask_b32_e32 v34, v39, v33, vcc
	v_cndmask_b32_e64 v35, v38, v33, s[10:11]
	v_mov_b32_e32 v38, v36
	v_mov_b32_e32 v39, v36
	v_pk_mul_f32 v[38:39], v[38:39], v[18:19]
	v_cndmask_b32_e64 v22, v22, v33, s[6:7]
	v_cndmask_b32_e64 v16, v16, v38, s[6:7]
	v_cndmask_b32_e64 v16, v16, v39, s[8:9]
	ds_bpermute_b32 v17, v105, v16
	v_cndmask_b32_e64 v16, v35, v34, s[12:13]
	v_cndmask_b32_e64 v21, v23, v33, s[8:9]
	;; [unrolled: 1-line block ×4, first 2 shown]
	v_cmp_ne_u32_e32 vcc, 0, v93
	ds_bpermute_b32 v23, v105, v16
	s_waitcnt lgkmcnt(1)
	v_cndmask_b32_e64 v18, v39, v17, s[8:9]
	v_cndmask_b32_e64 v19, v38, v17, s[6:7]
	v_cndmask_b32_e32 v16, v47, v17, vcc
	v_cndmask_b32_e64 v17, v46, v17, s[10:11]
	v_cndmask_b32_e64 v20, v32, v27, s[12:13]
	;; [unrolled: 1-line block ×3, first 2 shown]
	v_cvt_f16_f32_e32 v64, v64
	v_cvt_f16_f32_sdwa v63, v63 dst_sel:WORD_1 dst_unused:UNUSED_PAD src0_sel:DWORD
	v_cndmask_b32_e64 v20, v20, v26, s[14:15]
	v_cndmask_b32_e64 v33, v33, v19, s[14:15]
	;; [unrolled: 1-line block ×5, first 2 shown]
	ds_bpermute_b32 v24, v105, v24
	ds_bpermute_b32 v20, v105, v20
	;; [unrolled: 1-line block ×3, first 2 shown]
	v_or_b32_e32 v38, v63, v64
	;;#ASMSTART
	global_atomic_pk_add_f16 v[42:43], v38, off
	
	;;#ASMEND
	v_add_u32_e32 v38, s67, v99
	v_cmp_gt_u32_e32 vcc, 48, v38
	s_and_b64 exec, exec, vcc
	s_cbranch_execz .LBB290_42
; %bb.38:                               ;   in Loop: Header=BB290_7 Depth=1
	v_cmp_eq_u32_e64 s[8:9], 1, v94
	v_cmp_eq_u32_e64 s[10:11], 0, v94
	v_cmp_eq_u32_e32 vcc, 3, v94
	s_waitcnt lgkmcnt(2)
	v_cndmask_b32_e64 v30, v30, v24, s[8:9]
	v_cndmask_b32_e64 v31, v31, v24, s[10:11]
	s_waitcnt lgkmcnt(1)
	v_cndmask_b32_e64 v27, v27, v20, s[8:9]
	v_cndmask_b32_e64 v32, v32, v20, s[10:11]
	v_cvt_f16_f32_e32 v31, v31
	v_cvt_f16_f32_sdwa v30, v30 dst_sel:WORD_1 dst_unused:UNUSED_PAD src0_sel:DWORD
	v_cvt_f16_f32_e32 v32, v32
	v_cvt_f16_f32_sdwa v27, v27 dst_sel:WORD_1 dst_unused:UNUSED_PAD src0_sel:DWORD
	v_cndmask_b32_e64 v34, v34, v23, s[8:9]
	v_cndmask_b32_e64 v35, v35, v23, s[10:11]
	s_waitcnt lgkmcnt(0)
	v_cndmask_b32_e64 v39, v16, v33, s[8:9]
	v_cndmask_b32_e64 v42, v17, v33, s[10:11]
	v_lshl_add_u64 v[16:17], v[52:53], 1, s[50:51]
	v_or_b32_e32 v30, v30, v31
	v_or_b32_e32 v27, v27, v32
	;;#ASMSTART
	global_atomic_pk_add_f16 v[16:17], v30, off
	
	;;#ASMEND
	v_lshl_add_u64 v[30:31], v[16:17], 0, 32
	;;#ASMSTART
	global_atomic_pk_add_f16 v[30:31], v27, off
	
	;;#ASMEND
	v_cvt_f16_f32_e32 v27, v35
	v_cvt_f16_f32_sdwa v32, v34 dst_sel:WORD_1 dst_unused:UNUSED_PAD src0_sel:DWORD
	v_cvt_f16_f32_e32 v34, v42
	v_cvt_f16_f32_sdwa v35, v39 dst_sel:WORD_1 dst_unused:UNUSED_PAD src0_sel:DWORD
	v_cmp_eq_u32_e64 s[6:7], 2, v94
	v_lshl_add_u64 v[30:31], v[16:17], 0, 64
	v_or_b32_e32 v27, v32, v27
	v_cmp_gt_u32_e64 s[8:9], 46, v38
	;;#ASMSTART
	global_atomic_pk_add_f16 v[30:31], v27, off
	
	;;#ASMEND
	v_lshl_add_u64 v[30:31], v[16:17], 0, s[30:31]
	v_or_b32_e32 v27, v35, v34
	;;#ASMSTART
	global_atomic_pk_add_f16 v[30:31], v27, off
	
	;;#ASMEND
	s_and_b64 exec, exec, s[8:9]
	s_cbranch_execz .LBB290_42
; %bb.39:                               ;   in Loop: Header=BB290_7 Depth=1
	v_cndmask_b32_e32 v27, v28, v24, vcc
	v_cndmask_b32_e64 v24, v29, v24, s[6:7]
	v_cndmask_b32_e32 v21, v21, v23, vcc
	v_cndmask_b32_e64 v22, v22, v23, s[6:7]
	v_cvt_f16_f32_e32 v23, v24
	v_cvt_f16_f32_sdwa v24, v27 dst_sel:WORD_1 dst_unused:UNUSED_PAD src0_sel:DWORD
	v_cndmask_b32_e32 v25, v25, v20, vcc
	v_cndmask_b32_e64 v20, v26, v20, s[6:7]
	v_cndmask_b32_e32 v26, v18, v33, vcc
	v_or_b32_e32 v18, v24, v23
	v_cvt_f16_f32_e32 v20, v20
	v_cvt_f16_f32_sdwa v23, v25 dst_sel:WORD_1 dst_unused:UNUSED_PAD src0_sel:DWORD
	v_cvt_f16_f32_e32 v22, v22
	v_cvt_f16_f32_sdwa v21, v21 dst_sel:WORD_1 dst_unused:UNUSED_PAD src0_sel:DWORD
	v_lshl_add_u64 v[16:17], s[28:29], 2, v[16:17]
	v_or_b32_e32 v20, v23, v20
	v_cndmask_b32_e64 v27, v19, v33, s[6:7]
	;;#ASMSTART
	global_atomic_pk_add_f16 v[16:17], v18, off
	
	;;#ASMEND
	v_lshl_add_u64 v[18:19], v[16:17], 0, 32
	;;#ASMSTART
	global_atomic_pk_add_f16 v[18:19], v20, off
	
	;;#ASMEND
	v_or_b32_e32 v22, v21, v22
	v_mov_b32_e32 v20, v60
	v_mov_b32_e32 v21, v60
	v_pk_mul_f32 v[14:15], v[20:21], v[14:15]
	v_pk_mul_f32 v[20:21], v[60:61], v[12:13]
	v_cmp_eq_u32_e32 vcc, 1, v93
	v_lshl_add_u64 v[18:19], v[16:17], 0, 64
	v_cmp_eq_u32_e64 s[6:7], 2, v93
	v_cndmask_b32_e32 v12, v20, v21, vcc
	v_cmp_eq_u32_e64 s[8:9], 3, v93
	v_cndmask_b32_e64 v12, v12, v14, s[6:7]
	;;#ASMSTART
	global_atomic_pk_add_f16 v[18:19], v22, off
	
	;;#ASMEND
	v_lshl_add_u64 v[22:23], v[16:17], 0, s[30:31]
	v_mov_b32_e32 v16, v44
	v_mov_b32_e32 v17, v44
	v_pk_mul_f32 v[18:19], v[44:45], v[8:9]
	v_cndmask_b32_e64 v12, v12, v15, s[8:9]
	v_pk_mul_f32 v[10:11], v[16:17], v[10:11]
	v_cndmask_b32_e32 v8, v18, v19, vcc
	ds_bpermute_b32 v24, v105, v12
	v_cndmask_b32_e64 v8, v8, v10, s[6:7]
	v_cndmask_b32_e64 v8, v8, v11, s[8:9]
	ds_bpermute_b32 v17, v105, v8
	v_cmp_eq_u32_e64 s[10:11], 0, v93
	s_waitcnt lgkmcnt(1)
	v_cndmask_b32_e64 v12, v15, v24, s[8:9]
	v_cndmask_b32_e64 v13, v14, v24, s[6:7]
	v_cndmask_b32_e32 v14, v21, v24, vcc
	v_cndmask_b32_e64 v15, v20, v24, s[10:11]
	v_cmp_eq_u32_e64 s[12:13], 1, v94
	v_cmp_eq_u32_e64 s[14:15], 2, v94
	s_waitcnt lgkmcnt(0)
	v_cndmask_b32_e64 v9, v11, v17, s[8:9]
	v_cndmask_b32_e64 v20, v15, v14, s[12:13]
	;; [unrolled: 1-line block ×4, first 2 shown]
	v_cndmask_b32_e32 v16, v19, v17, vcc
	v_cndmask_b32_e64 v17, v18, v17, s[10:11]
	v_mov_b32_e32 v18, v40
	v_mov_b32_e32 v19, v40
	v_pk_mul_f32 v[20:21], v[40:41], v[0:1]
	v_pk_mul_f32 v[18:19], v[18:19], v[2:3]
	v_cndmask_b32_e32 v0, v20, v21, vcc
	v_cndmask_b32_e64 v0, v0, v18, s[6:7]
	v_cndmask_b32_e64 v0, v0, v19, s[8:9]
	ds_bpermute_b32 v1, v105, v0
	v_cndmask_b32_e64 v0, v17, v16, s[12:13]
	v_cmp_eq_u32_e64 s[16:17], 3, v94
	v_cndmask_b32_e64 v0, v0, v10, s[14:15]
	v_cvt_f16_f32_e32 v25, v27
	s_waitcnt lgkmcnt(0)
	v_cndmask_b32_e64 v3, v19, v1, s[8:9]
	v_cndmask_b32_e64 v11, v18, v1, s[6:7]
	v_mov_b32_e32 v18, v36
	v_mov_b32_e32 v19, v36
	v_pk_mul_f32 v[6:7], v[18:19], v[6:7]
	v_pk_mul_f32 v[18:19], v[36:37], v[4:5]
	v_cndmask_b32_e64 v0, v0, v9, s[16:17]
	v_cndmask_b32_e32 v4, v18, v19, vcc
	v_cndmask_b32_e64 v4, v4, v6, s[6:7]
	v_cndmask_b32_e64 v4, v4, v7, s[8:9]
	ds_bpermute_b32 v2, v105, v0
	v_cndmask_b32_e32 v0, v21, v1, vcc
	v_cndmask_b32_e64 v1, v20, v1, s[10:11]
	ds_bpermute_b32 v20, v105, v4
	v_cmp_ne_u32_e32 vcc, 0, v93
	v_cndmask_b32_e64 v4, v1, v0, s[12:13]
	v_cvt_f16_f32_sdwa v26, v26 dst_sel:WORD_1 dst_unused:UNUSED_PAD src0_sel:DWORD
	v_cndmask_b32_e64 v4, v4, v11, s[14:15]
	s_waitcnt lgkmcnt(0)
	v_cndmask_b32_e64 v5, v7, v20, s[8:9]
	v_cndmask_b32_e64 v6, v6, v20, s[6:7]
	v_cndmask_b32_e32 v19, v19, v20, vcc
	v_cndmask_b32_e64 v20, v18, v20, s[10:11]
	v_cndmask_b32_e64 v7, v20, v19, s[12:13]
	;; [unrolled: 1-line block ×6, first 2 shown]
	ds_bpermute_b32 v8, v105, v8
	ds_bpermute_b32 v4, v105, v4
	;; [unrolled: 1-line block ×3, first 2 shown]
	v_or_b32_e32 v18, v26, v25
	;;#ASMSTART
	global_atomic_pk_add_f16 v[22:23], v18, off
	
	;;#ASMEND
	v_add_u32_e32 v18, s67, v100
	v_cmp_gt_u32_e32 vcc, 48, v18
	s_and_b64 exec, exec, vcc
	s_cbranch_execz .LBB290_42
; %bb.40:                               ;   in Loop: Header=BB290_7 Depth=1
	v_cmp_eq_u32_e64 s[8:9], 1, v94
	v_cmp_eq_u32_e64 s[10:11], 0, v94
	v_cmp_eq_u32_e32 vcc, 3, v94
	s_waitcnt lgkmcnt(2)
	v_cndmask_b32_e64 v14, v14, v8, s[8:9]
	v_cndmask_b32_e64 v15, v15, v8, s[10:11]
	;; [unrolled: 1-line block ×4, first 2 shown]
	v_cvt_f16_f32_e32 v15, v15
	v_cvt_f16_f32_sdwa v14, v14 dst_sel:WORD_1 dst_unused:UNUSED_PAD src0_sel:DWORD
	v_cvt_f16_f32_e32 v17, v17
	v_cvt_f16_f32_sdwa v16, v16 dst_sel:WORD_1 dst_unused:UNUSED_PAD src0_sel:DWORD
	s_waitcnt lgkmcnt(1)
	v_cndmask_b32_e64 v21, v0, v4, s[8:9]
	v_cndmask_b32_e64 v22, v1, v4, s[10:11]
	v_lshl_add_u64 v[0:1], v[54:55], 1, s[50:51]
	v_or_b32_e32 v14, v14, v15
	v_or_b32_e32 v16, v16, v17
	s_waitcnt lgkmcnt(0)
	v_cndmask_b32_e64 v19, v19, v7, s[8:9]
	v_cndmask_b32_e64 v20, v20, v7, s[10:11]
	;;#ASMSTART
	global_atomic_pk_add_f16 v[0:1], v14, off
	
	;;#ASMEND
	v_lshl_add_u64 v[14:15], v[0:1], 0, 32
	;;#ASMSTART
	global_atomic_pk_add_f16 v[14:15], v16, off
	
	;;#ASMEND
	v_cvt_f16_f32_e32 v16, v22
	v_cvt_f16_f32_sdwa v17, v21 dst_sel:WORD_1 dst_unused:UNUSED_PAD src0_sel:DWORD
	v_cvt_f16_f32_e32 v20, v20
	v_cvt_f16_f32_sdwa v19, v19 dst_sel:WORD_1 dst_unused:UNUSED_PAD src0_sel:DWORD
	v_cmp_eq_u32_e64 s[6:7], 2, v94
	v_lshl_add_u64 v[14:15], v[0:1], 0, 64
	v_or_b32_e32 v16, v17, v16
	v_cmp_gt_u32_e64 s[8:9], 46, v18
	;;#ASMSTART
	global_atomic_pk_add_f16 v[14:15], v16, off
	
	;;#ASMEND
	v_lshl_add_u64 v[14:15], v[0:1], 0, s[30:31]
	v_or_b32_e32 v16, v19, v20
	;;#ASMSTART
	global_atomic_pk_add_f16 v[14:15], v16, off
	
	;;#ASMEND
	s_and_b64 exec, exec, s[8:9]
	s_cbranch_execz .LBB290_42
; %bb.41:                               ;   in Loop: Header=BB290_7 Depth=1
	v_cndmask_b32_e32 v12, v12, v8, vcc
	v_cndmask_b32_e64 v8, v13, v8, s[6:7]
	v_cndmask_b32_e32 v9, v9, v2, vcc
	v_cndmask_b32_e64 v2, v10, v2, s[6:7]
	v_cndmask_b32_e32 v10, v3, v4, vcc
	v_cndmask_b32_e32 v5, v5, v7, vcc
	v_cndmask_b32_e64 v6, v6, v7, s[6:7]
	v_cvt_f16_f32_e32 v3, v8
	v_cvt_f16_f32_sdwa v7, v12 dst_sel:WORD_1 dst_unused:UNUSED_PAD src0_sel:DWORD
	v_cvt_f16_f32_e32 v8, v2
	v_cvt_f16_f32_sdwa v9, v9 dst_sel:WORD_1 dst_unused:UNUSED_PAD src0_sel:DWORD
	v_cndmask_b32_e64 v4, v11, v4, s[6:7]
	v_lshl_add_u64 v[0:1], s[28:29], 2, v[0:1]
	v_or_b32_e32 v2, v7, v3
	v_or_b32_e32 v7, v9, v8
	;;#ASMSTART
	global_atomic_pk_add_f16 v[0:1], v2, off
	
	;;#ASMEND
	v_lshl_add_u64 v[2:3], v[0:1], 0, 32
	;;#ASMSTART
	global_atomic_pk_add_f16 v[2:3], v7, off
	
	;;#ASMEND
	v_cvt_f16_f32_e32 v4, v4
	v_cvt_f16_f32_sdwa v7, v10 dst_sel:WORD_1 dst_unused:UNUSED_PAD src0_sel:DWORD
	v_cvt_f16_f32_e32 v6, v6
	v_cvt_f16_f32_sdwa v5, v5 dst_sel:WORD_1 dst_unused:UNUSED_PAD src0_sel:DWORD
	v_lshl_add_u64 v[2:3], v[0:1], 0, 64
	v_or_b32_e32 v4, v7, v4
	;;#ASMSTART
	global_atomic_pk_add_f16 v[2:3], v4, off
	
	;;#ASMEND
	v_lshl_add_u64 v[0:1], v[0:1], 0, s[30:31]
	v_or_b32_e32 v2, v5, v6
	;;#ASMSTART
	global_atomic_pk_add_f16 v[0:1], v2, off
	
	;;#ASMEND
.LBB290_42:                             ;   in Loop: Header=BB290_7 Depth=1
	s_or_b64 exec, exec, s[18:19]
	v_subrev_u32_e32 v106, s68, v106
.LBB290_43:                             ;   in Loop: Header=BB290_7 Depth=1
	s_or_b64 exec, exec, s[48:49]
.LBB290_44:                             ;   in Loop: Header=BB290_7 Depth=1
	s_andn2_saveexec_b64 s[6:7], s[46:47]
	s_cbranch_execz .LBB290_53
; %bb.45:                               ;   in Loop: Header=BB290_7 Depth=1
	s_lshl_b32 s16, s68, 2
	v_cmp_gt_i32_e32 vcc, s16, v106
	s_and_saveexec_b64 s[8:9], vcc
	s_cbranch_execz .LBB290_52
; %bb.46:                               ;   in Loop: Header=BB290_7 Depth=1
	s_mul_i32 s10, s44, s23
	s_ashr_i32 s11, s10, 31
	s_waitcnt lgkmcnt(0)
	s_add_u32 s10, s38, s10
	s_addc_u32 s11, s39, s11
	s_ashr_i32 s12, s66, 31
	s_add_u32 s10, s10, s66
	s_addc_u32 s11, s11, s12
	v_lshl_add_u64 v[0:1], s[10:11], 0, v[58:59]
	v_lshl_add_u64 v[8:9], v[0:1], 0, v[56:57]
	s_mov_b64 s[10:11], 0
	s_branch .LBB290_48
.LBB290_47:                             ;   in Loop: Header=BB290_48 Depth=2
	s_or_b64 exec, exec, s[12:13]
	v_lshl_or_b32 v12, v10, 11, v102
	;;#ASMSTART
	s_waitcnt vmcnt(1)
	;;#ASMEND
	ds_write2_b32 v12, v4, v5 offset1:32
	ds_write2_b32 v12, v6, v7 offset0:64 offset1:96
	v_add_u32_e32 v4, 0x400, v12
	v_add_u32_e32 v106, s26, v106
	;;#ASMSTART
	s_waitcnt vmcnt(0)
	;;#ASMEND
	ds_write2_b32 v4, v0, v1 offset1:32
	ds_write2_b32 v4, v2, v3 offset0:64 offset1:96
	v_add_u32_e32 v0, 1, v90
	v_add_u32_e32 v62, s26, v10
	v_cmp_le_i32_e32 vcc, s16, v106
	ds_write_b32 v11, v0 offset:24
	v_add_u32_e32 v0, 2, v90
	s_or_b64 s[10:11], vcc, s[10:11]
	v_cmp_lt_i32_e32 vcc, 7, v62
	s_nop 1
	v_cndmask_b32_e32 v90, v90, v0, vcc
	s_andn2_b64 exec, exec, s[10:11]
	s_cbranch_execz .LBB290_51
.LBB290_48:                             ;   Parent Loop BB290_7 Depth=1
                                        ; =>  This Loop Header: Depth=2
                                        ;       Child Loop BB290_50 Depth 3
	v_cmp_gt_i32_e32 vcc, 8, v62
	s_nop 1
	v_cndmask_b32_e64 v0, -8, 0, vcc
	v_add_u32_e32 v10, v0, v62
	v_ashrrev_i32_e32 v0, 31, v106
	v_lshrrev_b32_e32 v0, 30, v0
	v_add_u32_e32 v0, v106, v0
	v_and_b32_e32 v1, -4, v0
	v_lshlrev_b32_e32 v0, 5, v0
	v_sub_u32_e32 v2, v106, v1
	v_and_b32_e32 v0, 0xffffff80, v0
	v_ashrrev_i32_e32 v1, 31, v0
	v_mul_lo_u32 v2, s57, v2
	v_lshl_add_u64 v[0:1], v[8:9], 0, v[0:1]
	v_ashrrev_i32_e32 v3, 31, v2
	v_lshl_add_u64 v[0:1], v[0:1], 0, v[2:3]
	v_lshlrev_b32_e32 v11, 2, v10
	;;#ASMSTART
	global_load_dwordx4 v[4:7], v[0:1], off offset:0   sc0 sc1 nt  
	global_load_dwordx4 v[0:3], v[0:1], off offset:64  sc0 sc1 nt  
	
	;;#ASMEND
	ds_read_b32 v12, v11 offset:28696
	v_add_u32_e32 v11, 0x7000, v11
	s_waitcnt lgkmcnt(0)
	v_cmp_ne_u32_e32 vcc, v12, v90
	s_and_saveexec_b64 s[12:13], vcc
	s_cbranch_execz .LBB290_47
; %bb.49:                               ;   in Loop: Header=BB290_48 Depth=2
	s_mov_b64 s[14:15], 0
.LBB290_50:                             ;   Parent Loop BB290_7 Depth=1
                                        ;     Parent Loop BB290_48 Depth=2
                                        ; =>    This Inner Loop Header: Depth=3
	;;#ASMSTART
	s_sleep 0
	;;#ASMEND
	ds_read_b32 v12, v11 offset:24
	s_waitcnt lgkmcnt(0)
	v_cmp_eq_u32_e32 vcc, v12, v90
	s_or_b64 s[14:15], vcc, s[14:15]
	s_andn2_b64 exec, exec, s[14:15]
	s_cbranch_execnz .LBB290_50
	s_branch .LBB290_47
.LBB290_51:                             ;   in Loop: Header=BB290_7 Depth=1
	s_or_b64 exec, exec, s[10:11]
.LBB290_52:                             ;   in Loop: Header=BB290_7 Depth=1
	s_or_b64 exec, exec, s[8:9]
	v_subrev_u32_e32 v106, s16, v106
.LBB290_53:                             ;   in Loop: Header=BB290_7 Depth=1
	s_or_b64 exec, exec, s[6:7]
.LBB290_54:                             ;   in Loop: Header=BB290_7 Depth=1
	s_andn2_saveexec_b64 s[6:7], s[34:35]
	s_cbranch_execz .LBB290_6
; %bb.55:                               ;   in Loop: Header=BB290_7 Depth=1
	s_mul_i32 s68, s68, 3
	v_cmp_gt_i32_e32 vcc, s68, v106
	s_and_saveexec_b64 s[8:9], vcc
	s_cbranch_execz .LBB290_5
; %bb.56:                               ;   in Loop: Header=BB290_7 Depth=1
	s_mul_i32 s65, s65, s22
	s_ashr_i32 s10, s65, 31
	s_waitcnt lgkmcnt(0)
	s_add_u32 s11, s36, s65
	v_add_u32_e32 v2, s67, v101
	s_addc_u32 s12, s37, s10
	s_ashr_i32 s13, s66, 31
	v_cmp_gt_u32_e32 vcc, 48, v2
	s_add_u32 s10, s11, s66
	s_addc_u32 s11, s12, s13
	v_cndmask_b32_e32 v0, 0, v103, vcc
	v_ashrrev_i32_e32 v1, 31, v0
	v_lshl_add_u64 v[0:1], s[10:11], 0, v[0:1]
	v_lshl_add_u64 v[8:9], v[0:1], 0, v[56:57]
	v_sub_u32_e32 v10, 47, v2
	s_mov_b64 s[10:11], 0
	s_branch .LBB290_58
.LBB290_57:                             ;   in Loop: Header=BB290_58 Depth=2
	s_or_b64 exec, exec, s[12:13]
	v_lshl_add_u32 v13, v11, 11, v104
	;;#ASMSTART
	s_waitcnt vmcnt(1)
	;;#ASMEND
	ds_write2_b32 v13, v4, v5 offset1:32
	ds_write2_b32 v13, v6, v7 offset0:64 offset1:96
	v_add_u32_e32 v4, 0x400, v13
	v_add_u32_e32 v106, s25, v106
	;;#ASMSTART
	s_waitcnt vmcnt(0)
	;;#ASMEND
	ds_write2_b32 v4, v0, v1 offset1:32
	ds_write2_b32 v4, v2, v3 offset0:64 offset1:96
	v_add_u32_e32 v0, 1, v90
	v_add_u32_e32 v62, s25, v11
	v_cmp_le_i32_e32 vcc, s68, v106
	ds_write_b32 v12, v0
	v_add_u32_e32 v0, 2, v90
	s_or_b64 s[10:11], vcc, s[10:11]
	v_cmp_lt_i32_e32 vcc, 5, v62
	s_nop 1
	v_cndmask_b32_e32 v90, v90, v0, vcc
	s_andn2_b64 exec, exec, s[10:11]
	s_cbranch_execz .LBB290_4
.LBB290_58:                             ;   Parent Loop BB290_7 Depth=1
                                        ; =>  This Loop Header: Depth=2
                                        ;       Child Loop BB290_60 Depth 3
	v_cmp_gt_i32_e32 vcc, 6, v62
	s_nop 1
	v_cndmask_b32_e64 v0, -6, 0, vcc
	v_add_u32_e32 v11, v0, v62
	v_mul_hi_i32 v0, v106, s64
	v_lshrrev_b32_e32 v1, 31, v0
	v_add_u32_e32 v0, v0, v1
	v_lshl_add_u32 v1, v0, 1, v0
	v_sub_u32_e32 v1, v106, v1
	v_lshlrev_b32_e32 v1, 4, v1
	v_cmp_le_i32_e32 vcc, v1, v10
	v_lshlrev_b32_e32 v0, 7, v0
	v_lshlrev_b32_e32 v12, 2, v11
	v_cndmask_b32_e32 v2, 0, v1, vcc
	v_ashrrev_i32_e32 v1, 31, v0
	v_mul_lo_u32 v2, v2, s22
	v_lshl_add_u64 v[0:1], v[8:9], 0, v[0:1]
	v_ashrrev_i32_e32 v3, 31, v2
	v_lshl_add_u64 v[0:1], v[0:1], 0, v[2:3]
	;;#ASMSTART
	global_load_dwordx4 v[4:7], v[0:1], off offset:0   
	global_load_dwordx4 v[0:3], v[0:1], off offset:64  
	
	;;#ASMEND
	ds_read_b32 v13, v12 offset:28672
	v_add_u32_e32 v12, 0x7000, v12
	s_waitcnt lgkmcnt(0)
	v_cmp_ne_u32_e32 vcc, v13, v90
	s_and_saveexec_b64 s[12:13], vcc
	s_cbranch_execz .LBB290_57
; %bb.59:                               ;   in Loop: Header=BB290_58 Depth=2
	s_mov_b64 s[14:15], 0
.LBB290_60:                             ;   Parent Loop BB290_7 Depth=1
                                        ;     Parent Loop BB290_58 Depth=2
                                        ; =>    This Inner Loop Header: Depth=3
	;;#ASMSTART
	s_sleep 0
	;;#ASMEND
	ds_read_b32 v13, v12
	s_waitcnt lgkmcnt(0)
	v_cmp_eq_u32_e32 vcc, v13, v90
	s_or_b64 s[14:15], vcc, s[14:15]
	s_andn2_b64 exec, exec, s[14:15]
	s_cbranch_execnz .LBB290_60
	s_branch .LBB290_57
.LBB290_61:
	s_endpgm
	.section	.rodata,"a",@progbits
	.p2align	6, 0x0
	.amdhsa_kernel _Z19_skinny_gemm_kernelILi3ELi4ELi2ELi16ELi4EEvPKhS1_P6__halfPKfiiiiiiii
		.amdhsa_group_segment_fixed_size 28728
		.amdhsa_private_segment_fixed_size 0
		.amdhsa_kernarg_size 64
		.amdhsa_user_sgpr_count 2
		.amdhsa_user_sgpr_dispatch_ptr 0
		.amdhsa_user_sgpr_queue_ptr 0
		.amdhsa_user_sgpr_kernarg_segment_ptr 1
		.amdhsa_user_sgpr_dispatch_id 0
		.amdhsa_user_sgpr_kernarg_preload_length 0
		.amdhsa_user_sgpr_kernarg_preload_offset 0
		.amdhsa_user_sgpr_private_segment_size 0
		.amdhsa_uses_dynamic_stack 0
		.amdhsa_enable_private_segment 0
		.amdhsa_system_sgpr_workgroup_id_x 1
		.amdhsa_system_sgpr_workgroup_id_y 0
		.amdhsa_system_sgpr_workgroup_id_z 0
		.amdhsa_system_sgpr_workgroup_info 0
		.amdhsa_system_vgpr_workitem_id 0
		.amdhsa_next_free_vgpr 116
		.amdhsa_next_free_sgpr 69
		.amdhsa_accum_offset 116
		.amdhsa_reserve_vcc 1
		.amdhsa_float_round_mode_32 0
		.amdhsa_float_round_mode_16_64 0
		.amdhsa_float_denorm_mode_32 3
		.amdhsa_float_denorm_mode_16_64 3
		.amdhsa_dx10_clamp 1
		.amdhsa_ieee_mode 1
		.amdhsa_fp16_overflow 0
		.amdhsa_tg_split 0
		.amdhsa_exception_fp_ieee_invalid_op 0
		.amdhsa_exception_fp_denorm_src 0
		.amdhsa_exception_fp_ieee_div_zero 0
		.amdhsa_exception_fp_ieee_overflow 0
		.amdhsa_exception_fp_ieee_underflow 0
		.amdhsa_exception_fp_ieee_inexact 0
		.amdhsa_exception_int_div_zero 0
	.end_amdhsa_kernel
	.section	.text._Z19_skinny_gemm_kernelILi3ELi4ELi2ELi16ELi4EEvPKhS1_P6__halfPKfiiiiiiii,"axG",@progbits,_Z19_skinny_gemm_kernelILi3ELi4ELi2ELi16ELi4EEvPKhS1_P6__halfPKfiiiiiiii,comdat
.Lfunc_end290:
	.size	_Z19_skinny_gemm_kernelILi3ELi4ELi2ELi16ELi4EEvPKhS1_P6__halfPKfiiiiiiii, .Lfunc_end290-_Z19_skinny_gemm_kernelILi3ELi4ELi2ELi16ELi4EEvPKhS1_P6__halfPKfiiiiiiii
                                        ; -- End function
	.set _Z19_skinny_gemm_kernelILi3ELi4ELi2ELi16ELi4EEvPKhS1_P6__halfPKfiiiiiiii.num_vgpr, 116
	.set _Z19_skinny_gemm_kernelILi3ELi4ELi2ELi16ELi4EEvPKhS1_P6__halfPKfiiiiiiii.num_agpr, 0
	.set _Z19_skinny_gemm_kernelILi3ELi4ELi2ELi16ELi4EEvPKhS1_P6__halfPKfiiiiiiii.numbered_sgpr, 69
	.set _Z19_skinny_gemm_kernelILi3ELi4ELi2ELi16ELi4EEvPKhS1_P6__halfPKfiiiiiiii.num_named_barrier, 0
	.set _Z19_skinny_gemm_kernelILi3ELi4ELi2ELi16ELi4EEvPKhS1_P6__halfPKfiiiiiiii.private_seg_size, 0
	.set _Z19_skinny_gemm_kernelILi3ELi4ELi2ELi16ELi4EEvPKhS1_P6__halfPKfiiiiiiii.uses_vcc, 1
	.set _Z19_skinny_gemm_kernelILi3ELi4ELi2ELi16ELi4EEvPKhS1_P6__halfPKfiiiiiiii.uses_flat_scratch, 0
	.set _Z19_skinny_gemm_kernelILi3ELi4ELi2ELi16ELi4EEvPKhS1_P6__halfPKfiiiiiiii.has_dyn_sized_stack, 0
	.set _Z19_skinny_gemm_kernelILi3ELi4ELi2ELi16ELi4EEvPKhS1_P6__halfPKfiiiiiiii.has_recursion, 0
	.set _Z19_skinny_gemm_kernelILi3ELi4ELi2ELi16ELi4EEvPKhS1_P6__halfPKfiiiiiiii.has_indirect_call, 0
	.section	.AMDGPU.csdata,"",@progbits
; Kernel info:
; codeLenInByte = 7000
; TotalNumSgprs: 75
; NumVgprs: 116
; NumAgprs: 0
; TotalNumVgprs: 116
; ScratchSize: 0
; MemoryBound: 0
; FloatMode: 240
; IeeeMode: 1
; LDSByteSize: 28728 bytes/workgroup (compile time only)
; SGPRBlocks: 9
; VGPRBlocks: 14
; NumSGPRsForWavesPerEU: 75
; NumVGPRsForWavesPerEU: 116
; AccumOffset: 116
; Occupancy: 4
; WaveLimiterHint : 0
; COMPUTE_PGM_RSRC2:SCRATCH_EN: 0
; COMPUTE_PGM_RSRC2:USER_SGPR: 2
; COMPUTE_PGM_RSRC2:TRAP_HANDLER: 0
; COMPUTE_PGM_RSRC2:TGID_X_EN: 1
; COMPUTE_PGM_RSRC2:TGID_Y_EN: 0
; COMPUTE_PGM_RSRC2:TGID_Z_EN: 0
; COMPUTE_PGM_RSRC2:TIDIG_COMP_CNT: 0
; COMPUTE_PGM_RSRC3_GFX90A:ACCUM_OFFSET: 28
; COMPUTE_PGM_RSRC3_GFX90A:TG_SPLIT: 0
	.section	.text._Z19_skinny_gemm_kernelILi3ELi4ELi2ELi16ELi8EEvPKhS1_P6__halfPKfiiiiiiii,"axG",@progbits,_Z19_skinny_gemm_kernelILi3ELi4ELi2ELi16ELi8EEvPKhS1_P6__halfPKfiiiiiiii,comdat
	.protected	_Z19_skinny_gemm_kernelILi3ELi4ELi2ELi16ELi8EEvPKhS1_P6__halfPKfiiiiiiii ; -- Begin function _Z19_skinny_gemm_kernelILi3ELi4ELi2ELi16ELi8EEvPKhS1_P6__halfPKfiiiiiiii
	.globl	_Z19_skinny_gemm_kernelILi3ELi4ELi2ELi16ELi8EEvPKhS1_P6__halfPKfiiiiiiii
	.p2align	8
	.type	_Z19_skinny_gemm_kernelILi3ELi4ELi2ELi16ELi8EEvPKhS1_P6__halfPKfiiiiiiii,@function
_Z19_skinny_gemm_kernelILi3ELi4ELi2ELi16ELi8EEvPKhS1_P6__halfPKfiiiiiiii: ; @_Z19_skinny_gemm_kernelILi3ELi4ELi2ELi16ELi8EEvPKhS1_P6__halfPKfiiiiiiii
; %bb.0:
	v_cmp_gt_u32_e32 vcc, 14, v0
	v_lshlrev_b32_e32 v1, 2, v0
	s_and_saveexec_b64 s[4:5], vcc
; %bb.1:
	v_mov_b32_e32 v2, 0
	ds_write_b32 v1, v2 offset:57344
; %bb.2:
	s_or_b64 exec, exec, s[4:5]
	s_load_dwordx8 s[20:27], s[0:1], 0x20
	s_waitcnt lgkmcnt(0)
	s_barrier
	s_add_i32 s3, s20, 47
	s_add_i32 s4, s21, 63
	s_mul_hi_i32 s3, s3, 0x2aaaaaab
	s_lshr_b32 s5, s3, 31
	s_ashr_i32 s33, s3, 3
	s_ashr_i32 s3, s4, 31
	s_lshr_b32 s3, s3, 26
	s_add_i32 s4, s4, s3
	s_add_i32 s33, s33, s5
	s_ashr_i32 s52, s4, 6
	s_mul_i32 s3, s52, s33
	s_mul_i32 s3, s3, s24
	s_add_i32 s4, s3, 0x12f
	s_mul_hi_i32 s4, s4, 0x6bca1af3
	s_lshr_b32 s5, s4, 31
	s_ashr_i32 s4, s4, 7
	s_add_i32 s4, s4, s5
	s_add_i32 s5, s2, 1
	s_mul_i32 s5, s4, s5
	v_cvt_f64_i32_e32 v[2:3], s3
	v_cvt_f64_u32_e32 v[4:5], s5
	v_min_f64 v[2:3], v[2:3], v[4:5]
	v_cvt_i32_f64_e32 v49, v[2:3]
	s_mul_i32 s53, s4, s2
	v_cmp_ge_i32_e32 vcc, s53, v49
	s_cbranch_vccnz .LBB291_61
; %bb.3:
	v_lshrrev_b32_e32 v2, 6, v0
	s_add_i32 s4, s26, s25
	s_load_dwordx8 s[36:43], s[0:1], 0x0
	v_cmp_le_i32_e64 s[0:1], s4, v2
	v_mov_b32_e32 v3, s25
	v_cmp_le_i32_e64 s[2:3], s25, v2
	v_mov_b32_e32 v4, s26
	v_cndmask_b32_e64 v4, 0, v4, s[0:1]
	v_cndmask_b32_e64 v3, 0, v3, s[2:3]
	s_abs_i32 s5, s24
	v_add_u32_e32 v3, v3, v4
	v_cvt_f32_u32_e32 v4, s5
	v_sub_u32_e32 v62, v2, v3
	s_ashr_i32 s6, s22, 31
	s_lshr_b32 s6, s6, 24
	v_rcp_iflag_f32_e32 v3, v4
	s_sub_i32 s9, 0, s5
	s_add_i32 s6, s22, s6
	s_ashr_i32 s6, s6, 8
	v_mul_f32_e32 v3, 0x4f7ffffe, v3
	v_cvt_u32_f32_e32 v3, v3
	s_abs_i32 s8, s6
	s_xor_b32 s7, s6, s24
	s_ashr_i32 s7, s7, 31
	v_readfirstlane_b32 s10, v3
	s_mul_i32 s9, s9, s10
	s_mul_hi_u32 s9, s10, s9
	s_add_i32 s10, s10, s9
	s_mul_hi_u32 s9, s8, s10
	s_mul_i32 s10, s9, s5
	s_sub_i32 s8, s8, s10
	s_add_i32 s10, s9, 1
	s_sub_i32 s11, s8, s5
	s_cmp_ge_u32 s8, s5
	s_cselect_b32 s9, s10, s9
	s_cselect_b32 s8, s11, s8
	s_add_i32 s10, s9, 1
	s_cmp_ge_u32 s8, s5
	s_cselect_b32 s5, s10, s9
	s_xor_b32 s5, s5, s7
	s_sub_i32 s54, s5, s7
	s_add_i32 s24, s24, -1
	s_mul_i32 s5, s54, s24
	s_add_i32 s4, s4, s27
	s_sub_i32 s55, s6, s5
	v_cmp_gt_i32_e64 s[4:5], s4, v2
	v_lshlrev_b32_e32 v2, 1, v0
	v_lshlrev_b32_e32 v3, 4, v0
	v_and_b32_e32 v1, 60, v1
	v_and_b32_e32 v2, 64, v2
	;; [unrolled: 1-line block ×3, first 2 shown]
	v_or3_b32 v117, v1, v2, v4
	v_and_b32_e32 v1, 1, v0
	v_lshrrev_b32_e32 v4, 2, v0
	v_and_b32_e32 v66, 14, v0
	v_and_or_b32 v67, v4, 12, v1
	v_mad_u64_u32 v[4:5], s[6:7], s21, v67, v[66:67]
	v_ashrrev_i32_e32 v5, 31, v4
	s_lshl_b32 s6, s21, 4
	scratch_store_dwordx2 off, v[4:5], off offset:12 ; 8-byte Folded Spill
	v_add_u32_e32 v4, s6, v4
	s_abs_i32 s56, s33
	v_ashrrev_i32_e32 v5, 31, v4
	v_and_b32_e32 v56, 48, v3
	v_cvt_f32_u32_e32 v3, s56
	scratch_store_dwordx2 off, v[4:5], off offset:28 ; 8-byte Folded Spill
	v_add_u32_e32 v4, s6, v4
	v_lshlrev_b32_e32 v2, 1, v1
	v_ashrrev_i32_e32 v5, 31, v4
	v_sub_u32_e32 v2, v0, v2
	v_bitop3_b32 v118, v0, 1, v0 bitop3:0xc
	v_bitop3_b32 v119, v0, 3, 1 bitop3:0x6c
	scratch_store_dwordx2 off, v[4:5], off offset:36 ; 8-byte Folded Spill
	v_bfe_u32 v48, v0, 2, 4
	v_and_b32_e32 v1, 60, v0
	v_lshlrev_b32_e32 v4, 8, v0
	v_lshlrev_b32_e32 v0, 6, v0
	v_and_b32_e32 v4, 0x200, v4
	v_rcp_iflag_f32_e32 v3, v3
	v_and_b32_e32 v0, 64, v0
	s_abs_i32 s58, s52
	v_or3_b32 v122, v1, v4, v0
	v_cvt_f32_u32_e32 v1, s58
	v_mul_f32_e32 v0, 0x4f7ffffe, v3
	v_cvt_u32_f32_e32 v0, v0
	s_sub_i32 s6, 0, s56
	v_rcp_iflag_f32_e32 v1, v1
	v_add_u32_e32 v2, 1, v2
	v_readfirstlane_b32 s7, v0
	s_mul_i32 s6, s6, s7
	v_mul_f32_e32 v0, 0x4f7ffffe, v1
	v_cvt_u32_f32_e32 v0, v0
	s_mul_hi_u32 s6, s7, s6
	s_add_i32 s60, s7, s6
	s_sub_i32 s6, 0, s58
	v_readfirstlane_b32 s7, v0
	v_mbcnt_lo_u32_b32 v0, -1, 0
	v_and_b32_e32 v2, 63, v2
	s_mul_i32 s6, s6, s7
	v_mbcnt_hi_u32_b32 v0, -1, v0
	v_mul_lo_u32 v68, s23, v48
	s_mul_hi_u32 s6, s7, s6
	v_and_or_b32 v0, v0, 64, v2
	v_cndmask_b32_e64 v116, 0, 1, s[0:1]
	s_ashr_i32 s29, s21, 31
	s_mov_b32 s28, s21
	v_ashrrev_i32_e32 v69, 31, v68
	v_mov_b32_e32 v57, 0
	s_lshl_b32 s57, s23, 4
	s_ashr_i32 s59, s33, 31
	s_ashr_i32 s61, s52, 31
	s_add_i32 s62, s7, s6
	s_movk_i32 s63, 0x3000
	s_mov_b64 s[30:31], 0x60
	s_mov_b32 s64, 0x55555556
	v_lshlrev_b32_e32 v123, 2, v0
	v_mov_b32_e32 v124, v62
	scratch_store_dwordx2 off, v[66:67], off ; 8-byte Folded Spill
	scratch_store_dword off, v67, off offset:8 ; 4-byte Folded Spill
	scratch_store_dwordx2 off, v[68:69], off offset:20 ; 8-byte Folded Spill
	s_branch .LBB291_7
.LBB291_4:                              ;   in Loop: Header=BB291_7 Depth=1
	s_or_b64 exec, exec, s[10:11]
.LBB291_5:                              ;   in Loop: Header=BB291_7 Depth=1
	s_or_b64 exec, exec, s[8:9]
	v_subrev_u32_e32 v124, s68, v124
.LBB291_6:                              ;   in Loop: Header=BB291_7 Depth=1
	s_or_b64 exec, exec, s[6:7]
	s_add_i32 s53, s53, 1
	v_cmp_ge_i32_e32 vcc, s53, v49
	s_cbranch_vccnz .LBB291_61
.LBB291_7:                              ; =>This Loop Header: Depth=1
                                        ;     Child Loop BB291_13 Depth 2
                                        ;       Child Loop BB291_15 Depth 3
                                        ;       Child Loop BB291_18 Depth 3
	;; [unrolled: 1-line block ×7, first 2 shown]
                                        ;     Child Loop BB291_48 Depth 2
                                        ;       Child Loop BB291_50 Depth 3
                                        ;     Child Loop BB291_58 Depth 2
                                        ;       Child Loop BB291_60 Depth 3
	s_abs_i32 s7, s53
	s_mul_hi_u32 s8, s7, s60
	s_mul_i32 s9, s8, s56
	s_ashr_i32 s6, s53, 31
	s_sub_i32 s7, s7, s9
	s_xor_b32 s6, s6, s59
	s_add_i32 s9, s8, 1
	s_sub_i32 s10, s7, s56
	s_cmp_ge_u32 s7, s56
	s_cselect_b32 s8, s9, s8
	s_cselect_b32 s7, s10, s7
	s_add_i32 s9, s8, 1
	s_cmp_ge_u32 s7, s56
	s_cselect_b32 s7, s9, s8
	s_xor_b32 s7, s7, s6
	s_sub_i32 s6, s7, s6
	s_abs_i32 s8, s6
	s_mul_hi_u32 s9, s8, s62
	s_mul_i32 s7, s6, s33
	s_mul_i32 s10, s9, s58
	s_sub_i32 s65, s53, s7
	s_ashr_i32 s7, s6, 31
	s_sub_i32 s8, s8, s10
	s_xor_b32 s7, s7, s61
	s_add_i32 s10, s9, 1
	s_sub_i32 s11, s8, s58
	s_cmp_ge_u32 s8, s58
	s_cselect_b32 s9, s10, s9
	s_cselect_b32 s8, s11, s8
	s_add_i32 s10, s9, 1
	s_cmp_ge_u32 s8, s58
	s_cselect_b32 s8, s10, s9
	s_xor_b32 s8, s8, s7
	s_sub_i32 s7, s8, s7
	s_mul_i32 s8, s7, s54
	s_lshl_b32 s66, s8, 8
	s_mul_i32 s65, s65, 48
	s_cmp_eq_u32 s7, s24
	s_cselect_b32 s68, s55, s54
	s_sub_i32 s8, s65, s20
	s_add_i32 s8, s8, 48
	s_max_i32 s67, s8, 0
	s_and_saveexec_b64 s[8:9], s[2:3]
	s_xor_b64 s[34:35], exec, s[8:9]
	s_cbranch_execz .LBB291_54
; %bb.8:                                ;   in Loop: Header=BB291_7 Depth=1
	s_mul_i32 s7, s7, s52
	s_sub_i32 s6, s6, s7
	s_lshl_b32 s6, s6, 6
	s_sub_i32 s45, s6, s21
	s_add_i32 s45, s45, 64
	s_max_i32 s7, s45, 0
	s_sub_i32 s44, s6, s7
	s_and_saveexec_b64 s[6:7], s[0:1]
	s_xor_b64 s[46:47], exec, s[6:7]
	s_cbranch_execz .LBB291_44
; %bb.9:                                ;   in Loop: Header=BB291_7 Depth=1
	s_and_saveexec_b64 s[48:49], s[4:5]
	s_cbranch_execz .LBB291_43
; %bb.10:                               ;   in Loop: Header=BB291_7 Depth=1
	s_waitcnt lgkmcnt(0)
	global_load_dword v125, v57, s[42:43]
	v_mov_b32_e32 v47, 0
	v_cmp_gt_i32_e32 vcc, s68, v124
	v_mov_b32_e32 v46, v47
	v_mov_b32_e32 v45, v47
	;; [unrolled: 1-line block ×47, first 2 shown]
	s_and_saveexec_b64 s[6:7], vcc
	s_cbranch_execz .LBB291_35
; %bb.11:                               ;   in Loop: Header=BB291_7 Depth=1
	v_mov_b32_e32 v8, 0
	s_mov_b64 s[8:9], 0
	v_mov_b32_e32 v9, v8
	v_mov_b32_e32 v10, v8
	;; [unrolled: 1-line block ×47, first 2 shown]
	s_branch .LBB291_13
.LBB291_12:                             ;   in Loop: Header=BB291_13 Depth=2
	s_or_b64 exec, exec, s[10:11]
	v_add_u32_e32 v52, 0x3000, v54
	ds_read2_b32 v[50:51], v52 offset1:32
	ds_read2_b32 v[52:53], v52 offset0:128 offset1:160
	v_add_u32_e32 v124, s27, v124
	s_waitcnt lgkmcnt(1)
	v_mfma_f32_16x16x32_fp8_fp8 v[32:35], v[60:61], v[50:51], v[32:35]
	v_add_u32_e32 v60, 0x3400, v54
	ds_read2_b32 v[58:59], v60 offset1:32
	ds_read2_b32 v[60:61], v60 offset0:128 offset1:160
	v_mfma_f32_16x16x32_fp8_fp8 v[16:19], v[76:77], v[50:51], v[16:19]
	v_mfma_f32_16x16x32_fp8_fp8 v[8:11], v[94:95], v[50:51], v[8:11]
	v_add_u32_e32 v50, 2, v116
	s_waitcnt lgkmcnt(2)
	v_mfma_f32_16x16x32_fp8_fp8 v[32:35], v[62:63], v[52:53], v[32:35]
	v_mfma_f32_16x16x32_fp8_fp8 v[16:19], v[78:79], v[52:53], v[16:19]
	;; [unrolled: 1-line block ×3, first 2 shown]
	s_waitcnt lgkmcnt(1)
	v_mfma_f32_16x16x32_fp8_fp8 v[32:35], v[68:69], v[58:59], v[32:35]
	v_add_u32_e32 v68, 0x3800, v54
	ds_read2_b32 v[62:63], v68 offset1:32
	v_add_u32_e32 v54, 0x3c00, v54
	v_mfma_f32_16x16x32_fp8_fp8 v[16:19], v[80:81], v[58:59], v[16:19]
	v_mfma_f32_16x16x32_fp8_fp8 v[8:11], v[112:113], v[58:59], v[8:11]
	s_waitcnt lgkmcnt(1)
	v_mfma_f32_16x16x32_fp8_fp8 v[32:35], v[64:65], v[60:61], v[32:35]
	ds_read2_b32 v[64:65], v68 offset0:128 offset1:160
	ds_read2_b32 v[68:69], v54 offset0:128 offset1:160
	v_mfma_f32_16x16x32_fp8_fp8 v[16:19], v[82:83], v[60:61], v[16:19]
	v_mfma_f32_16x16x32_fp8_fp8 v[8:11], v[114:115], v[60:61], v[8:11]
	s_waitcnt lgkmcnt(2)
	v_mfma_f32_16x16x32_fp8_fp8 v[32:35], v[70:71], v[62:63], v[32:35]
	v_mfma_f32_16x16x32_fp8_fp8 v[16:19], v[84:85], v[62:63], v[16:19]
	;; [unrolled: 1-line block ×3, first 2 shown]
	v_add_u32_e32 v62, s27, v126
	v_cmp_lt_i32_e32 vcc, 1, v62
	s_waitcnt lgkmcnt(1)
	v_mfma_f32_16x16x32_fp8_fp8 v[32:35], v[66:67], v[64:65], v[32:35]
	ds_read2_b32 v[66:67], v54 offset1:32
	v_cndmask_b32_e32 v116, v116, v50, vcc
	v_cmp_le_i32_e32 vcc, s68, v124
	v_mfma_f32_16x16x32_fp8_fp8 v[16:19], v[86:87], v[64:65], v[16:19]
	s_or_b64 s[8:9], vcc, s[8:9]
	;;#ASMSTART
	s_waitcnt lgkmcnt(0)
	;;#ASMEND
	ds_write_b32 v127, v55 offset:57380
	v_mfma_f32_16x16x32_fp8_fp8 v[8:11], v[102:103], v[64:65], v[8:11]
	s_waitcnt lgkmcnt(1)
	v_mfma_f32_16x16x32_fp8_fp8 v[32:35], v[72:73], v[66:67], v[32:35]
	v_mfma_f32_16x16x32_fp8_fp8 v[16:19], v[88:89], v[66:67], v[16:19]
	;; [unrolled: 1-line block ×6, first 2 shown]
	s_andn2_b64 exec, exec, s[8:9]
	s_cbranch_execz .LBB291_34
.LBB291_13:                             ;   Parent Loop BB291_7 Depth=1
                                        ; =>  This Loop Header: Depth=2
                                        ;       Child Loop BB291_15 Depth 3
                                        ;       Child Loop BB291_18 Depth 3
	;; [unrolled: 1-line block ×7, first 2 shown]
	v_cmp_gt_i32_e32 vcc, 2, v62
	s_nop 1
	v_cndmask_b32_e64 v50, -2, 0, vcc
	v_add_u32_e32 v126, v50, v62
	v_lshlrev_b32_e32 v127, 4, v126
	ds_read_b32 v50, v127 offset:57368
	s_waitcnt lgkmcnt(0)
	v_cmp_ne_u32_e32 vcc, v50, v116
	s_and_saveexec_b64 s[10:11], vcc
	s_cbranch_execz .LBB291_16
; %bb.14:                               ;   in Loop: Header=BB291_13 Depth=2
	s_mov_b64 s[12:13], 0
.LBB291_15:                             ;   Parent Loop BB291_7 Depth=1
                                        ;     Parent Loop BB291_13 Depth=2
                                        ; =>    This Inner Loop Header: Depth=3
	;;#ASMSTART
	s_sleep 0
	;;#ASMEND
	ds_read_b32 v50, v127 offset:57368
	s_waitcnt lgkmcnt(0)
	v_cmp_eq_u32_e32 vcc, v50, v116
	s_or_b64 s[12:13], vcc, s[12:13]
	s_andn2_b64 exec, exec, s[12:13]
	s_cbranch_execnz .LBB291_15
.LBB291_16:                             ;   in Loop: Header=BB291_13 Depth=2
	s_or_b64 exec, exec, s[10:11]
	v_lshl_or_b32 v54, v126, 14, v117
	v_add_u32_e32 v50, 0x400, v54
	ds_read2_b32 v[92:93], v54 offset1:32
	ds_read2_b32 v[98:99], v54 offset0:128 offset1:160
	ds_read2_b32 v[100:101], v50 offset1:32
	ds_read2_b32 v[102:103], v50 offset0:128 offset1:160
	v_add_u32_e32 v50, 0x800, v54
	ds_read2_b32 v[104:105], v50 offset1:32
	ds_read2_b32 v[106:107], v50 offset0:128 offset1:160
	v_add_u32_e32 v50, 0xc00, v54
	v_add_u32_e32 v55, 1, v116
	ds_read2_b32 v[110:111], v50 offset1:32
	ds_read2_b32 v[108:109], v50 offset0:128 offset1:160
	;;#ASMSTART
	s_waitcnt lgkmcnt(0)
	;;#ASMEND
	ds_write_b32 v127, v55 offset:57368
	v_mul_lo_u32 v52, v126, 12
	ds_read_b32 v50, v52 offset:57344
	s_waitcnt lgkmcnt(0)
	v_cmp_ne_u32_e32 vcc, v50, v116
	s_and_saveexec_b64 s[10:11], vcc
	s_cbranch_execz .LBB291_19
; %bb.17:                               ;   in Loop: Header=BB291_13 Depth=2
	s_mov_b64 s[12:13], 0
.LBB291_18:                             ;   Parent Loop BB291_7 Depth=1
                                        ;     Parent Loop BB291_13 Depth=2
                                        ; =>    This Inner Loop Header: Depth=3
	;;#ASMSTART
	s_sleep 0
	;;#ASMEND
	ds_read_b32 v50, v52 offset:57344
	s_waitcnt lgkmcnt(0)
	v_cmp_eq_u32_e32 vcc, v50, v116
	s_or_b64 s[12:13], vcc, s[12:13]
	s_andn2_b64 exec, exec, s[12:13]
	s_cbranch_execnz .LBB291_18
.LBB291_19:                             ;   in Loop: Header=BB291_13 Depth=2
	s_or_b64 exec, exec, s[10:11]
	v_mul_lo_u32 v50, v126, s63
	v_or_b32_e32 v51, 0x8000, v117
	v_add_u32_e32 v53, v51, v50
	ds_read2_b32 v[60:61], v53 offset1:32
	ds_read2_b32 v[62:63], v53 offset0:128 offset1:160
	v_add_u32_e32 v50, 0x400, v53
	ds_read2_b32 v[68:69], v50 offset1:32
	ds_read2_b32 v[64:65], v50 offset0:128 offset1:160
	;; [unrolled: 3-line block ×3, first 2 shown]
	s_waitcnt lgkmcnt(5)
	v_mfma_f32_16x16x32_fp8_fp8 v[44:47], v[60:61], v[92:93], v[44:47]
	v_add_u32_e32 v50, 0xc00, v53
	ds_read2_b32 v[72:73], v50 offset1:32
	ds_read2_b32 v[74:75], v50 offset0:128 offset1:160
	ds_read_b32 v50, v52 offset:57348
	s_waitcnt lgkmcnt(7)
	v_mfma_f32_16x16x32_fp8_fp8 v[44:47], v[62:63], v[98:99], v[44:47]
	ds_write_b32 v52, v55 offset:57344
	s_waitcnt lgkmcnt(1)
	v_cmp_ne_u32_e32 vcc, v50, v116
	v_mfma_f32_16x16x32_fp8_fp8 v[44:47], v[68:69], v[100:101], v[44:47]
	v_mfma_f32_16x16x32_fp8_fp8 v[44:47], v[64:65], v[102:103], v[44:47]
	;; [unrolled: 1-line block ×6, first 2 shown]
	s_and_saveexec_b64 s[10:11], vcc
	s_cbranch_execz .LBB291_22
; %bb.20:                               ;   in Loop: Header=BB291_13 Depth=2
	s_mov_b64 s[12:13], 0
.LBB291_21:                             ;   Parent Loop BB291_7 Depth=1
                                        ;     Parent Loop BB291_13 Depth=2
                                        ; =>    This Inner Loop Header: Depth=3
	;;#ASMSTART
	s_sleep 0
	;;#ASMEND
	ds_read_b32 v50, v52 offset:57348
	s_waitcnt lgkmcnt(0)
	v_cmp_eq_u32_e32 vcc, v50, v116
	s_or_b64 s[12:13], vcc, s[12:13]
	s_andn2_b64 exec, exec, s[12:13]
	s_cbranch_execnz .LBB291_21
.LBB291_22:                             ;   in Loop: Header=BB291_13 Depth=2
	s_or_b64 exec, exec, s[10:11]
	v_add_u32_e32 v50, 0x1000, v53
	ds_read2_b32 v[76:77], v50 offset1:32
	ds_read2_b32 v[78:79], v50 offset0:128 offset1:160
	v_add_u32_e32 v50, 0x1400, v53
	ds_read2_b32 v[80:81], v50 offset1:32
	ds_read2_b32 v[82:83], v50 offset0:128 offset1:160
	v_add_u32_e32 v50, 0x1800, v53
	s_waitcnt lgkmcnt(3)
	v_mfma_f32_16x16x32_fp8_fp8 v[28:31], v[76:77], v[92:93], v[28:31]
	ds_read2_b32 v[84:85], v50 offset1:32
	ds_read2_b32 v[86:87], v50 offset0:128 offset1:160
	v_add_u32_e32 v50, 0x1c00, v53
	ds_read2_b32 v[88:89], v50 offset1:32
	ds_read2_b32 v[90:91], v50 offset0:128 offset1:160
	s_waitcnt lgkmcnt(6)
	v_mfma_f32_16x16x32_fp8_fp8 v[28:31], v[78:79], v[98:99], v[28:31]
	ds_read_b32 v50, v52 offset:57352
	ds_write_b32 v52, v55 offset:57348
	s_waitcnt lgkmcnt(1)
	v_cmp_ne_u32_e32 vcc, v50, v116
	v_mfma_f32_16x16x32_fp8_fp8 v[28:31], v[80:81], v[100:101], v[28:31]
	v_mfma_f32_16x16x32_fp8_fp8 v[28:31], v[82:83], v[102:103], v[28:31]
	;; [unrolled: 1-line block ×6, first 2 shown]
	s_and_saveexec_b64 s[10:11], vcc
	s_cbranch_execz .LBB291_25
; %bb.23:                               ;   in Loop: Header=BB291_13 Depth=2
	s_mov_b64 s[12:13], 0
.LBB291_24:                             ;   Parent Loop BB291_7 Depth=1
                                        ;     Parent Loop BB291_13 Depth=2
                                        ; =>    This Inner Loop Header: Depth=3
	;;#ASMSTART
	s_sleep 0
	;;#ASMEND
	ds_read_b32 v50, v52 offset:57352
	s_waitcnt lgkmcnt(0)
	v_cmp_eq_u32_e32 vcc, v50, v116
	s_or_b64 s[12:13], vcc, s[12:13]
	s_andn2_b64 exec, exec, s[12:13]
	s_cbranch_execnz .LBB291_24
.LBB291_25:                             ;   in Loop: Header=BB291_13 Depth=2
	s_or_b64 exec, exec, s[10:11]
	v_add_u32_e32 v50, 0x2000, v53
	ds_read2_b32 v[94:95], v50 offset1:32
	ds_read2_b32 v[96:97], v50 offset0:128 offset1:160
	v_add_u32_e32 v50, 0x2400, v53
	ds_read2_b32 v[112:113], v50 offset1:32
	ds_read2_b32 v[114:115], v50 offset0:128 offset1:160
	s_waitcnt lgkmcnt(3)
	v_mfma_f32_16x16x32_fp8_fp8 v[12:15], v[94:95], v[92:93], v[12:15]
	v_add_u32_e32 v50, 0x2800, v53
	ds_write_b32 v52, v55 offset:57352
	s_waitcnt lgkmcnt(3)
	v_mfma_f32_16x16x32_fp8_fp8 v[12:15], v[96:97], v[98:99], v[12:15]
	s_waitcnt lgkmcnt(2)
	v_mfma_f32_16x16x32_fp8_fp8 v[12:15], v[112:113], v[100:101], v[12:15]
	ds_read2_b32 v[100:101], v50 offset1:32
	s_waitcnt lgkmcnt(2)
	v_mfma_f32_16x16x32_fp8_fp8 v[12:15], v[114:115], v[102:103], v[12:15]
	ds_read2_b32 v[102:103], v50 offset0:128 offset1:160
	v_add_u32_e32 v50, 0x2c00, v53
	ds_read2_b32 v[98:99], v50 offset1:32
	ds_read2_b32 v[92:93], v50 offset0:128 offset1:160
	s_waitcnt lgkmcnt(3)
	v_mfma_f32_16x16x32_fp8_fp8 v[12:15], v[100:101], v[104:105], v[12:15]
	ds_read_b32 v50, v127 offset:57372
	s_waitcnt lgkmcnt(0)
	v_cmp_ne_u32_e32 vcc, v50, v116
	v_mfma_f32_16x16x32_fp8_fp8 v[12:15], v[102:103], v[106:107], v[12:15]
	v_mfma_f32_16x16x32_fp8_fp8 v[12:15], v[98:99], v[110:111], v[12:15]
	;; [unrolled: 1-line block ×3, first 2 shown]
	s_and_saveexec_b64 s[10:11], vcc
	s_cbranch_execz .LBB291_28
; %bb.26:                               ;   in Loop: Header=BB291_13 Depth=2
	s_mov_b64 s[12:13], 0
.LBB291_27:                             ;   Parent Loop BB291_7 Depth=1
                                        ;     Parent Loop BB291_13 Depth=2
                                        ; =>    This Inner Loop Header: Depth=3
	;;#ASMSTART
	s_sleep 0
	;;#ASMEND
	ds_read_b32 v50, v127 offset:57372
	s_waitcnt lgkmcnt(0)
	v_cmp_eq_u32_e32 vcc, v50, v116
	s_or_b64 s[12:13], vcc, s[12:13]
	s_andn2_b64 exec, exec, s[12:13]
	s_cbranch_execnz .LBB291_27
.LBB291_28:                             ;   in Loop: Header=BB291_13 Depth=2
	s_or_b64 exec, exec, s[10:11]
	v_add_u32_e32 v50, 0x1000, v54
	ds_read2_b32 v[52:53], v50 offset1:32
	ds_read2_b32 v[104:105], v50 offset0:128 offset1:160
	v_add_u32_e32 v50, 0x1400, v54
	ds_read2_b32 v[106:107], v50 offset1:32
	ds_read2_b32 v[108:109], v50 offset0:128 offset1:160
	s_waitcnt lgkmcnt(3)
	v_mfma_f32_16x16x32_fp8_fp8 v[40:43], v[60:61], v[52:53], v[40:43]
	v_add_u32_e32 v50, 0x1800, v54
	ds_read2_b32 v[110:111], v50 offset1:32
	ds_read2_b32 v[50:51], v50 offset0:128 offset1:160
	v_mfma_f32_16x16x32_fp8_fp8 v[24:27], v[76:77], v[52:53], v[24:27]
	v_add_u32_e32 v120, 0x1c00, v54
	ds_read2_b32 v[58:59], v120 offset1:32
	ds_read2_b32 v[120:121], v120 offset0:128 offset1:160
	v_mfma_f32_16x16x32_fp8_fp8 v[4:7], v[94:95], v[52:53], v[4:7]
	;;#ASMSTART
	s_waitcnt lgkmcnt(0)
	;;#ASMEND
	ds_write_b32 v127, v55 offset:57372
	s_waitcnt lgkmcnt(7)
	v_mfma_f32_16x16x32_fp8_fp8 v[40:43], v[62:63], v[104:105], v[40:43]
	v_mfma_f32_16x16x32_fp8_fp8 v[24:27], v[78:79], v[104:105], v[24:27]
	v_mfma_f32_16x16x32_fp8_fp8 v[4:7], v[96:97], v[104:105], v[4:7]
	s_waitcnt lgkmcnt(6)
	v_mfma_f32_16x16x32_fp8_fp8 v[40:43], v[68:69], v[106:107], v[40:43]
	v_mfma_f32_16x16x32_fp8_fp8 v[24:27], v[80:81], v[106:107], v[24:27]
	v_mfma_f32_16x16x32_fp8_fp8 v[4:7], v[112:113], v[106:107], v[4:7]
	s_waitcnt lgkmcnt(5)
	v_mfma_f32_16x16x32_fp8_fp8 v[40:43], v[64:65], v[108:109], v[40:43]
	v_mfma_f32_16x16x32_fp8_fp8 v[24:27], v[82:83], v[108:109], v[24:27]
	v_mfma_f32_16x16x32_fp8_fp8 v[4:7], v[114:115], v[108:109], v[4:7]
	s_waitcnt lgkmcnt(4)
	v_mfma_f32_16x16x32_fp8_fp8 v[40:43], v[70:71], v[110:111], v[40:43]
	v_mfma_f32_16x16x32_fp8_fp8 v[24:27], v[84:85], v[110:111], v[24:27]
	v_mfma_f32_16x16x32_fp8_fp8 v[4:7], v[100:101], v[110:111], v[4:7]
	s_waitcnt lgkmcnt(3)
	v_mfma_f32_16x16x32_fp8_fp8 v[40:43], v[66:67], v[50:51], v[40:43]
	v_mfma_f32_16x16x32_fp8_fp8 v[24:27], v[86:87], v[50:51], v[24:27]
	v_mfma_f32_16x16x32_fp8_fp8 v[4:7], v[102:103], v[50:51], v[4:7]
	ds_read_b32 v50, v127 offset:57376
	s_waitcnt lgkmcnt(0)
	v_cmp_ne_u32_e32 vcc, v50, v116
	v_mfma_f32_16x16x32_fp8_fp8 v[40:43], v[72:73], v[58:59], v[40:43]
	v_mfma_f32_16x16x32_fp8_fp8 v[24:27], v[88:89], v[58:59], v[24:27]
	;; [unrolled: 1-line block ×6, first 2 shown]
	s_and_saveexec_b64 s[10:11], vcc
	s_cbranch_execz .LBB291_31
; %bb.29:                               ;   in Loop: Header=BB291_13 Depth=2
	s_mov_b64 s[12:13], 0
.LBB291_30:                             ;   Parent Loop BB291_7 Depth=1
                                        ;     Parent Loop BB291_13 Depth=2
                                        ; =>    This Inner Loop Header: Depth=3
	;;#ASMSTART
	s_sleep 0
	;;#ASMEND
	ds_read_b32 v50, v127 offset:57376
	s_waitcnt lgkmcnt(0)
	v_cmp_eq_u32_e32 vcc, v50, v116
	s_or_b64 s[12:13], vcc, s[12:13]
	s_andn2_b64 exec, exec, s[12:13]
	s_cbranch_execnz .LBB291_30
.LBB291_31:                             ;   in Loop: Header=BB291_13 Depth=2
	s_or_b64 exec, exec, s[10:11]
	v_add_u32_e32 v52, 0x2000, v54
	ds_read2_b32 v[50:51], v52 offset1:32
	ds_read2_b32 v[52:53], v52 offset0:128 offset1:160
	v_add_u32_e32 v104, 0x2400, v54
	ds_read2_b32 v[58:59], v104 offset1:32
	ds_read2_b32 v[104:105], v104 offset0:128 offset1:160
	s_waitcnt lgkmcnt(3)
	v_mfma_f32_16x16x32_fp8_fp8 v[36:39], v[60:61], v[50:51], v[36:39]
	v_add_u32_e32 v108, 0x2800, v54
	ds_read2_b32 v[106:107], v108 offset1:32
	ds_read2_b32 v[108:109], v108 offset0:128 offset1:160
	v_mfma_f32_16x16x32_fp8_fp8 v[20:23], v[76:77], v[50:51], v[20:23]
	v_add_u32_e32 v120, 0x2c00, v54
	ds_read2_b32 v[110:111], v120 offset1:32
	ds_read2_b32 v[120:121], v120 offset0:128 offset1:160
	v_mfma_f32_16x16x32_fp8_fp8 v[0:3], v[94:95], v[50:51], v[0:3]
	;;#ASMSTART
	s_waitcnt lgkmcnt(0)
	;;#ASMEND
	ds_read_b32 v50, v127 offset:57380
	ds_write_b32 v127, v55 offset:57376
	s_waitcnt lgkmcnt(8)
	v_mfma_f32_16x16x32_fp8_fp8 v[36:39], v[62:63], v[52:53], v[36:39]
	s_waitcnt lgkmcnt(1)
	v_cmp_ne_u32_e32 vcc, v50, v116
	v_mfma_f32_16x16x32_fp8_fp8 v[20:23], v[78:79], v[52:53], v[20:23]
	v_mfma_f32_16x16x32_fp8_fp8 v[0:3], v[96:97], v[52:53], v[0:3]
	;; [unrolled: 1-line block ×20, first 2 shown]
	s_and_saveexec_b64 s[10:11], vcc
	s_cbranch_execz .LBB291_12
; %bb.32:                               ;   in Loop: Header=BB291_13 Depth=2
	s_mov_b64 s[12:13], 0
.LBB291_33:                             ;   Parent Loop BB291_7 Depth=1
                                        ;     Parent Loop BB291_13 Depth=2
                                        ; =>    This Inner Loop Header: Depth=3
	;;#ASMSTART
	s_sleep 0
	;;#ASMEND
	ds_read_b32 v50, v127 offset:57380
	s_waitcnt lgkmcnt(0)
	v_cmp_eq_u32_e32 vcc, v50, v116
	s_or_b64 s[12:13], vcc, s[12:13]
	s_andn2_b64 exec, exec, s[12:13]
	s_cbranch_execnz .LBB291_33
	s_branch .LBB291_12
.LBB291_34:                             ;   in Loop: Header=BB291_7 Depth=1
	s_or_b64 exec, exec, s[8:9]
	scratch_load_dwordx2 v[66:67], off, off ; 8-byte Folded Reload
	scratch_load_dword v67, off, off offset:8 ; 4-byte Folded Reload
	scratch_load_dwordx2 v[68:69], off, off offset:20 ; 8-byte Folded Reload
.LBB291_35:                             ;   in Loop: Header=BB291_7 Depth=1
	s_or_b64 exec, exec, s[6:7]
	s_waitcnt vmcnt(2)
	v_cmp_le_i32_e32 vcc, s45, v66
	v_cmp_eq_u32_e64 s[6:7], 2, v118
	v_cmp_eq_u32_e64 s[8:9], 3, v118
	s_waitcnt vmcnt(0)
	v_cndmask_b32_e32 v60, 0, v125, vcc
	v_pk_mul_f32 v[44:45], v[60:61], v[44:45] op_sel_hi:[0,1]
	v_cmp_eq_u32_e32 vcc, 1, v118
	v_pk_mul_f32 v[50:51], v[60:61], v[46:47] op_sel_hi:[0,1]
	v_cmp_eq_u32_e64 s[10:11], 0, v118
	v_cndmask_b32_e32 v46, v44, v45, vcc
	v_cndmask_b32_e64 v46, v46, v50, s[6:7]
	v_cndmask_b32_e64 v46, v46, v51, s[8:9]
	ds_bpermute_b32 v52, v123, v46
	v_cmp_eq_u32_e64 s[12:13], 1, v119
	v_cmp_eq_u32_e64 s[16:17], 3, v119
	s_waitcnt lgkmcnt(0)
	v_cndmask_b32_e64 v54, v44, v52, s[10:11]
	v_or_b32_e32 v44, 16, v66
	v_cmp_le_i32_e64 s[14:15], s45, v44
	v_cndmask_b32_e32 v45, v45, v52, vcc
	v_cndmask_b32_e64 v46, v51, v52, s[8:9]
	v_cndmask_b32_e64 v44, 0, v125, s[14:15]
	v_pk_mul_f32 v[40:41], v[44:45], v[40:41] op_sel_hi:[0,1]
	v_cndmask_b32_e64 v47, v50, v52, s[6:7]
	v_pk_mul_f32 v[50:51], v[44:45], v[42:43] op_sel_hi:[0,1]
	v_cndmask_b32_e32 v42, v40, v41, vcc
	v_cndmask_b32_e64 v42, v42, v50, s[6:7]
	v_cndmask_b32_e64 v42, v42, v51, s[8:9]
	ds_bpermute_b32 v53, v123, v42
	v_cndmask_b32_e64 v52, v54, v45, s[12:13]
	v_cmp_eq_u32_e64 s[14:15], 2, v119
	s_waitcnt lgkmcnt(0)
	v_cndmask_b32_e64 v61, v40, v53, s[10:11]
	v_or_b32_e32 v40, 32, v66
	v_cmp_le_i32_e64 s[18:19], s45, v40
	v_cndmask_b32_e32 v41, v41, v53, vcc
	v_cndmask_b32_e64 v42, v52, v47, s[14:15]
	v_cndmask_b32_e64 v40, 0, v125, s[18:19]
	v_pk_mul_f32 v[36:37], v[40:41], v[36:37] op_sel_hi:[0,1]
	v_cndmask_b32_e64 v43, v51, v53, s[8:9]
	v_cndmask_b32_e64 v52, v50, v53, s[6:7]
	v_pk_mul_f32 v[50:51], v[40:41], v[38:39] op_sel_hi:[0,1]
	v_cndmask_b32_e32 v38, v36, v37, vcc
	v_cndmask_b32_e64 v38, v38, v50, s[6:7]
	v_cndmask_b32_e64 v38, v38, v51, s[8:9]
	ds_bpermute_b32 v55, v123, v38
	v_cndmask_b32_e64 v38, v61, v41, s[12:13]
	v_cndmask_b32_e64 v38, v38, v52, s[14:15]
	;; [unrolled: 1-line block ×4, first 2 shown]
	s_waitcnt lgkmcnt(0)
	v_cndmask_b32_e64 v65, v36, v55, s[10:11]
	v_or_b32_e32 v36, 48, v66
	v_cmp_le_i32_e64 s[18:19], s45, v36
	v_cndmask_b32_e64 v39, v51, v55, s[8:9]
	v_cndmask_b32_e64 v53, v50, v55, s[6:7]
	;; [unrolled: 1-line block ×3, first 2 shown]
	v_pk_mul_f32 v[58:59], v[36:37], v[32:33] op_sel_hi:[0,1]
	v_pk_mul_f32 v[50:51], v[36:37], v[34:35] op_sel_hi:[0,1]
	v_cndmask_b32_e32 v32, v58, v59, vcc
	v_cndmask_b32_e64 v32, v32, v50, s[6:7]
	v_cndmask_b32_e64 v32, v32, v51, s[8:9]
	ds_bpermute_b32 v33, v123, v32
	v_cndmask_b32_e32 v64, v37, v55, vcc
	v_cndmask_b32_e64 v32, v65, v64, s[12:13]
	v_cndmask_b32_e64 v32, v32, v53, s[14:15]
	;; [unrolled: 1-line block ×3, first 2 shown]
	v_cmp_ne_u32_e32 vcc, 0, v118
	ds_bpermute_b32 v55, v123, v32
	s_waitcnt lgkmcnt(1)
	v_cndmask_b32_e64 v34, v51, v33, s[8:9]
	v_cndmask_b32_e64 v35, v50, v33, s[6:7]
	v_cndmask_b32_e32 v32, v59, v33, vcc
	v_cndmask_b32_e64 v33, v58, v33, s[10:11]
	v_cndmask_b32_e64 v37, v33, v32, s[12:13]
	;; [unrolled: 1-line block ×4, first 2 shown]
	ds_bpermute_b32 v42, v123, v42
	ds_bpermute_b32 v38, v123, v38
	;; [unrolled: 1-line block ×3, first 2 shown]
	v_add_u32_e32 v37, s67, v67
	v_cmp_gt_u32_e32 vcc, 48, v37
	s_and_saveexec_b64 s[18:19], vcc
	s_cbranch_execz .LBB291_42
; %bb.36:                               ;   in Loop: Header=BB291_7 Depth=1
	v_cmp_eq_u32_e64 s[8:9], 1, v119
	v_cmp_eq_u32_e64 s[10:11], 0, v119
	v_cmp_eq_u32_e32 vcc, 3, v119
	s_waitcnt lgkmcnt(0)
	v_cndmask_b32_e64 v59, v32, v63, s[8:9]
	v_cndmask_b32_e64 v51, v61, v38, s[10:11]
	v_cndmask_b32_e64 v61, v33, v63, s[10:11]
	scratch_load_dwordx2 v[32:33], off, off offset:12 ; 8-byte Folded Reload
	v_cndmask_b32_e64 v45, v45, v42, s[8:9]
	v_cndmask_b32_e64 v50, v54, v42, s[10:11]
	;; [unrolled: 1-line block ×4, first 2 shown]
	s_mul_i32 s8, s65, s21
	s_ashr_i32 s9, s8, 31
	s_lshl_b64 s[8:9], s[8:9], 1
	v_cndmask_b32_e64 v58, v65, v55, s[10:11]
	s_add_u32 s10, s40, s8
	s_addc_u32 s11, s41, s9
	s_ashr_i32 s45, s44, 31
	v_cvt_f16_f32_e32 v50, v50
	v_cvt_f16_f32_sdwa v45, v45 dst_sel:WORD_1 dst_unused:UNUSED_PAD src0_sel:DWORD
	v_cvt_f16_f32_e32 v64, v51
	v_cvt_f16_f32_sdwa v41, v41 dst_sel:WORD_1 dst_unused:UNUSED_PAD src0_sel:DWORD
	s_lshl_b64 s[8:9], s[44:45], 1
	s_add_u32 s50, s10, s8
	s_addc_u32 s51, s11, s9
	v_or_b32_e32 v45, v45, v50
	v_or_b32_e32 v41, v41, v64
	v_cmp_eq_u32_e64 s[6:7], 2, v119
	v_cmp_gt_u32_e64 s[8:9], 46, v37
	s_waitcnt vmcnt(0)
	v_lshl_add_u64 v[32:33], v[32:33], 1, s[50:51]
	;;#ASMSTART
	global_atomic_pk_add_f16 v[32:33], v45, off
	
	;;#ASMEND
	v_lshl_add_u64 v[50:51], v[32:33], 0, 32
	;;#ASMSTART
	global_atomic_pk_add_f16 v[50:51], v41, off
	
	;;#ASMEND
	v_cvt_f16_f32_e32 v41, v58
	v_cvt_f16_f32_sdwa v45, v54 dst_sel:WORD_1 dst_unused:UNUSED_PAD src0_sel:DWORD
	v_cvt_f16_f32_e32 v54, v61
	v_cvt_f16_f32_sdwa v58, v59 dst_sel:WORD_1 dst_unused:UNUSED_PAD src0_sel:DWORD
	v_lshl_add_u64 v[50:51], v[32:33], 0, 64
	v_or_b32_e32 v41, v45, v41
	;;#ASMSTART
	global_atomic_pk_add_f16 v[50:51], v41, off
	
	;;#ASMEND
	v_lshl_add_u64 v[50:51], v[32:33], 0, s[30:31]
	v_or_b32_e32 v41, v58, v54
	;;#ASMSTART
	global_atomic_pk_add_f16 v[50:51], v41, off
	
	;;#ASMEND
	s_and_b64 exec, exec, s[8:9]
	s_cbranch_execz .LBB291_42
; %bb.37:                               ;   in Loop: Header=BB291_7 Depth=1
	v_cndmask_b32_e32 v46, v46, v42, vcc
	v_cndmask_b32_e64 v42, v47, v42, s[6:7]
	v_cvt_f16_f32_e32 v42, v42
	v_cvt_f16_f32_sdwa v46, v46 dst_sel:WORD_1 dst_unused:UNUSED_PAD src0_sel:DWORD
	v_cndmask_b32_e32 v43, v43, v38, vcc
	v_cndmask_b32_e64 v38, v52, v38, s[6:7]
	v_cndmask_b32_e32 v39, v39, v55, vcc
	v_cndmask_b32_e64 v47, v53, v55, s[6:7]
	v_cndmask_b32_e32 v50, v34, v63, vcc
	v_or_b32_e32 v34, v46, v42
	v_cvt_f16_f32_e32 v38, v38
	v_cvt_f16_f32_sdwa v42, v43 dst_sel:WORD_1 dst_unused:UNUSED_PAD src0_sel:DWORD
	v_cvt_f16_f32_e32 v43, v47
	v_cvt_f16_f32_sdwa v39, v39 dst_sel:WORD_1 dst_unused:UNUSED_PAD src0_sel:DWORD
	v_lshl_add_u64 v[32:33], s[28:29], 2, v[32:33]
	v_or_b32_e32 v38, v42, v38
	v_mov_b32_e32 v61, v60
	v_cndmask_b32_e64 v51, v35, v63, s[6:7]
	;;#ASMSTART
	global_atomic_pk_add_f16 v[32:33], v34, off
	
	;;#ASMEND
	v_lshl_add_u64 v[34:35], v[32:33], 0, 32
	;;#ASMSTART
	global_atomic_pk_add_f16 v[34:35], v38, off
	
	;;#ASMEND
	v_or_b32_e32 v42, v39, v43
	v_mov_b32_e32 v38, v60
	v_mov_b32_e32 v39, v60
	v_pk_mul_f32 v[30:31], v[38:39], v[30:31]
	v_pk_mul_f32 v[38:39], v[60:61], v[28:29]
	v_cmp_eq_u32_e32 vcc, 1, v118
	v_mov_b32_e32 v45, v44
	v_lshl_add_u64 v[34:35], v[32:33], 0, 64
	v_cndmask_b32_e32 v28, v38, v39, vcc
	v_cmp_eq_u32_e64 s[6:7], 2, v118
	;;#ASMSTART
	global_atomic_pk_add_f16 v[34:35], v42, off
	
	;;#ASMEND
	v_lshl_add_u64 v[42:43], v[32:33], 0, s[30:31]
	v_mov_b32_e32 v32, v44
	v_mov_b32_e32 v33, v44
	v_cndmask_b32_e64 v28, v28, v30, s[6:7]
	v_cmp_eq_u32_e64 s[8:9], 3, v118
	v_pk_mul_f32 v[26:27], v[32:33], v[26:27]
	v_pk_mul_f32 v[32:33], v[44:45], v[24:25]
	v_cndmask_b32_e64 v28, v28, v31, s[8:9]
	v_cndmask_b32_e32 v24, v32, v33, vcc
	ds_bpermute_b32 v46, v123, v28
	v_cndmask_b32_e64 v24, v24, v26, s[6:7]
	v_cndmask_b32_e64 v24, v24, v27, s[8:9]
	ds_bpermute_b32 v35, v123, v24
	v_cmp_eq_u32_e64 s[10:11], 0, v118
	s_waitcnt lgkmcnt(1)
	v_cndmask_b32_e64 v28, v31, v46, s[8:9]
	v_cndmask_b32_e64 v29, v30, v46, s[6:7]
	v_cndmask_b32_e32 v30, v39, v46, vcc
	v_cndmask_b32_e64 v31, v38, v46, s[10:11]
	v_cmp_eq_u32_e64 s[12:13], 1, v119
	v_mov_b32_e32 v41, v40
	v_cmp_eq_u32_e64 s[14:15], 2, v119
	v_cndmask_b32_e64 v34, v31, v30, s[12:13]
	s_waitcnt lgkmcnt(0)
	v_cndmask_b32_e64 v25, v27, v35, s[8:9]
	v_cndmask_b32_e64 v24, v34, v29, s[14:15]
	;; [unrolled: 1-line block ×3, first 2 shown]
	v_cndmask_b32_e32 v27, v33, v35, vcc
	v_cndmask_b32_e64 v32, v32, v35, s[10:11]
	v_mov_b32_e32 v34, v40
	v_mov_b32_e32 v35, v40
	v_pk_mul_f32 v[38:39], v[40:41], v[20:21]
	v_pk_mul_f32 v[22:23], v[34:35], v[22:23]
	v_cndmask_b32_e32 v20, v38, v39, vcc
	v_cndmask_b32_e64 v20, v20, v22, s[6:7]
	v_cndmask_b32_e64 v20, v20, v23, s[8:9]
	ds_bpermute_b32 v33, v123, v20
	v_mov_b32_e32 v37, v36
	v_pk_mul_f32 v[46:47], v[36:37], v[16:17]
	v_cmp_eq_u32_e64 s[16:17], 3, v119
	v_cndmask_b32_e32 v16, v46, v47, vcc
	s_waitcnt lgkmcnt(0)
	v_cndmask_b32_e32 v34, v39, v33, vcc
	v_cndmask_b32_e64 v35, v38, v33, s[10:11]
	v_mov_b32_e32 v38, v36
	v_mov_b32_e32 v39, v36
	v_pk_mul_f32 v[38:39], v[38:39], v[18:19]
	v_cndmask_b32_e64 v22, v22, v33, s[6:7]
	v_cndmask_b32_e64 v16, v16, v38, s[6:7]
	;; [unrolled: 1-line block ×3, first 2 shown]
	ds_bpermute_b32 v17, v123, v16
	v_cndmask_b32_e64 v16, v35, v34, s[12:13]
	v_cndmask_b32_e64 v21, v23, v33, s[8:9]
	;; [unrolled: 1-line block ×4, first 2 shown]
	v_cmp_ne_u32_e32 vcc, 0, v118
	ds_bpermute_b32 v23, v123, v16
	s_waitcnt lgkmcnt(1)
	v_cndmask_b32_e64 v18, v39, v17, s[8:9]
	v_cndmask_b32_e64 v19, v38, v17, s[6:7]
	v_cndmask_b32_e32 v16, v47, v17, vcc
	v_cndmask_b32_e64 v17, v46, v17, s[10:11]
	v_cvt_f16_f32_e32 v51, v51
	v_cvt_f16_f32_sdwa v50, v50 dst_sel:WORD_1 dst_unused:UNUSED_PAD src0_sel:DWORD
	v_cndmask_b32_e64 v20, v32, v27, s[12:13]
	v_cndmask_b32_e64 v33, v17, v16, s[12:13]
	;; [unrolled: 1-line block ×7, first 2 shown]
	ds_bpermute_b32 v24, v123, v24
	ds_bpermute_b32 v20, v123, v20
	;; [unrolled: 1-line block ×3, first 2 shown]
	v_or_b32_e32 v38, v50, v51
	;;#ASMSTART
	global_atomic_pk_add_f16 v[42:43], v38, off
	
	;;#ASMEND
	v_or_b32_e32 v38, 16, v67
	v_add_u32_e32 v38, s67, v38
	v_cmp_gt_u32_e32 vcc, 48, v38
	s_and_b64 exec, exec, vcc
	s_cbranch_execz .LBB291_42
; %bb.38:                               ;   in Loop: Header=BB291_7 Depth=1
	v_cmp_eq_u32_e64 s[8:9], 1, v119
	v_cmp_eq_u32_e64 s[10:11], 0, v119
	v_cmp_eq_u32_e32 vcc, 3, v119
	s_waitcnt lgkmcnt(0)
	v_cndmask_b32_e64 v39, v16, v33, s[8:9]
	v_cndmask_b32_e64 v42, v17, v33, s[10:11]
	scratch_load_dwordx2 v[16:17], off, off offset:28 ; 8-byte Folded Reload
	v_cndmask_b32_e64 v30, v30, v24, s[8:9]
	v_cndmask_b32_e64 v31, v31, v24, s[10:11]
	;; [unrolled: 1-line block ×4, first 2 shown]
	v_cvt_f16_f32_e32 v31, v31
	v_cvt_f16_f32_sdwa v30, v30 dst_sel:WORD_1 dst_unused:UNUSED_PAD src0_sel:DWORD
	v_cvt_f16_f32_e32 v32, v32
	v_cvt_f16_f32_sdwa v27, v27 dst_sel:WORD_1 dst_unused:UNUSED_PAD src0_sel:DWORD
	v_cndmask_b32_e64 v34, v34, v23, s[8:9]
	v_cndmask_b32_e64 v35, v35, v23, s[10:11]
	v_or_b32_e32 v30, v30, v31
	v_or_b32_e32 v27, v27, v32
	v_cvt_f16_f32_sdwa v32, v34 dst_sel:WORD_1 dst_unused:UNUSED_PAD src0_sel:DWORD
	v_cvt_f16_f32_e32 v34, v42
	v_cmp_eq_u32_e64 s[6:7], 2, v119
	v_cmp_gt_u32_e64 s[8:9], 46, v38
	s_waitcnt vmcnt(0)
	v_lshl_add_u64 v[16:17], v[16:17], 1, s[50:51]
	;;#ASMSTART
	global_atomic_pk_add_f16 v[16:17], v30, off
	
	;;#ASMEND
	v_lshl_add_u64 v[30:31], v[16:17], 0, 32
	;;#ASMSTART
	global_atomic_pk_add_f16 v[30:31], v27, off
	
	;;#ASMEND
	v_cvt_f16_f32_e32 v27, v35
	v_cvt_f16_f32_sdwa v35, v39 dst_sel:WORD_1 dst_unused:UNUSED_PAD src0_sel:DWORD
	v_lshl_add_u64 v[30:31], v[16:17], 0, 64
	v_or_b32_e32 v27, v32, v27
	;;#ASMSTART
	global_atomic_pk_add_f16 v[30:31], v27, off
	
	;;#ASMEND
	v_lshl_add_u64 v[30:31], v[16:17], 0, s[30:31]
	v_or_b32_e32 v27, v35, v34
	;;#ASMSTART
	global_atomic_pk_add_f16 v[30:31], v27, off
	
	;;#ASMEND
	s_and_b64 exec, exec, s[8:9]
	s_cbranch_execz .LBB291_42
; %bb.39:                               ;   in Loop: Header=BB291_7 Depth=1
	v_cndmask_b32_e32 v27, v28, v24, vcc
	v_cndmask_b32_e64 v24, v29, v24, s[6:7]
	v_cndmask_b32_e32 v21, v21, v23, vcc
	v_cndmask_b32_e64 v22, v22, v23, s[6:7]
	v_cvt_f16_f32_e32 v23, v24
	v_cvt_f16_f32_sdwa v24, v27 dst_sel:WORD_1 dst_unused:UNUSED_PAD src0_sel:DWORD
	v_cndmask_b32_e32 v25, v25, v20, vcc
	v_cndmask_b32_e64 v20, v26, v20, s[6:7]
	v_cndmask_b32_e32 v26, v18, v33, vcc
	v_or_b32_e32 v18, v24, v23
	v_cvt_f16_f32_e32 v20, v20
	v_cvt_f16_f32_sdwa v23, v25 dst_sel:WORD_1 dst_unused:UNUSED_PAD src0_sel:DWORD
	v_cvt_f16_f32_e32 v22, v22
	v_cvt_f16_f32_sdwa v21, v21 dst_sel:WORD_1 dst_unused:UNUSED_PAD src0_sel:DWORD
	v_lshl_add_u64 v[16:17], s[28:29], 2, v[16:17]
	v_or_b32_e32 v20, v23, v20
	v_cndmask_b32_e64 v27, v19, v33, s[6:7]
	;;#ASMSTART
	global_atomic_pk_add_f16 v[16:17], v18, off
	
	;;#ASMEND
	v_lshl_add_u64 v[18:19], v[16:17], 0, 32
	;;#ASMSTART
	global_atomic_pk_add_f16 v[18:19], v20, off
	
	;;#ASMEND
	v_or_b32_e32 v22, v21, v22
	v_mov_b32_e32 v20, v60
	v_mov_b32_e32 v21, v60
	v_pk_mul_f32 v[14:15], v[20:21], v[14:15]
	v_pk_mul_f32 v[20:21], v[60:61], v[12:13]
	v_cmp_eq_u32_e32 vcc, 1, v118
	v_lshl_add_u64 v[18:19], v[16:17], 0, 64
	v_cmp_eq_u32_e64 s[6:7], 2, v118
	v_cndmask_b32_e32 v12, v20, v21, vcc
	v_cmp_eq_u32_e64 s[8:9], 3, v118
	v_cndmask_b32_e64 v12, v12, v14, s[6:7]
	;;#ASMSTART
	global_atomic_pk_add_f16 v[18:19], v22, off
	
	;;#ASMEND
	v_lshl_add_u64 v[22:23], v[16:17], 0, s[30:31]
	v_mov_b32_e32 v16, v44
	v_mov_b32_e32 v17, v44
	v_pk_mul_f32 v[18:19], v[44:45], v[4:5]
	v_cndmask_b32_e64 v12, v12, v15, s[8:9]
	v_pk_mul_f32 v[6:7], v[16:17], v[6:7]
	v_cndmask_b32_e32 v4, v18, v19, vcc
	ds_bpermute_b32 v24, v123, v12
	v_cndmask_b32_e64 v4, v4, v6, s[6:7]
	v_cndmask_b32_e64 v4, v4, v7, s[8:9]
	ds_bpermute_b32 v17, v123, v4
	v_cmp_eq_u32_e64 s[10:11], 0, v118
	s_waitcnt lgkmcnt(1)
	v_cndmask_b32_e64 v12, v15, v24, s[8:9]
	v_cndmask_b32_e64 v13, v14, v24, s[6:7]
	v_cndmask_b32_e32 v14, v21, v24, vcc
	v_cndmask_b32_e64 v15, v20, v24, s[10:11]
	v_cmp_eq_u32_e64 s[12:13], 1, v119
	v_cmp_eq_u32_e64 s[14:15], 2, v119
	s_waitcnt lgkmcnt(0)
	v_cndmask_b32_e64 v5, v7, v17, s[8:9]
	v_cndmask_b32_e64 v20, v15, v14, s[12:13]
	;; [unrolled: 1-line block ×4, first 2 shown]
	v_cndmask_b32_e32 v16, v19, v17, vcc
	v_cndmask_b32_e64 v17, v18, v17, s[10:11]
	v_mov_b32_e32 v18, v40
	v_mov_b32_e32 v19, v40
	v_pk_mul_f32 v[20:21], v[40:41], v[0:1]
	v_pk_mul_f32 v[18:19], v[18:19], v[2:3]
	v_cndmask_b32_e32 v0, v20, v21, vcc
	v_cndmask_b32_e64 v0, v0, v18, s[6:7]
	v_cndmask_b32_e64 v0, v0, v19, s[8:9]
	ds_bpermute_b32 v1, v123, v0
	v_cndmask_b32_e64 v0, v17, v16, s[12:13]
	v_cmp_eq_u32_e64 s[16:17], 3, v119
	v_cndmask_b32_e64 v0, v0, v6, s[14:15]
	v_cvt_f16_f32_e32 v25, v27
	s_waitcnt lgkmcnt(0)
	v_cndmask_b32_e64 v3, v19, v1, s[8:9]
	v_cndmask_b32_e64 v7, v18, v1, s[6:7]
	v_mov_b32_e32 v18, v36
	v_mov_b32_e32 v19, v36
	v_pk_mul_f32 v[10:11], v[18:19], v[10:11]
	v_pk_mul_f32 v[18:19], v[36:37], v[8:9]
	v_cndmask_b32_e64 v0, v0, v5, s[16:17]
	v_cndmask_b32_e32 v8, v18, v19, vcc
	v_cndmask_b32_e64 v8, v8, v10, s[6:7]
	v_cndmask_b32_e64 v8, v8, v11, s[8:9]
	ds_bpermute_b32 v2, v123, v0
	v_cndmask_b32_e32 v0, v21, v1, vcc
	v_cndmask_b32_e64 v1, v20, v1, s[10:11]
	ds_bpermute_b32 v20, v123, v8
	v_cmp_ne_u32_e32 vcc, 0, v118
	v_cvt_f16_f32_sdwa v26, v26 dst_sel:WORD_1 dst_unused:UNUSED_PAD src0_sel:DWORD
	v_cndmask_b32_e64 v8, v1, v0, s[12:13]
	v_cndmask_b32_e64 v8, v8, v7, s[14:15]
	s_waitcnt lgkmcnt(0)
	v_cndmask_b32_e64 v9, v11, v20, s[8:9]
	v_cndmask_b32_e64 v10, v10, v20, s[6:7]
	v_cndmask_b32_e32 v19, v19, v20, vcc
	v_cndmask_b32_e64 v20, v18, v20, s[10:11]
	v_cndmask_b32_e64 v11, v20, v19, s[12:13]
	;; [unrolled: 1-line block ×6, first 2 shown]
	ds_bpermute_b32 v4, v123, v4
	ds_bpermute_b32 v8, v123, v8
	;; [unrolled: 1-line block ×3, first 2 shown]
	v_or_b32_e32 v18, v26, v25
	;;#ASMSTART
	global_atomic_pk_add_f16 v[22:23], v18, off
	
	;;#ASMEND
	v_or_b32_e32 v18, 32, v67
	v_add_u32_e32 v18, s67, v18
	v_cmp_gt_u32_e32 vcc, 48, v18
	s_and_b64 exec, exec, vcc
	s_cbranch_execz .LBB291_42
; %bb.40:                               ;   in Loop: Header=BB291_7 Depth=1
	v_cmp_eq_u32_e64 s[8:9], 1, v119
	v_cmp_eq_u32_e64 s[10:11], 0, v119
	v_cmp_eq_u32_e32 vcc, 3, v119
	s_waitcnt lgkmcnt(1)
	v_cndmask_b32_e64 v21, v0, v8, s[8:9]
	v_cndmask_b32_e64 v22, v1, v8, s[10:11]
	scratch_load_dwordx2 v[0:1], off, off offset:36 ; 8-byte Folded Reload
	v_cndmask_b32_e64 v14, v14, v4, s[8:9]
	v_cndmask_b32_e64 v15, v15, v4, s[10:11]
	;; [unrolled: 1-line block ×4, first 2 shown]
	v_cvt_f16_f32_e32 v15, v15
	v_cvt_f16_f32_sdwa v14, v14 dst_sel:WORD_1 dst_unused:UNUSED_PAD src0_sel:DWORD
	v_cvt_f16_f32_e32 v17, v17
	v_cvt_f16_f32_sdwa v16, v16 dst_sel:WORD_1 dst_unused:UNUSED_PAD src0_sel:DWORD
	s_waitcnt lgkmcnt(0)
	v_cndmask_b32_e64 v19, v19, v11, s[8:9]
	v_or_b32_e32 v14, v14, v15
	v_cndmask_b32_e64 v20, v20, v11, s[10:11]
	v_or_b32_e32 v16, v16, v17
	v_cvt_f16_f32_sdwa v17, v21 dst_sel:WORD_1 dst_unused:UNUSED_PAD src0_sel:DWORD
	v_cvt_f16_f32_e32 v20, v20
	v_cvt_f16_f32_sdwa v19, v19 dst_sel:WORD_1 dst_unused:UNUSED_PAD src0_sel:DWORD
	v_cmp_eq_u32_e64 s[6:7], 2, v119
	v_cmp_gt_u32_e64 s[8:9], 46, v18
	s_waitcnt vmcnt(0)
	v_lshl_add_u64 v[0:1], v[0:1], 1, s[50:51]
	;;#ASMSTART
	global_atomic_pk_add_f16 v[0:1], v14, off
	
	;;#ASMEND
	v_lshl_add_u64 v[14:15], v[0:1], 0, 32
	;;#ASMSTART
	global_atomic_pk_add_f16 v[14:15], v16, off
	
	;;#ASMEND
	v_cvt_f16_f32_e32 v16, v22
	v_lshl_add_u64 v[14:15], v[0:1], 0, 64
	v_or_b32_e32 v16, v17, v16
	;;#ASMSTART
	global_atomic_pk_add_f16 v[14:15], v16, off
	
	;;#ASMEND
	v_lshl_add_u64 v[14:15], v[0:1], 0, s[30:31]
	v_or_b32_e32 v16, v19, v20
	;;#ASMSTART
	global_atomic_pk_add_f16 v[14:15], v16, off
	
	;;#ASMEND
	s_and_b64 exec, exec, s[8:9]
	s_cbranch_execz .LBB291_42
; %bb.41:                               ;   in Loop: Header=BB291_7 Depth=1
	v_cndmask_b32_e32 v12, v12, v4, vcc
	v_cndmask_b32_e64 v4, v13, v4, s[6:7]
	v_cndmask_b32_e32 v5, v5, v2, vcc
	v_cndmask_b32_e64 v2, v6, v2, s[6:7]
	;; [unrolled: 2-line block ×4, first 2 shown]
	v_cvt_f16_f32_e32 v3, v4
	v_cvt_f16_f32_sdwa v4, v12 dst_sel:WORD_1 dst_unused:UNUSED_PAD src0_sel:DWORD
	v_cvt_f16_f32_e32 v10, v2
	v_cvt_f16_f32_sdwa v5, v5 dst_sel:WORD_1 dst_unused:UNUSED_PAD src0_sel:DWORD
	v_lshl_add_u64 v[0:1], s[28:29], 2, v[0:1]
	v_or_b32_e32 v2, v4, v3
	;;#ASMSTART
	global_atomic_pk_add_f16 v[0:1], v2, off
	
	;;#ASMEND
	v_or_b32_e32 v4, v5, v10
	v_lshl_add_u64 v[2:3], v[0:1], 0, 32
	;;#ASMSTART
	global_atomic_pk_add_f16 v[2:3], v4, off
	
	;;#ASMEND
	v_cvt_f16_f32_e32 v4, v7
	v_cvt_f16_f32_sdwa v5, v6 dst_sel:WORD_1 dst_unused:UNUSED_PAD src0_sel:DWORD
	v_cvt_f16_f32_e32 v6, v9
	v_cvt_f16_f32_sdwa v7, v8 dst_sel:WORD_1 dst_unused:UNUSED_PAD src0_sel:DWORD
	v_lshl_add_u64 v[2:3], v[0:1], 0, 64
	v_or_b32_e32 v4, v5, v4
	;;#ASMSTART
	global_atomic_pk_add_f16 v[2:3], v4, off
	
	;;#ASMEND
	v_lshl_add_u64 v[0:1], v[0:1], 0, s[30:31]
	v_or_b32_e32 v2, v7, v6
	;;#ASMSTART
	global_atomic_pk_add_f16 v[0:1], v2, off
	
	;;#ASMEND
.LBB291_42:                             ;   in Loop: Header=BB291_7 Depth=1
	s_or_b64 exec, exec, s[18:19]
	v_subrev_u32_e32 v124, s68, v124
.LBB291_43:                             ;   in Loop: Header=BB291_7 Depth=1
	s_or_b64 exec, exec, s[48:49]
.LBB291_44:                             ;   in Loop: Header=BB291_7 Depth=1
	s_andn2_saveexec_b64 s[6:7], s[46:47]
	s_cbranch_execz .LBB291_53
; %bb.45:                               ;   in Loop: Header=BB291_7 Depth=1
	s_lshl_b32 s16, s68, 2
	v_cmp_gt_i32_e32 vcc, s16, v124
	s_and_saveexec_b64 s[8:9], vcc
	s_cbranch_execz .LBB291_52
; %bb.46:                               ;   in Loop: Header=BB291_7 Depth=1
	s_mul_i32 s10, s44, s23
	s_ashr_i32 s11, s10, 31
	s_waitcnt lgkmcnt(0)
	s_add_u32 s10, s38, s10
	s_addc_u32 s11, s39, s11
	s_ashr_i32 s12, s66, 31
	s_add_u32 s10, s10, s66
	s_addc_u32 s11, s11, s12
	v_lshl_add_u64 v[0:1], s[10:11], 0, v[68:69]
	v_lshl_add_u64 v[16:17], v[0:1], 0, v[56:57]
	s_mov_b64 s[10:11], 0
	s_branch .LBB291_48
.LBB291_47:                             ;   in Loop: Header=BB291_48 Depth=2
	s_or_b64 exec, exec, s[12:13]
	v_lshl_or_b32 v20, v18, 12, v122
	;;#ASMSTART
	s_waitcnt vmcnt(3)
	;;#ASMEND
	ds_write2_b32 v20, v12, v13 offset1:32
	ds_write2_b32 v20, v14, v15 offset0:64 offset1:96
	v_add_u32_e32 v12, 0x400, v20
	;;#ASMSTART
	s_waitcnt vmcnt(2)
	;;#ASMEND
	ds_write2_b32 v12, v8, v9 offset1:32
	ds_write2_b32 v12, v10, v11 offset0:64 offset1:96
	v_add_u32_e32 v8, 0x800, v20
	;; [unrolled: 6-line block ×3, first 2 shown]
	v_add_u32_e32 v124, s26, v124
	;;#ASMSTART
	s_waitcnt vmcnt(0)
	;;#ASMEND
	ds_write2_b32 v4, v0, v1 offset1:32
	ds_write2_b32 v4, v2, v3 offset0:64 offset1:96
	v_add_u32_e32 v0, 1, v116
	v_add_u32_e32 v62, s26, v18
	v_cmp_le_i32_e32 vcc, s16, v124
	ds_write_b32 v19, v0 offset:24
	v_add_u32_e32 v0, 2, v116
	s_or_b64 s[10:11], vcc, s[10:11]
	v_cmp_lt_i32_e32 vcc, 7, v62
	s_nop 1
	v_cndmask_b32_e32 v116, v116, v0, vcc
	s_andn2_b64 exec, exec, s[10:11]
	s_cbranch_execz .LBB291_51
.LBB291_48:                             ;   Parent Loop BB291_7 Depth=1
                                        ; =>  This Loop Header: Depth=2
                                        ;       Child Loop BB291_50 Depth 3
	v_cmp_gt_i32_e32 vcc, 8, v62
	s_nop 1
	v_cndmask_b32_e64 v0, -8, 0, vcc
	v_add_u32_e32 v18, v0, v62
	v_ashrrev_i32_e32 v0, 31, v124
	v_lshrrev_b32_e32 v0, 30, v0
	v_add_u32_e32 v0, v124, v0
	v_and_b32_e32 v1, -4, v0
	v_lshlrev_b32_e32 v0, 6, v0
	v_sub_u32_e32 v2, v124, v1
	v_and_b32_e32 v0, 0xffffff00, v0
	v_ashrrev_i32_e32 v1, 31, v0
	v_mul_lo_u32 v2, s57, v2
	v_lshl_add_u64 v[0:1], v[16:17], 0, v[0:1]
	v_ashrrev_i32_e32 v3, 31, v2
	v_lshl_add_u64 v[0:1], v[0:1], 0, v[2:3]
	v_lshlrev_b32_e32 v19, 2, v18
	;;#ASMSTART
	global_load_dwordx4 v[12:15], v[0:1], off offset:0    sc0 sc1 nt  
	global_load_dwordx4 v[8:11], v[0:1], off offset:64   sc0 sc1 nt  
	global_load_dwordx4 v[4:7], v[0:1], off offset:128  sc0 sc1 nt  
	global_load_dwordx4 v[0:3], v[0:1], off offset:192  sc0 sc1 nt  
	
	;;#ASMEND
	ds_read_b32 v20, v19 offset:57368
	v_add_u32_e32 v19, 0xe000, v19
	s_waitcnt lgkmcnt(0)
	v_cmp_ne_u32_e32 vcc, v20, v116
	s_and_saveexec_b64 s[12:13], vcc
	s_cbranch_execz .LBB291_47
; %bb.49:                               ;   in Loop: Header=BB291_48 Depth=2
	s_mov_b64 s[14:15], 0
.LBB291_50:                             ;   Parent Loop BB291_7 Depth=1
                                        ;     Parent Loop BB291_48 Depth=2
                                        ; =>    This Inner Loop Header: Depth=3
	;;#ASMSTART
	s_sleep 0
	;;#ASMEND
	ds_read_b32 v20, v19 offset:24
	s_waitcnt lgkmcnt(0)
	v_cmp_eq_u32_e32 vcc, v20, v116
	s_or_b64 s[14:15], vcc, s[14:15]
	s_andn2_b64 exec, exec, s[14:15]
	s_cbranch_execnz .LBB291_50
	s_branch .LBB291_47
.LBB291_51:                             ;   in Loop: Header=BB291_7 Depth=1
	s_or_b64 exec, exec, s[10:11]
.LBB291_52:                             ;   in Loop: Header=BB291_7 Depth=1
	s_or_b64 exec, exec, s[8:9]
	v_subrev_u32_e32 v124, s16, v124
.LBB291_53:                             ;   in Loop: Header=BB291_7 Depth=1
	s_or_b64 exec, exec, s[6:7]
.LBB291_54:                             ;   in Loop: Header=BB291_7 Depth=1
	s_andn2_saveexec_b64 s[6:7], s[34:35]
	s_cbranch_execz .LBB291_6
; %bb.55:                               ;   in Loop: Header=BB291_7 Depth=1
	s_mul_i32 s68, s68, 3
	v_cmp_gt_i32_e32 vcc, s68, v124
	s_and_saveexec_b64 s[8:9], vcc
	s_cbranch_execz .LBB291_5
; %bb.56:                               ;   in Loop: Header=BB291_7 Depth=1
	s_mul_i32 s65, s65, s22
	s_ashr_i32 s10, s65, 31
	s_waitcnt lgkmcnt(0)
	s_add_u32 s11, s36, s65
	v_add_u32_e32 v2, s67, v48
	s_addc_u32 s12, s37, s10
	s_ashr_i32 s13, s66, 31
	v_mul_lo_u32 v0, s22, v48
	v_cmp_gt_u32_e32 vcc, 48, v2
	s_add_u32 s10, s11, s66
	s_addc_u32 s11, s12, s13
	v_cndmask_b32_e32 v0, 0, v0, vcc
	v_ashrrev_i32_e32 v1, 31, v0
	v_lshl_add_u64 v[0:1], s[10:11], 0, v[0:1]
	v_lshl_add_u64 v[16:17], v[0:1], 0, v[56:57]
	v_sub_u32_e32 v18, 47, v2
	s_mov_b64 s[10:11], 0
	s_branch .LBB291_58
.LBB291_57:                             ;   in Loop: Header=BB291_58 Depth=2
	s_or_b64 exec, exec, s[12:13]
	v_or_b32_e32 v21, 0x8000, v122
	v_lshl_add_u32 v21, v19, 12, v21
	;;#ASMSTART
	s_waitcnt vmcnt(3)
	;;#ASMEND
	ds_write2_b32 v21, v12, v13 offset1:32
	ds_write2_b32 v21, v14, v15 offset0:64 offset1:96
	v_add_u32_e32 v12, 0x400, v21
	;;#ASMSTART
	s_waitcnt vmcnt(2)
	;;#ASMEND
	ds_write2_b32 v12, v8, v9 offset1:32
	ds_write2_b32 v12, v10, v11 offset0:64 offset1:96
	v_add_u32_e32 v8, 0x800, v21
	;; [unrolled: 6-line block ×3, first 2 shown]
	v_add_u32_e32 v124, s25, v124
	;;#ASMSTART
	s_waitcnt vmcnt(0)
	;;#ASMEND
	ds_write2_b32 v4, v0, v1 offset1:32
	ds_write2_b32 v4, v2, v3 offset0:64 offset1:96
	v_add_u32_e32 v0, 1, v116
	v_add_u32_e32 v62, s25, v19
	v_cmp_le_i32_e32 vcc, s68, v124
	ds_write_b32 v20, v0
	v_add_u32_e32 v0, 2, v116
	s_or_b64 s[10:11], vcc, s[10:11]
	v_cmp_lt_i32_e32 vcc, 5, v62
	s_nop 1
	v_cndmask_b32_e32 v116, v116, v0, vcc
	s_andn2_b64 exec, exec, s[10:11]
	s_cbranch_execz .LBB291_4
.LBB291_58:                             ;   Parent Loop BB291_7 Depth=1
                                        ; =>  This Loop Header: Depth=2
                                        ;       Child Loop BB291_60 Depth 3
	v_cmp_gt_i32_e32 vcc, 6, v62
	s_nop 1
	v_cndmask_b32_e64 v0, -6, 0, vcc
	v_add_u32_e32 v19, v0, v62
	v_mul_hi_i32 v0, v124, s64
	v_lshrrev_b32_e32 v1, 31, v0
	v_add_u32_e32 v0, v0, v1
	v_lshl_add_u32 v1, v0, 1, v0
	v_sub_u32_e32 v1, v124, v1
	v_lshlrev_b32_e32 v1, 4, v1
	v_cmp_le_i32_e32 vcc, v1, v18
	v_lshlrev_b32_e32 v0, 8, v0
	v_lshlrev_b32_e32 v20, 2, v19
	v_cndmask_b32_e32 v2, 0, v1, vcc
	v_ashrrev_i32_e32 v1, 31, v0
	v_mul_lo_u32 v2, v2, s22
	v_lshl_add_u64 v[0:1], v[16:17], 0, v[0:1]
	v_ashrrev_i32_e32 v3, 31, v2
	v_lshl_add_u64 v[0:1], v[0:1], 0, v[2:3]
	;;#ASMSTART
	global_load_dwordx4 v[12:15], v[0:1], off offset:0    
	global_load_dwordx4 v[8:11], v[0:1], off offset:64   
	;; [unrolled: 1-line block ×4, first 2 shown]
	
	;;#ASMEND
	ds_read_b32 v21, v20 offset:57344
	v_add_u32_e32 v20, 0xe000, v20
	s_waitcnt lgkmcnt(0)
	v_cmp_ne_u32_e32 vcc, v21, v116
	s_and_saveexec_b64 s[12:13], vcc
	s_cbranch_execz .LBB291_57
; %bb.59:                               ;   in Loop: Header=BB291_58 Depth=2
	s_mov_b64 s[14:15], 0
.LBB291_60:                             ;   Parent Loop BB291_7 Depth=1
                                        ;     Parent Loop BB291_58 Depth=2
                                        ; =>    This Inner Loop Header: Depth=3
	;;#ASMSTART
	s_sleep 0
	;;#ASMEND
	ds_read_b32 v21, v20
	s_waitcnt lgkmcnt(0)
	v_cmp_eq_u32_e32 vcc, v21, v116
	s_or_b64 s[14:15], vcc, s[14:15]
	s_andn2_b64 exec, exec, s[14:15]
	s_cbranch_execnz .LBB291_60
	s_branch .LBB291_57
.LBB291_61:
	s_endpgm
	.section	.rodata,"a",@progbits
	.p2align	6, 0x0
	.amdhsa_kernel _Z19_skinny_gemm_kernelILi3ELi4ELi2ELi16ELi8EEvPKhS1_P6__halfPKfiiiiiiii
		.amdhsa_group_segment_fixed_size 57400
		.amdhsa_private_segment_fixed_size 48
		.amdhsa_kernarg_size 64
		.amdhsa_user_sgpr_count 2
		.amdhsa_user_sgpr_dispatch_ptr 0
		.amdhsa_user_sgpr_queue_ptr 0
		.amdhsa_user_sgpr_kernarg_segment_ptr 1
		.amdhsa_user_sgpr_dispatch_id 0
		.amdhsa_user_sgpr_kernarg_preload_length 0
		.amdhsa_user_sgpr_kernarg_preload_offset 0
		.amdhsa_user_sgpr_private_segment_size 0
		.amdhsa_uses_dynamic_stack 0
		.amdhsa_enable_private_segment 1
		.amdhsa_system_sgpr_workgroup_id_x 1
		.amdhsa_system_sgpr_workgroup_id_y 0
		.amdhsa_system_sgpr_workgroup_id_z 0
		.amdhsa_system_sgpr_workgroup_info 0
		.amdhsa_system_vgpr_workitem_id 0
		.amdhsa_next_free_vgpr 128
		.amdhsa_next_free_sgpr 69
		.amdhsa_accum_offset 128
		.amdhsa_reserve_vcc 1
		.amdhsa_float_round_mode_32 0
		.amdhsa_float_round_mode_16_64 0
		.amdhsa_float_denorm_mode_32 3
		.amdhsa_float_denorm_mode_16_64 3
		.amdhsa_dx10_clamp 1
		.amdhsa_ieee_mode 1
		.amdhsa_fp16_overflow 0
		.amdhsa_tg_split 0
		.amdhsa_exception_fp_ieee_invalid_op 0
		.amdhsa_exception_fp_denorm_src 0
		.amdhsa_exception_fp_ieee_div_zero 0
		.amdhsa_exception_fp_ieee_overflow 0
		.amdhsa_exception_fp_ieee_underflow 0
		.amdhsa_exception_fp_ieee_inexact 0
		.amdhsa_exception_int_div_zero 0
	.end_amdhsa_kernel
	.section	.text._Z19_skinny_gemm_kernelILi3ELi4ELi2ELi16ELi8EEvPKhS1_P6__halfPKfiiiiiiii,"axG",@progbits,_Z19_skinny_gemm_kernelILi3ELi4ELi2ELi16ELi8EEvPKhS1_P6__halfPKfiiiiiiii,comdat
.Lfunc_end291:
	.size	_Z19_skinny_gemm_kernelILi3ELi4ELi2ELi16ELi8EEvPKhS1_P6__halfPKfiiiiiiii, .Lfunc_end291-_Z19_skinny_gemm_kernelILi3ELi4ELi2ELi16ELi8EEvPKhS1_P6__halfPKfiiiiiiii
                                        ; -- End function
	.set _Z19_skinny_gemm_kernelILi3ELi4ELi2ELi16ELi8EEvPKhS1_P6__halfPKfiiiiiiii.num_vgpr, 128
	.set _Z19_skinny_gemm_kernelILi3ELi4ELi2ELi16ELi8EEvPKhS1_P6__halfPKfiiiiiiii.num_agpr, 0
	.set _Z19_skinny_gemm_kernelILi3ELi4ELi2ELi16ELi8EEvPKhS1_P6__halfPKfiiiiiiii.numbered_sgpr, 69
	.set _Z19_skinny_gemm_kernelILi3ELi4ELi2ELi16ELi8EEvPKhS1_P6__halfPKfiiiiiiii.num_named_barrier, 0
	.set _Z19_skinny_gemm_kernelILi3ELi4ELi2ELi16ELi8EEvPKhS1_P6__halfPKfiiiiiiii.private_seg_size, 48
	.set _Z19_skinny_gemm_kernelILi3ELi4ELi2ELi16ELi8EEvPKhS1_P6__halfPKfiiiiiiii.uses_vcc, 1
	.set _Z19_skinny_gemm_kernelILi3ELi4ELi2ELi16ELi8EEvPKhS1_P6__halfPKfiiiiiiii.uses_flat_scratch, 0
	.set _Z19_skinny_gemm_kernelILi3ELi4ELi2ELi16ELi8EEvPKhS1_P6__halfPKfiiiiiiii.has_dyn_sized_stack, 0
	.set _Z19_skinny_gemm_kernelILi3ELi4ELi2ELi16ELi8EEvPKhS1_P6__halfPKfiiiiiiii.has_recursion, 0
	.set _Z19_skinny_gemm_kernelILi3ELi4ELi2ELi16ELi8EEvPKhS1_P6__halfPKfiiiiiiii.has_indirect_call, 0
	.section	.AMDGPU.csdata,"",@progbits
; Kernel info:
; codeLenInByte = 8088
; TotalNumSgprs: 75
; NumVgprs: 128
; NumAgprs: 0
; TotalNumVgprs: 128
; ScratchSize: 48
; MemoryBound: 0
; FloatMode: 240
; IeeeMode: 1
; LDSByteSize: 57400 bytes/workgroup (compile time only)
; SGPRBlocks: 9
; VGPRBlocks: 15
; NumSGPRsForWavesPerEU: 75
; NumVGPRsForWavesPerEU: 128
; AccumOffset: 128
; Occupancy: 4
; WaveLimiterHint : 0
; COMPUTE_PGM_RSRC2:SCRATCH_EN: 1
; COMPUTE_PGM_RSRC2:USER_SGPR: 2
; COMPUTE_PGM_RSRC2:TRAP_HANDLER: 0
; COMPUTE_PGM_RSRC2:TGID_X_EN: 1
; COMPUTE_PGM_RSRC2:TGID_Y_EN: 0
; COMPUTE_PGM_RSRC2:TGID_Z_EN: 0
; COMPUTE_PGM_RSRC2:TIDIG_COMP_CNT: 0
; COMPUTE_PGM_RSRC3_GFX90A:ACCUM_OFFSET: 31
; COMPUTE_PGM_RSRC3_GFX90A:TG_SPLIT: 0
	.section	.text._Z19_skinny_gemm_kernelILi3ELi4ELi2ELi32ELi4EEvPKhS1_P6__halfPKfiiiiiiii,"axG",@progbits,_Z19_skinny_gemm_kernelILi3ELi4ELi2ELi32ELi4EEvPKhS1_P6__halfPKfiiiiiiii,comdat
	.protected	_Z19_skinny_gemm_kernelILi3ELi4ELi2ELi32ELi4EEvPKhS1_P6__halfPKfiiiiiiii ; -- Begin function _Z19_skinny_gemm_kernelILi3ELi4ELi2ELi32ELi4EEvPKhS1_P6__halfPKfiiiiiiii
	.globl	_Z19_skinny_gemm_kernelILi3ELi4ELi2ELi32ELi4EEvPKhS1_P6__halfPKfiiiiiiii
	.p2align	8
	.type	_Z19_skinny_gemm_kernelILi3ELi4ELi2ELi32ELi4EEvPKhS1_P6__halfPKfiiiiiiii,@function
_Z19_skinny_gemm_kernelILi3ELi4ELi2ELi32ELi4EEvPKhS1_P6__halfPKfiiiiiiii: ; @_Z19_skinny_gemm_kernelILi3ELi4ELi2ELi32ELi4EEvPKhS1_P6__halfPKfiiiiiiii
; %bb.0:
	v_cmp_gt_u32_e32 vcc, 14, v0
	s_and_saveexec_b64 s[4:5], vcc
; %bb.1:
	v_lshlrev_b32_e32 v1, 2, v0
	v_mov_b32_e32 v2, 0
	ds_write_b32 v1, v2 offset:28672
; %bb.2:
	s_or_b64 exec, exec, s[4:5]
	s_load_dwordx8 s[20:27], s[0:1], 0x20
	s_waitcnt lgkmcnt(0)
	s_barrier
	s_add_i32 s3, s20, 0x5f
	s_mul_hi_i32 s3, s3, 0x2aaaaaab
	s_add_i32 s4, s21, 0x7f
	s_lshr_b32 s5, s3, 31
	s_ashr_i32 s3, s3, 4
	s_add_i32 s12, s3, s5
	s_ashr_i32 s3, s4, 31
	s_lshr_b32 s3, s3, 25
	s_add_i32 s4, s4, s3
	s_ashr_i32 s14, s4, 7
	s_mul_i32 s3, s14, s12
	s_mul_i32 s3, s3, s24
	s_add_i32 s4, s3, 0x12f
	s_mul_hi_i32 s4, s4, 0x6bca1af3
	s_lshr_b32 s5, s4, 31
	s_ashr_i32 s4, s4, 7
	s_add_i32 s4, s4, s5
	s_add_i32 s5, s2, 1
	s_mul_i32 s5, s4, s5
	v_cvt_f64_i32_e32 v[2:3], s3
	v_cvt_f64_u32_e32 v[4:5], s5
	v_min_f64 v[2:3], v[2:3], v[4:5]
	v_cvt_i32_f64_e32 v78, v[2:3]
	s_mul_i32 s33, s4, s2
	v_cmp_ge_i32_e32 vcc, s33, v78
	s_cbranch_vccnz .LBB292_54
; %bb.3:
	s_load_dwordx8 s[72:79], s[0:1], 0x0
	v_lshrrev_b32_e32 v1, 6, v0
	s_add_i32 s0, s26, s25
	v_cmp_le_i32_e64 s[18:19], s0, v1
	v_mov_b32_e32 v2, s25
	v_cmp_le_i32_e64 s[28:29], s25, v1
	v_mov_b32_e32 v3, s26
	v_cndmask_b32_e64 v3, 0, v3, s[18:19]
	v_cndmask_b32_e64 v2, 0, v2, s[28:29]
	s_abs_i32 s1, s24
	v_add_u32_e32 v2, v2, v3
	v_cvt_f32_u32_e32 v3, s1
	v_sub_u32_e32 v72, v1, v2
	s_ashr_i32 s2, s22, 31
	s_lshr_b32 s2, s2, 26
	v_rcp_iflag_f32_e32 v2, v3
	s_sub_i32 s5, 0, s1
	s_add_i32 s2, s22, s2
	s_ashr_i32 s2, s2, 6
	v_mul_f32_e32 v2, 0x4f7ffffe, v2
	v_cvt_u32_f32_e32 v2, v2
	s_abs_i32 s4, s2
	s_xor_b32 s3, s2, s24
	s_ashr_i32 s3, s3, 31
	v_readfirstlane_b32 s6, v2
	s_mul_i32 s5, s5, s6
	s_mul_hi_u32 s5, s6, s5
	s_add_i32 s6, s6, s5
	s_mul_hi_u32 s5, s4, s6
	s_mul_i32 s6, s5, s1
	s_sub_i32 s4, s4, s6
	s_add_i32 s6, s5, 1
	s_sub_i32 s7, s4, s1
	s_cmp_ge_u32 s4, s1
	s_cselect_b32 s5, s6, s5
	s_cselect_b32 s4, s7, s4
	s_add_i32 s6, s5, 1
	s_cmp_ge_u32 s4, s1
	s_cselect_b32 s1, s6, s5
	s_add_i32 s0, s0, s27
	v_and_b32_e32 v80, 31, v0
	v_lshrrev_b32_e32 v2, 3, v0
	v_cmp_gt_i32_e64 s[34:35], s0, v1
	v_lshlrev_b32_e32 v1, 2, v80
	v_and_b32_e32 v3, 4, v2
	v_lshlrev_b32_e32 v2, 6, v3
	v_or_b32_e32 v4, 0x4000, v1
	v_and_b32_e32 v5, 1, v0
	v_or_b32_e32 v81, v4, v2
	v_or_b32_e32 v82, v1, v2
	v_lshlrev_b32_e32 v2, 1, v5
	v_lshrrev_b32_e32 v7, 1, v0
	s_abs_i32 s97, s12
	v_sub_u32_e32 v2, v0, v2
	v_and_b32_e32 v66, 16, v7
	v_cvt_f32_u32_e32 v7, s97
	v_add_u32_e32 v2, 1, v2
	v_and_b32_e32 v6, 63, v2
	v_bitop3_b32 v83, v0, 1, v0 bitop3:0xc
	v_bitop3_b32 v84, v0, 3, 1 bitop3:0x6c
	;; [unrolled: 1-line block ×8, first 2 shown]
	v_and_b32_e32 v2, 30, v0
	v_lshlrev_b32_e32 v0, 4, v0
                                        ; implicit-def: $vgpr127 : SGPR spill to VGPR lane
	v_and_b32_e32 v0, 0x200, v0
	v_writelane_b32 v127, s12, 0
	v_or_b32_e32 v94, v1, v0
	v_rcp_iflag_f32_e32 v1, v7
	v_writelane_b32 v127, s14, 1
	s_waitcnt lgkmcnt(0)
	v_writelane_b32 v127, s72, 2
	s_abs_i32 s98, s14
	v_or_b32_e32 v96, v4, v0
	v_writelane_b32 v127, s73, 3
	v_writelane_b32 v127, s74, 4
	v_mul_f32_e32 v0, 0x4f7ffffe, v1
	v_cvt_f32_u32_e32 v1, s98
	v_writelane_b32 v127, s75, 5
	v_writelane_b32 v127, s76, 6
	;; [unrolled: 1-line block ×4, first 2 shown]
	v_cvt_u32_f32_e32 v0, v0
	v_rcp_iflag_f32_e32 v1, v1
	v_writelane_b32 v127, s79, 9
	v_cndmask_b32_e64 v79, 0, 1, s[18:19]
	s_xor_b32 s1, s1, s3
	v_writelane_b32 v127, s18, 10
	s_sub_i32 s15, s1, s3
	s_add_i32 s30, s24, -1
	v_writelane_b32 v127, s19, 11
	s_mul_i32 s1, s15, s30
	v_writelane_b32 v127, s28, 12
	s_sub_i32 s31, s2, s1
	v_readfirstlane_b32 s1, v0
	v_mul_f32_e32 v0, 0x4f7ffffe, v1
	v_writelane_b32 v127, s29, 13
	v_cvt_u32_f32_e32 v0, v0
	v_writelane_b32 v127, s15, 14
	s_sub_i32 s0, 0, s97
	v_writelane_b32 v127, s30, 15
	s_mul_i32 s0, s0, s1
	v_writelane_b32 v127, s31, 16
	s_mul_hi_u32 s0, s1, s0
	v_writelane_b32 v127, s34, 17
	s_ashr_i32 s36, s12, 31
	s_add_i32 s37, s1, s0
	s_sub_i32 s0, 0, s98
	v_readfirstlane_b32 s1, v0
	v_writelane_b32 v127, s35, 18
	s_mul_i32 s0, s0, s1
	v_mbcnt_lo_u32_b32 v0, -1, 0
	v_writelane_b32 v127, s36, 19
	s_ashr_i32 s38, s14, 31
	s_mul_hi_u32 s0, s1, s0
	v_mbcnt_hi_u32_b32 v0, -1, v0
	v_writelane_b32 v127, s37, 20
	v_mov_b32_e32 v65, 0
	v_mul_lo_u32 v68, s23, v80
	v_or_b32_e32 v97, v5, v3
	s_add_i32 s39, s1, s0
	v_and_or_b32 v0, v0, 64, v6
	v_writelane_b32 v127, s38, 21
	v_ashrrev_i32_e32 v69, 31, v68
	v_mov_b32_e32 v67, v65
	s_lshl_b32 s24, s23, 5
	v_mul_lo_u32 v95, s22, v80
	v_or_b32_e32 v98, 2, v97
	v_lshlrev_b32_e32 v64, 1, v2
	v_lshlrev_b32_e32 v99, 2, v0
	v_mov_b32_e32 v100, v72
	v_writelane_b32 v127, s39, 22
	s_branch .LBB292_7
.LBB292_4:                              ;   in Loop: Header=BB292_7 Depth=1
	s_or_b64 exec, exec, s[4:5]
.LBB292_5:                              ;   in Loop: Header=BB292_7 Depth=1
	s_or_b64 exec, exec, s[2:3]
	v_subrev_u32_e32 v100, s10, v100
.LBB292_6:                              ;   in Loop: Header=BB292_7 Depth=1
	s_or_b64 exec, exec, s[0:1]
	s_add_i32 s33, s33, 1
	v_cmp_ge_i32_e32 vcc, s33, v78
	s_cbranch_vccnz .LBB292_54
.LBB292_7:                              ; =>This Loop Header: Depth=1
                                        ;     Child Loop BB292_13 Depth 2
                                        ;       Child Loop BB292_15 Depth 3
                                        ;       Child Loop BB292_18 Depth 3
	;; [unrolled: 1-line block ×5, first 2 shown]
                                        ;     Child Loop BB292_32 Depth 2
                                        ;     Child Loop BB292_41 Depth 2
                                        ;       Child Loop BB292_43 Depth 3
                                        ;     Child Loop BB292_51 Depth 2
                                        ;       Child Loop BB292_53 Depth 3
	s_abs_i32 s1, s33
	s_mul_hi_u32 s2, s1, s37
	s_mul_i32 s3, s2, s97
	s_ashr_i32 s0, s33, 31
	s_sub_i32 s1, s1, s3
	s_xor_b32 s0, s0, s36
	s_add_i32 s3, s2, 1
	s_sub_i32 s4, s1, s97
	s_cmp_ge_u32 s1, s97
	s_cselect_b32 s2, s3, s2
	s_cselect_b32 s1, s4, s1
	s_add_i32 s3, s2, 1
	s_cmp_ge_u32 s1, s97
	s_cselect_b32 s1, s3, s2
	s_xor_b32 s1, s1, s0
	s_sub_i32 s0, s1, s0
	s_abs_i32 s2, s0
	s_mul_hi_u32 s3, s2, s39
	s_mul_i32 s1, s0, s12
	s_mul_i32 s4, s3, s98
	s_sub_i32 s99, s33, s1
	s_ashr_i32 s1, s0, 31
	s_sub_i32 s2, s2, s4
	s_xor_b32 s1, s1, s38
	s_add_i32 s4, s3, 1
	s_sub_i32 s5, s2, s98
	s_cmp_ge_u32 s2, s98
	s_cselect_b32 s3, s4, s3
	s_cselect_b32 s2, s5, s2
	s_add_i32 s4, s3, 1
	s_cmp_ge_u32 s2, s98
	s_cselect_b32 s2, s4, s3
	s_xor_b32 s2, s2, s1
	s_sub_i32 s1, s2, s1
	s_mul_i32 s2, s1, s15
	s_lshl_b32 s44, s2, 6
	s_mulk_i32 s99, 0x60
	s_cmp_eq_u32 s1, s30
	s_cselect_b32 s4, s31, s15
	s_sub_i32 s2, s99, s20
	s_addk_i32 s2, 0x60
	s_max_i32 s96, s2, 0
	s_and_saveexec_b64 s[2:3], s[28:29]
	s_xor_b64 s[46:47], exec, s[2:3]
	s_cbranch_execz .LBB292_47
; %bb.8:                                ;   in Loop: Header=BB292_7 Depth=1
	s_mul_i32 s1, s1, s14
	s_sub_i32 s0, s0, s1
	s_lshl_b32 s0, s0, 7
	s_sub_i32 s5, s0, s21
	s_addk_i32 s5, 0x80
	s_max_i32 s1, s5, 0
	s_sub_i32 s0, s0, s1
	s_and_saveexec_b64 s[2:3], s[18:19]
	s_xor_b64 s[2:3], exec, s[2:3]
	s_cbranch_execz .LBB292_37
; %bb.9:                                ;   in Loop: Header=BB292_7 Depth=1
	s_and_saveexec_b64 s[48:49], s[34:35]
	s_cbranch_execz .LBB292_36
; %bb.10:                               ;   in Loop: Header=BB292_7 Depth=1
	global_load_dword v101, v65, s[78:79]
	v_mov_b32_e32 v63, 0
	v_cmp_gt_i32_e32 vcc, s4, v100
	v_mov_b32_e32 v62, v63
	v_mov_b32_e32 v61, v63
	;; [unrolled: 1-line block ×63, first 2 shown]
	s_and_saveexec_b64 s[6:7], vcc
	s_cbranch_execz .LBB292_29
; %bb.11:                               ;   in Loop: Header=BB292_7 Depth=1
	v_mov_b32_e32 v0, 0
	s_mov_b64 s[8:9], 0
	v_mov_b32_e32 v1, v0
	v_mov_b32_e32 v2, v0
	;; [unrolled: 1-line block ×63, first 2 shown]
	s_branch .LBB292_13
.LBB292_12:                             ;   in Loop: Header=BB292_13 Depth=2
	s_or_b64 exec, exec, s[10:11]
	v_add_u32_e32 v108, 0x1800, v105
	ds_read2_b32 v[106:107], v108 offset1:32
	v_add_u32_e32 v100, s27, v100
	s_waitcnt lgkmcnt(0)
	v_mfma_f32_32x32x16_fp8_fp8 v[0:15], v[76:77], v[106:107], v[0:15]
	ds_read2_b32 v[76:77], v108 offset0:128 offset1:160
	s_waitcnt lgkmcnt(0)
	v_mfma_f32_32x32x16_fp8_fp8 v[0:15], v[74:75], v[76:77], v[0:15]
	v_add_u32_e32 v76, 0x1c00, v105
	ds_read2_b32 v[74:75], v76 offset1:32
	ds_read2_b32 v[76:77], v76 offset0:128 offset1:160
	ds_write_b32 v103, v104 offset:28700
	s_waitcnt lgkmcnt(2)
	v_mfma_f32_32x32x16_fp8_fp8 v[0:15], v[72:73], v[74:75], v[0:15]
	v_add_u32_e32 v72, s27, v102
	v_add_u32_e32 v73, 2, v79
	v_cmp_lt_i32_e32 vcc, 1, v72
	s_nop 1
	v_cndmask_b32_e32 v79, v79, v73, vcc
	v_cmp_le_i32_e32 vcc, s4, v100
	s_waitcnt lgkmcnt(1)
	v_mfma_f32_32x32x16_fp8_fp8 v[0:15], v[70:71], v[76:77], v[0:15]
	s_or_b64 s[8:9], vcc, s[8:9]
	s_andn2_b64 exec, exec, s[8:9]
	s_cbranch_execz .LBB292_28
.LBB292_13:                             ;   Parent Loop BB292_7 Depth=1
                                        ; =>  This Loop Header: Depth=2
                                        ;       Child Loop BB292_15 Depth 3
                                        ;       Child Loop BB292_18 Depth 3
	;; [unrolled: 1-line block ×5, first 2 shown]
	v_cmp_gt_i32_e32 vcc, 2, v72
	s_nop 1
	v_cndmask_b32_e64 v70, -2, 0, vcc
	v_add_u32_e32 v102, v70, v72
	v_lshlrev_b32_e32 v103, 5, v102
	ds_read_b32 v70, v103 offset:28672
	s_waitcnt lgkmcnt(0)
	v_cmp_ne_u32_e32 vcc, v70, v79
	s_and_saveexec_b64 s[10:11], vcc
	s_cbranch_execz .LBB292_16
; %bb.14:                               ;   in Loop: Header=BB292_13 Depth=2
	s_mov_b64 s[12:13], 0
.LBB292_15:                             ;   Parent Loop BB292_7 Depth=1
                                        ;     Parent Loop BB292_13 Depth=2
                                        ; =>    This Inner Loop Header: Depth=3
	;;#ASMSTART
	s_sleep 0
	;;#ASMEND
	ds_read_b32 v70, v103 offset:28672
	s_waitcnt lgkmcnt(0)
	v_cmp_eq_u32_e32 vcc, v70, v79
	s_or_b64 s[12:13], vcc, s[12:13]
	s_andn2_b64 exec, exec, s[12:13]
	s_cbranch_execnz .LBB292_15
.LBB292_16:                             ;   in Loop: Header=BB292_13 Depth=2
	s_or_b64 exec, exec, s[10:11]
	v_lshl_add_u32 v70, v102, 11, v81
	ds_read2_b32 v[76:77], v70 offset1:32
	ds_read2_b32 v[74:75], v70 offset0:128 offset1:160
	v_add_u32_e32 v70, 0x400, v70
	ds_read2_b32 v[72:73], v70 offset1:32
	ds_read_b32 v105, v103 offset:28676
	ds_read2_b32 v[70:71], v70 offset0:128 offset1:160
	v_add_u32_e32 v104, 1, v79
	ds_write_b32 v103, v104 offset:28672
	s_waitcnt lgkmcnt(2)
	v_cmp_ne_u32_e32 vcc, v105, v79
	s_and_saveexec_b64 s[10:11], vcc
	s_cbranch_execz .LBB292_19
; %bb.17:                               ;   in Loop: Header=BB292_13 Depth=2
	s_mov_b64 s[12:13], 0
.LBB292_18:                             ;   Parent Loop BB292_7 Depth=1
                                        ;     Parent Loop BB292_13 Depth=2
                                        ; =>    This Inner Loop Header: Depth=3
	;;#ASMSTART
	s_sleep 0
	;;#ASMEND
	ds_read_b32 v105, v103 offset:28676
	s_waitcnt lgkmcnt(0)
	v_cmp_eq_u32_e32 vcc, v105, v79
	s_or_b64 s[12:13], vcc, s[12:13]
	s_andn2_b64 exec, exec, s[12:13]
	s_cbranch_execnz .LBB292_18
.LBB292_19:                             ;   in Loop: Header=BB292_13 Depth=2
	s_or_b64 exec, exec, s[10:11]
	v_lshlrev_b32_e32 v105, 13, v102
	v_or_b32_e32 v108, v82, v105
	ds_read2_b32 v[106:107], v108 offset1:32
	ds_write_b32 v103, v104 offset:28676
	s_waitcnt lgkmcnt(1)
	v_mfma_f32_32x32x16_fp8_fp8 v[48:63], v[76:77], v[106:107], v[48:63]
	ds_read2_b32 v[106:107], v108 offset0:128 offset1:160
	v_add_u32_e32 v108, 0x400, v108
	s_waitcnt lgkmcnt(0)
	v_mfma_f32_32x32x16_fp8_fp8 v[48:63], v[74:75], v[106:107], v[48:63]
	ds_read2_b32 v[106:107], v108 offset1:32
	s_waitcnt lgkmcnt(0)
	v_mfma_f32_32x32x16_fp8_fp8 v[48:63], v[72:73], v[106:107], v[48:63]
	ds_read2_b32 v[106:107], v108 offset0:128 offset1:160
	ds_read_b32 v108, v103 offset:28684
	s_waitcnt lgkmcnt(0)
	v_cmp_ne_u32_e32 vcc, v108, v79
	v_mfma_f32_32x32x16_fp8_fp8 v[48:63], v[70:71], v[106:107], v[48:63]
	s_and_saveexec_b64 s[10:11], vcc
	s_cbranch_execz .LBB292_22
; %bb.20:                               ;   in Loop: Header=BB292_13 Depth=2
	s_mov_b64 s[12:13], 0
.LBB292_21:                             ;   Parent Loop BB292_7 Depth=1
                                        ;     Parent Loop BB292_13 Depth=2
                                        ; =>    This Inner Loop Header: Depth=3
	;;#ASMSTART
	s_sleep 0
	;;#ASMEND
	ds_read_b32 v106, v103 offset:28684
	s_waitcnt lgkmcnt(0)
	v_cmp_eq_u32_e32 vcc, v106, v79
	s_or_b64 s[12:13], vcc, s[12:13]
	s_andn2_b64 exec, exec, s[12:13]
	s_cbranch_execnz .LBB292_21
.LBB292_22:                             ;   in Loop: Header=BB292_13 Depth=2
	s_or_b64 exec, exec, s[10:11]
	v_add_u32_e32 v105, v82, v105
	v_add_u32_e32 v108, 0x800, v105
	ds_read2_b32 v[106:107], v108 offset1:32
	ds_write_b32 v103, v104 offset:28684
	s_waitcnt lgkmcnt(1)
	v_mfma_f32_32x32x16_fp8_fp8 v[32:47], v[76:77], v[106:107], v[32:47]
	ds_read2_b32 v[106:107], v108 offset0:128 offset1:160
	v_add_u32_e32 v108, 0xc00, v105
	s_waitcnt lgkmcnt(0)
	v_mfma_f32_32x32x16_fp8_fp8 v[32:47], v[74:75], v[106:107], v[32:47]
	ds_read2_b32 v[106:107], v108 offset1:32
	s_waitcnt lgkmcnt(0)
	v_mfma_f32_32x32x16_fp8_fp8 v[32:47], v[72:73], v[106:107], v[32:47]
	ds_read2_b32 v[106:107], v108 offset0:128 offset1:160
	ds_read_b32 v108, v103 offset:28692
	s_waitcnt lgkmcnt(0)
	v_cmp_ne_u32_e32 vcc, v108, v79
	v_mfma_f32_32x32x16_fp8_fp8 v[32:47], v[70:71], v[106:107], v[32:47]
	s_and_saveexec_b64 s[10:11], vcc
	s_cbranch_execz .LBB292_25
; %bb.23:                               ;   in Loop: Header=BB292_13 Depth=2
	s_mov_b64 s[12:13], 0
.LBB292_24:                             ;   Parent Loop BB292_7 Depth=1
                                        ;     Parent Loop BB292_13 Depth=2
                                        ; =>    This Inner Loop Header: Depth=3
	;;#ASMSTART
	s_sleep 0
	;;#ASMEND
	ds_read_b32 v106, v103 offset:28692
	s_waitcnt lgkmcnt(0)
	v_cmp_eq_u32_e32 vcc, v106, v79
	s_or_b64 s[12:13], vcc, s[12:13]
	s_andn2_b64 exec, exec, s[12:13]
	s_cbranch_execnz .LBB292_24
.LBB292_25:                             ;   in Loop: Header=BB292_13 Depth=2
	s_or_b64 exec, exec, s[10:11]
	v_add_u32_e32 v108, 0x1000, v105
	ds_read2_b32 v[106:107], v108 offset1:32
	s_waitcnt lgkmcnt(0)
	v_mfma_f32_32x32x16_fp8_fp8 v[16:31], v[76:77], v[106:107], v[16:31]
	ds_read2_b32 v[106:107], v108 offset0:128 offset1:160
	v_add_u32_e32 v108, 0x1400, v105
	s_waitcnt lgkmcnt(0)
	v_mfma_f32_32x32x16_fp8_fp8 v[16:31], v[74:75], v[106:107], v[16:31]
	ds_read2_b32 v[106:107], v108 offset1:32
	s_waitcnt lgkmcnt(0)
	v_mfma_f32_32x32x16_fp8_fp8 v[16:31], v[72:73], v[106:107], v[16:31]
	ds_read_b32 v109, v103 offset:28700
	ds_read2_b32 v[106:107], v108 offset0:128 offset1:160
	ds_write_b32 v103, v104 offset:28692
	s_waitcnt lgkmcnt(2)
	v_cmp_ne_u32_e32 vcc, v109, v79
	s_waitcnt lgkmcnt(1)
	v_mfma_f32_32x32x16_fp8_fp8 v[16:31], v[70:71], v[106:107], v[16:31]
	s_and_saveexec_b64 s[10:11], vcc
	s_cbranch_execz .LBB292_12
; %bb.26:                               ;   in Loop: Header=BB292_13 Depth=2
	s_mov_b64 s[12:13], 0
.LBB292_27:                             ;   Parent Loop BB292_7 Depth=1
                                        ;     Parent Loop BB292_13 Depth=2
                                        ; =>    This Inner Loop Header: Depth=3
	;;#ASMSTART
	s_sleep 0
	;;#ASMEND
	ds_read_b32 v106, v103 offset:28700
	s_waitcnt lgkmcnt(0)
	v_cmp_eq_u32_e32 vcc, v106, v79
	s_or_b64 s[12:13], vcc, s[12:13]
	s_andn2_b64 exec, exec, s[12:13]
	s_cbranch_execnz .LBB292_27
	s_branch .LBB292_12
.LBB292_28:                             ;   in Loop: Header=BB292_7 Depth=1
	s_or_b64 exec, exec, s[8:9]
.LBB292_29:                             ;   in Loop: Header=BB292_7 Depth=1
	v_writelane_b32 v127, s48, 23
	s_nop 1
	v_writelane_b32 v127, s49, 24
	v_writelane_b32 v127, s46, 25
	s_nop 1
	v_writelane_b32 v127, s47, 26
	v_writelane_b32 v127, s44, 27
	s_or_b64 exec, exec, s[6:7]
	v_cmp_le_i32_e32 vcc, s5, v80
	v_cmp_eq_u32_e64 s[64:65], 1, v83
	v_cmp_eq_u32_e64 s[30:31], 2, v83
	s_waitcnt vmcnt(0)
	v_cndmask_b32_e32 v70, 0, v101, vcc
	v_pk_mul_f32 v[48:49], v[70:71], v[48:49] op_sel_hi:[0,1]
	v_pk_mul_f32 v[62:63], v[70:71], v[62:63] op_sel_hi:[0,1]
	;; [unrolled: 1-line block ×8, first 2 shown]
	v_cndmask_b32_e64 v70, v48, v49, s[64:65]
	v_cndmask_b32_e64 v70, v70, v50, s[30:31]
	v_cmp_eq_u32_e64 s[40:41], 3, v83
	v_cmp_eq_u32_e64 s[42:43], 4, v83
	v_cmp_eq_u32_e64 s[44:45], 5, v83
	v_cndmask_b32_e64 v70, v70, v51, s[40:41]
	v_cndmask_b32_e64 v70, v70, v52, s[42:43]
	v_cndmask_b32_e64 v70, v70, v53, s[44:45]
	v_cmp_eq_u32_e64 s[46:47], 6, v83
	v_cmp_eq_u32_e64 s[48:49], 7, v83
	v_cmp_eq_u32_e64 s[50:51], 8, v83
	v_cndmask_b32_e64 v70, v70, v54, s[46:47]
	;; [unrolled: 6-line block ×4, first 2 shown]
	v_cndmask_b32_e64 v70, v70, v61, s[60:61]
	v_cndmask_b32_e64 v70, v70, v62, s[62:63]
	v_cmp_eq_u32_e64 s[66:67], 15, v83
	s_mul_i32 s6, s99, s21
	s_ashr_i32 s7, s6, 31
	v_cndmask_b32_e64 v70, v70, v63, s[66:67]
	ds_bpermute_b32 v70, v99, v70
	s_lshl_b64 s[6:7], s[6:7], 1
	v_cmp_eq_u32_e64 s[36:37], 0, v83
	s_add_u32 s70, s76, s6
	v_cmp_eq_u32_e32 vcc, 1, v84
	s_waitcnt lgkmcnt(0)
	v_cndmask_b32_e64 v63, v63, v70, s[66:67]
	v_cndmask_b32_e64 v62, v62, v70, s[62:63]
	;; [unrolled: 1-line block ×16, first 2 shown]
	s_addc_u32 s71, s77, s7
	v_cndmask_b32_e32 v48, v70, v103, vcc
	v_cmp_eq_u32_e64 s[6:7], 2, v84
	v_cmp_eq_u32_e64 s[8:9], 3, v84
	v_cmp_eq_u32_e64 s[10:11], 4, v84
	v_cndmask_b32_e64 v48, v48, v102, s[6:7]
	v_cndmask_b32_e64 v48, v48, v77, s[8:9]
	v_cndmask_b32_e64 v48, v48, v76, s[10:11]
	v_cmp_eq_u32_e64 s[12:13], 5, v84
	v_cmp_eq_u32_e64 s[14:15], 6, v84
	v_cmp_eq_u32_e64 s[16:17], 7, v84
	v_cndmask_b32_e64 v48, v48, v75, s[12:13]
	v_cndmask_b32_e64 v48, v48, v74, s[14:15]
	v_cndmask_b32_e64 v48, v48, v73, s[16:17]
	;; [unrolled: 6-line block ×4, first 2 shown]
	v_cmp_eq_u32_e64 s[34:35], 14, v84
	v_cmp_eq_u32_e64 s[38:39], 15, v84
	s_ashr_i32 s1, s0, 31
	v_cndmask_b32_e64 v48, v48, v62, s[34:35]
	v_cndmask_b32_e64 v48, v48, v63, s[38:39]
	ds_bpermute_b32 v71, v99, v48
	s_lshl_b64 s[68:69], s[0:1], 1
	s_add_u32 s68, s70, s68
	s_addc_u32 s69, s71, s69
	v_writelane_b32 v127, s68, 28
	v_or_b32_e32 v48, 32, v80
	s_waitcnt lgkmcnt(0)
	v_cndmask_b32_e64 v55, v57, v71, s[76:77]
	v_writelane_b32 v127, s69, 29
	v_cndmask_b32_e64 v57, v73, v71, s[16:17]
	v_cmp_le_i32_e64 s[68:69], s5, v48
	v_or_b32_e32 v73, 64, v80
	v_cndmask_b32_e64 v49, v63, v71, s[38:39]
	v_cndmask_b32_e64 v48, 0, v101, s[68:69]
	v_cmp_le_i32_e64 s[68:69], s5, v73
	v_or_b32_e32 v73, 0x60, v80
	v_cndmask_b32_e64 v54, v58, v71, s[78:79]
	v_cndmask_b32_e64 v58, v74, v71, s[14:15]
	;; [unrolled: 1-line block ×3, first 2 shown]
	v_cmp_le_i32_e64 s[70:71], s5, v73
	v_cmp_eq_u32_e64 s[68:69], 0, v84
	v_pk_mul_f32 v[32:33], v[48:49], v[32:33] op_sel_hi:[0,1]
	v_pk_mul_f32 v[30:31], v[74:75], v[30:31] op_sel_hi:[0,1]
	;; [unrolled: 1-line block ×9, first 2 shown]
	v_cndmask_b32_e64 v74, 0, v101, s[70:71]
	v_cndmask_b32_e64 v50, v62, v71, s[34:35]
	v_cndmask_b32_e64 v51, v61, v71, s[28:29]
	v_cndmask_b32_e64 v52, v60, v71, s[82:83]
	v_cndmask_b32_e64 v53, v59, v71, s[80:81]
	v_cndmask_b32_e64 v56, v56, v71, s[18:19]
	v_cndmask_b32_e64 v59, v75, v71, s[12:13]
	v_cndmask_b32_e64 v60, v76, v71, s[10:11]
	v_cndmask_b32_e64 v61, v77, v71, s[8:9]
	v_cndmask_b32_e64 v62, v102, v71, s[6:7]
	v_cndmask_b32_e32 v63, v103, v71, vcc
	v_cndmask_b32_e64 v70, v70, v71, s[68:69]
	v_pk_mul_f32 v[46:47], v[48:49], v[46:47] op_sel_hi:[0,1]
	v_pk_mul_f32 v[44:45], v[48:49], v[44:45] op_sel_hi:[0,1]
	;; [unrolled: 1-line block ×7, first 2 shown]
	v_cndmask_b32_e64 v48, v32, v33, s[64:65]
	v_cndmask_b32_e64 v71, v16, v17, s[64:65]
	v_pk_mul_f32 v[0:1], v[74:75], v[0:1] op_sel_hi:[0,1]
	v_cndmask_b32_e64 v48, v48, v34, s[30:31]
	v_cndmask_b32_e64 v71, v71, v18, s[30:31]
	v_pk_mul_f32 v[14:15], v[74:75], v[14:15] op_sel_hi:[0,1]
	v_pk_mul_f32 v[12:13], v[74:75], v[12:13] op_sel_hi:[0,1]
	;; [unrolled: 1-line block ×7, first 2 shown]
	v_cndmask_b32_e64 v74, v0, v1, s[64:65]
	v_cndmask_b32_e64 v48, v48, v35, s[40:41]
	;; [unrolled: 1-line block ×40, first 2 shown]
	ds_bpermute_b32 v48, v99, v48
	ds_bpermute_b32 v71, v99, v71
	v_cndmask_b32_e64 v74, v74, v15, s[66:67]
	ds_bpermute_b32 v74, v99, v74
	v_cmp_eq_u32_e64 s[70:71], 1, v85
	s_waitcnt lgkmcnt(2)
	v_cndmask_b32_e64 v33, v33, v48, s[64:65]
	s_waitcnt lgkmcnt(1)
	v_cndmask_b32_e64 v17, v17, v71, s[64:65]
	v_cndmask_b32_e64 v73, v70, v63, s[70:71]
	v_cmp_eq_u32_e64 s[64:65], 2, v85
	v_cndmask_b32_e64 v47, v47, v48, s[66:67]
	v_cndmask_b32_e64 v31, v31, v71, s[66:67]
	;; [unrolled: 1-line block ×3, first 2 shown]
	s_waitcnt lgkmcnt(0)
	v_cndmask_b32_e64 v15, v15, v74, s[66:67]
	v_cmp_eq_u32_e64 s[66:67], 3, v85
	v_cndmask_b32_e64 v46, v46, v48, s[62:63]
	v_cndmask_b32_e64 v30, v30, v71, s[62:63]
	v_cndmask_b32_e64 v73, v73, v61, s[66:67]
	v_cndmask_b32_e64 v14, v14, v74, s[62:63]
	v_cmp_eq_u32_e64 s[62:63], 4, v85
	v_cndmask_b32_e64 v45, v45, v48, s[60:61]
	v_cndmask_b32_e64 v29, v29, v71, s[60:61]
	v_cndmask_b32_e64 v73, v73, v60, s[62:63]
	;; [unrolled: 5-line block ×4, first 2 shown]
	v_cndmask_b32_e64 v11, v11, v74, s[56:57]
	v_cmp_eq_u32_e64 s[56:57], 7, v85
	v_cmp_eq_u32_e64 s[72:73], 8, v85
	v_cndmask_b32_e64 v41, v41, v48, s[52:53]
	v_cndmask_b32_e64 v73, v73, v57, s[56:57]
	;; [unrolled: 1-line block ×5, first 2 shown]
	v_cmp_eq_u32_e64 s[52:53], 9, v85
	v_cmp_eq_u32_e64 s[74:75], 10, v85
	v_cndmask_b32_e64 v42, v42, v48, s[54:55]
	v_cndmask_b32_e64 v73, v73, v55, s[52:53]
	v_cndmask_b32_e64 v26, v26, v71, s[54:55]
	v_cndmask_b32_e64 v10, v10, v74, s[54:55]
	v_cndmask_b32_e64 v73, v73, v54, s[74:75]
	v_cmp_eq_u32_e64 s[54:55], 11, v85
	v_cndmask_b32_e64 v39, v39, v48, s[48:49]
	v_cndmask_b32_e64 v23, v23, v71, s[48:49]
	v_cndmask_b32_e64 v7, v7, v74, s[48:49]
	v_cndmask_b32_e64 v73, v73, v53, s[54:55]
	v_cmp_eq_u32_e64 s[48:49], 12, v85
	v_cndmask_b32_e64 v37, v37, v48, s[44:45]
	v_cndmask_b32_e64 v21, v21, v71, s[44:45]
	v_cndmask_b32_e64 v73, v73, v52, s[48:49]
	v_cndmask_b32_e64 v5, v5, v74, s[44:45]
	;; [unrolled: 5-line block ×4, first 2 shown]
	v_cmp_eq_u32_e64 s[42:43], 15, v85
	v_cndmask_b32_e64 v34, v34, v48, s[30:31]
	v_cndmask_b32_e64 v18, v18, v71, s[30:31]
	;; [unrolled: 1-line block ×3, first 2 shown]
	ds_bpermute_b32 v73, v99, v73
	v_cndmask_b32_e64 v2, v2, v74, s[30:31]
	v_cmp_ne_u32_e64 s[30:31], 0, v83
	v_cndmask_b32_e64 v32, v32, v48, s[36:37]
	v_cndmask_b32_e64 v40, v40, v48, s[50:51]
	;; [unrolled: 1-line block ×6, first 2 shown]
	v_cmp_eq_u32_e64 s[50:51], 0, v85
	v_cndmask_b32_e32 v48, v32, v33, vcc
	v_cndmask_b32_e64 v0, v0, v74, s[36:37]
	s_waitcnt lgkmcnt(0)
	v_cndmask_b32_e64 v49, v49, v73, s[42:43]
	v_cndmask_b32_e64 v50, v50, v73, s[46:47]
	;; [unrolled: 1-line block ×17, first 2 shown]
	v_cndmask_b32_e32 v73, v0, v1, vcc
	v_cndmask_b32_e64 v3, v3, v74, s[40:41]
	v_cndmask_b32_e64 v48, v48, v35, s[8:9]
	;; [unrolled: 1-line block ×22, first 2 shown]
	v_cndmask_b32_e32 v71, v16, v17, vcc
	v_cndmask_b32_e64 v73, v73, v11, s[80:81]
	v_cndmask_b32_e64 v48, v48, v45, s[28:29]
	;; [unrolled: 1-line block ×10, first 2 shown]
	ds_bpermute_b32 v48, v99, v48
	v_cndmask_b32_e64 v71, v71, v21, s[12:13]
	v_cndmask_b32_e64 v73, v73, v15, s[38:39]
	;; [unrolled: 1-line block ×3, first 2 shown]
	ds_bpermute_b32 v73, v99, v73
	v_cndmask_b32_e64 v71, v71, v23, s[16:17]
	v_cndmask_b32_e64 v71, v71, v24, s[18:19]
	;; [unrolled: 1-line block ×4, first 2 shown]
	s_waitcnt lgkmcnt(1)
	v_cndmask_b32_e32 v33, v33, v48, vcc
	v_cndmask_b32_e64 v32, v32, v48, s[68:69]
	v_cndmask_b32_e64 v71, v71, v27, s[80:81]
	;; [unrolled: 1-line block ×16, first 2 shown]
	s_waitcnt lgkmcnt(0)
	v_cndmask_b32_e32 v1, v1, v73, vcc
	v_cndmask_b32_e64 v48, v32, v33, s[70:71]
	v_cndmask_b32_e64 v0, v0, v73, s[68:69]
	;; [unrolled: 1-line block ×28, first 2 shown]
	ds_bpermute_b32 v71, v99, v71
	v_cndmask_b32_e64 v48, v48, v38, s[58:59]
	v_cndmask_b32_e64 v73, v73, v5, s[60:61]
	v_cndmask_b32_e64 v48, v48, v39, s[56:57]
	v_cndmask_b32_e64 v73, v73, v6, s[58:59]
	v_cndmask_b32_e64 v48, v48, v40, s[72:73]
	v_cndmask_b32_e64 v73, v73, v7, s[56:57]
	v_cndmask_b32_e64 v48, v48, v41, s[52:53]
	v_cndmask_b32_e64 v73, v73, v8, s[72:73]
	v_cmp_eq_u32_e64 s[30:31], 1, v86
	v_cndmask_b32_e64 v48, v48, v42, s[74:75]
	v_cndmask_b32_e64 v73, v73, v9, s[52:53]
	;; [unrolled: 1-line block ×3, first 2 shown]
	v_cmp_eq_u32_e64 s[36:37], 2, v86
	s_waitcnt lgkmcnt(0)
	v_cndmask_b32_e32 v17, v17, v71, vcc
	v_cndmask_b32_e64 v48, v48, v43, s[54:55]
	v_cndmask_b32_e64 v16, v16, v71, s[68:69]
	;; [unrolled: 1-line block ×6, first 2 shown]
	v_cmp_eq_u32_e64 s[34:35], 3, v86
	v_cndmask_b32_e64 v29, v29, v71, s[28:29]
	v_cndmask_b32_e64 v28, v28, v71, s[82:83]
	;; [unrolled: 1-line block ×16, first 2 shown]
	v_cmp_eq_u32_e64 s[40:41], 4, v86
	v_cndmask_b32_e64 v48, v48, v45, s[44:45]
	v_cndmask_b32_e64 v71, v71, v18, s[64:65]
	v_cndmask_b32_e64 v73, v73, v12, s[48:49]
	v_cndmask_b32_e64 v74, v74, v60, s[40:41]
	v_cmp_eq_u32_e64 s[84:85], 5, v86
	v_cndmask_b32_e64 v48, v48, v46, s[46:47]
	v_cndmask_b32_e64 v71, v71, v19, s[66:67]
	v_cndmask_b32_e64 v73, v73, v13, s[44:45]
	v_cndmask_b32_e64 v74, v74, v59, s[84:85]
	;; [unrolled: 5-line block ×3, first 2 shown]
	v_cmp_eq_u32_e64 s[78:79], 7, v86
	ds_bpermute_b32 v48, v99, v48
	v_cndmask_b32_e64 v71, v71, v21, s[60:61]
	v_cndmask_b32_e64 v73, v73, v15, s[42:43]
	;; [unrolled: 1-line block ×3, first 2 shown]
	v_cmp_eq_u32_e64 s[92:93], 8, v86
	v_cndmask_b32_e64 v71, v71, v22, s[58:59]
	ds_bpermute_b32 v73, v99, v73
	v_cndmask_b32_e64 v74, v74, v56, s[92:93]
	v_cmp_eq_u32_e64 s[18:19], 9, v86
	v_cndmask_b32_e64 v71, v71, v23, s[56:57]
	v_cmp_eq_u32_e64 s[16:17], 10, v86
	v_cndmask_b32_e64 v74, v74, v55, s[18:19]
	v_cndmask_b32_e64 v71, v71, v24, s[72:73]
	;; [unrolled: 1-line block ×3, first 2 shown]
	v_cmp_eq_u32_e64 s[14:15], 11, v86
	v_cndmask_b32_e64 v71, v71, v25, s[52:53]
	v_cmp_eq_u32_e64 s[12:13], 12, v86
	v_cndmask_b32_e64 v74, v74, v53, s[14:15]
	v_cndmask_b32_e64 v71, v71, v26, s[74:75]
	s_waitcnt lgkmcnt(1)
	v_cndmask_b32_e64 v33, v33, v48, s[70:71]
	v_cndmask_b32_e64 v32, v32, v48, s[50:51]
	;; [unrolled: 1-line block ×3, first 2 shown]
	v_cmp_eq_u32_e64 s[38:39], 13, v86
	v_cndmask_b32_e64 v71, v71, v27, s[54:55]
	v_cndmask_b32_e64 v47, v47, v48, s[42:43]
	;; [unrolled: 1-line block ×15, first 2 shown]
	s_waitcnt lgkmcnt(0)
	v_cndmask_b32_e64 v1, v1, v73, s[70:71]
	v_cndmask_b32_e64 v48, v32, v33, s[30:31]
	;; [unrolled: 1-line block ×4, first 2 shown]
	v_cmp_eq_u32_e64 s[8:9], 14, v86
	v_cndmask_b32_e64 v71, v71, v28, s[48:49]
	v_cndmask_b32_e64 v15, v15, v73, s[42:43]
	;; [unrolled: 1-line block ×18, first 2 shown]
	v_cmp_eq_u32_e64 s[6:7], 15, v86
	v_cndmask_b32_e64 v71, v71, v29, s[44:45]
	v_cndmask_b32_e64 v48, v48, v35, s[34:35]
	;; [unrolled: 1-line block ×7, first 2 shown]
	ds_bpermute_b32 v74, v99, v74
	v_cndmask_b32_e64 v71, v71, v31, s[42:43]
	v_cndmask_b32_e64 v48, v48, v37, s[84:85]
	;; [unrolled: 1-line block ×3, first 2 shown]
	ds_bpermute_b32 v71, v99, v71
	v_cndmask_b32_e64 v48, v48, v38, s[88:89]
	v_cndmask_b32_e64 v73, v73, v5, s[84:85]
	;; [unrolled: 1-line block ×6, first 2 shown]
	v_cmp_eq_u32_e64 s[10:11], 0, v86
	v_cndmask_b32_e64 v48, v48, v41, s[18:19]
	v_cndmask_b32_e64 v73, v73, v8, s[92:93]
	s_waitcnt lgkmcnt(1)
	v_cndmask_b32_e64 v63, v63, v74, s[30:31]
	v_cndmask_b32_e64 v70, v70, v74, s[10:11]
	v_cmp_eq_u32_e64 s[28:29], 1, v87
	v_cndmask_b32_e64 v48, v48, v42, s[16:17]
	v_cndmask_b32_e64 v73, v73, v9, s[18:19]
	;; [unrolled: 1-line block ×17, first 2 shown]
	s_waitcnt lgkmcnt(0)
	v_cndmask_b32_e64 v31, v31, v71, s[42:43]
	v_cmp_eq_u32_e64 s[42:43], 2, v87
	v_cndmask_b32_e64 v17, v17, v71, s[70:71]
	v_cndmask_b32_e64 v48, v48, v43, s[14:15]
	;; [unrolled: 1-line block ×6, first 2 shown]
	v_cmp_eq_u32_e64 s[46:47], 3, v87
	v_cndmask_b32_e64 v29, v29, v71, s[44:45]
	v_cndmask_b32_e64 v28, v28, v71, s[48:49]
	;; [unrolled: 1-line block ×16, first 2 shown]
	v_cmp_eq_u32_e64 s[44:45], 4, v87
	v_cndmask_b32_e64 v48, v48, v45, s[38:39]
	v_cndmask_b32_e64 v71, v71, v18, s[36:37]
	v_cndmask_b32_e64 v73, v73, v12, s[12:13]
	v_cndmask_b32_e64 v74, v74, v60, s[44:45]
	v_cmp_eq_u32_e64 s[48:49], 5, v87
	v_cndmask_b32_e64 v48, v48, v46, s[8:9]
	v_cndmask_b32_e64 v71, v71, v19, s[34:35]
	v_cndmask_b32_e64 v73, v73, v13, s[38:39]
	v_cndmask_b32_e64 v74, v74, v59, s[48:49]
	;; [unrolled: 5-line block ×3, first 2 shown]
	v_cmp_eq_u32_e64 s[68:69], 7, v87
	ds_bpermute_b32 v48, v99, v48
	v_cndmask_b32_e64 v71, v71, v21, s[84:85]
	v_cndmask_b32_e64 v73, v73, v15, s[6:7]
	;; [unrolled: 1-line block ×3, first 2 shown]
	v_cmp_eq_u32_e64 s[74:75], 8, v87
	v_cndmask_b32_e64 v71, v71, v22, s[88:89]
	ds_bpermute_b32 v73, v99, v73
	v_cndmask_b32_e64 v74, v74, v56, s[74:75]
	v_cmp_eq_u32_e64 s[72:73], 9, v87
	v_cndmask_b32_e64 v71, v71, v23, s[78:79]
	v_cmp_eq_u32_e64 s[76:77], 10, v87
	v_cndmask_b32_e64 v74, v74, v55, s[72:73]
	v_cndmask_b32_e64 v71, v71, v24, s[92:93]
	;; [unrolled: 1-line block ×3, first 2 shown]
	v_cmp_eq_u32_e64 s[80:81], 11, v87
	v_cndmask_b32_e64 v71, v71, v25, s[18:19]
	v_cmp_eq_u32_e64 s[60:61], 12, v87
	v_cndmask_b32_e64 v74, v74, v53, s[80:81]
	v_cndmask_b32_e64 v71, v71, v26, s[16:17]
	s_waitcnt lgkmcnt(1)
	v_cndmask_b32_e64 v33, v33, v48, s[30:31]
	v_cndmask_b32_e64 v32, v32, v48, s[10:11]
	;; [unrolled: 1-line block ×3, first 2 shown]
	v_cmp_eq_u32_e64 s[82:83], 13, v87
	v_cndmask_b32_e64 v71, v71, v27, s[14:15]
	v_cndmask_b32_e64 v34, v34, v48, s[36:37]
	s_waitcnt lgkmcnt(0)
	v_cndmask_b32_e64 v102, v1, v73, s[30:31]
	v_cndmask_b32_e64 v1, v32, v33, s[28:29]
	;; [unrolled: 1-line block ×3, first 2 shown]
	v_cmp_eq_u32_e64 s[86:87], 14, v87
	v_cndmask_b32_e64 v71, v71, v28, s[12:13]
	v_cndmask_b32_e64 v35, v35, v48, s[34:35]
	;; [unrolled: 1-line block ×4, first 2 shown]
	v_cmp_eq_u32_e64 s[90:91], 15, v87
	v_cndmask_b32_e64 v71, v71, v29, s[38:39]
	v_cndmask_b32_e64 v36, v36, v48, s[40:41]
	;; [unrolled: 1-line block ×7, first 2 shown]
	ds_bpermute_b32 v74, v99, v74
	v_cndmask_b32_e64 v71, v71, v31, s[6:7]
	v_cndmask_b32_e64 v38, v38, v48, s[88:89]
	;; [unrolled: 1-line block ×3, first 2 shown]
	ds_bpermute_b32 v71, v99, v71
	v_cndmask_b32_e64 v39, v39, v48, s[78:79]
	v_cndmask_b32_e64 v1, v1, v38, s[54:55]
	;; [unrolled: 1-line block ×6, first 2 shown]
	v_cmp_eq_u32_e64 s[52:53], 0, v87
	v_cndmask_b32_e64 v42, v42, v48, s[16:17]
	v_cndmask_b32_e64 v1, v1, v41, s[72:73]
	s_waitcnt lgkmcnt(1)
	v_cndmask_b32_e64 v63, v63, v74, s[28:29]
	v_cndmask_b32_e64 v70, v70, v74, s[52:53]
	v_cmp_eq_u32_e32 vcc, 1, v88
	v_cndmask_b32_e64 v43, v43, v48, s[14:15]
	v_cndmask_b32_e64 v1, v1, v42, s[76:77]
	;; [unrolled: 1-line block ×16, first 2 shown]
	v_cndmask_b32_e32 v74, v70, v63, vcc
	v_cndmask_b32_e64 v47, v47, v48, s[6:7]
	s_waitcnt lgkmcnt(0)
	v_cndmask_b32_e64 v31, v31, v71, s[6:7]
	v_cndmask_b32_e64 v15, v15, v73, s[6:7]
	v_cmp_eq_u32_e64 s[6:7], 2, v88
	v_cndmask_b32_e64 v44, v44, v48, s[12:13]
	v_cndmask_b32_e64 v1, v1, v43, s[80:81]
	;; [unrolled: 1-line block ×6, first 2 shown]
	v_cmp_eq_u32_e64 s[8:9], 3, v88
	v_cndmask_b32_e64 v45, v45, v48, s[38:39]
	v_cndmask_b32_e64 v1, v1, v44, s[60:61]
	;; [unrolled: 1-line block ×5, first 2 shown]
	v_cmp_eq_u32_e64 s[38:39], 4, v88
	v_cndmask_b32_e64 v1, v1, v45, s[82:83]
	v_cmp_eq_u32_e64 s[50:51], 5, v88
	v_cndmask_b32_e64 v74, v74, v60, s[38:39]
	v_cndmask_b32_e64 v1, v1, v46, s[86:87]
	;; [unrolled: 1-line block ×5, first 2 shown]
	v_cmp_eq_u32_e64 s[56:57], 6, v88
	v_cndmask_b32_e64 v10, v10, v73, s[16:17]
	v_cndmask_b32_e64 v9, v9, v73, s[18:19]
	;; [unrolled: 1-line block ×14, first 2 shown]
	v_cmp_eq_u32_e64 s[58:59], 7, v88
	v_cndmask_b32_e64 v18, v18, v71, s[36:37]
	ds_bpermute_b32 v48, v99, v1
	v_cndmask_b32_e64 v1, v16, v101, s[28:29]
	v_cndmask_b32_e64 v0, v73, v102, s[28:29]
	;; [unrolled: 1-line block ×3, first 2 shown]
	v_cmp_eq_u32_e64 s[64:65], 8, v88
	v_cndmask_b32_e64 v19, v19, v71, s[34:35]
	v_cndmask_b32_e64 v1, v1, v18, s[42:43]
	v_cndmask_b32_e64 v0, v0, v2, s[42:43]
	v_cndmask_b32_e64 v74, v74, v56, s[64:65]
	v_cmp_eq_u32_e64 s[70:71], 9, v88
	v_cndmask_b32_e64 v20, v20, v71, s[40:41]
	v_cndmask_b32_e64 v1, v1, v19, s[46:47]
	v_cndmask_b32_e64 v0, v0, v3, s[46:47]
	v_cndmask_b32_e64 v74, v74, v55, s[70:71]
	v_cndmask_b32_e64 v23, v23, v71, s[78:79]
	v_cmp_eq_u32_e64 s[78:79], 10, v88
	v_cndmask_b32_e64 v21, v21, v71, s[84:85]
	;; [unrolled: 6-line block ×3, first 2 shown]
	v_cndmask_b32_e64 v0, v0, v5, s[48:49]
	v_cndmask_b32_e64 v74, v74, v53, s[66:67]
	v_cmp_eq_u32_e64 s[62:63], 12, v88
	v_cndmask_b32_e64 v1, v1, v22, s[54:55]
	v_cndmask_b32_e64 v0, v0, v6, s[54:55]
	v_cndmask_b32_e64 v24, v24, v71, s[92:93]
	v_cndmask_b32_e64 v74, v74, v52, s[62:63]
	v_cmp_eq_u32_e64 s[84:85], 13, v88
	v_cndmask_b32_e64 v1, v1, v23, s[68:69]
	v_cndmask_b32_e64 v0, v0, v7, s[68:69]
	;; [unrolled: 5-line block ×4, first 2 shown]
	v_cndmask_b32_e64 v27, v27, v71, s[14:15]
	v_cndmask_b32_e64 v74, v74, v49, s[92:93]
	;; [unrolled: 1-line block ×5, first 2 shown]
	ds_bpermute_b32 v74, v99, v74
	v_cndmask_b32_e64 v1, v1, v27, s[80:81]
	v_cndmask_b32_e64 v0, v0, v11, s[80:81]
	;; [unrolled: 1-line block ×8, first 2 shown]
	v_cmp_eq_u32_e64 s[94:95], 0, v88
	v_cndmask_b32_e64 v1, v1, v31, s[90:91]
	v_cndmask_b32_e64 v0, v0, v15, s[90:91]
	s_waitcnt lgkmcnt(0)
	v_cndmask_b32_e64 v49, v49, v74, s[92:93]
	v_cndmask_b32_e64 v50, v50, v74, s[88:89]
	;; [unrolled: 1-line block ×14, first 2 shown]
	v_cndmask_b32_e32 v63, v63, v74, vcc
	v_cndmask_b32_e64 v70, v70, v74, s[94:95]
	ds_bpermute_b32 v71, v99, v1
	ds_bpermute_b32 v74, v99, v0
	v_cndmask_b32_e64 v57, v35, v48, s[46:47]
	v_cndmask_b32_e64 v93, v36, v48, s[44:45]
	;; [unrolled: 1-line block ×3, first 2 shown]
	s_waitcnt lgkmcnt(1)
	v_cndmask_b32_e64 v107, v29, v71, s[82:83]
	s_waitcnt lgkmcnt(0)
	v_cndmask_b32_e64 v110, v12, v74, s[60:61]
	v_cndmask_b32_e64 v12, v33, v48, s[28:29]
	;; [unrolled: 1-line block ×7, first 2 shown]
	v_cndmask_b32_e32 v19, v29, v12, vcc
	v_cndmask_b32_e64 v19, v19, v4, s[6:7]
	v_cndmask_b32_e64 v19, v19, v57, s[8:9]
	;; [unrolled: 1-line block ×30, first 2 shown]
	ds_bpermute_b32 v30, v99, v19
	v_cndmask_b32_e32 v19, v16, v13, vcc
	v_cndmask_b32_e64 v19, v19, v5, s[6:7]
	v_cndmask_b32_e64 v55, v20, v71, s[44:45]
	;; [unrolled: 1-line block ×17, first 2 shown]
	v_cmp_eq_u32_e64 s[10:11], 1, v89
	v_cndmask_b32_e64 v109, v28, v71, s[60:61]
	v_cndmask_b32_e64 v19, v19, v111, s[66:67]
	;; [unrolled: 1-line block ×3, first 2 shown]
	v_cmp_eq_u32_e64 s[12:13], 2, v89
	v_cndmask_b32_e64 v19, v19, v109, s[62:63]
	v_cmp_eq_u32_e64 s[14:15], 3, v89
	v_cndmask_b32_e64 v0, v0, v62, s[12:13]
	v_cndmask_b32_e64 v19, v19, v107, s[84:85]
	;; [unrolled: 1-line block ×4, first 2 shown]
	v_cmp_eq_u32_e64 s[16:17], 4, v89
	v_cndmask_b32_e64 v19, v19, v105, s[88:89]
	v_cndmask_b32_e64 v106, v14, v74, s[86:87]
	;; [unrolled: 1-line block ×3, first 2 shown]
	v_cmp_eq_u32_e64 s[18:19], 5, v89
	v_cndmask_b32_e64 v14, v102, v74, s[28:29]
	v_cndmask_b32_e64 v19, v19, v103, s[92:93]
	v_cndmask_b32_e64 v21, v73, v74, s[52:53]
	v_cndmask_b32_e64 v0, v0, v59, s[18:19]
	v_cndmask_b32_e64 v112, v11, v74, s[80:81]
	v_cmp_eq_u32_e64 s[80:81], 6, v89
	v_cndmask_b32_e64 v125, v6, v74, s[54:55]
	v_cndmask_b32_e64 v6, v2, v74, s[42:43]
	ds_bpermute_b32 v20, v99, v19
	v_cndmask_b32_e32 v19, v21, v14, vcc
	v_cndmask_b32_e64 v0, v0, v58, s[80:81]
	v_cndmask_b32_e64 v114, v10, v74, s[76:77]
	v_cmp_eq_u32_e64 s[76:77], 7, v89
	v_cndmask_b32_e64 v3, v3, v74, s[46:47]
	v_cndmask_b32_e64 v19, v19, v6, s[6:7]
	;; [unrolled: 1-line block ×4, first 2 shown]
	v_cmp_eq_u32_e64 s[72:73], 8, v89
	v_cndmask_b32_e64 v19, v19, v3, s[8:9]
	v_cmp_eq_u32_e64 s[30:31], 9, v89
	v_cndmask_b32_e64 v0, v0, v76, s[72:73]
	v_cndmask_b32_e64 v19, v19, v56, s[38:39]
	v_cndmask_b32_e64 v0, v0, v75, s[30:31]
	v_cmp_eq_u32_e64 s[34:35], 10, v89
	v_cndmask_b32_e64 v19, v19, v92, s[50:51]
	v_cndmask_b32_e64 v122, v7, v74, s[68:69]
	;; [unrolled: 4-line block ×3, first 2 shown]
	v_cndmask_b32_e64 v0, v0, v53, s[36:37]
	v_cmp_eq_u32_e64 s[40:41], 12, v89
	v_cndmask_b32_e64 v19, v19, v122, s[58:59]
	v_cmp_eq_u32_e64 s[44:45], 13, v89
	v_cndmask_b32_e64 v0, v0, v52, s[40:41]
	v_cndmask_b32_e64 v19, v19, v119, s[64:65]
	;; [unrolled: 1-line block ×3, first 2 shown]
	v_cmp_eq_u32_e64 s[46:47], 14, v89
	v_cndmask_b32_e64 v19, v19, v116, s[70:71]
	v_cmp_eq_u32_e64 s[42:43], 15, v89
	v_cndmask_b32_e64 v0, v0, v50, s[46:47]
	v_cndmask_b32_e64 v19, v19, v114, s[78:79]
	v_cndmask_b32_e64 v0, v0, v49, s[42:43]
	v_cndmask_b32_e64 v19, v19, v112, s[66:67]
	ds_bpermute_b32 v0, v99, v0
	v_cndmask_b32_e64 v19, v19, v110, s[62:63]
	v_cndmask_b32_e64 v19, v19, v108, s[84:85]
	;; [unrolled: 1-line block ×4, first 2 shown]
	v_cmp_eq_u32_e64 s[28:29], 0, v89
	ds_bpermute_b32 v28, v99, v19
	s_waitcnt lgkmcnt(1)
	v_cndmask_b32_e64 v7, v49, v0, s[42:43]
	v_cndmask_b32_e64 v8, v50, v0, s[46:47]
	;; [unrolled: 1-line block ×16, first 2 shown]
	v_cmp_eq_u32_e64 s[48:49], 1, v90
	v_cmp_eq_u32_e64 s[52:53], 2, v90
	;; [unrolled: 1-line block ×3, first 2 shown]
	v_cndmask_b32_e64 v33, v0, v18, s[48:49]
	v_cndmask_b32_e64 v34, v33, v17, s[52:53]
	;; [unrolled: 1-line block ×3, first 2 shown]
	v_cmp_eq_u32_e64 s[60:61], 4, v90
	v_cndmask_b32_e64 v58, v44, v30, s[62:63]
	v_cndmask_b32_e64 v38, v109, v20, s[62:63]
	;; [unrolled: 1-line block ×3, first 2 shown]
	s_waitcnt lgkmcnt(0)
	v_cndmask_b32_e64 v35, v110, v28, s[62:63]
	v_cmp_eq_u32_e64 s[62:63], 5, v90
	v_cndmask_b32_e64 v59, v43, v30, s[66:67]
	v_cndmask_b32_e64 v48, v112, v28, s[66:67]
	;; [unrolled: 1-line block ×4, first 2 shown]
	v_cmp_eq_u32_e64 s[66:67], 6, v90
	v_cmp_eq_u32_e64 s[68:69], 7, v90
	v_cndmask_b32_e64 v60, v42, v30, s[78:79]
	v_cndmask_b32_e64 v43, v40, v26, s[66:67]
	;; [unrolled: 1-line block ×6, first 2 shown]
	v_cmp_eq_u32_e64 s[70:71], 8, v90
	v_cndmask_b32_e64 v62, v117, v30, s[64:65]
	v_cndmask_b32_e64 v51, v119, v28, s[64:65]
	v_cndmask_b32_e64 v43, v42, v24, s[70:71]
	v_cndmask_b32_e64 v42, v118, v20, s[64:65]
	v_cmp_eq_u32_e64 s[64:65], 9, v90
	v_cndmask_b32_e64 v63, v120, v30, s[58:59]
	v_cndmask_b32_e64 v52, v122, v28, s[58:59]
	v_cndmask_b32_e64 v44, v43, v23, s[64:65]
	v_cndmask_b32_e64 v43, v121, v20, s[58:59]
	;; [unrolled: 5-line block ×3, first 2 shown]
	v_cndmask_b32_e64 v44, v124, v20, s[56:57]
	v_cndmask_b32_e64 v53, v125, v28, s[56:57]
	v_cmp_eq_u32_e64 s[56:57], 11, v90
	v_cndmask_b32_e64 v73, v126, v30, s[50:51]
	v_cndmask_b32_e64 v54, v92, v28, s[50:51]
	v_cndmask_b32_e64 v71, v45, v11, s[56:57]
	v_cndmask_b32_e64 v45, v91, v20, s[50:51]
	v_cmp_eq_u32_e64 s[50:51], 12, v90
	v_cndmask_b32_e64 v74, v93, v30, s[38:39]
	v_cndmask_b32_e64 v75, v55, v20, s[38:39]
	;; [unrolled: 5-line block ×4, first 2 shown]
	v_cndmask_b32_e64 v3, v56, v8, s[8:9]
	v_cndmask_b32_e64 v56, v4, v30, s[6:7]
	v_cmp_eq_u32_e64 s[6:7], 15, v90
	v_cndmask_b32_e32 v93, v12, v30, vcc
	v_cndmask_b32_e64 v46, v46, v30, s[88:89]
	v_cndmask_b32_e64 v3, v3, v7, s[6:7]
	ds_bpermute_b32 v92, v99, v3
	v_cndmask_b32_e32 v101, v13, v20, vcc
	v_cndmask_b32_e32 v102, v14, v28, vcc
	v_cndmask_b32_e64 v16, v16, v20, s[94:95]
	v_cndmask_b32_e64 v40, v113, v20, s[78:79]
	s_waitcnt lgkmcnt(0)
	v_cndmask_b32_e64 v12, v10, v92, s[50:51]
	v_cndmask_b32_e64 v10, v22, v92, s[58:59]
	;; [unrolled: 1-line block ×20, first 2 shown]
	ds_bpermute_b32 v23, v99, v3
	v_cndmask_b32_e64 v6, v26, v92, s[66:67]
	v_cndmask_b32_e64 v4, v1, v92, s[60:61]
	;; [unrolled: 1-line block ×4, first 2 shown]
	s_waitcnt lgkmcnt(0)
	v_cndmask_b32_e64 v18, v46, v23, s[46:47]
	v_cndmask_b32_e64 v26, v59, v23, s[36:37]
	;; [unrolled: 1-line block ×36, first 2 shown]
	ds_bpermute_b32 v73, v99, v22
	v_cndmask_b32_e64 v37, v107, v20, s[84:85]
	v_cndmask_b32_e64 v36, v105, v20, s[88:89]
	;; [unrolled: 1-line block ×3, first 2 shown]
	v_cmp_eq_u32_e32 vcc, 0, v90
	s_waitcnt lgkmcnt(0)
	v_cndmask_b32_e64 v31, v17, v73, s[6:7]
	v_cndmask_b32_e64 v17, v16, v101, s[10:11]
	;; [unrolled: 1-line block ×16, first 2 shown]
	ds_bpermute_b32 v17, v99, v17
	v_cndmask_b32_e64 v11, v11, v92, s[56:57]
	v_cndmask_b32_e64 v5, v27, v92, s[62:63]
	v_cndmask_b32_e32 v0, v0, v92, vcc
	v_cndmask_b32_e64 v20, v62, v73, s[60:61]
	s_waitcnt lgkmcnt(0)
	v_cndmask_b32_e64 v62, v75, v17, s[16:17]
	v_cndmask_b32_e64 v75, v77, v17, s[12:13]
	;; [unrolled: 1-line block ×39, first 2 shown]
	ds_bpermute_b32 v93, v99, v16
	v_cndmask_b32_e64 v32, v104, v28, s[92:93]
	v_cndmask_b32_e64 v33, v106, v28, s[88:89]
	;; [unrolled: 1-line block ×6, first 2 shown]
	s_waitcnt lgkmcnt(0)
	v_cndmask_b32_e64 v47, v46, v93, s[6:7]
	v_cndmask_b32_e64 v46, v36, v93, s[8:9]
	;; [unrolled: 1-line block ×19, first 2 shown]
	ds_bpermute_b32 v56, v99, v36
	v_cndmask_b32_e64 v19, v57, v73, s[54:55]
	v_cndmask_b32_e64 v17, v63, v73, s[48:49]
	v_cndmask_b32_e32 v16, v70, v73, vcc
	v_cndmask_b32_e64 v44, v38, v93, s[50:51]
	s_waitcnt lgkmcnt(0)
	v_cndmask_b32_e64 v101, v102, v56, s[10:11]
	v_cndmask_b32_e64 v74, v74, v56, s[28:29]
	;; [unrolled: 1-line block ×36, first 2 shown]
	ds_bpermute_b32 v102, v99, v32
	v_cndmask_b32_e64 v36, v62, v93, s[60:61]
	v_cndmask_b32_e64 v33, v77, v93, s[48:49]
	v_readlane_b32 s18, v127, 10
	v_readlane_b32 s28, v127, 12
	s_waitcnt lgkmcnt(0)
	v_cndmask_b32_e64 v63, v57, v102, s[6:7]
	v_readlane_b32 s6, v127, 28
	v_cndmask_b32_e64 v62, v58, v102, s[8:9]
	v_cndmask_b32_e64 v58, v49, v102, s[58:59]
	v_cndmask_b32_e64 v49, v101, v102, s[48:49]
	v_readlane_b32 s7, v127, 29
	v_readlane_b32 s34, v127, 17
	;; [unrolled: 1-line block ×4, first 2 shown]
	v_subrev_u32_e32 v100, s4, v100
	s_mov_b32 s1, 0
	v_cndmask_b32_e64 v45, v37, v93, s[38:39]
	v_cndmask_b32_e64 v41, v41, v93, s[64:65]
	;; [unrolled: 1-line block ×5, first 2 shown]
	v_cndmask_b32_e32 v32, v92, v93, vcc
	v_cndmask_b32_e64 v61, v59, v102, s[38:39]
	v_cndmask_b32_e64 v60, v60, v102, s[50:51]
	;; [unrolled: 1-line block ×11, first 2 shown]
	v_cndmask_b32_e32 v48, v74, v102, vcc
	v_lshl_add_u64 v[70:71], s[6:7], 0, v[64:65]
	s_mov_b64 s[6:7], 0
	s_mov_b32 s5, 0
	v_readlane_b32 s19, v127, 11
	v_readlane_b32 s29, v127, 13
	;; [unrolled: 1-line block ×9, first 2 shown]
	s_mov_b64 s[40:41], 0x80
	s_mov_b64 s[42:43], 0xc0
	v_readlane_b32 s44, v127, 27
	v_readlane_b32 s47, v127, 26
	;; [unrolled: 1-line block ×3, first 2 shown]
                                        ; implicit-def: $sgpr8_sgpr9
	s_branch .LBB292_32
.LBB292_30:                             ;   in Loop: Header=BB292_32 Depth=2
	s_or_b64 exec, exec, s[12:13]
	s_andn2_b64 s[8:9], s[8:9], exec
	s_and_b64 s[12:13], s[14:15], exec
	s_or_b64 s[8:9], s[8:9], s[12:13]
.LBB292_31:                             ;   in Loop: Header=BB292_32 Depth=2
	s_or_b64 exec, exec, s[10:11]
	s_and_b64 s[10:11], exec, s[8:9]
	s_or_b64 s[6:7], s[10:11], s[6:7]
	s_andn2_b64 exec, exec, s[6:7]
	s_cbranch_execz .LBB292_35
.LBB292_32:                             ;   Parent Loop BB292_7 Depth=1
                                        ; =>  This Inner Loop Header: Depth=2
	s_and_b32 s12, s1, 24
	v_or_b32_e32 v73, s12, v97
	v_add_u32_e32 v74, s96, v73
	v_cmp_gt_u32_e32 vcc, 32, v74
	s_or_b64 s[8:9], s[8:9], exec
	s_and_saveexec_b64 s[10:11], vcc
	s_cbranch_execz .LBB292_31
; %bb.33:                               ;   in Loop: Header=BB292_32 Depth=2
	s_add_i32 s13, s5, 1
	s_set_gpr_idx_on s5, gpr_idx(SRC0)
	v_mov_b32_e32 v74, v0
	s_set_gpr_idx_off
	v_cvt_f16_f32_e32 v76, v74
	s_set_gpr_idx_on s13, gpr_idx(SRC0)
	v_mov_b32_e32 v74, v0
	s_set_gpr_idx_off
	v_cvt_f16_f32_sdwa v77, v74 dst_sel:WORD_1 dst_unused:UNUSED_PAD src0_sel:DWORD
	v_mul_lo_u32 v74, v73, s21
	v_ashrrev_i32_e32 v75, 31, v74
	v_lshl_add_u64 v[74:75], v[74:75], 1, v[70:71]
	v_or_b32_e32 v73, v77, v76
	;;#ASMSTART
	global_atomic_pk_add_f16 v[74:75], v73, off
	
	;;#ASMEND
	s_set_gpr_idx_on s5, gpr_idx(SRC0)
	v_mov_b32_e32 v73, v16
	s_set_gpr_idx_off
	v_cvt_f16_f32_e32 v73, v73
	s_set_gpr_idx_on s13, gpr_idx(SRC0)
	v_mov_b32_e32 v76, v16
	s_set_gpr_idx_off
	v_cvt_f16_f32_sdwa v91, v76 dst_sel:WORD_1 dst_unused:UNUSED_PAD src0_sel:DWORD
	v_lshl_add_u64 v[76:77], v[74:75], 0, 64
	s_mov_b64 s[14:15], -1
	v_or_b32_e32 v73, v91, v73
	;;#ASMSTART
	global_atomic_pk_add_f16 v[76:77], v73, off
	
	;;#ASMEND
	s_set_gpr_idx_on s5, gpr_idx(SRC0)
	v_mov_b32_e32 v73, v32
	s_set_gpr_idx_off
	v_cvt_f16_f32_e32 v73, v73
	s_set_gpr_idx_on s13, gpr_idx(SRC0)
	v_mov_b32_e32 v76, v32
	s_set_gpr_idx_off
	v_cvt_f16_f32_sdwa v91, v76 dst_sel:WORD_1 dst_unused:UNUSED_PAD src0_sel:DWORD
	v_lshl_add_u64 v[76:77], v[74:75], 0, s[40:41]
	v_lshl_add_u64 v[74:75], v[74:75], 0, s[42:43]
	v_or_b32_e32 v73, v91, v73
	;;#ASMSTART
	global_atomic_pk_add_f16 v[76:77], v73, off
	
	;;#ASMEND
	s_set_gpr_idx_on s5, gpr_idx(SRC0)
	v_mov_b32_e32 v73, v48
	s_set_gpr_idx_off
	v_cvt_f16_f32_e32 v73, v73
	s_set_gpr_idx_on s13, gpr_idx(SRC0)
	v_mov_b32_e32 v76, v48
	s_set_gpr_idx_off
	v_cvt_f16_f32_sdwa v76, v76 dst_sel:WORD_1 dst_unused:UNUSED_PAD src0_sel:DWORD
	s_nop 0
	v_or_b32_e32 v73, v76, v73
	;;#ASMSTART
	global_atomic_pk_add_f16 v[74:75], v73, off
	
	;;#ASMEND
	v_or_b32_e32 v73, s12, v98
	v_add_u32_e32 v74, s96, v73
	v_cmp_gt_u32_e32 vcc, 32, v74
	s_and_saveexec_b64 s[12:13], vcc
	s_cbranch_execz .LBB292_30
; %bb.34:                               ;   in Loop: Header=BB292_32 Depth=2
	s_add_i32 s14, s5, 2
	s_add_i32 s15, s5, 3
	s_set_gpr_idx_on s14, gpr_idx(SRC0)
	v_mov_b32_e32 v74, v0
	s_set_gpr_idx_off
	v_cvt_f16_f32_e32 v76, v74
	s_set_gpr_idx_on s15, gpr_idx(SRC0)
	v_mov_b32_e32 v74, v0
	s_set_gpr_idx_off
	v_cvt_f16_f32_sdwa v77, v74 dst_sel:WORD_1 dst_unused:UNUSED_PAD src0_sel:DWORD
	v_mul_lo_u32 v74, v73, s21
	v_ashrrev_i32_e32 v75, 31, v74
	v_lshl_add_u64 v[74:75], v[74:75], 1, v[70:71]
	v_or_b32_e32 v73, v77, v76
	;;#ASMSTART
	global_atomic_pk_add_f16 v[74:75], v73, off
	
	;;#ASMEND
	s_set_gpr_idx_on s14, gpr_idx(SRC0)
	v_mov_b32_e32 v73, v16
	s_set_gpr_idx_off
	v_cvt_f16_f32_e32 v73, v73
	s_set_gpr_idx_on s15, gpr_idx(SRC0)
	v_mov_b32_e32 v76, v16
	s_set_gpr_idx_off
	v_cvt_f16_f32_sdwa v91, v76 dst_sel:WORD_1 dst_unused:UNUSED_PAD src0_sel:DWORD
	v_lshl_add_u64 v[76:77], v[74:75], 0, 64
	s_add_i32 s5, s5, 4
	s_add_i32 s1, s1, 8
	v_or_b32_e32 v73, v91, v73
	;;#ASMSTART
	global_atomic_pk_add_f16 v[76:77], v73, off
	
	;;#ASMEND
	s_set_gpr_idx_on s14, gpr_idx(SRC0)
	v_mov_b32_e32 v73, v32
	s_set_gpr_idx_off
	v_cvt_f16_f32_e32 v73, v73
	s_set_gpr_idx_on s15, gpr_idx(SRC0)
	v_mov_b32_e32 v76, v32
	s_set_gpr_idx_off
	v_cvt_f16_f32_sdwa v91, v76 dst_sel:WORD_1 dst_unused:UNUSED_PAD src0_sel:DWORD
	v_lshl_add_u64 v[76:77], v[74:75], 0, s[40:41]
	s_cmp_eq_u32 s5, 16
	v_lshl_add_u64 v[74:75], v[74:75], 0, s[42:43]
	v_or_b32_e32 v73, v91, v73
	;;#ASMSTART
	global_atomic_pk_add_f16 v[76:77], v73, off
	
	;;#ASMEND
	s_set_gpr_idx_on s14, gpr_idx(SRC0)
	v_mov_b32_e32 v73, v48
	s_set_gpr_idx_off
	v_cvt_f16_f32_e32 v73, v73
	s_set_gpr_idx_on s15, gpr_idx(SRC0)
	v_mov_b32_e32 v76, v48
	s_set_gpr_idx_off
	v_cvt_f16_f32_sdwa v76, v76 dst_sel:WORD_1 dst_unused:UNUSED_PAD src0_sel:DWORD
	s_cselect_b64 s[14:15], -1, 0
	s_orn2_b64 s[14:15], s[14:15], exec
	v_or_b32_e32 v73, v76, v73
	;;#ASMSTART
	global_atomic_pk_add_f16 v[74:75], v73, off
	
	;;#ASMEND
	s_branch .LBB292_30
.LBB292_35:                             ;   in Loop: Header=BB292_7 Depth=1
	s_or_b64 exec, exec, s[6:7]
	v_readlane_b32 s72, v127, 2
	v_readlane_b32 s12, v127, 0
	;; [unrolled: 1-line block ×11, first 2 shown]
.LBB292_36:                             ;   in Loop: Header=BB292_7 Depth=1
	s_or_b64 exec, exec, s[48:49]
.LBB292_37:                             ;   in Loop: Header=BB292_7 Depth=1
	s_andn2_saveexec_b64 s[2:3], s[2:3]
	s_cbranch_execz .LBB292_46
; %bb.38:                               ;   in Loop: Header=BB292_7 Depth=1
	s_lshl_b32 s5, s4, 2
	v_cmp_gt_i32_e32 vcc, s5, v100
	s_and_saveexec_b64 s[6:7], vcc
	s_cbranch_execz .LBB292_45
; %bb.39:                               ;   in Loop: Header=BB292_7 Depth=1
	s_mul_i32 s0, s0, s23
	s_ashr_i32 s1, s0, 31
	s_add_u32 s0, s74, s0
	s_addc_u32 s1, s75, s1
	s_ashr_i32 s8, s44, 31
	s_add_u32 s0, s0, s44
	s_addc_u32 s1, s1, s8
	v_lshl_add_u64 v[0:1], s[0:1], 0, v[68:69]
	v_lshl_add_u64 v[8:9], v[0:1], 0, v[66:67]
	s_mov_b64 s[0:1], 0
	s_branch .LBB292_41
.LBB292_40:                             ;   in Loop: Header=BB292_41 Depth=2
	s_or_b64 exec, exec, s[8:9]
	v_lshl_or_b32 v12, v10, 11, v94
	;;#ASMSTART
	s_waitcnt vmcnt(1)
	;;#ASMEND
	ds_write2_b32 v12, v4, v5 offset1:32
	ds_write2_b32 v12, v6, v7 offset0:64 offset1:96
	v_add_u32_e32 v4, 0x400, v12
	v_add_u32_e32 v100, s26, v100
	;;#ASMSTART
	s_waitcnt vmcnt(0)
	;;#ASMEND
	ds_write2_b32 v4, v0, v1 offset1:32
	ds_write2_b32 v4, v2, v3 offset0:64 offset1:96
	v_add_u32_e32 v0, 1, v79
	v_add_u32_e32 v72, s26, v10
	v_cmp_le_i32_e32 vcc, s5, v100
	ds_write_b32 v11, v0 offset:24
	v_add_u32_e32 v0, 2, v79
	s_or_b64 s[0:1], vcc, s[0:1]
	v_cmp_lt_i32_e32 vcc, 7, v72
	s_nop 1
	v_cndmask_b32_e32 v79, v79, v0, vcc
	s_andn2_b64 exec, exec, s[0:1]
	s_cbranch_execz .LBB292_44
.LBB292_41:                             ;   Parent Loop BB292_7 Depth=1
                                        ; =>  This Loop Header: Depth=2
                                        ;       Child Loop BB292_43 Depth 3
	v_cmp_gt_i32_e32 vcc, 8, v72
	s_nop 1
	v_cndmask_b32_e64 v0, -8, 0, vcc
	v_add_u32_e32 v10, v0, v72
	v_ashrrev_i32_e32 v0, 31, v100
	v_lshrrev_b32_e32 v0, 30, v0
	v_add_u32_e32 v0, v100, v0
	v_and_b32_e32 v1, -4, v0
	v_lshlrev_b32_e32 v0, 4, v0
	v_sub_u32_e32 v2, v100, v1
	v_and_b32_e32 v0, 0xffffffc0, v0
	v_ashrrev_i32_e32 v1, 31, v0
	v_mul_lo_u32 v2, s24, v2
	v_lshl_add_u64 v[0:1], v[8:9], 0, v[0:1]
	v_ashrrev_i32_e32 v3, 31, v2
	v_lshl_add_u64 v[0:1], v[0:1], 0, v[2:3]
	v_lshlrev_b32_e32 v11, 2, v10
	;;#ASMSTART
	global_load_dwordx4 v[4:7], v[0:1], off offset:0   sc0 sc1 nt  
	global_load_dwordx4 v[0:3], v[0:1], off offset:32  sc0 sc1 nt  
	
	;;#ASMEND
	ds_read_b32 v12, v11 offset:28696
	v_add_u32_e32 v11, 0x7000, v11
	s_waitcnt lgkmcnt(0)
	v_cmp_ne_u32_e32 vcc, v12, v79
	s_and_saveexec_b64 s[8:9], vcc
	s_cbranch_execz .LBB292_40
; %bb.42:                               ;   in Loop: Header=BB292_41 Depth=2
	s_mov_b64 s[10:11], 0
.LBB292_43:                             ;   Parent Loop BB292_7 Depth=1
                                        ;     Parent Loop BB292_41 Depth=2
                                        ; =>    This Inner Loop Header: Depth=3
	;;#ASMSTART
	s_sleep 0
	;;#ASMEND
	ds_read_b32 v12, v11 offset:24
	s_waitcnt lgkmcnt(0)
	v_cmp_eq_u32_e32 vcc, v12, v79
	s_or_b64 s[10:11], vcc, s[10:11]
	s_andn2_b64 exec, exec, s[10:11]
	s_cbranch_execnz .LBB292_43
	s_branch .LBB292_40
.LBB292_44:                             ;   in Loop: Header=BB292_7 Depth=1
	s_or_b64 exec, exec, s[0:1]
.LBB292_45:                             ;   in Loop: Header=BB292_7 Depth=1
	s_or_b64 exec, exec, s[6:7]
	v_subrev_u32_e32 v100, s5, v100
.LBB292_46:                             ;   in Loop: Header=BB292_7 Depth=1
	s_or_b64 exec, exec, s[2:3]
.LBB292_47:                             ;   in Loop: Header=BB292_7 Depth=1
	s_andn2_saveexec_b64 s[0:1], s[46:47]
	s_cbranch_execz .LBB292_6
; %bb.48:                               ;   in Loop: Header=BB292_7 Depth=1
	s_mul_i32 s10, s4, 3
	v_cmp_gt_i32_e32 vcc, s10, v100
	s_and_saveexec_b64 s[2:3], vcc
	s_cbranch_execz .LBB292_5
; %bb.49:                               ;   in Loop: Header=BB292_7 Depth=1
	s_mul_i32 s99, s99, s22
	s_ashr_i32 s4, s99, 31
	s_add_u32 s5, s72, s99
	s_addc_u32 s6, s73, s4
	s_ashr_i32 s7, s44, 31
	s_add_u32 s4, s5, s44
	s_addc_u32 s5, s6, s7
	v_add_u32_e32 v2, s96, v80
	s_movk_i32 s6, 0x60
	v_cmp_gt_u32_e32 vcc, s6, v2
	v_sub_u32_e32 v10, 0x5f, v2
	s_nop 0
	v_cndmask_b32_e32 v0, 0, v95, vcc
	v_ashrrev_i32_e32 v1, 31, v0
	v_lshl_add_u64 v[0:1], s[4:5], 0, v[0:1]
	v_lshl_add_u64 v[8:9], v[0:1], 0, v[66:67]
	s_mov_b64 s[4:5], 0
	s_branch .LBB292_51
.LBB292_50:                             ;   in Loop: Header=BB292_51 Depth=2
	s_or_b64 exec, exec, s[6:7]
	v_lshl_add_u32 v13, v11, 11, v96
	;;#ASMSTART
	s_waitcnt vmcnt(1)
	;;#ASMEND
	ds_write2_b32 v13, v4, v5 offset1:32
	ds_write2_b32 v13, v6, v7 offset0:64 offset1:96
	v_add_u32_e32 v4, 0x400, v13
	v_add_u32_e32 v100, s25, v100
	;;#ASMSTART
	s_waitcnt vmcnt(0)
	;;#ASMEND
	ds_write2_b32 v4, v0, v1 offset1:32
	ds_write2_b32 v4, v2, v3 offset0:64 offset1:96
	v_add_u32_e32 v0, 1, v79
	v_add_u32_e32 v72, s25, v11
	v_cmp_le_i32_e32 vcc, s10, v100
	ds_write_b32 v12, v0
	v_add_u32_e32 v0, 2, v79
	s_or_b64 s[4:5], vcc, s[4:5]
	v_cmp_lt_i32_e32 vcc, 5, v72
	s_nop 1
	v_cndmask_b32_e32 v79, v79, v0, vcc
	s_andn2_b64 exec, exec, s[4:5]
	s_cbranch_execz .LBB292_4
.LBB292_51:                             ;   Parent Loop BB292_7 Depth=1
                                        ; =>  This Loop Header: Depth=2
                                        ;       Child Loop BB292_53 Depth 3
	v_cmp_gt_i32_e32 vcc, 6, v72
	s_mov_b32 s6, 0x55555556
	s_nop 0
	v_cndmask_b32_e64 v0, -6, 0, vcc
	v_add_u32_e32 v11, v0, v72
	v_mul_hi_i32 v0, v100, s6
	v_lshrrev_b32_e32 v1, 31, v0
	v_add_u32_e32 v0, v0, v1
	v_lshl_add_u32 v1, v0, 1, v0
	v_sub_u32_e32 v1, v100, v1
	v_lshlrev_b32_e32 v1, 5, v1
	v_cmp_le_i32_e32 vcc, v1, v10
	v_lshlrev_b32_e32 v0, 6, v0
	v_lshlrev_b32_e32 v12, 2, v11
	v_cndmask_b32_e32 v2, 0, v1, vcc
	v_ashrrev_i32_e32 v1, 31, v0
	v_mul_lo_u32 v2, v2, s22
	v_lshl_add_u64 v[0:1], v[8:9], 0, v[0:1]
	v_ashrrev_i32_e32 v3, 31, v2
	v_lshl_add_u64 v[0:1], v[0:1], 0, v[2:3]
	;;#ASMSTART
	global_load_dwordx4 v[4:7], v[0:1], off offset:0   
	global_load_dwordx4 v[0:3], v[0:1], off offset:32  
	
	;;#ASMEND
	ds_read_b32 v13, v12 offset:28672
	v_add_u32_e32 v12, 0x7000, v12
	s_waitcnt lgkmcnt(0)
	v_cmp_ne_u32_e32 vcc, v13, v79
	s_and_saveexec_b64 s[6:7], vcc
	s_cbranch_execz .LBB292_50
; %bb.52:                               ;   in Loop: Header=BB292_51 Depth=2
	s_mov_b64 s[8:9], 0
.LBB292_53:                             ;   Parent Loop BB292_7 Depth=1
                                        ;     Parent Loop BB292_51 Depth=2
                                        ; =>    This Inner Loop Header: Depth=3
	;;#ASMSTART
	s_sleep 0
	;;#ASMEND
	ds_read_b32 v13, v12
	s_waitcnt lgkmcnt(0)
	v_cmp_eq_u32_e32 vcc, v13, v79
	s_or_b64 s[8:9], vcc, s[8:9]
	s_andn2_b64 exec, exec, s[8:9]
	s_cbranch_execnz .LBB292_53
	s_branch .LBB292_50
.LBB292_54:
	s_endpgm
	.section	.rodata,"a",@progbits
	.p2align	6, 0x0
	.amdhsa_kernel _Z19_skinny_gemm_kernelILi3ELi4ELi2ELi32ELi4EEvPKhS1_P6__halfPKfiiiiiiii
		.amdhsa_group_segment_fixed_size 28728
		.amdhsa_private_segment_fixed_size 0
		.amdhsa_kernarg_size 64
		.amdhsa_user_sgpr_count 2
		.amdhsa_user_sgpr_dispatch_ptr 0
		.amdhsa_user_sgpr_queue_ptr 0
		.amdhsa_user_sgpr_kernarg_segment_ptr 1
		.amdhsa_user_sgpr_dispatch_id 0
		.amdhsa_user_sgpr_kernarg_preload_length 0
		.amdhsa_user_sgpr_kernarg_preload_offset 0
		.amdhsa_user_sgpr_private_segment_size 0
		.amdhsa_uses_dynamic_stack 0
		.amdhsa_enable_private_segment 0
		.amdhsa_system_sgpr_workgroup_id_x 1
		.amdhsa_system_sgpr_workgroup_id_y 0
		.amdhsa_system_sgpr_workgroup_id_z 0
		.amdhsa_system_sgpr_workgroup_info 0
		.amdhsa_system_vgpr_workitem_id 0
		.amdhsa_next_free_vgpr 128
		.amdhsa_next_free_sgpr 100
		.amdhsa_accum_offset 128
		.amdhsa_reserve_vcc 1
		.amdhsa_float_round_mode_32 0
		.amdhsa_float_round_mode_16_64 0
		.amdhsa_float_denorm_mode_32 3
		.amdhsa_float_denorm_mode_16_64 3
		.amdhsa_dx10_clamp 1
		.amdhsa_ieee_mode 1
		.amdhsa_fp16_overflow 0
		.amdhsa_tg_split 0
		.amdhsa_exception_fp_ieee_invalid_op 0
		.amdhsa_exception_fp_denorm_src 0
		.amdhsa_exception_fp_ieee_div_zero 0
		.amdhsa_exception_fp_ieee_overflow 0
		.amdhsa_exception_fp_ieee_underflow 0
		.amdhsa_exception_fp_ieee_inexact 0
		.amdhsa_exception_int_div_zero 0
	.end_amdhsa_kernel
	.section	.text._Z19_skinny_gemm_kernelILi3ELi4ELi2ELi32ELi4EEvPKhS1_P6__halfPKfiiiiiiii,"axG",@progbits,_Z19_skinny_gemm_kernelILi3ELi4ELi2ELi32ELi4EEvPKhS1_P6__halfPKfiiiiiiii,comdat
.Lfunc_end292:
	.size	_Z19_skinny_gemm_kernelILi3ELi4ELi2ELi32ELi4EEvPKhS1_P6__halfPKfiiiiiiii, .Lfunc_end292-_Z19_skinny_gemm_kernelILi3ELi4ELi2ELi32ELi4EEvPKhS1_P6__halfPKfiiiiiiii
                                        ; -- End function
	.set _Z19_skinny_gemm_kernelILi3ELi4ELi2ELi32ELi4EEvPKhS1_P6__halfPKfiiiiiiii.num_vgpr, 128
	.set _Z19_skinny_gemm_kernelILi3ELi4ELi2ELi32ELi4EEvPKhS1_P6__halfPKfiiiiiiii.num_agpr, 0
	.set _Z19_skinny_gemm_kernelILi3ELi4ELi2ELi32ELi4EEvPKhS1_P6__halfPKfiiiiiiii.numbered_sgpr, 100
	.set _Z19_skinny_gemm_kernelILi3ELi4ELi2ELi32ELi4EEvPKhS1_P6__halfPKfiiiiiiii.num_named_barrier, 0
	.set _Z19_skinny_gemm_kernelILi3ELi4ELi2ELi32ELi4EEvPKhS1_P6__halfPKfiiiiiiii.private_seg_size, 0
	.set _Z19_skinny_gemm_kernelILi3ELi4ELi2ELi32ELi4EEvPKhS1_P6__halfPKfiiiiiiii.uses_vcc, 1
	.set _Z19_skinny_gemm_kernelILi3ELi4ELi2ELi32ELi4EEvPKhS1_P6__halfPKfiiiiiiii.uses_flat_scratch, 0
	.set _Z19_skinny_gemm_kernelILi3ELi4ELi2ELi32ELi4EEvPKhS1_P6__halfPKfiiiiiiii.has_dyn_sized_stack, 0
	.set _Z19_skinny_gemm_kernelILi3ELi4ELi2ELi32ELi4EEvPKhS1_P6__halfPKfiiiiiiii.has_recursion, 0
	.set _Z19_skinny_gemm_kernelILi3ELi4ELi2ELi32ELi4EEvPKhS1_P6__halfPKfiiiiiiii.has_indirect_call, 0
	.section	.AMDGPU.csdata,"",@progbits
; Kernel info:
; codeLenInByte = 14172
; TotalNumSgprs: 106
; NumVgprs: 128
; NumAgprs: 0
; TotalNumVgprs: 128
; ScratchSize: 0
; MemoryBound: 0
; FloatMode: 240
; IeeeMode: 1
; LDSByteSize: 28728 bytes/workgroup (compile time only)
; SGPRBlocks: 13
; VGPRBlocks: 15
; NumSGPRsForWavesPerEU: 106
; NumVGPRsForWavesPerEU: 128
; AccumOffset: 128
; Occupancy: 4
; WaveLimiterHint : 0
; COMPUTE_PGM_RSRC2:SCRATCH_EN: 0
; COMPUTE_PGM_RSRC2:USER_SGPR: 2
; COMPUTE_PGM_RSRC2:TRAP_HANDLER: 0
; COMPUTE_PGM_RSRC2:TGID_X_EN: 1
; COMPUTE_PGM_RSRC2:TGID_Y_EN: 0
; COMPUTE_PGM_RSRC2:TGID_Z_EN: 0
; COMPUTE_PGM_RSRC2:TIDIG_COMP_CNT: 0
; COMPUTE_PGM_RSRC3_GFX90A:ACCUM_OFFSET: 31
; COMPUTE_PGM_RSRC3_GFX90A:TG_SPLIT: 0
	.section	.text._Z19_skinny_gemm_kernelILi3ELi4ELi2ELi32ELi8EEvPKhS1_P6__halfPKfiiiiiiii,"axG",@progbits,_Z19_skinny_gemm_kernelILi3ELi4ELi2ELi32ELi8EEvPKhS1_P6__halfPKfiiiiiiii,comdat
	.protected	_Z19_skinny_gemm_kernelILi3ELi4ELi2ELi32ELi8EEvPKhS1_P6__halfPKfiiiiiiii ; -- Begin function _Z19_skinny_gemm_kernelILi3ELi4ELi2ELi32ELi8EEvPKhS1_P6__halfPKfiiiiiiii
	.globl	_Z19_skinny_gemm_kernelILi3ELi4ELi2ELi32ELi8EEvPKhS1_P6__halfPKfiiiiiiii
	.p2align	8
	.type	_Z19_skinny_gemm_kernelILi3ELi4ELi2ELi32ELi8EEvPKhS1_P6__halfPKfiiiiiiii,@function
_Z19_skinny_gemm_kernelILi3ELi4ELi2ELi32ELi8EEvPKhS1_P6__halfPKfiiiiiiii: ; @_Z19_skinny_gemm_kernelILi3ELi4ELi2ELi32ELi8EEvPKhS1_P6__halfPKfiiiiiiii
; %bb.0:
	v_cmp_gt_u32_e32 vcc, 14, v0
	s_and_saveexec_b64 s[4:5], vcc
; %bb.1:
	v_lshlrev_b32_e32 v1, 2, v0
	v_mov_b32_e32 v2, 0
	ds_write_b32 v1, v2 offset:57344
; %bb.2:
	s_or_b64 exec, exec, s[4:5]
	s_load_dwordx8 s[20:27], s[0:1], 0x20
	s_waitcnt lgkmcnt(0)
	s_barrier
	s_add_i32 s3, s20, 0x5f
	s_mul_hi_i32 s3, s3, 0x2aaaaaab
	s_add_i32 s4, s21, 0x7f
	s_lshr_b32 s5, s3, 31
	s_ashr_i32 s3, s3, 4
	s_add_i32 s12, s3, s5
	s_ashr_i32 s3, s4, 31
	s_lshr_b32 s3, s3, 25
	s_add_i32 s4, s4, s3
	s_ashr_i32 s14, s4, 7
	s_mul_i32 s3, s14, s12
	s_mul_i32 s3, s3, s24
	s_add_i32 s4, s3, 0x12f
	s_mul_hi_i32 s4, s4, 0x6bca1af3
	s_lshr_b32 s5, s4, 31
	s_ashr_i32 s4, s4, 7
	s_add_i32 s4, s4, s5
	s_add_i32 s5, s2, 1
	s_mul_i32 s5, s4, s5
	v_cvt_f64_i32_e32 v[2:3], s3
	v_cvt_f64_u32_e32 v[4:5], s5
	v_min_f64 v[2:3], v[2:3], v[4:5]
	v_cvt_i32_f64_e32 v86, v[2:3]
	s_mul_i32 s33, s4, s2
	v_cmp_ge_i32_e32 vcc, s33, v86
	s_cbranch_vccnz .LBB293_54
; %bb.3:
	s_load_dwordx8 s[72:79], s[0:1], 0x0
	v_lshrrev_b32_e32 v1, 6, v0
	s_add_i32 s0, s26, s25
	v_cmp_le_i32_e64 s[18:19], s0, v1
	v_mov_b32_e32 v2, s25
	v_cmp_le_i32_e64 s[28:29], s25, v1
	v_mov_b32_e32 v3, s26
	v_cndmask_b32_e64 v3, 0, v3, s[18:19]
	v_cndmask_b32_e64 v2, 0, v2, s[28:29]
	s_abs_i32 s1, s24
	v_add_u32_e32 v2, v2, v3
	v_cvt_f32_u32_e32 v3, s1
	v_sub_u32_e32 v72, v1, v2
	s_ashr_i32 s2, s22, 31
	s_lshr_b32 s2, s2, 25
	v_rcp_iflag_f32_e32 v2, v3
	s_sub_i32 s5, 0, s1
	s_add_i32 s2, s22, s2
	s_ashr_i32 s2, s2, 7
	v_mul_f32_e32 v2, 0x4f7ffffe, v2
	v_cvt_u32_f32_e32 v2, v2
	s_abs_i32 s4, s2
	s_xor_b32 s3, s2, s24
	s_ashr_i32 s3, s3, 31
	v_readfirstlane_b32 s6, v2
	s_mul_i32 s5, s5, s6
	s_mul_hi_u32 s5, s6, s5
	s_add_i32 s6, s6, s5
	s_mul_hi_u32 s5, s4, s6
	s_mul_i32 s6, s5, s1
	s_sub_i32 s4, s4, s6
	s_add_i32 s6, s5, 1
	s_sub_i32 s7, s4, s1
	s_cmp_ge_u32 s4, s1
	s_cselect_b32 s5, s6, s5
	s_cselect_b32 s4, s7, s4
	s_add_i32 s6, s5, 1
	s_cmp_ge_u32 s4, s1
	s_cselect_b32 s1, s6, s5
	s_add_i32 s0, s0, s27
	v_and_b32_e32 v88, 31, v0
	v_lshrrev_b32_e32 v2, 3, v0
	v_cmp_gt_i32_e64 s[34:35], s0, v1
	v_lshlrev_b32_e32 v1, 2, v88
	v_and_b32_e32 v3, 4, v2
	v_lshlrev_b32_e32 v2, 6, v3
	v_or_b32_e32 v4, 0x8000, v1
	v_and_b32_e32 v5, 1, v0
	v_or_b32_e32 v89, v4, v2
	v_or_b32_e32 v90, v1, v2
	v_lshlrev_b32_e32 v2, 1, v5
	v_lshrrev_b32_e32 v7, 1, v0
	s_abs_i32 s97, s12
	v_sub_u32_e32 v2, v0, v2
	v_and_b32_e32 v66, 16, v7
	v_cvt_f32_u32_e32 v7, s97
	v_add_u32_e32 v2, 1, v2
	v_and_b32_e32 v6, 63, v2
	v_bitop3_b32 v91, v0, 1, v0 bitop3:0xc
	v_bitop3_b32 v92, v0, 3, 1 bitop3:0x6c
	;; [unrolled: 1-line block ×8, first 2 shown]
	v_and_b32_e32 v2, 30, v0
	v_lshlrev_b32_e32 v0, 4, v0
                                        ; implicit-def: $vgpr127 : SGPR spill to VGPR lane
	v_and_b32_e32 v0, 0x200, v0
	v_writelane_b32 v127, s12, 0
	v_or_b32_e32 v102, v1, v0
	v_rcp_iflag_f32_e32 v1, v7
	v_writelane_b32 v127, s14, 1
	s_waitcnt lgkmcnt(0)
	v_writelane_b32 v127, s72, 2
	s_abs_i32 s98, s14
	v_or_b32_e32 v104, v4, v0
	v_writelane_b32 v127, s73, 3
	v_writelane_b32 v127, s74, 4
	v_mul_f32_e32 v0, 0x4f7ffffe, v1
	v_cvt_f32_u32_e32 v1, s98
	v_writelane_b32 v127, s75, 5
	v_writelane_b32 v127, s76, 6
	;; [unrolled: 1-line block ×4, first 2 shown]
	v_cvt_u32_f32_e32 v0, v0
	v_rcp_iflag_f32_e32 v1, v1
	v_writelane_b32 v127, s79, 9
	v_cndmask_b32_e64 v87, 0, 1, s[18:19]
	s_xor_b32 s1, s1, s3
	v_writelane_b32 v127, s18, 10
	s_sub_i32 s15, s1, s3
	s_add_i32 s30, s24, -1
	v_writelane_b32 v127, s19, 11
	s_mul_i32 s1, s15, s30
	v_writelane_b32 v127, s28, 12
	s_sub_i32 s31, s2, s1
	v_readfirstlane_b32 s1, v0
	v_mul_f32_e32 v0, 0x4f7ffffe, v1
	v_writelane_b32 v127, s29, 13
	v_cvt_u32_f32_e32 v0, v0
	v_writelane_b32 v127, s15, 14
	s_sub_i32 s0, 0, s97
	v_writelane_b32 v127, s30, 15
	s_mul_i32 s0, s0, s1
	v_writelane_b32 v127, s31, 16
	s_mul_hi_u32 s0, s1, s0
	v_writelane_b32 v127, s34, 17
	s_ashr_i32 s36, s12, 31
	s_add_i32 s37, s1, s0
	s_sub_i32 s0, 0, s98
	v_readfirstlane_b32 s1, v0
	v_writelane_b32 v127, s35, 18
	s_mul_i32 s0, s0, s1
	v_mbcnt_lo_u32_b32 v0, -1, 0
	v_writelane_b32 v127, s36, 19
	s_ashr_i32 s38, s14, 31
	s_mul_hi_u32 s0, s1, s0
	v_mbcnt_hi_u32_b32 v0, -1, v0
	v_writelane_b32 v127, s37, 20
	v_mov_b32_e32 v65, 0
	v_mul_lo_u32 v68, s23, v88
	v_or_b32_e32 v105, v5, v3
	s_add_i32 s39, s1, s0
	v_and_or_b32 v0, v0, 64, v6
	v_writelane_b32 v127, s38, 21
	v_ashrrev_i32_e32 v69, 31, v68
	v_mov_b32_e32 v67, v65
	s_lshl_b32 s24, s23, 5
	v_mul_lo_u32 v103, s22, v88
	v_or_b32_e32 v106, 2, v105
	v_lshlrev_b32_e32 v64, 1, v2
	v_lshlrev_b32_e32 v107, 2, v0
	v_mov_b32_e32 v108, v72
	v_writelane_b32 v127, s39, 22
	s_branch .LBB293_7
.LBB293_4:                              ;   in Loop: Header=BB293_7 Depth=1
	s_or_b64 exec, exec, s[4:5]
.LBB293_5:                              ;   in Loop: Header=BB293_7 Depth=1
	s_or_b64 exec, exec, s[2:3]
	v_subrev_u32_e32 v108, s10, v108
.LBB293_6:                              ;   in Loop: Header=BB293_7 Depth=1
	s_or_b64 exec, exec, s[0:1]
	s_add_i32 s33, s33, 1
	v_cmp_ge_i32_e32 vcc, s33, v86
	s_cbranch_vccnz .LBB293_54
.LBB293_7:                              ; =>This Loop Header: Depth=1
                                        ;     Child Loop BB293_13 Depth 2
                                        ;       Child Loop BB293_15 Depth 3
                                        ;       Child Loop BB293_18 Depth 3
	;; [unrolled: 1-line block ×5, first 2 shown]
                                        ;     Child Loop BB293_32 Depth 2
                                        ;     Child Loop BB293_41 Depth 2
                                        ;       Child Loop BB293_43 Depth 3
                                        ;     Child Loop BB293_51 Depth 2
                                        ;       Child Loop BB293_53 Depth 3
	s_abs_i32 s1, s33
	s_mul_hi_u32 s2, s1, s37
	s_mul_i32 s3, s2, s97
	s_ashr_i32 s0, s33, 31
	s_sub_i32 s1, s1, s3
	s_xor_b32 s0, s0, s36
	s_add_i32 s3, s2, 1
	s_sub_i32 s4, s1, s97
	s_cmp_ge_u32 s1, s97
	s_cselect_b32 s2, s3, s2
	s_cselect_b32 s1, s4, s1
	s_add_i32 s3, s2, 1
	s_cmp_ge_u32 s1, s97
	s_cselect_b32 s1, s3, s2
	s_xor_b32 s1, s1, s0
	s_sub_i32 s0, s1, s0
	s_abs_i32 s2, s0
	s_mul_hi_u32 s3, s2, s39
	s_mul_i32 s1, s0, s12
	s_mul_i32 s4, s3, s98
	s_sub_i32 s99, s33, s1
	s_ashr_i32 s1, s0, 31
	s_sub_i32 s2, s2, s4
	s_xor_b32 s1, s1, s38
	s_add_i32 s4, s3, 1
	s_sub_i32 s5, s2, s98
	s_cmp_ge_u32 s2, s98
	s_cselect_b32 s3, s4, s3
	s_cselect_b32 s2, s5, s2
	s_add_i32 s4, s3, 1
	s_cmp_ge_u32 s2, s98
	s_cselect_b32 s2, s4, s3
	s_xor_b32 s2, s2, s1
	s_sub_i32 s1, s2, s1
	s_mul_i32 s2, s1, s15
	s_lshl_b32 s44, s2, 7
	s_mulk_i32 s99, 0x60
	s_cmp_eq_u32 s1, s30
	s_cselect_b32 s4, s31, s15
	s_sub_i32 s2, s99, s20
	s_addk_i32 s2, 0x60
	s_max_i32 s96, s2, 0
	s_and_saveexec_b64 s[2:3], s[28:29]
	s_xor_b64 s[46:47], exec, s[2:3]
	s_cbranch_execz .LBB293_47
; %bb.8:                                ;   in Loop: Header=BB293_7 Depth=1
	s_mul_i32 s1, s1, s14
	s_sub_i32 s0, s0, s1
	s_lshl_b32 s0, s0, 7
	s_sub_i32 s5, s0, s21
	s_addk_i32 s5, 0x80
	s_max_i32 s1, s5, 0
	s_sub_i32 s0, s0, s1
	s_and_saveexec_b64 s[2:3], s[18:19]
	s_xor_b64 s[2:3], exec, s[2:3]
	s_cbranch_execz .LBB293_37
; %bb.9:                                ;   in Loop: Header=BB293_7 Depth=1
	s_and_saveexec_b64 s[48:49], s[34:35]
	s_cbranch_execz .LBB293_36
; %bb.10:                               ;   in Loop: Header=BB293_7 Depth=1
	global_load_dword v109, v65, s[78:79]
	v_mov_b32_e32 v63, 0
	v_cmp_gt_i32_e32 vcc, s4, v108
	v_mov_b32_e32 v62, v63
	v_mov_b32_e32 v61, v63
	;; [unrolled: 1-line block ×63, first 2 shown]
	s_and_saveexec_b64 s[6:7], vcc
	s_cbranch_execz .LBB293_29
; %bb.11:                               ;   in Loop: Header=BB293_7 Depth=1
	v_mov_b32_e32 v0, 0
	s_mov_b64 s[8:9], 0
	v_mov_b32_e32 v1, v0
	v_mov_b32_e32 v2, v0
	;; [unrolled: 1-line block ×63, first 2 shown]
	s_branch .LBB293_13
.LBB293_12:                             ;   in Loop: Header=BB293_13 Depth=2
	s_or_b64 exec, exec, s[10:11]
	v_add_u32_e32 v116, 0x3000, v113
	ds_read2_b32 v[114:115], v116 offset1:32
	v_add_u32_e32 v108, s27, v108
	s_waitcnt lgkmcnt(0)
	v_mfma_f32_32x32x16_fp8_fp8 v[0:15], v[84:85], v[114:115], v[0:15]
	ds_read2_b32 v[84:85], v116 offset0:128 offset1:160
	s_waitcnt lgkmcnt(0)
	v_mfma_f32_32x32x16_fp8_fp8 v[0:15], v[82:83], v[84:85], v[0:15]
	v_add_u32_e32 v84, 0x3400, v113
	ds_read2_b32 v[82:83], v84 offset1:32
	s_waitcnt lgkmcnt(0)
	v_mfma_f32_32x32x16_fp8_fp8 v[0:15], v[80:81], v[82:83], v[0:15]
	ds_read2_b32 v[80:81], v84 offset0:128 offset1:160
	s_waitcnt lgkmcnt(0)
	v_mfma_f32_32x32x16_fp8_fp8 v[0:15], v[78:79], v[80:81], v[0:15]
	v_add_u32_e32 v80, 0x3800, v113
	ds_read2_b32 v[78:79], v80 offset1:32
	;; [unrolled: 7-line block ×3, first 2 shown]
	ds_read2_b32 v[76:77], v76 offset0:128 offset1:160
	ds_write_b32 v111, v112 offset:57372
	s_waitcnt lgkmcnt(2)
	v_mfma_f32_32x32x16_fp8_fp8 v[0:15], v[72:73], v[74:75], v[0:15]
	v_add_u32_e32 v72, s27, v110
	v_add_u32_e32 v73, 2, v87
	v_cmp_lt_i32_e32 vcc, 1, v72
	s_nop 1
	v_cndmask_b32_e32 v87, v87, v73, vcc
	v_cmp_le_i32_e32 vcc, s4, v108
	s_waitcnt lgkmcnt(1)
	v_mfma_f32_32x32x16_fp8_fp8 v[0:15], v[70:71], v[76:77], v[0:15]
	s_or_b64 s[8:9], vcc, s[8:9]
	s_andn2_b64 exec, exec, s[8:9]
	s_cbranch_execz .LBB293_28
.LBB293_13:                             ;   Parent Loop BB293_7 Depth=1
                                        ; =>  This Loop Header: Depth=2
                                        ;       Child Loop BB293_15 Depth 3
                                        ;       Child Loop BB293_18 Depth 3
	;; [unrolled: 1-line block ×5, first 2 shown]
	v_cmp_gt_i32_e32 vcc, 2, v72
	s_nop 1
	v_cndmask_b32_e64 v70, -2, 0, vcc
	v_add_u32_e32 v110, v70, v72
	v_lshlrev_b32_e32 v111, 5, v110
	ds_read_b32 v70, v111 offset:57344
	s_waitcnt lgkmcnt(0)
	v_cmp_ne_u32_e32 vcc, v70, v87
	s_and_saveexec_b64 s[10:11], vcc
	s_cbranch_execz .LBB293_16
; %bb.14:                               ;   in Loop: Header=BB293_13 Depth=2
	s_mov_b64 s[12:13], 0
.LBB293_15:                             ;   Parent Loop BB293_7 Depth=1
                                        ;     Parent Loop BB293_13 Depth=2
                                        ; =>    This Inner Loop Header: Depth=3
	;;#ASMSTART
	s_sleep 0
	;;#ASMEND
	ds_read_b32 v70, v111 offset:57344
	s_waitcnt lgkmcnt(0)
	v_cmp_eq_u32_e32 vcc, v70, v87
	s_or_b64 s[12:13], vcc, s[12:13]
	s_andn2_b64 exec, exec, s[12:13]
	s_cbranch_execnz .LBB293_15
.LBB293_16:                             ;   in Loop: Header=BB293_13 Depth=2
	s_or_b64 exec, exec, s[10:11]
	v_lshl_add_u32 v70, v110, 12, v89
	v_add_u32_e32 v71, 0x400, v70
	ds_read2_b32 v[84:85], v70 offset1:32
	ds_read2_b32 v[82:83], v70 offset0:128 offset1:160
	ds_read2_b32 v[80:81], v71 offset1:32
	ds_read2_b32 v[78:79], v71 offset0:128 offset1:160
	v_add_u32_e32 v71, 0x800, v70
	v_add_u32_e32 v70, 0xc00, v70
	ds_read2_b32 v[76:77], v71 offset1:32
	ds_read2_b32 v[74:75], v71 offset0:128 offset1:160
	ds_read2_b32 v[72:73], v70 offset1:32
	ds_read_b32 v113, v111 offset:57348
	ds_read2_b32 v[70:71], v70 offset0:128 offset1:160
	v_add_u32_e32 v112, 1, v87
	ds_write_b32 v111, v112 offset:57344
	s_waitcnt lgkmcnt(2)
	v_cmp_ne_u32_e32 vcc, v113, v87
	s_and_saveexec_b64 s[10:11], vcc
	s_cbranch_execz .LBB293_19
; %bb.17:                               ;   in Loop: Header=BB293_13 Depth=2
	s_mov_b64 s[12:13], 0
.LBB293_18:                             ;   Parent Loop BB293_7 Depth=1
                                        ;     Parent Loop BB293_13 Depth=2
                                        ; =>    This Inner Loop Header: Depth=3
	;;#ASMSTART
	s_sleep 0
	;;#ASMEND
	ds_read_b32 v113, v111 offset:57348
	s_waitcnt lgkmcnt(0)
	v_cmp_eq_u32_e32 vcc, v113, v87
	s_or_b64 s[12:13], vcc, s[12:13]
	s_andn2_b64 exec, exec, s[12:13]
	s_cbranch_execnz .LBB293_18
.LBB293_19:                             ;   in Loop: Header=BB293_13 Depth=2
	s_or_b64 exec, exec, s[10:11]
	v_lshl_or_b32 v113, v110, 14, v90
	ds_read2_b32 v[114:115], v113 offset1:32
	v_add_u32_e32 v116, 0x400, v113
	s_waitcnt lgkmcnt(0)
	v_mfma_f32_32x32x16_fp8_fp8 v[48:63], v[84:85], v[114:115], v[48:63]
	ds_read2_b32 v[114:115], v113 offset0:128 offset1:160
	s_waitcnt lgkmcnt(0)
	v_mfma_f32_32x32x16_fp8_fp8 v[48:63], v[82:83], v[114:115], v[48:63]
	ds_read2_b32 v[114:115], v116 offset1:32
	s_waitcnt lgkmcnt(0)
	v_mfma_f32_32x32x16_fp8_fp8 v[48:63], v[80:81], v[114:115], v[48:63]
	ds_read2_b32 v[114:115], v116 offset0:128 offset1:160
	v_add_u32_e32 v116, 0x800, v113
	s_waitcnt lgkmcnt(0)
	v_mfma_f32_32x32x16_fp8_fp8 v[48:63], v[78:79], v[114:115], v[48:63]
	ds_read2_b32 v[114:115], v116 offset1:32
	s_waitcnt lgkmcnt(0)
	v_mfma_f32_32x32x16_fp8_fp8 v[48:63], v[76:77], v[114:115], v[48:63]
	ds_read2_b32 v[114:115], v116 offset0:128 offset1:160
	v_add_u32_e32 v116, 0xc00, v113
	s_waitcnt lgkmcnt(0)
	v_mfma_f32_32x32x16_fp8_fp8 v[48:63], v[74:75], v[114:115], v[48:63]
	ds_read2_b32 v[114:115], v116 offset1:32
	s_waitcnt lgkmcnt(0)
	v_mfma_f32_32x32x16_fp8_fp8 v[48:63], v[72:73], v[114:115], v[48:63]
	ds_read_b32 v117, v111 offset:57356
	ds_read2_b32 v[114:115], v116 offset0:128 offset1:160
	ds_write_b32 v111, v112 offset:57348
	s_waitcnt lgkmcnt(2)
	v_cmp_ne_u32_e32 vcc, v117, v87
	s_waitcnt lgkmcnt(1)
	v_mfma_f32_32x32x16_fp8_fp8 v[48:63], v[70:71], v[114:115], v[48:63]
	s_and_saveexec_b64 s[10:11], vcc
	s_cbranch_execz .LBB293_22
; %bb.20:                               ;   in Loop: Header=BB293_13 Depth=2
	s_mov_b64 s[12:13], 0
.LBB293_21:                             ;   Parent Loop BB293_7 Depth=1
                                        ;     Parent Loop BB293_13 Depth=2
                                        ; =>    This Inner Loop Header: Depth=3
	;;#ASMSTART
	s_sleep 0
	;;#ASMEND
	ds_read_b32 v114, v111 offset:57356
	s_waitcnt lgkmcnt(0)
	v_cmp_eq_u32_e32 vcc, v114, v87
	s_or_b64 s[12:13], vcc, s[12:13]
	s_andn2_b64 exec, exec, s[12:13]
	s_cbranch_execnz .LBB293_21
.LBB293_22:                             ;   in Loop: Header=BB293_13 Depth=2
	s_or_b64 exec, exec, s[10:11]
	v_add_u32_e32 v116, 0x1000, v113
	ds_read2_b32 v[114:115], v116 offset1:32
	s_waitcnt lgkmcnt(0)
	v_mfma_f32_32x32x16_fp8_fp8 v[32:47], v[84:85], v[114:115], v[32:47]
	ds_read2_b32 v[114:115], v116 offset0:128 offset1:160
	v_add_u32_e32 v116, 0x1400, v113
	s_waitcnt lgkmcnt(0)
	v_mfma_f32_32x32x16_fp8_fp8 v[32:47], v[82:83], v[114:115], v[32:47]
	ds_read2_b32 v[114:115], v116 offset1:32
	s_waitcnt lgkmcnt(0)
	v_mfma_f32_32x32x16_fp8_fp8 v[32:47], v[80:81], v[114:115], v[32:47]
	ds_read2_b32 v[114:115], v116 offset0:128 offset1:160
	v_add_u32_e32 v116, 0x1800, v113
	s_waitcnt lgkmcnt(0)
	v_mfma_f32_32x32x16_fp8_fp8 v[32:47], v[78:79], v[114:115], v[32:47]
	;; [unrolled: 7-line block ×3, first 2 shown]
	ds_read2_b32 v[114:115], v116 offset1:32
	s_waitcnt lgkmcnt(0)
	v_mfma_f32_32x32x16_fp8_fp8 v[32:47], v[72:73], v[114:115], v[32:47]
	ds_read_b32 v117, v111 offset:57364
	ds_read2_b32 v[114:115], v116 offset0:128 offset1:160
	ds_write_b32 v111, v112 offset:57356
	s_waitcnt lgkmcnt(2)
	v_cmp_ne_u32_e32 vcc, v117, v87
	s_waitcnt lgkmcnt(1)
	v_mfma_f32_32x32x16_fp8_fp8 v[32:47], v[70:71], v[114:115], v[32:47]
	s_and_saveexec_b64 s[10:11], vcc
	s_cbranch_execz .LBB293_25
; %bb.23:                               ;   in Loop: Header=BB293_13 Depth=2
	s_mov_b64 s[12:13], 0
.LBB293_24:                             ;   Parent Loop BB293_7 Depth=1
                                        ;     Parent Loop BB293_13 Depth=2
                                        ; =>    This Inner Loop Header: Depth=3
	;;#ASMSTART
	s_sleep 0
	;;#ASMEND
	ds_read_b32 v114, v111 offset:57364
	s_waitcnt lgkmcnt(0)
	v_cmp_eq_u32_e32 vcc, v114, v87
	s_or_b64 s[12:13], vcc, s[12:13]
	s_andn2_b64 exec, exec, s[12:13]
	s_cbranch_execnz .LBB293_24
.LBB293_25:                             ;   in Loop: Header=BB293_13 Depth=2
	s_or_b64 exec, exec, s[10:11]
	v_add_u32_e32 v116, 0x2000, v113
	ds_read2_b32 v[114:115], v116 offset1:32
	s_waitcnt lgkmcnt(0)
	v_mfma_f32_32x32x16_fp8_fp8 v[16:31], v[84:85], v[114:115], v[16:31]
	ds_read2_b32 v[114:115], v116 offset0:128 offset1:160
	v_add_u32_e32 v116, 0x2400, v113
	s_waitcnt lgkmcnt(0)
	v_mfma_f32_32x32x16_fp8_fp8 v[16:31], v[82:83], v[114:115], v[16:31]
	ds_read2_b32 v[114:115], v116 offset1:32
	s_waitcnt lgkmcnt(0)
	v_mfma_f32_32x32x16_fp8_fp8 v[16:31], v[80:81], v[114:115], v[16:31]
	ds_read2_b32 v[114:115], v116 offset0:128 offset1:160
	v_add_u32_e32 v116, 0x2800, v113
	s_waitcnt lgkmcnt(0)
	v_mfma_f32_32x32x16_fp8_fp8 v[16:31], v[78:79], v[114:115], v[16:31]
	;; [unrolled: 7-line block ×3, first 2 shown]
	ds_read2_b32 v[114:115], v116 offset1:32
	s_waitcnt lgkmcnt(0)
	v_mfma_f32_32x32x16_fp8_fp8 v[16:31], v[72:73], v[114:115], v[16:31]
	ds_read_b32 v117, v111 offset:57372
	ds_read2_b32 v[114:115], v116 offset0:128 offset1:160
	ds_write_b32 v111, v112 offset:57364
	s_waitcnt lgkmcnt(2)
	v_cmp_ne_u32_e32 vcc, v117, v87
	s_waitcnt lgkmcnt(1)
	v_mfma_f32_32x32x16_fp8_fp8 v[16:31], v[70:71], v[114:115], v[16:31]
	s_and_saveexec_b64 s[10:11], vcc
	s_cbranch_execz .LBB293_12
; %bb.26:                               ;   in Loop: Header=BB293_13 Depth=2
	s_mov_b64 s[12:13], 0
.LBB293_27:                             ;   Parent Loop BB293_7 Depth=1
                                        ;     Parent Loop BB293_13 Depth=2
                                        ; =>    This Inner Loop Header: Depth=3
	;;#ASMSTART
	s_sleep 0
	;;#ASMEND
	ds_read_b32 v114, v111 offset:57372
	s_waitcnt lgkmcnt(0)
	v_cmp_eq_u32_e32 vcc, v114, v87
	s_or_b64 s[12:13], vcc, s[12:13]
	s_andn2_b64 exec, exec, s[12:13]
	s_cbranch_execnz .LBB293_27
	s_branch .LBB293_12
.LBB293_28:                             ;   in Loop: Header=BB293_7 Depth=1
	s_or_b64 exec, exec, s[8:9]
.LBB293_29:                             ;   in Loop: Header=BB293_7 Depth=1
	v_writelane_b32 v127, s48, 23
	s_nop 1
	v_writelane_b32 v127, s49, 24
	v_writelane_b32 v127, s46, 25
	s_nop 1
	v_writelane_b32 v127, s47, 26
	v_writelane_b32 v127, s44, 27
	s_or_b64 exec, exec, s[6:7]
	v_cmp_le_i32_e32 vcc, s5, v88
	v_cmp_eq_u32_e64 s[64:65], 1, v91
	v_cmp_eq_u32_e64 s[30:31], 2, v91
	s_waitcnt vmcnt(0)
	v_cndmask_b32_e32 v70, 0, v109, vcc
	v_pk_mul_f32 v[48:49], v[70:71], v[48:49] op_sel_hi:[0,1]
	v_pk_mul_f32 v[62:63], v[70:71], v[62:63] op_sel_hi:[0,1]
	;; [unrolled: 1-line block ×8, first 2 shown]
	v_cndmask_b32_e64 v70, v48, v49, s[64:65]
	v_cndmask_b32_e64 v70, v70, v50, s[30:31]
	v_cmp_eq_u32_e64 s[40:41], 3, v91
	v_cmp_eq_u32_e64 s[42:43], 4, v91
	v_cmp_eq_u32_e64 s[44:45], 5, v91
	v_cndmask_b32_e64 v70, v70, v51, s[40:41]
	v_cndmask_b32_e64 v70, v70, v52, s[42:43]
	v_cndmask_b32_e64 v70, v70, v53, s[44:45]
	v_cmp_eq_u32_e64 s[46:47], 6, v91
	v_cmp_eq_u32_e64 s[48:49], 7, v91
	v_cmp_eq_u32_e64 s[50:51], 8, v91
	v_cndmask_b32_e64 v70, v70, v54, s[46:47]
	;; [unrolled: 6-line block ×4, first 2 shown]
	v_cndmask_b32_e64 v70, v70, v61, s[60:61]
	v_cndmask_b32_e64 v70, v70, v62, s[62:63]
	v_cmp_eq_u32_e64 s[66:67], 15, v91
	s_mul_i32 s6, s99, s21
	s_ashr_i32 s7, s6, 31
	v_cndmask_b32_e64 v70, v70, v63, s[66:67]
	ds_bpermute_b32 v70, v107, v70
	s_lshl_b64 s[6:7], s[6:7], 1
	v_cmp_eq_u32_e64 s[36:37], 0, v91
	s_add_u32 s70, s76, s6
	v_cmp_eq_u32_e32 vcc, 1, v92
	s_waitcnt lgkmcnt(0)
	v_cndmask_b32_e64 v63, v63, v70, s[66:67]
	v_cndmask_b32_e64 v62, v62, v70, s[62:63]
	;; [unrolled: 1-line block ×16, first 2 shown]
	s_addc_u32 s71, s77, s7
	v_cndmask_b32_e32 v48, v70, v79, vcc
	v_cmp_eq_u32_e64 s[6:7], 2, v92
	v_cmp_eq_u32_e64 s[8:9], 3, v92
	v_cmp_eq_u32_e64 s[10:11], 4, v92
	v_cndmask_b32_e64 v48, v48, v78, s[6:7]
	v_cndmask_b32_e64 v48, v48, v77, s[8:9]
	v_cndmask_b32_e64 v48, v48, v76, s[10:11]
	v_cmp_eq_u32_e64 s[12:13], 5, v92
	v_cmp_eq_u32_e64 s[14:15], 6, v92
	v_cmp_eq_u32_e64 s[16:17], 7, v92
	v_cndmask_b32_e64 v48, v48, v75, s[12:13]
	v_cndmask_b32_e64 v48, v48, v74, s[14:15]
	v_cndmask_b32_e64 v48, v48, v73, s[16:17]
	;; [unrolled: 6-line block ×4, first 2 shown]
	v_cmp_eq_u32_e64 s[34:35], 14, v92
	v_cmp_eq_u32_e64 s[38:39], 15, v92
	s_ashr_i32 s1, s0, 31
	v_cndmask_b32_e64 v48, v48, v62, s[34:35]
	v_cndmask_b32_e64 v48, v48, v63, s[38:39]
	ds_bpermute_b32 v71, v107, v48
	s_lshl_b64 s[68:69], s[0:1], 1
	s_add_u32 s68, s70, s68
	s_addc_u32 s69, s71, s69
	v_writelane_b32 v127, s68, 28
	v_or_b32_e32 v48, 32, v88
	s_waitcnt lgkmcnt(0)
	v_cndmask_b32_e64 v55, v57, v71, s[76:77]
	v_writelane_b32 v127, s69, 29
	v_cndmask_b32_e64 v57, v73, v71, s[16:17]
	v_cmp_le_i32_e64 s[68:69], s5, v48
	v_or_b32_e32 v73, 64, v88
	v_cndmask_b32_e64 v49, v63, v71, s[38:39]
	v_cndmask_b32_e64 v48, 0, v109, s[68:69]
	v_cmp_le_i32_e64 s[68:69], s5, v73
	v_or_b32_e32 v73, 0x60, v88
	v_cndmask_b32_e64 v54, v58, v71, s[78:79]
	v_cndmask_b32_e64 v58, v74, v71, s[14:15]
	;; [unrolled: 1-line block ×3, first 2 shown]
	v_cmp_le_i32_e64 s[70:71], s5, v73
	v_cmp_eq_u32_e64 s[68:69], 0, v92
	v_pk_mul_f32 v[32:33], v[48:49], v[32:33] op_sel_hi:[0,1]
	v_pk_mul_f32 v[30:31], v[74:75], v[30:31] op_sel_hi:[0,1]
	;; [unrolled: 1-line block ×9, first 2 shown]
	v_cndmask_b32_e64 v74, 0, v109, s[70:71]
	v_cndmask_b32_e64 v50, v62, v71, s[34:35]
	;; [unrolled: 1-line block ×10, first 2 shown]
	v_cndmask_b32_e32 v63, v79, v71, vcc
	v_cndmask_b32_e64 v70, v70, v71, s[68:69]
	v_pk_mul_f32 v[46:47], v[48:49], v[46:47] op_sel_hi:[0,1]
	v_pk_mul_f32 v[44:45], v[48:49], v[44:45] op_sel_hi:[0,1]
	;; [unrolled: 1-line block ×7, first 2 shown]
	v_cndmask_b32_e64 v48, v32, v33, s[64:65]
	v_cndmask_b32_e64 v71, v16, v17, s[64:65]
	v_pk_mul_f32 v[0:1], v[74:75], v[0:1] op_sel_hi:[0,1]
	v_cndmask_b32_e64 v48, v48, v34, s[30:31]
	v_cndmask_b32_e64 v71, v71, v18, s[30:31]
	v_pk_mul_f32 v[14:15], v[74:75], v[14:15] op_sel_hi:[0,1]
	v_pk_mul_f32 v[12:13], v[74:75], v[12:13] op_sel_hi:[0,1]
	;; [unrolled: 1-line block ×7, first 2 shown]
	v_cndmask_b32_e64 v74, v0, v1, s[64:65]
	v_cndmask_b32_e64 v48, v48, v35, s[40:41]
	;; [unrolled: 1-line block ×40, first 2 shown]
	ds_bpermute_b32 v48, v107, v48
	ds_bpermute_b32 v71, v107, v71
	v_cndmask_b32_e64 v74, v74, v15, s[66:67]
	ds_bpermute_b32 v74, v107, v74
	v_cmp_eq_u32_e64 s[70:71], 1, v93
	s_waitcnt lgkmcnt(2)
	v_cndmask_b32_e64 v33, v33, v48, s[64:65]
	s_waitcnt lgkmcnt(1)
	v_cndmask_b32_e64 v17, v17, v71, s[64:65]
	v_cndmask_b32_e64 v73, v70, v63, s[70:71]
	v_cmp_eq_u32_e64 s[64:65], 2, v93
	v_cndmask_b32_e64 v47, v47, v48, s[66:67]
	v_cndmask_b32_e64 v31, v31, v71, s[66:67]
	;; [unrolled: 1-line block ×3, first 2 shown]
	s_waitcnt lgkmcnt(0)
	v_cndmask_b32_e64 v15, v15, v74, s[66:67]
	v_cmp_eq_u32_e64 s[66:67], 3, v93
	v_cndmask_b32_e64 v46, v46, v48, s[62:63]
	v_cndmask_b32_e64 v30, v30, v71, s[62:63]
	v_cndmask_b32_e64 v73, v73, v61, s[66:67]
	v_cndmask_b32_e64 v14, v14, v74, s[62:63]
	v_cmp_eq_u32_e64 s[62:63], 4, v93
	v_cndmask_b32_e64 v45, v45, v48, s[60:61]
	v_cndmask_b32_e64 v29, v29, v71, s[60:61]
	v_cndmask_b32_e64 v73, v73, v60, s[62:63]
	;; [unrolled: 5-line block ×4, first 2 shown]
	v_cndmask_b32_e64 v11, v11, v74, s[56:57]
	v_cmp_eq_u32_e64 s[56:57], 7, v93
	v_cmp_eq_u32_e64 s[72:73], 8, v93
	v_cndmask_b32_e64 v41, v41, v48, s[52:53]
	v_cndmask_b32_e64 v73, v73, v57, s[56:57]
	;; [unrolled: 1-line block ×5, first 2 shown]
	v_cmp_eq_u32_e64 s[52:53], 9, v93
	v_cmp_eq_u32_e64 s[74:75], 10, v93
	v_cndmask_b32_e64 v42, v42, v48, s[54:55]
	v_cndmask_b32_e64 v73, v73, v55, s[52:53]
	v_cndmask_b32_e64 v26, v26, v71, s[54:55]
	v_cndmask_b32_e64 v10, v10, v74, s[54:55]
	v_cndmask_b32_e64 v73, v73, v54, s[74:75]
	v_cmp_eq_u32_e64 s[54:55], 11, v93
	v_cndmask_b32_e64 v39, v39, v48, s[48:49]
	v_cndmask_b32_e64 v23, v23, v71, s[48:49]
	v_cndmask_b32_e64 v7, v7, v74, s[48:49]
	v_cndmask_b32_e64 v73, v73, v53, s[54:55]
	v_cmp_eq_u32_e64 s[48:49], 12, v93
	v_cndmask_b32_e64 v37, v37, v48, s[44:45]
	v_cndmask_b32_e64 v21, v21, v71, s[44:45]
	v_cndmask_b32_e64 v73, v73, v52, s[48:49]
	v_cndmask_b32_e64 v5, v5, v74, s[44:45]
	;; [unrolled: 5-line block ×4, first 2 shown]
	v_cmp_eq_u32_e64 s[42:43], 15, v93
	v_cndmask_b32_e64 v34, v34, v48, s[30:31]
	v_cndmask_b32_e64 v18, v18, v71, s[30:31]
	;; [unrolled: 1-line block ×3, first 2 shown]
	ds_bpermute_b32 v73, v107, v73
	v_cndmask_b32_e64 v2, v2, v74, s[30:31]
	v_cmp_ne_u32_e64 s[30:31], 0, v91
	v_cndmask_b32_e64 v32, v32, v48, s[36:37]
	v_cndmask_b32_e64 v40, v40, v48, s[50:51]
	;; [unrolled: 1-line block ×6, first 2 shown]
	v_cmp_eq_u32_e64 s[50:51], 0, v93
	v_cndmask_b32_e32 v48, v32, v33, vcc
	v_cndmask_b32_e64 v0, v0, v74, s[36:37]
	s_waitcnt lgkmcnt(0)
	v_cndmask_b32_e64 v49, v49, v73, s[42:43]
	v_cndmask_b32_e64 v50, v50, v73, s[46:47]
	;; [unrolled: 1-line block ×17, first 2 shown]
	v_cndmask_b32_e32 v73, v0, v1, vcc
	v_cndmask_b32_e64 v3, v3, v74, s[40:41]
	v_cndmask_b32_e64 v48, v48, v35, s[8:9]
	;; [unrolled: 1-line block ×22, first 2 shown]
	v_cndmask_b32_e32 v71, v16, v17, vcc
	v_cndmask_b32_e64 v73, v73, v11, s[80:81]
	v_cndmask_b32_e64 v48, v48, v45, s[28:29]
	;; [unrolled: 1-line block ×10, first 2 shown]
	ds_bpermute_b32 v48, v107, v48
	v_cndmask_b32_e64 v71, v71, v21, s[12:13]
	v_cndmask_b32_e64 v73, v73, v15, s[38:39]
	;; [unrolled: 1-line block ×3, first 2 shown]
	ds_bpermute_b32 v73, v107, v73
	v_cndmask_b32_e64 v71, v71, v23, s[16:17]
	v_cndmask_b32_e64 v71, v71, v24, s[18:19]
	;; [unrolled: 1-line block ×4, first 2 shown]
	s_waitcnt lgkmcnt(1)
	v_cndmask_b32_e32 v33, v33, v48, vcc
	v_cndmask_b32_e64 v32, v32, v48, s[68:69]
	v_cndmask_b32_e64 v71, v71, v27, s[80:81]
	;; [unrolled: 1-line block ×16, first 2 shown]
	s_waitcnt lgkmcnt(0)
	v_cndmask_b32_e32 v1, v1, v73, vcc
	v_cndmask_b32_e64 v48, v32, v33, s[70:71]
	v_cndmask_b32_e64 v0, v0, v73, s[68:69]
	v_cndmask_b32_e64 v71, v71, v28, s[82:83]
	v_cndmask_b32_e64 v15, v15, v73, s[38:39]
	v_cndmask_b32_e64 v14, v14, v73, s[34:35]
	v_cndmask_b32_e64 v13, v13, v73, s[28:29]
	v_cndmask_b32_e64 v12, v12, v73, s[82:83]
	v_cndmask_b32_e64 v11, v11, v73, s[80:81]
	v_cndmask_b32_e64 v10, v10, v73, s[78:79]
	v_cndmask_b32_e64 v9, v9, v73, s[76:77]
	v_cndmask_b32_e64 v8, v8, v73, s[18:19]
	v_cndmask_b32_e64 v7, v7, v73, s[16:17]
	v_cndmask_b32_e64 v6, v6, v73, s[14:15]
	v_cndmask_b32_e64 v5, v5, v73, s[12:13]
	v_cndmask_b32_e64 v4, v4, v73, s[10:11]
	v_cndmask_b32_e64 v3, v3, v73, s[8:9]
	v_cndmask_b32_e64 v2, v2, v73, s[6:7]
	v_cndmask_b32_e64 v48, v48, v34, s[64:65]
	v_cndmask_b32_e64 v73, v0, v1, s[70:71]
	v_cndmask_b32_e64 v71, v71, v29, s[28:29]
	v_cndmask_b32_e64 v48, v48, v35, s[66:67]
	v_cndmask_b32_e64 v73, v73, v2, s[64:65]
	v_cndmask_b32_e64 v71, v71, v30, s[34:35]
	v_cndmask_b32_e64 v48, v48, v36, s[62:63]
	v_cndmask_b32_e64 v73, v73, v3, s[66:67]
	v_cndmask_b32_e64 v71, v71, v31, s[38:39]
	v_cndmask_b32_e64 v48, v48, v37, s[60:61]
	v_cndmask_b32_e64 v73, v73, v4, s[62:63]
	ds_bpermute_b32 v71, v107, v71
	v_cndmask_b32_e64 v48, v48, v38, s[58:59]
	v_cndmask_b32_e64 v73, v73, v5, s[60:61]
	;; [unrolled: 1-line block ×8, first 2 shown]
	v_cmp_eq_u32_e64 s[30:31], 1, v94
	v_cndmask_b32_e64 v48, v48, v42, s[74:75]
	v_cndmask_b32_e64 v73, v73, v9, s[52:53]
	;; [unrolled: 1-line block ×3, first 2 shown]
	v_cmp_eq_u32_e64 s[36:37], 2, v94
	s_waitcnt lgkmcnt(0)
	v_cndmask_b32_e32 v17, v17, v71, vcc
	v_cndmask_b32_e64 v48, v48, v43, s[54:55]
	v_cndmask_b32_e64 v16, v16, v71, s[68:69]
	;; [unrolled: 1-line block ×6, first 2 shown]
	v_cmp_eq_u32_e64 s[34:35], 3, v94
	v_cndmask_b32_e64 v29, v29, v71, s[28:29]
	v_cndmask_b32_e64 v28, v28, v71, s[82:83]
	;; [unrolled: 1-line block ×16, first 2 shown]
	v_cmp_eq_u32_e64 s[40:41], 4, v94
	v_cndmask_b32_e64 v48, v48, v45, s[44:45]
	v_cndmask_b32_e64 v71, v71, v18, s[64:65]
	v_cndmask_b32_e64 v73, v73, v12, s[48:49]
	v_cndmask_b32_e64 v74, v74, v60, s[40:41]
	v_cmp_eq_u32_e64 s[84:85], 5, v94
	v_cndmask_b32_e64 v48, v48, v46, s[46:47]
	v_cndmask_b32_e64 v71, v71, v19, s[66:67]
	v_cndmask_b32_e64 v73, v73, v13, s[44:45]
	v_cndmask_b32_e64 v74, v74, v59, s[84:85]
	;; [unrolled: 5-line block ×3, first 2 shown]
	v_cmp_eq_u32_e64 s[78:79], 7, v94
	ds_bpermute_b32 v48, v107, v48
	v_cndmask_b32_e64 v71, v71, v21, s[60:61]
	v_cndmask_b32_e64 v73, v73, v15, s[42:43]
	;; [unrolled: 1-line block ×3, first 2 shown]
	v_cmp_eq_u32_e64 s[92:93], 8, v94
	v_cndmask_b32_e64 v71, v71, v22, s[58:59]
	ds_bpermute_b32 v73, v107, v73
	v_cndmask_b32_e64 v74, v74, v56, s[92:93]
	v_cmp_eq_u32_e64 s[18:19], 9, v94
	v_cndmask_b32_e64 v71, v71, v23, s[56:57]
	v_cmp_eq_u32_e64 s[16:17], 10, v94
	v_cndmask_b32_e64 v74, v74, v55, s[18:19]
	v_cndmask_b32_e64 v71, v71, v24, s[72:73]
	;; [unrolled: 1-line block ×3, first 2 shown]
	v_cmp_eq_u32_e64 s[14:15], 11, v94
	v_cndmask_b32_e64 v71, v71, v25, s[52:53]
	v_cmp_eq_u32_e64 s[12:13], 12, v94
	v_cndmask_b32_e64 v74, v74, v53, s[14:15]
	v_cndmask_b32_e64 v71, v71, v26, s[74:75]
	s_waitcnt lgkmcnt(1)
	v_cndmask_b32_e64 v33, v33, v48, s[70:71]
	v_cndmask_b32_e64 v32, v32, v48, s[50:51]
	;; [unrolled: 1-line block ×3, first 2 shown]
	v_cmp_eq_u32_e64 s[38:39], 13, v94
	v_cndmask_b32_e64 v71, v71, v27, s[54:55]
	v_cndmask_b32_e64 v47, v47, v48, s[42:43]
	;; [unrolled: 1-line block ×15, first 2 shown]
	s_waitcnt lgkmcnt(0)
	v_cndmask_b32_e64 v1, v1, v73, s[70:71]
	v_cndmask_b32_e64 v48, v32, v33, s[30:31]
	;; [unrolled: 1-line block ×4, first 2 shown]
	v_cmp_eq_u32_e64 s[8:9], 14, v94
	v_cndmask_b32_e64 v71, v71, v28, s[48:49]
	v_cndmask_b32_e64 v15, v15, v73, s[42:43]
	;; [unrolled: 1-line block ×18, first 2 shown]
	v_cmp_eq_u32_e64 s[6:7], 15, v94
	v_cndmask_b32_e64 v71, v71, v29, s[44:45]
	v_cndmask_b32_e64 v48, v48, v35, s[34:35]
	;; [unrolled: 1-line block ×7, first 2 shown]
	ds_bpermute_b32 v74, v107, v74
	v_cndmask_b32_e64 v71, v71, v31, s[42:43]
	v_cndmask_b32_e64 v48, v48, v37, s[84:85]
	;; [unrolled: 1-line block ×3, first 2 shown]
	ds_bpermute_b32 v71, v107, v71
	v_cndmask_b32_e64 v48, v48, v38, s[88:89]
	v_cndmask_b32_e64 v73, v73, v5, s[84:85]
	;; [unrolled: 1-line block ×6, first 2 shown]
	v_cmp_eq_u32_e64 s[10:11], 0, v94
	v_cndmask_b32_e64 v48, v48, v41, s[18:19]
	v_cndmask_b32_e64 v73, v73, v8, s[92:93]
	s_waitcnt lgkmcnt(1)
	v_cndmask_b32_e64 v63, v63, v74, s[30:31]
	v_cndmask_b32_e64 v70, v70, v74, s[10:11]
	v_cmp_eq_u32_e64 s[28:29], 1, v95
	v_cndmask_b32_e64 v48, v48, v42, s[16:17]
	v_cndmask_b32_e64 v73, v73, v9, s[18:19]
	;; [unrolled: 1-line block ×17, first 2 shown]
	s_waitcnt lgkmcnt(0)
	v_cndmask_b32_e64 v31, v31, v71, s[42:43]
	v_cmp_eq_u32_e64 s[42:43], 2, v95
	v_cndmask_b32_e64 v17, v17, v71, s[70:71]
	v_cndmask_b32_e64 v48, v48, v43, s[14:15]
	;; [unrolled: 1-line block ×6, first 2 shown]
	v_cmp_eq_u32_e64 s[46:47], 3, v95
	v_cndmask_b32_e64 v29, v29, v71, s[44:45]
	v_cndmask_b32_e64 v28, v28, v71, s[48:49]
	v_cndmask_b32_e64 v27, v27, v71, s[54:55]
	v_cndmask_b32_e64 v26, v26, v71, s[74:75]
	v_cndmask_b32_e64 v25, v25, v71, s[52:53]
	v_cndmask_b32_e64 v24, v24, v71, s[72:73]
	v_cndmask_b32_e64 v23, v23, v71, s[56:57]
	v_cndmask_b32_e64 v22, v22, v71, s[58:59]
	v_cndmask_b32_e64 v21, v21, v71, s[60:61]
	v_cndmask_b32_e64 v20, v20, v71, s[62:63]
	v_cndmask_b32_e64 v19, v19, v71, s[66:67]
	v_cndmask_b32_e64 v18, v18, v71, s[64:65]
	v_cndmask_b32_e64 v48, v48, v44, s[12:13]
	v_cndmask_b32_e64 v71, v16, v17, s[30:31]
	v_cndmask_b32_e64 v73, v73, v11, s[14:15]
	v_cndmask_b32_e64 v74, v74, v61, s[46:47]
	v_cmp_eq_u32_e64 s[44:45], 4, v95
	v_cndmask_b32_e64 v48, v48, v45, s[38:39]
	v_cndmask_b32_e64 v71, v71, v18, s[36:37]
	v_cndmask_b32_e64 v73, v73, v12, s[12:13]
	v_cndmask_b32_e64 v74, v74, v60, s[44:45]
	v_cmp_eq_u32_e64 s[48:49], 5, v95
	v_cndmask_b32_e64 v48, v48, v46, s[8:9]
	v_cndmask_b32_e64 v71, v71, v19, s[34:35]
	v_cndmask_b32_e64 v73, v73, v13, s[38:39]
	v_cndmask_b32_e64 v74, v74, v59, s[48:49]
	;; [unrolled: 5-line block ×3, first 2 shown]
	v_cmp_eq_u32_e64 s[68:69], 7, v95
	ds_bpermute_b32 v48, v107, v48
	v_cndmask_b32_e64 v71, v71, v21, s[84:85]
	v_cndmask_b32_e64 v73, v73, v15, s[6:7]
	;; [unrolled: 1-line block ×3, first 2 shown]
	v_cmp_eq_u32_e64 s[74:75], 8, v95
	v_cndmask_b32_e64 v71, v71, v22, s[88:89]
	ds_bpermute_b32 v73, v107, v73
	v_cndmask_b32_e64 v74, v74, v56, s[74:75]
	v_cmp_eq_u32_e64 s[72:73], 9, v95
	v_cndmask_b32_e64 v71, v71, v23, s[78:79]
	v_cmp_eq_u32_e64 s[76:77], 10, v95
	v_cndmask_b32_e64 v74, v74, v55, s[72:73]
	v_cndmask_b32_e64 v71, v71, v24, s[92:93]
	;; [unrolled: 1-line block ×3, first 2 shown]
	v_cmp_eq_u32_e64 s[80:81], 11, v95
	v_cndmask_b32_e64 v71, v71, v25, s[18:19]
	v_cmp_eq_u32_e64 s[60:61], 12, v95
	v_cndmask_b32_e64 v74, v74, v53, s[80:81]
	v_cndmask_b32_e64 v71, v71, v26, s[16:17]
	s_waitcnt lgkmcnt(1)
	v_cndmask_b32_e64 v33, v33, v48, s[30:31]
	v_cndmask_b32_e64 v32, v32, v48, s[10:11]
	v_cndmask_b32_e64 v74, v74, v52, s[60:61]
	v_cmp_eq_u32_e64 s[82:83], 13, v95
	v_cndmask_b32_e64 v71, v71, v27, s[14:15]
	v_cndmask_b32_e64 v34, v34, v48, s[36:37]
	s_waitcnt lgkmcnt(0)
	v_cndmask_b32_e64 v79, v1, v73, s[30:31]
	v_cndmask_b32_e64 v1, v32, v33, s[28:29]
	;; [unrolled: 1-line block ×3, first 2 shown]
	v_cmp_eq_u32_e64 s[86:87], 14, v95
	v_cndmask_b32_e64 v71, v71, v28, s[12:13]
	v_cndmask_b32_e64 v35, v35, v48, s[34:35]
	;; [unrolled: 1-line block ×4, first 2 shown]
	v_cmp_eq_u32_e64 s[90:91], 15, v95
	v_cndmask_b32_e64 v71, v71, v29, s[38:39]
	v_cndmask_b32_e64 v36, v36, v48, s[40:41]
	v_cndmask_b32_e64 v1, v1, v35, s[46:47]
	v_cndmask_b32_e64 v74, v74, v49, s[90:91]
	v_cndmask_b32_e64 v71, v71, v30, s[8:9]
	v_cndmask_b32_e64 v37, v37, v48, s[84:85]
	v_cndmask_b32_e64 v1, v1, v36, s[44:45]
	ds_bpermute_b32 v74, v107, v74
	v_cndmask_b32_e64 v71, v71, v31, s[6:7]
	v_cndmask_b32_e64 v38, v38, v48, s[88:89]
	;; [unrolled: 1-line block ×3, first 2 shown]
	ds_bpermute_b32 v71, v107, v71
	v_cndmask_b32_e64 v39, v39, v48, s[78:79]
	v_cndmask_b32_e64 v1, v1, v38, s[54:55]
	;; [unrolled: 1-line block ×6, first 2 shown]
	v_cmp_eq_u32_e64 s[52:53], 0, v95
	v_cndmask_b32_e64 v42, v42, v48, s[16:17]
	v_cndmask_b32_e64 v1, v1, v41, s[72:73]
	s_waitcnt lgkmcnt(1)
	v_cndmask_b32_e64 v63, v63, v74, s[28:29]
	v_cndmask_b32_e64 v70, v70, v74, s[52:53]
	v_cmp_eq_u32_e32 vcc, 1, v96
	v_cndmask_b32_e64 v43, v43, v48, s[14:15]
	v_cndmask_b32_e64 v1, v1, v42, s[76:77]
	;; [unrolled: 1-line block ×16, first 2 shown]
	v_cndmask_b32_e32 v74, v70, v63, vcc
	v_cndmask_b32_e64 v47, v47, v48, s[6:7]
	s_waitcnt lgkmcnt(0)
	v_cndmask_b32_e64 v31, v31, v71, s[6:7]
	v_cndmask_b32_e64 v15, v15, v73, s[6:7]
	v_cmp_eq_u32_e64 s[6:7], 2, v96
	v_cndmask_b32_e64 v44, v44, v48, s[12:13]
	v_cndmask_b32_e64 v1, v1, v43, s[80:81]
	;; [unrolled: 1-line block ×6, first 2 shown]
	v_cmp_eq_u32_e64 s[8:9], 3, v96
	v_cndmask_b32_e64 v45, v45, v48, s[38:39]
	v_cndmask_b32_e64 v1, v1, v44, s[60:61]
	;; [unrolled: 1-line block ×5, first 2 shown]
	v_cmp_eq_u32_e64 s[38:39], 4, v96
	v_cndmask_b32_e64 v1, v1, v45, s[82:83]
	v_cmp_eq_u32_e64 s[50:51], 5, v96
	v_cndmask_b32_e64 v74, v74, v60, s[38:39]
	v_cndmask_b32_e64 v1, v1, v46, s[86:87]
	;; [unrolled: 1-line block ×5, first 2 shown]
	v_cmp_eq_u32_e64 s[56:57], 6, v96
	v_cndmask_b32_e64 v10, v10, v73, s[16:17]
	v_cndmask_b32_e64 v9, v9, v73, s[18:19]
	;; [unrolled: 1-line block ×14, first 2 shown]
	v_cmp_eq_u32_e64 s[58:59], 7, v96
	v_cndmask_b32_e64 v18, v18, v71, s[36:37]
	ds_bpermute_b32 v48, v107, v1
	v_cndmask_b32_e64 v1, v16, v78, s[28:29]
	v_cndmask_b32_e64 v0, v73, v79, s[28:29]
	;; [unrolled: 1-line block ×3, first 2 shown]
	v_cmp_eq_u32_e64 s[64:65], 8, v96
	v_cndmask_b32_e64 v19, v19, v71, s[34:35]
	v_cndmask_b32_e64 v1, v1, v18, s[42:43]
	v_cndmask_b32_e64 v0, v0, v2, s[42:43]
	v_cndmask_b32_e64 v74, v74, v56, s[64:65]
	v_cmp_eq_u32_e64 s[70:71], 9, v96
	v_cndmask_b32_e64 v20, v20, v71, s[40:41]
	v_cndmask_b32_e64 v1, v1, v19, s[46:47]
	v_cndmask_b32_e64 v0, v0, v3, s[46:47]
	v_cndmask_b32_e64 v74, v74, v55, s[70:71]
	v_cndmask_b32_e64 v23, v23, v71, s[78:79]
	v_cmp_eq_u32_e64 s[78:79], 10, v96
	v_cndmask_b32_e64 v21, v21, v71, s[84:85]
	;; [unrolled: 6-line block ×3, first 2 shown]
	v_cndmask_b32_e64 v0, v0, v5, s[48:49]
	v_cndmask_b32_e64 v74, v74, v53, s[66:67]
	v_cmp_eq_u32_e64 s[62:63], 12, v96
	v_cndmask_b32_e64 v1, v1, v22, s[54:55]
	v_cndmask_b32_e64 v0, v0, v6, s[54:55]
	v_cndmask_b32_e64 v24, v24, v71, s[92:93]
	v_cndmask_b32_e64 v74, v74, v52, s[62:63]
	v_cmp_eq_u32_e64 s[84:85], 13, v96
	v_cndmask_b32_e64 v1, v1, v23, s[68:69]
	v_cndmask_b32_e64 v0, v0, v7, s[68:69]
	;; [unrolled: 5-line block ×4, first 2 shown]
	v_cndmask_b32_e64 v27, v27, v71, s[14:15]
	v_cndmask_b32_e64 v74, v74, v49, s[92:93]
	;; [unrolled: 1-line block ×5, first 2 shown]
	ds_bpermute_b32 v74, v107, v74
	v_cndmask_b32_e64 v1, v1, v27, s[80:81]
	v_cndmask_b32_e64 v0, v0, v11, s[80:81]
	;; [unrolled: 1-line block ×8, first 2 shown]
	v_cmp_eq_u32_e64 s[94:95], 0, v96
	v_cndmask_b32_e64 v1, v1, v31, s[90:91]
	v_cndmask_b32_e64 v0, v0, v15, s[90:91]
	s_waitcnt lgkmcnt(0)
	v_cndmask_b32_e64 v49, v49, v74, s[92:93]
	v_cndmask_b32_e64 v50, v50, v74, s[88:89]
	;; [unrolled: 1-line block ×14, first 2 shown]
	v_cndmask_b32_e32 v63, v63, v74, vcc
	v_cndmask_b32_e64 v70, v70, v74, s[94:95]
	ds_bpermute_b32 v71, v107, v1
	ds_bpermute_b32 v74, v107, v0
	v_cndmask_b32_e64 v57, v35, v48, s[46:47]
	v_cndmask_b32_e64 v101, v36, v48, s[44:45]
	;; [unrolled: 1-line block ×3, first 2 shown]
	s_waitcnt lgkmcnt(1)
	v_cndmask_b32_e64 v84, v29, v71, s[82:83]
	s_waitcnt lgkmcnt(0)
	v_cndmask_b32_e64 v110, v12, v74, s[60:61]
	v_cndmask_b32_e64 v12, v33, v48, s[28:29]
	;; [unrolled: 1-line block ×7, first 2 shown]
	v_cndmask_b32_e32 v19, v29, v12, vcc
	v_cndmask_b32_e64 v19, v19, v4, s[6:7]
	v_cndmask_b32_e64 v19, v19, v57, s[8:9]
	;; [unrolled: 1-line block ×30, first 2 shown]
	ds_bpermute_b32 v30, v107, v19
	v_cndmask_b32_e32 v19, v16, v13, vcc
	v_cndmask_b32_e64 v19, v19, v5, s[6:7]
	v_cndmask_b32_e64 v55, v20, v71, s[44:45]
	v_cndmask_b32_e64 v19, v19, v15, s[8:9]
	v_cndmask_b32_e64 v99, v21, v71, s[48:49]
	v_cndmask_b32_e64 v19, v19, v55, s[38:39]
	v_cndmask_b32_e64 v124, v22, v71, s[54:55]
	v_cndmask_b32_e64 v19, v19, v99, s[50:51]
	v_cndmask_b32_e64 v121, v23, v71, s[68:69]
	v_cndmask_b32_e64 v19, v19, v124, s[56:57]
	v_cndmask_b32_e64 v118, v24, v71, s[74:75]
	v_cndmask_b32_e64 v19, v19, v121, s[58:59]
	v_cndmask_b32_e64 v115, v25, v71, s[72:73]
	v_cndmask_b32_e64 v19, v19, v118, s[64:65]
	v_cndmask_b32_e64 v113, v26, v71, s[76:77]
	v_cndmask_b32_e64 v19, v19, v115, s[70:71]
	v_cndmask_b32_e64 v111, v27, v71, s[80:81]
	v_cndmask_b32_e64 v19, v19, v113, s[78:79]
	v_cmp_eq_u32_e64 s[10:11], 1, v97
	v_cndmask_b32_e64 v109, v28, v71, s[60:61]
	v_cndmask_b32_e64 v19, v19, v111, s[66:67]
	;; [unrolled: 1-line block ×3, first 2 shown]
	v_cmp_eq_u32_e64 s[12:13], 2, v97
	v_cndmask_b32_e64 v19, v19, v109, s[62:63]
	v_cmp_eq_u32_e64 s[14:15], 3, v97
	v_cndmask_b32_e64 v0, v0, v62, s[12:13]
	v_cndmask_b32_e64 v19, v19, v84, s[84:85]
	;; [unrolled: 1-line block ×4, first 2 shown]
	v_cmp_eq_u32_e64 s[16:17], 4, v97
	v_cndmask_b32_e64 v19, v19, v82, s[88:89]
	v_cndmask_b32_e64 v83, v14, v74, s[86:87]
	;; [unrolled: 1-line block ×3, first 2 shown]
	v_cmp_eq_u32_e64 s[18:19], 5, v97
	v_cndmask_b32_e64 v14, v79, v74, s[28:29]
	v_cndmask_b32_e64 v19, v19, v80, s[92:93]
	;; [unrolled: 1-line block ×5, first 2 shown]
	v_cmp_eq_u32_e64 s[80:81], 6, v97
	v_cndmask_b32_e64 v125, v6, v74, s[54:55]
	v_cndmask_b32_e64 v6, v2, v74, s[42:43]
	ds_bpermute_b32 v20, v107, v19
	v_cndmask_b32_e32 v19, v21, v14, vcc
	v_cndmask_b32_e64 v0, v0, v58, s[80:81]
	v_cndmask_b32_e64 v114, v10, v74, s[76:77]
	v_cmp_eq_u32_e64 s[76:77], 7, v97
	v_cndmask_b32_e64 v3, v3, v74, s[46:47]
	v_cndmask_b32_e64 v19, v19, v6, s[6:7]
	;; [unrolled: 1-line block ×4, first 2 shown]
	v_cmp_eq_u32_e64 s[72:73], 8, v97
	v_cndmask_b32_e64 v19, v19, v3, s[8:9]
	v_cmp_eq_u32_e64 s[30:31], 9, v97
	v_cndmask_b32_e64 v0, v0, v76, s[72:73]
	v_cndmask_b32_e64 v19, v19, v56, s[38:39]
	v_cndmask_b32_e64 v0, v0, v75, s[30:31]
	v_cmp_eq_u32_e64 s[34:35], 10, v97
	v_cndmask_b32_e64 v19, v19, v100, s[50:51]
	v_cndmask_b32_e64 v122, v7, v74, s[68:69]
	;; [unrolled: 4-line block ×3, first 2 shown]
	v_cndmask_b32_e64 v0, v0, v53, s[36:37]
	v_cmp_eq_u32_e64 s[40:41], 12, v97
	v_cndmask_b32_e64 v19, v19, v122, s[58:59]
	v_cmp_eq_u32_e64 s[44:45], 13, v97
	v_cndmask_b32_e64 v0, v0, v52, s[40:41]
	v_cndmask_b32_e64 v19, v19, v119, s[64:65]
	;; [unrolled: 1-line block ×3, first 2 shown]
	v_cmp_eq_u32_e64 s[46:47], 14, v97
	v_cndmask_b32_e64 v19, v19, v116, s[70:71]
	v_cmp_eq_u32_e64 s[42:43], 15, v97
	v_cndmask_b32_e64 v0, v0, v50, s[46:47]
	v_cndmask_b32_e64 v19, v19, v114, s[78:79]
	;; [unrolled: 1-line block ×4, first 2 shown]
	ds_bpermute_b32 v0, v107, v0
	v_cndmask_b32_e64 v19, v19, v110, s[62:63]
	v_cndmask_b32_e64 v19, v19, v85, s[84:85]
	;; [unrolled: 1-line block ×4, first 2 shown]
	v_cmp_eq_u32_e64 s[28:29], 0, v97
	ds_bpermute_b32 v28, v107, v19
	s_waitcnt lgkmcnt(1)
	v_cndmask_b32_e64 v7, v49, v0, s[42:43]
	v_cndmask_b32_e64 v8, v50, v0, s[46:47]
	;; [unrolled: 1-line block ×16, first 2 shown]
	v_cmp_eq_u32_e64 s[48:49], 1, v98
	v_cmp_eq_u32_e64 s[52:53], 2, v98
	;; [unrolled: 1-line block ×3, first 2 shown]
	v_cndmask_b32_e64 v33, v0, v18, s[48:49]
	v_cndmask_b32_e64 v34, v33, v17, s[52:53]
	;; [unrolled: 1-line block ×3, first 2 shown]
	v_cmp_eq_u32_e64 s[60:61], 4, v98
	v_cndmask_b32_e64 v58, v44, v30, s[62:63]
	v_cndmask_b32_e64 v38, v109, v20, s[62:63]
	;; [unrolled: 1-line block ×3, first 2 shown]
	s_waitcnt lgkmcnt(0)
	v_cndmask_b32_e64 v35, v110, v28, s[62:63]
	v_cmp_eq_u32_e64 s[62:63], 5, v98
	v_cndmask_b32_e64 v59, v43, v30, s[66:67]
	v_cndmask_b32_e64 v48, v112, v28, s[66:67]
	;; [unrolled: 1-line block ×4, first 2 shown]
	v_cmp_eq_u32_e64 s[66:67], 6, v98
	v_cmp_eq_u32_e64 s[68:69], 7, v98
	v_cndmask_b32_e64 v60, v42, v30, s[78:79]
	v_cndmask_b32_e64 v43, v40, v26, s[66:67]
	;; [unrolled: 1-line block ×6, first 2 shown]
	v_cmp_eq_u32_e64 s[70:71], 8, v98
	v_cndmask_b32_e64 v62, v117, v30, s[64:65]
	v_cndmask_b32_e64 v51, v119, v28, s[64:65]
	v_cndmask_b32_e64 v43, v42, v24, s[70:71]
	v_cndmask_b32_e64 v42, v118, v20, s[64:65]
	v_cmp_eq_u32_e64 s[64:65], 9, v98
	v_cndmask_b32_e64 v63, v120, v30, s[58:59]
	v_cndmask_b32_e64 v52, v122, v28, s[58:59]
	v_cndmask_b32_e64 v44, v43, v23, s[64:65]
	v_cndmask_b32_e64 v43, v121, v20, s[58:59]
	;; [unrolled: 5-line block ×3, first 2 shown]
	v_cndmask_b32_e64 v44, v124, v20, s[56:57]
	v_cndmask_b32_e64 v53, v125, v28, s[56:57]
	v_cmp_eq_u32_e64 s[56:57], 11, v98
	v_cndmask_b32_e64 v73, v126, v30, s[50:51]
	v_cndmask_b32_e64 v54, v100, v28, s[50:51]
	v_cndmask_b32_e64 v71, v45, v11, s[56:57]
	v_cndmask_b32_e64 v45, v99, v20, s[50:51]
	v_cmp_eq_u32_e64 s[50:51], 12, v98
	v_cndmask_b32_e64 v74, v101, v30, s[38:39]
	v_cndmask_b32_e64 v75, v55, v20, s[38:39]
	;; [unrolled: 5-line block ×4, first 2 shown]
	v_cndmask_b32_e64 v3, v56, v8, s[8:9]
	v_cndmask_b32_e64 v56, v4, v30, s[6:7]
	v_cmp_eq_u32_e64 s[6:7], 15, v98
	v_cndmask_b32_e64 v19, v80, v20, s[92:93]
	v_cndmask_b32_e32 v80, v12, v30, vcc
	v_cndmask_b32_e64 v3, v3, v7, s[6:7]
	ds_bpermute_b32 v79, v107, v3
	v_cndmask_b32_e64 v46, v46, v30, s[88:89]
	v_cndmask_b32_e64 v32, v81, v28, s[92:93]
	v_cndmask_b32_e32 v81, v13, v20, vcc
	v_cndmask_b32_e64 v36, v82, v20, s[88:89]
	s_waitcnt lgkmcnt(0)
	v_cndmask_b32_e64 v12, v10, v79, s[50:51]
	v_cndmask_b32_e64 v10, v22, v79, s[58:59]
	;; [unrolled: 1-line block ×20, first 2 shown]
	ds_bpermute_b32 v23, v107, v3
	v_cndmask_b32_e64 v6, v26, v79, s[66:67]
	v_cndmask_b32_e64 v4, v1, v79, s[60:61]
	;; [unrolled: 1-line block ×4, first 2 shown]
	s_waitcnt lgkmcnt(0)
	v_cndmask_b32_e64 v18, v46, v23, s[46:47]
	v_cndmask_b32_e64 v26, v59, v23, s[36:37]
	;; [unrolled: 1-line block ×16, first 2 shown]
	v_cndmask_b32_e32 v82, v14, v28, vcc
	v_cndmask_b32_e64 v14, v8, v79, s[8:9]
	v_cndmask_b32_e64 v8, v24, v79, s[70:71]
	v_cndmask_b32_e64 v24, v47, v23, s[44:45]
	v_cndmask_b32_e64 v47, v61, v23, s[30:31]
	v_cndmask_b32_e64 v61, v73, v23, s[18:19]
	v_cndmask_b32_e64 v22, v22, v62, s[60:61]
	v_cndmask_b32_e64 v22, v22, v61, s[62:63]
	v_cndmask_b32_e64 v22, v22, v60, s[66:67]
	v_cndmask_b32_e64 v22, v22, v59, s[68:69]
	v_cndmask_b32_e64 v22, v22, v58, s[70:71]
	v_cndmask_b32_e64 v22, v22, v47, s[64:65]
	v_cndmask_b32_e64 v22, v22, v46, s[58:59]
	v_cndmask_b32_e64 v22, v22, v26, s[56:57]
	v_cndmask_b32_e64 v22, v22, v25, s[50:51]
	v_cndmask_b32_e64 v22, v22, v24, s[38:39]
	v_cndmask_b32_e64 v3, v2, v79, s[54:55]
	v_cndmask_b32_e64 v2, v17, v79, s[52:53]
	v_cndmask_b32_e64 v17, v31, v23, s[42:43]
	v_cndmask_b32_e64 v22, v22, v18, s[8:9]
	v_cndmask_b32_e64 v22, v22, v17, s[6:7]
	ds_bpermute_b32 v73, v107, v22
	v_cndmask_b32_e64 v16, v16, v20, s[94:95]
	v_cndmask_b32_e64 v40, v113, v20, s[78:79]
	;; [unrolled: 1-line block ×3, first 2 shown]
	v_cmp_eq_u32_e32 vcc, 0, v98
	s_waitcnt lgkmcnt(0)
	v_cndmask_b32_e64 v31, v17, v73, s[6:7]
	v_cndmask_b32_e64 v17, v16, v81, s[10:11]
	;; [unrolled: 1-line block ×16, first 2 shown]
	ds_bpermute_b32 v17, v107, v17
	v_cndmask_b32_e64 v11, v11, v79, s[56:57]
	v_cndmask_b32_e64 v5, v27, v79, s[62:63]
	v_cndmask_b32_e32 v0, v0, v79, vcc
	v_cndmask_b32_e64 v20, v62, v73, s[60:61]
	s_waitcnt lgkmcnt(0)
	v_cndmask_b32_e64 v62, v75, v17, s[16:17]
	v_cndmask_b32_e64 v75, v77, v17, s[12:13]
	;; [unrolled: 1-line block ×39, first 2 shown]
	ds_bpermute_b32 v80, v107, v16
	v_cndmask_b32_e64 v33, v83, v28, s[88:89]
	v_cndmask_b32_e64 v34, v85, v28, s[84:85]
	;; [unrolled: 1-line block ×5, first 2 shown]
	s_waitcnt lgkmcnt(0)
	v_cndmask_b32_e64 v47, v46, v80, s[6:7]
	v_cndmask_b32_e64 v46, v36, v80, s[8:9]
	;; [unrolled: 1-line block ×19, first 2 shown]
	ds_bpermute_b32 v56, v107, v36
	v_cndmask_b32_e64 v19, v57, v73, s[54:55]
	v_cndmask_b32_e64 v17, v63, v73, s[48:49]
	v_cndmask_b32_e32 v16, v70, v73, vcc
	v_cndmask_b32_e64 v44, v38, v80, s[50:51]
	s_waitcnt lgkmcnt(0)
	v_cndmask_b32_e64 v81, v82, v56, s[10:11]
	v_cndmask_b32_e64 v74, v74, v56, s[28:29]
	;; [unrolled: 1-line block ×36, first 2 shown]
	ds_bpermute_b32 v82, v107, v32
	v_cndmask_b32_e64 v36, v62, v80, s[60:61]
	v_cndmask_b32_e64 v33, v77, v80, s[48:49]
	v_readlane_b32 s18, v127, 10
	v_readlane_b32 s28, v127, 12
	s_waitcnt lgkmcnt(0)
	v_cndmask_b32_e64 v63, v57, v82, s[6:7]
	v_readlane_b32 s6, v127, 28
	v_cndmask_b32_e64 v62, v58, v82, s[8:9]
	v_cndmask_b32_e64 v58, v49, v82, s[58:59]
	;; [unrolled: 1-line block ×3, first 2 shown]
	v_readlane_b32 s7, v127, 29
	v_readlane_b32 s34, v127, 17
	;; [unrolled: 1-line block ×4, first 2 shown]
	v_subrev_u32_e32 v108, s4, v108
	s_mov_b32 s1, 0
	v_cndmask_b32_e64 v45, v37, v80, s[38:39]
	v_cndmask_b32_e64 v41, v41, v80, s[64:65]
	v_cndmask_b32_e64 v37, v61, v80, s[62:63]
	v_cndmask_b32_e64 v35, v71, v80, s[54:55]
	v_cndmask_b32_e64 v34, v75, v80, s[52:53]
	v_cndmask_b32_e32 v32, v79, v80, vcc
	v_cndmask_b32_e64 v61, v59, v82, s[38:39]
	v_cndmask_b32_e64 v60, v60, v82, s[50:51]
	;; [unrolled: 1-line block ×11, first 2 shown]
	v_cndmask_b32_e32 v48, v74, v82, vcc
	v_lshl_add_u64 v[70:71], s[6:7], 0, v[64:65]
	s_mov_b64 s[6:7], 0
	s_mov_b32 s5, 0
	v_readlane_b32 s19, v127, 11
	v_readlane_b32 s29, v127, 13
	;; [unrolled: 1-line block ×9, first 2 shown]
	s_mov_b64 s[40:41], 0x80
	s_mov_b64 s[42:43], 0xc0
	v_readlane_b32 s44, v127, 27
	v_readlane_b32 s47, v127, 26
	;; [unrolled: 1-line block ×3, first 2 shown]
                                        ; implicit-def: $sgpr8_sgpr9
	s_branch .LBB293_32
.LBB293_30:                             ;   in Loop: Header=BB293_32 Depth=2
	s_or_b64 exec, exec, s[12:13]
	s_andn2_b64 s[8:9], s[8:9], exec
	s_and_b64 s[12:13], s[14:15], exec
	s_or_b64 s[8:9], s[8:9], s[12:13]
.LBB293_31:                             ;   in Loop: Header=BB293_32 Depth=2
	s_or_b64 exec, exec, s[10:11]
	s_and_b64 s[10:11], exec, s[8:9]
	s_or_b64 s[6:7], s[10:11], s[6:7]
	s_andn2_b64 exec, exec, s[6:7]
	s_cbranch_execz .LBB293_35
.LBB293_32:                             ;   Parent Loop BB293_7 Depth=1
                                        ; =>  This Inner Loop Header: Depth=2
	s_and_b32 s12, s1, 24
	v_or_b32_e32 v73, s12, v105
	v_add_u32_e32 v74, s96, v73
	v_cmp_gt_u32_e32 vcc, 32, v74
	s_or_b64 s[8:9], s[8:9], exec
	s_and_saveexec_b64 s[10:11], vcc
	s_cbranch_execz .LBB293_31
; %bb.33:                               ;   in Loop: Header=BB293_32 Depth=2
	s_add_i32 s13, s5, 1
	s_set_gpr_idx_on s5, gpr_idx(SRC0)
	v_mov_b32_e32 v74, v0
	s_set_gpr_idx_off
	v_cvt_f16_f32_e32 v76, v74
	s_set_gpr_idx_on s13, gpr_idx(SRC0)
	v_mov_b32_e32 v74, v0
	s_set_gpr_idx_off
	v_cvt_f16_f32_sdwa v77, v74 dst_sel:WORD_1 dst_unused:UNUSED_PAD src0_sel:DWORD
	v_mul_lo_u32 v74, v73, s21
	v_ashrrev_i32_e32 v75, 31, v74
	v_lshl_add_u64 v[74:75], v[74:75], 1, v[70:71]
	v_or_b32_e32 v73, v77, v76
	;;#ASMSTART
	global_atomic_pk_add_f16 v[74:75], v73, off
	
	;;#ASMEND
	s_set_gpr_idx_on s5, gpr_idx(SRC0)
	v_mov_b32_e32 v73, v16
	s_set_gpr_idx_off
	v_cvt_f16_f32_e32 v73, v73
	s_set_gpr_idx_on s13, gpr_idx(SRC0)
	v_mov_b32_e32 v76, v16
	s_set_gpr_idx_off
	v_cvt_f16_f32_sdwa v78, v76 dst_sel:WORD_1 dst_unused:UNUSED_PAD src0_sel:DWORD
	v_lshl_add_u64 v[76:77], v[74:75], 0, 64
	s_mov_b64 s[14:15], -1
	v_or_b32_e32 v73, v78, v73
	;;#ASMSTART
	global_atomic_pk_add_f16 v[76:77], v73, off
	
	;;#ASMEND
	s_set_gpr_idx_on s5, gpr_idx(SRC0)
	v_mov_b32_e32 v73, v32
	s_set_gpr_idx_off
	v_cvt_f16_f32_e32 v73, v73
	s_set_gpr_idx_on s13, gpr_idx(SRC0)
	v_mov_b32_e32 v76, v32
	s_set_gpr_idx_off
	v_cvt_f16_f32_sdwa v78, v76 dst_sel:WORD_1 dst_unused:UNUSED_PAD src0_sel:DWORD
	v_lshl_add_u64 v[76:77], v[74:75], 0, s[40:41]
	v_lshl_add_u64 v[74:75], v[74:75], 0, s[42:43]
	v_or_b32_e32 v73, v78, v73
	;;#ASMSTART
	global_atomic_pk_add_f16 v[76:77], v73, off
	
	;;#ASMEND
	s_set_gpr_idx_on s5, gpr_idx(SRC0)
	v_mov_b32_e32 v73, v48
	s_set_gpr_idx_off
	v_cvt_f16_f32_e32 v73, v73
	s_set_gpr_idx_on s13, gpr_idx(SRC0)
	v_mov_b32_e32 v76, v48
	s_set_gpr_idx_off
	v_cvt_f16_f32_sdwa v76, v76 dst_sel:WORD_1 dst_unused:UNUSED_PAD src0_sel:DWORD
	s_nop 0
	v_or_b32_e32 v73, v76, v73
	;;#ASMSTART
	global_atomic_pk_add_f16 v[74:75], v73, off
	
	;;#ASMEND
	v_or_b32_e32 v73, s12, v106
	v_add_u32_e32 v74, s96, v73
	v_cmp_gt_u32_e32 vcc, 32, v74
	s_and_saveexec_b64 s[12:13], vcc
	s_cbranch_execz .LBB293_30
; %bb.34:                               ;   in Loop: Header=BB293_32 Depth=2
	s_add_i32 s14, s5, 2
	s_add_i32 s15, s5, 3
	s_set_gpr_idx_on s14, gpr_idx(SRC0)
	v_mov_b32_e32 v74, v0
	s_set_gpr_idx_off
	v_cvt_f16_f32_e32 v76, v74
	s_set_gpr_idx_on s15, gpr_idx(SRC0)
	v_mov_b32_e32 v74, v0
	s_set_gpr_idx_off
	v_cvt_f16_f32_sdwa v77, v74 dst_sel:WORD_1 dst_unused:UNUSED_PAD src0_sel:DWORD
	v_mul_lo_u32 v74, v73, s21
	v_ashrrev_i32_e32 v75, 31, v74
	v_lshl_add_u64 v[74:75], v[74:75], 1, v[70:71]
	v_or_b32_e32 v73, v77, v76
	;;#ASMSTART
	global_atomic_pk_add_f16 v[74:75], v73, off
	
	;;#ASMEND
	s_set_gpr_idx_on s14, gpr_idx(SRC0)
	v_mov_b32_e32 v73, v16
	s_set_gpr_idx_off
	v_cvt_f16_f32_e32 v73, v73
	s_set_gpr_idx_on s15, gpr_idx(SRC0)
	v_mov_b32_e32 v76, v16
	s_set_gpr_idx_off
	v_cvt_f16_f32_sdwa v78, v76 dst_sel:WORD_1 dst_unused:UNUSED_PAD src0_sel:DWORD
	v_lshl_add_u64 v[76:77], v[74:75], 0, 64
	s_add_i32 s5, s5, 4
	s_add_i32 s1, s1, 8
	v_or_b32_e32 v73, v78, v73
	;;#ASMSTART
	global_atomic_pk_add_f16 v[76:77], v73, off
	
	;;#ASMEND
	s_set_gpr_idx_on s14, gpr_idx(SRC0)
	v_mov_b32_e32 v73, v32
	s_set_gpr_idx_off
	v_cvt_f16_f32_e32 v73, v73
	s_set_gpr_idx_on s15, gpr_idx(SRC0)
	v_mov_b32_e32 v76, v32
	s_set_gpr_idx_off
	v_cvt_f16_f32_sdwa v78, v76 dst_sel:WORD_1 dst_unused:UNUSED_PAD src0_sel:DWORD
	v_lshl_add_u64 v[76:77], v[74:75], 0, s[40:41]
	s_cmp_eq_u32 s5, 16
	v_lshl_add_u64 v[74:75], v[74:75], 0, s[42:43]
	v_or_b32_e32 v73, v78, v73
	;;#ASMSTART
	global_atomic_pk_add_f16 v[76:77], v73, off
	
	;;#ASMEND
	s_set_gpr_idx_on s14, gpr_idx(SRC0)
	v_mov_b32_e32 v73, v48
	s_set_gpr_idx_off
	v_cvt_f16_f32_e32 v73, v73
	s_set_gpr_idx_on s15, gpr_idx(SRC0)
	v_mov_b32_e32 v76, v48
	s_set_gpr_idx_off
	v_cvt_f16_f32_sdwa v76, v76 dst_sel:WORD_1 dst_unused:UNUSED_PAD src0_sel:DWORD
	s_cselect_b64 s[14:15], -1, 0
	s_orn2_b64 s[14:15], s[14:15], exec
	v_or_b32_e32 v73, v76, v73
	;;#ASMSTART
	global_atomic_pk_add_f16 v[74:75], v73, off
	
	;;#ASMEND
	s_branch .LBB293_30
.LBB293_35:                             ;   in Loop: Header=BB293_7 Depth=1
	s_or_b64 exec, exec, s[6:7]
	v_readlane_b32 s72, v127, 2
	v_readlane_b32 s12, v127, 0
	;; [unrolled: 1-line block ×11, first 2 shown]
.LBB293_36:                             ;   in Loop: Header=BB293_7 Depth=1
	s_or_b64 exec, exec, s[48:49]
.LBB293_37:                             ;   in Loop: Header=BB293_7 Depth=1
	s_andn2_saveexec_b64 s[2:3], s[2:3]
	s_cbranch_execz .LBB293_46
; %bb.38:                               ;   in Loop: Header=BB293_7 Depth=1
	s_lshl_b32 s5, s4, 2
	v_cmp_gt_i32_e32 vcc, s5, v108
	s_and_saveexec_b64 s[6:7], vcc
	s_cbranch_execz .LBB293_45
; %bb.39:                               ;   in Loop: Header=BB293_7 Depth=1
	s_mul_i32 s0, s0, s23
	s_ashr_i32 s1, s0, 31
	s_add_u32 s0, s74, s0
	s_addc_u32 s1, s75, s1
	s_ashr_i32 s8, s44, 31
	s_add_u32 s0, s0, s44
	s_addc_u32 s1, s1, s8
	v_lshl_add_u64 v[0:1], s[0:1], 0, v[68:69]
	v_lshl_add_u64 v[16:17], v[0:1], 0, v[66:67]
	s_mov_b64 s[0:1], 0
	s_branch .LBB293_41
.LBB293_40:                             ;   in Loop: Header=BB293_41 Depth=2
	s_or_b64 exec, exec, s[8:9]
	v_lshl_or_b32 v20, v18, 12, v102
	;;#ASMSTART
	s_waitcnt vmcnt(3)
	;;#ASMEND
	ds_write2_b32 v20, v12, v13 offset1:32
	ds_write2_b32 v20, v14, v15 offset0:64 offset1:96
	v_add_u32_e32 v12, 0x400, v20
	;;#ASMSTART
	s_waitcnt vmcnt(2)
	;;#ASMEND
	ds_write2_b32 v12, v8, v9 offset1:32
	ds_write2_b32 v12, v10, v11 offset0:64 offset1:96
	v_add_u32_e32 v8, 0x800, v20
	;; [unrolled: 6-line block ×3, first 2 shown]
	v_add_u32_e32 v108, s26, v108
	;;#ASMSTART
	s_waitcnt vmcnt(0)
	;;#ASMEND
	ds_write2_b32 v4, v0, v1 offset1:32
	ds_write2_b32 v4, v2, v3 offset0:64 offset1:96
	v_add_u32_e32 v0, 1, v87
	v_add_u32_e32 v72, s26, v18
	v_cmp_le_i32_e32 vcc, s5, v108
	ds_write_b32 v19, v0 offset:24
	v_add_u32_e32 v0, 2, v87
	s_or_b64 s[0:1], vcc, s[0:1]
	v_cmp_lt_i32_e32 vcc, 7, v72
	s_nop 1
	v_cndmask_b32_e32 v87, v87, v0, vcc
	s_andn2_b64 exec, exec, s[0:1]
	s_cbranch_execz .LBB293_44
.LBB293_41:                             ;   Parent Loop BB293_7 Depth=1
                                        ; =>  This Loop Header: Depth=2
                                        ;       Child Loop BB293_43 Depth 3
	v_cmp_gt_i32_e32 vcc, 8, v72
	s_nop 1
	v_cndmask_b32_e64 v0, -8, 0, vcc
	v_add_u32_e32 v18, v0, v72
	v_ashrrev_i32_e32 v0, 31, v108
	v_lshrrev_b32_e32 v0, 30, v0
	v_add_u32_e32 v0, v108, v0
	v_and_b32_e32 v1, -4, v0
	v_lshlrev_b32_e32 v0, 5, v0
	v_sub_u32_e32 v2, v108, v1
	v_and_b32_e32 v0, 0xffffff80, v0
	v_ashrrev_i32_e32 v1, 31, v0
	v_mul_lo_u32 v2, s24, v2
	v_lshl_add_u64 v[0:1], v[16:17], 0, v[0:1]
	v_ashrrev_i32_e32 v3, 31, v2
	v_lshl_add_u64 v[0:1], v[0:1], 0, v[2:3]
	v_lshlrev_b32_e32 v19, 2, v18
	;;#ASMSTART
	global_load_dwordx4 v[12:15], v[0:1], off offset:0   sc0 sc1 nt  
	global_load_dwordx4 v[8:11], v[0:1], off offset:32  sc0 sc1 nt  
	global_load_dwordx4 v[4:7], v[0:1], off offset:64  sc0 sc1 nt  
	;; [unrolled: 1-line block ×3, first 2 shown]
	
	;;#ASMEND
	ds_read_b32 v20, v19 offset:57368
	v_add_u32_e32 v19, 0xe000, v19
	s_waitcnt lgkmcnt(0)
	v_cmp_ne_u32_e32 vcc, v20, v87
	s_and_saveexec_b64 s[8:9], vcc
	s_cbranch_execz .LBB293_40
; %bb.42:                               ;   in Loop: Header=BB293_41 Depth=2
	s_mov_b64 s[10:11], 0
.LBB293_43:                             ;   Parent Loop BB293_7 Depth=1
                                        ;     Parent Loop BB293_41 Depth=2
                                        ; =>    This Inner Loop Header: Depth=3
	;;#ASMSTART
	s_sleep 0
	;;#ASMEND
	ds_read_b32 v20, v19 offset:24
	s_waitcnt lgkmcnt(0)
	v_cmp_eq_u32_e32 vcc, v20, v87
	s_or_b64 s[10:11], vcc, s[10:11]
	s_andn2_b64 exec, exec, s[10:11]
	s_cbranch_execnz .LBB293_43
	s_branch .LBB293_40
.LBB293_44:                             ;   in Loop: Header=BB293_7 Depth=1
	s_or_b64 exec, exec, s[0:1]
.LBB293_45:                             ;   in Loop: Header=BB293_7 Depth=1
	s_or_b64 exec, exec, s[6:7]
	v_subrev_u32_e32 v108, s5, v108
.LBB293_46:                             ;   in Loop: Header=BB293_7 Depth=1
	s_or_b64 exec, exec, s[2:3]
.LBB293_47:                             ;   in Loop: Header=BB293_7 Depth=1
	s_andn2_saveexec_b64 s[0:1], s[46:47]
	s_cbranch_execz .LBB293_6
; %bb.48:                               ;   in Loop: Header=BB293_7 Depth=1
	s_mul_i32 s10, s4, 3
	v_cmp_gt_i32_e32 vcc, s10, v108
	s_and_saveexec_b64 s[2:3], vcc
	s_cbranch_execz .LBB293_5
; %bb.49:                               ;   in Loop: Header=BB293_7 Depth=1
	s_mul_i32 s99, s99, s22
	s_ashr_i32 s4, s99, 31
	s_add_u32 s5, s72, s99
	s_addc_u32 s6, s73, s4
	s_ashr_i32 s7, s44, 31
	s_add_u32 s4, s5, s44
	s_addc_u32 s5, s6, s7
	v_add_u32_e32 v2, s96, v88
	s_movk_i32 s6, 0x60
	v_cmp_gt_u32_e32 vcc, s6, v2
	v_sub_u32_e32 v18, 0x5f, v2
	s_nop 0
	v_cndmask_b32_e32 v0, 0, v103, vcc
	v_ashrrev_i32_e32 v1, 31, v0
	v_lshl_add_u64 v[0:1], s[4:5], 0, v[0:1]
	v_lshl_add_u64 v[16:17], v[0:1], 0, v[66:67]
	s_mov_b64 s[4:5], 0
	s_branch .LBB293_51
.LBB293_50:                             ;   in Loop: Header=BB293_51 Depth=2
	s_or_b64 exec, exec, s[6:7]
	v_lshl_add_u32 v21, v19, 12, v104
	;;#ASMSTART
	s_waitcnt vmcnt(3)
	;;#ASMEND
	ds_write2_b32 v21, v12, v13 offset1:32
	ds_write2_b32 v21, v14, v15 offset0:64 offset1:96
	v_add_u32_e32 v12, 0x400, v21
	;;#ASMSTART
	s_waitcnt vmcnt(2)
	;;#ASMEND
	ds_write2_b32 v12, v8, v9 offset1:32
	ds_write2_b32 v12, v10, v11 offset0:64 offset1:96
	v_add_u32_e32 v8, 0x800, v21
	;; [unrolled: 6-line block ×3, first 2 shown]
	v_add_u32_e32 v108, s25, v108
	;;#ASMSTART
	s_waitcnt vmcnt(0)
	;;#ASMEND
	ds_write2_b32 v4, v0, v1 offset1:32
	ds_write2_b32 v4, v2, v3 offset0:64 offset1:96
	v_add_u32_e32 v0, 1, v87
	v_add_u32_e32 v72, s25, v19
	v_cmp_le_i32_e32 vcc, s10, v108
	ds_write_b32 v20, v0
	v_add_u32_e32 v0, 2, v87
	s_or_b64 s[4:5], vcc, s[4:5]
	v_cmp_lt_i32_e32 vcc, 5, v72
	s_nop 1
	v_cndmask_b32_e32 v87, v87, v0, vcc
	s_andn2_b64 exec, exec, s[4:5]
	s_cbranch_execz .LBB293_4
.LBB293_51:                             ;   Parent Loop BB293_7 Depth=1
                                        ; =>  This Loop Header: Depth=2
                                        ;       Child Loop BB293_53 Depth 3
	v_cmp_gt_i32_e32 vcc, 6, v72
	s_mov_b32 s6, 0x55555556
	s_nop 0
	v_cndmask_b32_e64 v0, -6, 0, vcc
	v_add_u32_e32 v19, v0, v72
	v_mul_hi_i32 v0, v108, s6
	v_lshrrev_b32_e32 v1, 31, v0
	v_add_u32_e32 v0, v0, v1
	v_lshl_add_u32 v1, v0, 1, v0
	v_sub_u32_e32 v1, v108, v1
	v_lshlrev_b32_e32 v1, 5, v1
	v_cmp_le_i32_e32 vcc, v1, v18
	v_lshlrev_b32_e32 v0, 7, v0
	v_lshlrev_b32_e32 v20, 2, v19
	v_cndmask_b32_e32 v2, 0, v1, vcc
	v_ashrrev_i32_e32 v1, 31, v0
	v_mul_lo_u32 v2, v2, s22
	v_lshl_add_u64 v[0:1], v[16:17], 0, v[0:1]
	v_ashrrev_i32_e32 v3, 31, v2
	v_lshl_add_u64 v[0:1], v[0:1], 0, v[2:3]
	;;#ASMSTART
	global_load_dwordx4 v[12:15], v[0:1], off offset:0   
	global_load_dwordx4 v[8:11], v[0:1], off offset:32  
	;; [unrolled: 1-line block ×4, first 2 shown]
	
	;;#ASMEND
	ds_read_b32 v21, v20 offset:57344
	v_add_u32_e32 v20, 0xe000, v20
	s_waitcnt lgkmcnt(0)
	v_cmp_ne_u32_e32 vcc, v21, v87
	s_and_saveexec_b64 s[6:7], vcc
	s_cbranch_execz .LBB293_50
; %bb.52:                               ;   in Loop: Header=BB293_51 Depth=2
	s_mov_b64 s[8:9], 0
.LBB293_53:                             ;   Parent Loop BB293_7 Depth=1
                                        ;     Parent Loop BB293_51 Depth=2
                                        ; =>    This Inner Loop Header: Depth=3
	;;#ASMSTART
	s_sleep 0
	;;#ASMEND
	ds_read_b32 v21, v20
	s_waitcnt lgkmcnt(0)
	v_cmp_eq_u32_e32 vcc, v21, v87
	s_or_b64 s[8:9], vcc, s[8:9]
	s_andn2_b64 exec, exec, s[8:9]
	s_cbranch_execnz .LBB293_53
	s_branch .LBB293_50
.LBB293_54:
	s_endpgm
	.section	.rodata,"a",@progbits
	.p2align	6, 0x0
	.amdhsa_kernel _Z19_skinny_gemm_kernelILi3ELi4ELi2ELi32ELi8EEvPKhS1_P6__halfPKfiiiiiiii
		.amdhsa_group_segment_fixed_size 57400
		.amdhsa_private_segment_fixed_size 0
		.amdhsa_kernarg_size 64
		.amdhsa_user_sgpr_count 2
		.amdhsa_user_sgpr_dispatch_ptr 0
		.amdhsa_user_sgpr_queue_ptr 0
		.amdhsa_user_sgpr_kernarg_segment_ptr 1
		.amdhsa_user_sgpr_dispatch_id 0
		.amdhsa_user_sgpr_kernarg_preload_length 0
		.amdhsa_user_sgpr_kernarg_preload_offset 0
		.amdhsa_user_sgpr_private_segment_size 0
		.amdhsa_uses_dynamic_stack 0
		.amdhsa_enable_private_segment 0
		.amdhsa_system_sgpr_workgroup_id_x 1
		.amdhsa_system_sgpr_workgroup_id_y 0
		.amdhsa_system_sgpr_workgroup_id_z 0
		.amdhsa_system_sgpr_workgroup_info 0
		.amdhsa_system_vgpr_workitem_id 0
		.amdhsa_next_free_vgpr 128
		.amdhsa_next_free_sgpr 100
		.amdhsa_accum_offset 128
		.amdhsa_reserve_vcc 1
		.amdhsa_float_round_mode_32 0
		.amdhsa_float_round_mode_16_64 0
		.amdhsa_float_denorm_mode_32 3
		.amdhsa_float_denorm_mode_16_64 3
		.amdhsa_dx10_clamp 1
		.amdhsa_ieee_mode 1
		.amdhsa_fp16_overflow 0
		.amdhsa_tg_split 0
		.amdhsa_exception_fp_ieee_invalid_op 0
		.amdhsa_exception_fp_denorm_src 0
		.amdhsa_exception_fp_ieee_div_zero 0
		.amdhsa_exception_fp_ieee_overflow 0
		.amdhsa_exception_fp_ieee_underflow 0
		.amdhsa_exception_fp_ieee_inexact 0
		.amdhsa_exception_int_div_zero 0
	.end_amdhsa_kernel
	.section	.text._Z19_skinny_gemm_kernelILi3ELi4ELi2ELi32ELi8EEvPKhS1_P6__halfPKfiiiiiiii,"axG",@progbits,_Z19_skinny_gemm_kernelILi3ELi4ELi2ELi32ELi8EEvPKhS1_P6__halfPKfiiiiiiii,comdat
.Lfunc_end293:
	.size	_Z19_skinny_gemm_kernelILi3ELi4ELi2ELi32ELi8EEvPKhS1_P6__halfPKfiiiiiiii, .Lfunc_end293-_Z19_skinny_gemm_kernelILi3ELi4ELi2ELi32ELi8EEvPKhS1_P6__halfPKfiiiiiiii
                                        ; -- End function
	.set _Z19_skinny_gemm_kernelILi3ELi4ELi2ELi32ELi8EEvPKhS1_P6__halfPKfiiiiiiii.num_vgpr, 128
	.set _Z19_skinny_gemm_kernelILi3ELi4ELi2ELi32ELi8EEvPKhS1_P6__halfPKfiiiiiiii.num_agpr, 0
	.set _Z19_skinny_gemm_kernelILi3ELi4ELi2ELi32ELi8EEvPKhS1_P6__halfPKfiiiiiiii.numbered_sgpr, 100
	.set _Z19_skinny_gemm_kernelILi3ELi4ELi2ELi32ELi8EEvPKhS1_P6__halfPKfiiiiiiii.num_named_barrier, 0
	.set _Z19_skinny_gemm_kernelILi3ELi4ELi2ELi32ELi8EEvPKhS1_P6__halfPKfiiiiiiii.private_seg_size, 0
	.set _Z19_skinny_gemm_kernelILi3ELi4ELi2ELi32ELi8EEvPKhS1_P6__halfPKfiiiiiiii.uses_vcc, 1
	.set _Z19_skinny_gemm_kernelILi3ELi4ELi2ELi32ELi8EEvPKhS1_P6__halfPKfiiiiiiii.uses_flat_scratch, 0
	.set _Z19_skinny_gemm_kernelILi3ELi4ELi2ELi32ELi8EEvPKhS1_P6__halfPKfiiiiiiii.has_dyn_sized_stack, 0
	.set _Z19_skinny_gemm_kernelILi3ELi4ELi2ELi32ELi8EEvPKhS1_P6__halfPKfiiiiiiii.has_recursion, 0
	.set _Z19_skinny_gemm_kernelILi3ELi4ELi2ELi32ELi8EEvPKhS1_P6__halfPKfiiiiiiii.has_indirect_call, 0
	.section	.AMDGPU.csdata,"",@progbits
; Kernel info:
; codeLenInByte = 14832
; TotalNumSgprs: 106
; NumVgprs: 128
; NumAgprs: 0
; TotalNumVgprs: 128
; ScratchSize: 0
; MemoryBound: 0
; FloatMode: 240
; IeeeMode: 1
; LDSByteSize: 57400 bytes/workgroup (compile time only)
; SGPRBlocks: 13
; VGPRBlocks: 15
; NumSGPRsForWavesPerEU: 106
; NumVGPRsForWavesPerEU: 128
; AccumOffset: 128
; Occupancy: 4
; WaveLimiterHint : 0
; COMPUTE_PGM_RSRC2:SCRATCH_EN: 0
; COMPUTE_PGM_RSRC2:USER_SGPR: 2
; COMPUTE_PGM_RSRC2:TRAP_HANDLER: 0
; COMPUTE_PGM_RSRC2:TGID_X_EN: 1
; COMPUTE_PGM_RSRC2:TGID_Y_EN: 0
; COMPUTE_PGM_RSRC2:TGID_Z_EN: 0
; COMPUTE_PGM_RSRC2:TIDIG_COMP_CNT: 0
; COMPUTE_PGM_RSRC3_GFX90A:ACCUM_OFFSET: 31
; COMPUTE_PGM_RSRC3_GFX90A:TG_SPLIT: 0
	.section	.text._Z19_skinny_gemm_kernelILi3ELi4ELi3ELi16ELi4EEvPKhS1_P6__halfPKfiiiiiiii,"axG",@progbits,_Z19_skinny_gemm_kernelILi3ELi4ELi3ELi16ELi4EEvPKhS1_P6__halfPKfiiiiiiii,comdat
	.protected	_Z19_skinny_gemm_kernelILi3ELi4ELi3ELi16ELi4EEvPKhS1_P6__halfPKfiiiiiiii ; -- Begin function _Z19_skinny_gemm_kernelILi3ELi4ELi3ELi16ELi4EEvPKhS1_P6__halfPKfiiiiiiii
	.globl	_Z19_skinny_gemm_kernelILi3ELi4ELi3ELi16ELi4EEvPKhS1_P6__halfPKfiiiiiiii
	.p2align	8
	.type	_Z19_skinny_gemm_kernelILi3ELi4ELi3ELi16ELi4EEvPKhS1_P6__halfPKfiiiiiiii,@function
_Z19_skinny_gemm_kernelILi3ELi4ELi3ELi16ELi4EEvPKhS1_P6__halfPKfiiiiiiii: ; @_Z19_skinny_gemm_kernelILi3ELi4ELi3ELi16ELi4EEvPKhS1_P6__halfPKfiiiiiiii
; %bb.0:
	v_cmp_gt_u32_e32 vcc, 21, v0
	v_lshlrev_b32_e32 v1, 2, v0
	s_and_saveexec_b64 s[4:5], vcc
; %bb.1:
	v_mov_b32_e32 v2, 0
	ds_write_b32 v1, v2 offset:43008
; %bb.2:
	s_or_b64 exec, exec, s[4:5]
	s_load_dwordx8 s[20:27], s[0:1], 0x20
	s_waitcnt lgkmcnt(0)
	s_barrier
	s_add_i32 s3, s20, 47
	s_add_i32 s4, s21, 63
	s_mul_hi_i32 s3, s3, 0x2aaaaaab
	s_lshr_b32 s5, s3, 31
	s_ashr_i32 s33, s3, 3
	s_ashr_i32 s3, s4, 31
	s_lshr_b32 s3, s3, 26
	s_add_i32 s4, s4, s3
	s_add_i32 s33, s33, s5
	s_ashr_i32 s52, s4, 6
	s_mul_i32 s3, s52, s33
	s_mul_i32 s3, s3, s24
	s_add_i32 s4, s3, 0x12f
	s_mul_hi_i32 s4, s4, 0x6bca1af3
	s_lshr_b32 s5, s4, 31
	s_ashr_i32 s4, s4, 7
	s_add_i32 s4, s4, s5
	s_add_i32 s5, s2, 1
	s_mul_i32 s5, s4, s5
	v_cvt_f64_i32_e32 v[2:3], s3
	v_cvt_f64_u32_e32 v[4:5], s5
	v_min_f64 v[2:3], v[2:3], v[4:5]
	v_cvt_i32_f64_e32 v49, v[2:3]
	s_mul_i32 s53, s4, s2
	v_cmp_ge_i32_e32 vcc, s53, v49
	s_cbranch_vccnz .LBB294_61
; %bb.3:
	v_lshrrev_b32_e32 v2, 6, v0
	s_add_i32 s4, s26, s25
	s_load_dwordx8 s[36:43], s[0:1], 0x0
	v_cmp_le_i32_e64 s[0:1], s4, v2
	v_mov_b32_e32 v3, s25
	v_cmp_le_i32_e64 s[2:3], s25, v2
	v_mov_b32_e32 v4, s26
	v_cndmask_b32_e64 v4, 0, v4, s[0:1]
	v_cndmask_b32_e64 v3, 0, v3, s[2:3]
	s_abs_i32 s5, s24
	v_add_u32_e32 v3, v3, v4
	v_cvt_f32_u32_e32 v4, s5
	v_sub_u32_e32 v62, v2, v3
	s_ashr_i32 s6, s22, 31
	s_lshr_b32 s6, s6, 25
	v_rcp_iflag_f32_e32 v3, v4
	s_sub_i32 s9, 0, s5
	s_add_i32 s6, s22, s6
	s_ashr_i32 s6, s6, 7
	v_mul_f32_e32 v3, 0x4f7ffffe, v3
	v_cvt_u32_f32_e32 v3, v3
	s_abs_i32 s8, s6
	s_xor_b32 s7, s6, s24
	s_ashr_i32 s7, s7, 31
	v_readfirstlane_b32 s10, v3
	s_mul_i32 s9, s9, s10
	s_mul_hi_u32 s9, s10, s9
	s_add_i32 s10, s10, s9
	s_mul_hi_u32 s9, s8, s10
	s_mul_i32 s10, s9, s5
	s_sub_i32 s8, s8, s10
	s_add_i32 s10, s9, 1
	s_sub_i32 s11, s8, s5
	s_cmp_ge_u32 s8, s5
	s_cselect_b32 s9, s10, s9
	s_cselect_b32 s8, s11, s8
	s_add_i32 s10, s9, 1
	s_cmp_ge_u32 s8, s5
	s_cselect_b32 s5, s10, s9
	s_xor_b32 s5, s5, s7
	s_sub_i32 s54, s5, s7
	s_add_i32 s24, s24, -1
	s_mul_i32 s5, s54, s24
	s_add_i32 s4, s4, s27
	s_sub_i32 s55, s6, s5
	v_cmp_gt_i32_e64 s[4:5], s4, v2
	v_lshlrev_b32_e32 v2, 1, v0
	v_lshlrev_b32_e32 v3, 4, v0
	v_and_b32_e32 v1, 60, v1
	v_and_b32_e32 v2, 64, v2
	;; [unrolled: 1-line block ×3, first 2 shown]
	v_or3_b32 v91, v1, v2, v4
	v_and_b32_e32 v1, 1, v0
	v_lshrrev_b32_e32 v4, 2, v0
	s_abs_i32 s56, s33
	v_and_or_b32 v98, v4, 12, v1
	v_cvt_f32_u32_e32 v4, s56
	v_lshlrev_b32_e32 v2, 1, v1
	v_and_b32_e32 v48, 14, v0
	v_sub_u32_e32 v2, v0, v2
	v_bitop3_b32 v93, v0, 1, v0 bitop3:0xc
	v_bitop3_b32 v94, v0, 3, 1 bitop3:0x6c
	v_and_b32_e32 v56, 48, v3
	v_bfe_u32 v101, v0, 2, 4
	v_and_b32_e32 v1, 60, v0
	v_lshlrev_b32_e32 v3, 8, v0
	v_lshlrev_b32_e32 v0, 6, v0
	v_and_b32_e32 v3, 0x200, v3
	v_and_b32_e32 v0, 64, v0
	v_or3_b32 v102, v1, v3, v0
	v_rcp_iflag_f32_e32 v0, v4
	s_abs_i32 s58, s52
	v_cvt_f32_u32_e32 v1, s58
	v_mad_u64_u32 v[50:51], s[6:7], s21, v98, v[48:49]
	v_mul_f32_e32 v0, 0x4f7ffffe, v0
	v_cvt_u32_f32_e32 v0, v0
	v_rcp_iflag_f32_e32 v1, v1
	s_lshl_b32 s6, s21, 4
	v_add_u32_e32 v52, s6, v50
	v_readfirstlane_b32 s7, v0
	v_mul_f32_e32 v0, 0x4f7ffffe, v1
	v_cvt_u32_f32_e32 v0, v0
	v_add_u32_e32 v54, s6, v52
	s_sub_i32 s6, 0, s56
	s_mul_i32 s6, s6, s7
	s_mul_hi_u32 s6, s7, s6
	v_add_u32_e32 v2, 1, v2
	s_add_i32 s60, s7, s6
	s_sub_i32 s6, 0, s58
	v_readfirstlane_b32 s7, v0
	v_mbcnt_lo_u32_b32 v0, -1, 0
	v_and_b32_e32 v2, 63, v2
	s_mul_i32 s6, s6, s7
	v_mbcnt_hi_u32_b32 v0, -1, v0
	v_mul_lo_u32 v58, s23, v101
	s_mul_hi_u32 s6, s7, s6
	v_and_or_b32 v0, v0, 64, v2
	v_cndmask_b32_e64 v90, 0, 1, s[0:1]
	v_or_b32_e32 v92, 0x6000, v91
	s_ashr_i32 s29, s21, 31
	s_mov_b32 s28, s21
	v_or_b32_e32 v95, 16, v48
	v_or_b32_e32 v96, 32, v48
	;; [unrolled: 1-line block ×3, first 2 shown]
	v_ashrrev_i32_e32 v51, 31, v50
	v_or_b32_e32 v99, 16, v98
	v_ashrrev_i32_e32 v53, 31, v52
	v_or_b32_e32 v100, 32, v98
	v_ashrrev_i32_e32 v55, 31, v54
	v_ashrrev_i32_e32 v59, 31, v58
	v_mov_b32_e32 v57, 0
	s_lshl_b32 s57, s23, 4
	v_mul_lo_u32 v103, s22, v101
	v_or_b32_e32 v104, 0x6000, v102
	s_ashr_i32 s59, s33, 31
	s_ashr_i32 s61, s52, 31
	s_add_i32 s62, s7, s6
	s_movk_i32 s63, 0x1800
	s_mov_b64 s[30:31], 0x60
	s_mov_b32 s64, 0x55555556
	v_lshlrev_b32_e32 v105, 2, v0
	v_mov_b32_e32 v106, v62
	s_branch .LBB294_7
.LBB294_4:                              ;   in Loop: Header=BB294_7 Depth=1
	s_or_b64 exec, exec, s[10:11]
.LBB294_5:                              ;   in Loop: Header=BB294_7 Depth=1
	s_or_b64 exec, exec, s[8:9]
	v_subrev_u32_e32 v106, s68, v106
.LBB294_6:                              ;   in Loop: Header=BB294_7 Depth=1
	s_or_b64 exec, exec, s[6:7]
	s_add_i32 s53, s53, 1
	v_cmp_ge_i32_e32 vcc, s53, v49
	s_cbranch_vccnz .LBB294_61
.LBB294_7:                              ; =>This Loop Header: Depth=1
                                        ;     Child Loop BB294_13 Depth 2
                                        ;       Child Loop BB294_15 Depth 3
                                        ;       Child Loop BB294_18 Depth 3
	;; [unrolled: 1-line block ×7, first 2 shown]
                                        ;     Child Loop BB294_48 Depth 2
                                        ;       Child Loop BB294_50 Depth 3
                                        ;     Child Loop BB294_58 Depth 2
                                        ;       Child Loop BB294_60 Depth 3
	s_abs_i32 s7, s53
	s_mul_hi_u32 s8, s7, s60
	s_mul_i32 s9, s8, s56
	s_ashr_i32 s6, s53, 31
	s_sub_i32 s7, s7, s9
	s_xor_b32 s6, s6, s59
	s_add_i32 s9, s8, 1
	s_sub_i32 s10, s7, s56
	s_cmp_ge_u32 s7, s56
	s_cselect_b32 s8, s9, s8
	s_cselect_b32 s7, s10, s7
	s_add_i32 s9, s8, 1
	s_cmp_ge_u32 s7, s56
	s_cselect_b32 s7, s9, s8
	s_xor_b32 s7, s7, s6
	s_sub_i32 s6, s7, s6
	s_abs_i32 s8, s6
	s_mul_hi_u32 s9, s8, s62
	s_mul_i32 s7, s6, s33
	s_mul_i32 s10, s9, s58
	s_sub_i32 s65, s53, s7
	s_ashr_i32 s7, s6, 31
	s_sub_i32 s8, s8, s10
	s_xor_b32 s7, s7, s61
	s_add_i32 s10, s9, 1
	s_sub_i32 s11, s8, s58
	s_cmp_ge_u32 s8, s58
	s_cselect_b32 s9, s10, s9
	s_cselect_b32 s8, s11, s8
	s_add_i32 s10, s9, 1
	s_cmp_ge_u32 s8, s58
	s_cselect_b32 s8, s10, s9
	s_xor_b32 s8, s8, s7
	s_sub_i32 s7, s8, s7
	s_mul_i32 s8, s7, s54
	s_lshl_b32 s66, s8, 7
	s_mul_i32 s65, s65, 48
	s_cmp_eq_u32 s7, s24
	s_cselect_b32 s68, s55, s54
	s_sub_i32 s8, s65, s20
	s_add_i32 s8, s8, 48
	s_max_i32 s67, s8, 0
	s_and_saveexec_b64 s[8:9], s[2:3]
	s_xor_b64 s[34:35], exec, s[8:9]
	s_cbranch_execz .LBB294_54
; %bb.8:                                ;   in Loop: Header=BB294_7 Depth=1
	s_mul_i32 s7, s7, s52
	s_sub_i32 s6, s6, s7
	s_lshl_b32 s6, s6, 6
	s_sub_i32 s45, s6, s21
	s_add_i32 s45, s45, 64
	s_max_i32 s7, s45, 0
	s_sub_i32 s44, s6, s7
	s_and_saveexec_b64 s[6:7], s[0:1]
	s_xor_b64 s[46:47], exec, s[6:7]
	s_cbranch_execz .LBB294_44
; %bb.9:                                ;   in Loop: Header=BB294_7 Depth=1
	s_and_saveexec_b64 s[48:49], s[4:5]
	s_cbranch_execz .LBB294_43
; %bb.10:                               ;   in Loop: Header=BB294_7 Depth=1
	s_waitcnt lgkmcnt(0)
	global_load_dword v107, v57, s[42:43]
	v_mov_b32_e32 v47, 0
	v_cmp_gt_i32_e32 vcc, s68, v106
	v_mov_b32_e32 v46, v47
	v_mov_b32_e32 v45, v47
	;; [unrolled: 1-line block ×47, first 2 shown]
	s_and_saveexec_b64 s[6:7], vcc
	s_cbranch_execz .LBB294_35
; %bb.11:                               ;   in Loop: Header=BB294_7 Depth=1
	v_mov_b32_e32 v4, 0
	s_mov_b64 s[8:9], 0
	v_mov_b32_e32 v5, v4
	v_mov_b32_e32 v6, v4
	;; [unrolled: 1-line block ×47, first 2 shown]
	s_branch .LBB294_13
.LBB294_12:                             ;   in Loop: Header=BB294_13 Depth=2
	s_or_b64 exec, exec, s[10:11]
	v_add_u32_e32 v85, 0x1800, v84
	ds_read2_b32 v[86:87], v85 offset1:32
	v_add_u32_e32 v88, 0x1c00, v84
	v_add_u32_e32 v106, s27, v106
	s_waitcnt lgkmcnt(0)
	v_mfma_f32_16x16x32_fp8_fp8 v[32:35], v[60:61], v[86:87], v[32:35]
	ds_read2_b32 v[60:61], v85 offset0:128 offset1:160
	ds_read2_b32 v[84:85], v88 offset1:32
	v_mfma_f32_16x16x32_fp8_fp8 v[16:19], v[68:69], v[86:87], v[16:19]
	v_mfma_f32_16x16x32_fp8_fp8 v[4:7], v[78:79], v[86:87], v[4:7]
	s_waitcnt lgkmcnt(1)
	v_mfma_f32_16x16x32_fp8_fp8 v[32:35], v[62:63], v[60:61], v[32:35]
	v_add_u32_e32 v62, s27, v108
	v_cmp_lt_i32_e32 vcc, 2, v62
	v_mfma_f32_16x16x32_fp8_fp8 v[16:19], v[72:73], v[60:61], v[16:19]
	v_mfma_f32_16x16x32_fp8_fp8 v[4:7], v[80:81], v[60:61], v[4:7]
	v_add_u32_e32 v60, 2, v90
	v_cndmask_b32_e32 v90, v90, v60, vcc
	v_cmp_le_i32_e32 vcc, s68, v106
	s_waitcnt lgkmcnt(0)
	v_mfma_f32_16x16x32_fp8_fp8 v[32:35], v[64:65], v[84:85], v[32:35]
	ds_read2_b32 v[64:65], v88 offset0:128 offset1:160
	s_or_b64 s[8:9], vcc, s[8:9]
	;;#ASMSTART
	s_waitcnt lgkmcnt(0)
	;;#ASMEND
	v_mfma_f32_16x16x32_fp8_fp8 v[16:19], v[74:75], v[84:85], v[16:19]
	ds_write_b32 v109, v110 offset:43056
	v_mfma_f32_16x16x32_fp8_fp8 v[4:7], v[82:83], v[84:85], v[4:7]
	s_waitcnt lgkmcnt(1)
	v_mfma_f32_16x16x32_fp8_fp8 v[32:35], v[66:67], v[64:65], v[32:35]
	v_mfma_f32_16x16x32_fp8_fp8 v[16:19], v[76:77], v[64:65], v[16:19]
	;; [unrolled: 1-line block ×3, first 2 shown]
	s_andn2_b64 exec, exec, s[8:9]
	s_cbranch_execz .LBB294_34
.LBB294_13:                             ;   Parent Loop BB294_7 Depth=1
                                        ; =>  This Loop Header: Depth=2
                                        ;       Child Loop BB294_15 Depth 3
                                        ;       Child Loop BB294_18 Depth 3
	;; [unrolled: 1-line block ×7, first 2 shown]
	v_cmp_gt_i32_e32 vcc, 3, v62
	s_nop 1
	v_cndmask_b32_e64 v60, -3, 0, vcc
	v_add_u32_e32 v108, v60, v62
	v_lshlrev_b32_e32 v109, 4, v108
	ds_read_b32 v60, v109 offset:43044
	s_waitcnt lgkmcnt(0)
	v_cmp_ne_u32_e32 vcc, v60, v90
	s_and_saveexec_b64 s[10:11], vcc
	s_cbranch_execz .LBB294_16
; %bb.14:                               ;   in Loop: Header=BB294_13 Depth=2
	s_mov_b64 s[12:13], 0
.LBB294_15:                             ;   Parent Loop BB294_7 Depth=1
                                        ;     Parent Loop BB294_13 Depth=2
                                        ; =>    This Inner Loop Header: Depth=3
	;;#ASMSTART
	s_sleep 0
	;;#ASMEND
	ds_read_b32 v60, v109 offset:43044
	s_waitcnt lgkmcnt(0)
	v_cmp_eq_u32_e32 vcc, v60, v90
	s_or_b64 s[12:13], vcc, s[12:13]
	s_andn2_b64 exec, exec, s[12:13]
	s_cbranch_execnz .LBB294_15
.LBB294_16:                             ;   in Loop: Header=BB294_13 Depth=2
	s_or_b64 exec, exec, s[10:11]
	v_lshlrev_b32_e32 v111, 13, v108
	v_or_b32_e32 v60, v91, v111
	ds_read2_b32 v[70:71], v60 offset1:32
	ds_read2_b32 v[84:85], v60 offset0:128 offset1:160
	v_add_u32_e32 v60, 0x400, v60
	v_add_u32_e32 v110, 1, v90
	ds_read2_b32 v[88:89], v60 offset1:32
	ds_read2_b32 v[86:87], v60 offset0:128 offset1:160
	;;#ASMSTART
	s_waitcnt lgkmcnt(0)
	;;#ASMEND
	ds_write_b32 v109, v110 offset:43044
	v_mul_lo_u32 v112, v108, 12
	ds_read_b32 v60, v112 offset:43008
	s_waitcnt lgkmcnt(0)
	v_cmp_ne_u32_e32 vcc, v60, v90
	s_and_saveexec_b64 s[10:11], vcc
	s_cbranch_execz .LBB294_19
; %bb.17:                               ;   in Loop: Header=BB294_13 Depth=2
	s_mov_b64 s[12:13], 0
.LBB294_18:                             ;   Parent Loop BB294_7 Depth=1
                                        ;     Parent Loop BB294_13 Depth=2
                                        ; =>    This Inner Loop Header: Depth=3
	;;#ASMSTART
	s_sleep 0
	;;#ASMEND
	ds_read_b32 v60, v112 offset:43008
	s_waitcnt lgkmcnt(0)
	v_cmp_eq_u32_e32 vcc, v60, v90
	s_or_b64 s[12:13], vcc, s[12:13]
	s_andn2_b64 exec, exec, s[12:13]
	s_cbranch_execnz .LBB294_18
.LBB294_19:                             ;   in Loop: Header=BB294_13 Depth=2
	s_or_b64 exec, exec, s[10:11]
	v_mul_lo_u32 v60, v108, s63
	v_add_u32_e32 v82, v92, v60
	ds_read2_b32 v[60:61], v82 offset1:32
	ds_read2_b32 v[62:63], v82 offset0:128 offset1:160
	v_add_u32_e32 v66, 0x400, v82
	ds_read2_b32 v[64:65], v66 offset1:32
	ds_read2_b32 v[66:67], v66 offset0:128 offset1:160
	ds_read_b32 v68, v112 offset:43012
	ds_write_b32 v112, v110 offset:43008
	s_waitcnt lgkmcnt(5)
	v_mfma_f32_16x16x32_fp8_fp8 v[44:47], v[60:61], v[70:71], v[44:47]
	s_waitcnt lgkmcnt(1)
	v_cmp_ne_u32_e32 vcc, v68, v90
	v_mfma_f32_16x16x32_fp8_fp8 v[44:47], v[62:63], v[84:85], v[44:47]
	v_mfma_f32_16x16x32_fp8_fp8 v[44:47], v[64:65], v[88:89], v[44:47]
	;; [unrolled: 1-line block ×3, first 2 shown]
	s_and_saveexec_b64 s[10:11], vcc
	s_cbranch_execz .LBB294_22
; %bb.20:                               ;   in Loop: Header=BB294_13 Depth=2
	s_mov_b64 s[12:13], 0
.LBB294_21:                             ;   Parent Loop BB294_7 Depth=1
                                        ;     Parent Loop BB294_13 Depth=2
                                        ; =>    This Inner Loop Header: Depth=3
	;;#ASMSTART
	s_sleep 0
	;;#ASMEND
	ds_read_b32 v68, v112 offset:43012
	s_waitcnt lgkmcnt(0)
	v_cmp_eq_u32_e32 vcc, v68, v90
	s_or_b64 s[12:13], vcc, s[12:13]
	s_andn2_b64 exec, exec, s[12:13]
	s_cbranch_execnz .LBB294_21
.LBB294_22:                             ;   in Loop: Header=BB294_13 Depth=2
	s_or_b64 exec, exec, s[10:11]
	v_add_u32_e32 v72, 0x800, v82
	ds_read2_b32 v[68:69], v72 offset1:32
	ds_read2_b32 v[72:73], v72 offset0:128 offset1:160
	v_add_u32_e32 v76, 0xc00, v82
	ds_read2_b32 v[74:75], v76 offset1:32
	ds_read2_b32 v[76:77], v76 offset0:128 offset1:160
	ds_read_b32 v78, v112 offset:43016
	ds_write_b32 v112, v110 offset:43012
	s_waitcnt lgkmcnt(5)
	v_mfma_f32_16x16x32_fp8_fp8 v[28:31], v[68:69], v[70:71], v[28:31]
	s_waitcnt lgkmcnt(1)
	v_cmp_ne_u32_e32 vcc, v78, v90
	v_mfma_f32_16x16x32_fp8_fp8 v[28:31], v[72:73], v[84:85], v[28:31]
	v_mfma_f32_16x16x32_fp8_fp8 v[28:31], v[74:75], v[88:89], v[28:31]
	;; [unrolled: 1-line block ×3, first 2 shown]
	s_and_saveexec_b64 s[10:11], vcc
	s_cbranch_execz .LBB294_25
; %bb.23:                               ;   in Loop: Header=BB294_13 Depth=2
	s_mov_b64 s[12:13], 0
.LBB294_24:                             ;   Parent Loop BB294_7 Depth=1
                                        ;     Parent Loop BB294_13 Depth=2
                                        ; =>    This Inner Loop Header: Depth=3
	;;#ASMSTART
	s_sleep 0
	;;#ASMEND
	ds_read_b32 v78, v112 offset:43016
	s_waitcnt lgkmcnt(0)
	v_cmp_eq_u32_e32 vcc, v78, v90
	s_or_b64 s[12:13], vcc, s[12:13]
	s_andn2_b64 exec, exec, s[12:13]
	s_cbranch_execnz .LBB294_24
.LBB294_25:                             ;   in Loop: Header=BB294_13 Depth=2
	s_or_b64 exec, exec, s[10:11]
	v_add_u32_e32 v80, 0x1000, v82
	ds_read2_b32 v[78:79], v80 offset1:32
	ds_read2_b32 v[80:81], v80 offset0:128 offset1:160
	v_add_u32_e32 v113, 0x1400, v82
	ds_read2_b32 v[82:83], v113 offset1:32
	ds_write_b32 v112, v110 offset:43016
	s_waitcnt lgkmcnt(3)
	v_mfma_f32_16x16x32_fp8_fp8 v[12:15], v[78:79], v[70:71], v[12:15]
	ds_read2_b32 v[70:71], v113 offset0:128 offset1:160
	s_waitcnt lgkmcnt(3)
	v_mfma_f32_16x16x32_fp8_fp8 v[12:15], v[80:81], v[84:85], v[12:15]
	ds_read_b32 v84, v109 offset:43048
	s_waitcnt lgkmcnt(0)
	v_cmp_ne_u32_e32 vcc, v84, v90
	v_mfma_f32_16x16x32_fp8_fp8 v[12:15], v[82:83], v[88:89], v[12:15]
	v_mfma_f32_16x16x32_fp8_fp8 v[12:15], v[70:71], v[86:87], v[12:15]
	s_and_saveexec_b64 s[10:11], vcc
	s_cbranch_execz .LBB294_28
; %bb.26:                               ;   in Loop: Header=BB294_13 Depth=2
	s_mov_b64 s[12:13], 0
.LBB294_27:                             ;   Parent Loop BB294_7 Depth=1
                                        ;     Parent Loop BB294_13 Depth=2
                                        ; =>    This Inner Loop Header: Depth=3
	;;#ASMSTART
	s_sleep 0
	;;#ASMEND
	ds_read_b32 v84, v109 offset:43048
	s_waitcnt lgkmcnt(0)
	v_cmp_eq_u32_e32 vcc, v84, v90
	s_or_b64 s[12:13], vcc, s[12:13]
	s_andn2_b64 exec, exec, s[12:13]
	s_cbranch_execnz .LBB294_27
.LBB294_28:                             ;   in Loop: Header=BB294_13 Depth=2
	s_or_b64 exec, exec, s[10:11]
	v_add_u32_e32 v84, v91, v111
	v_add_u32_e32 v85, 0x800, v84
	ds_read2_b32 v[86:87], v85 offset1:32
	ds_read2_b32 v[88:89], v85 offset0:128 offset1:160
	v_add_u32_e32 v85, 0xc00, v84
	ds_read2_b32 v[112:113], v85 offset1:32
	ds_read2_b32 v[114:115], v85 offset0:128 offset1:160
	s_waitcnt lgkmcnt(3)
	v_mfma_f32_16x16x32_fp8_fp8 v[40:43], v[60:61], v[86:87], v[40:43]
	;;#ASMSTART
	s_waitcnt lgkmcnt(0)
	;;#ASMEND
	ds_read_b32 v85, v109 offset:43052
	ds_write_b32 v109, v110 offset:43048
	v_mfma_f32_16x16x32_fp8_fp8 v[24:27], v[68:69], v[86:87], v[24:27]
	s_waitcnt lgkmcnt(1)
	v_cmp_ne_u32_e32 vcc, v85, v90
	v_mfma_f32_16x16x32_fp8_fp8 v[8:11], v[78:79], v[86:87], v[8:11]
	v_mfma_f32_16x16x32_fp8_fp8 v[40:43], v[62:63], v[88:89], v[40:43]
	;; [unrolled: 1-line block ×10, first 2 shown]
	s_and_saveexec_b64 s[10:11], vcc
	s_cbranch_execz .LBB294_31
; %bb.29:                               ;   in Loop: Header=BB294_13 Depth=2
	s_mov_b64 s[12:13], 0
.LBB294_30:                             ;   Parent Loop BB294_7 Depth=1
                                        ;     Parent Loop BB294_13 Depth=2
                                        ; =>    This Inner Loop Header: Depth=3
	;;#ASMSTART
	s_sleep 0
	;;#ASMEND
	ds_read_b32 v85, v109 offset:43052
	s_waitcnt lgkmcnt(0)
	v_cmp_eq_u32_e32 vcc, v85, v90
	s_or_b64 s[12:13], vcc, s[12:13]
	s_andn2_b64 exec, exec, s[12:13]
	s_cbranch_execnz .LBB294_30
.LBB294_31:                             ;   in Loop: Header=BB294_13 Depth=2
	s_or_b64 exec, exec, s[10:11]
	v_add_u32_e32 v85, 0x1000, v84
	ds_read2_b32 v[86:87], v85 offset1:32
	ds_read2_b32 v[88:89], v85 offset0:128 offset1:160
	v_add_u32_e32 v85, 0x1400, v84
	ds_read2_b32 v[112:113], v85 offset1:32
	ds_read2_b32 v[114:115], v85 offset0:128 offset1:160
	s_waitcnt lgkmcnt(3)
	v_mfma_f32_16x16x32_fp8_fp8 v[36:39], v[60:61], v[86:87], v[36:39]
	;;#ASMSTART
	s_waitcnt lgkmcnt(0)
	;;#ASMEND
	ds_read_b32 v85, v109 offset:43056
	ds_write_b32 v109, v110 offset:43052
	v_mfma_f32_16x16x32_fp8_fp8 v[20:23], v[68:69], v[86:87], v[20:23]
	s_waitcnt lgkmcnt(1)
	v_cmp_ne_u32_e32 vcc, v85, v90
	v_mfma_f32_16x16x32_fp8_fp8 v[0:3], v[78:79], v[86:87], v[0:3]
	v_mfma_f32_16x16x32_fp8_fp8 v[36:39], v[62:63], v[88:89], v[36:39]
	;; [unrolled: 1-line block ×10, first 2 shown]
	s_and_saveexec_b64 s[10:11], vcc
	s_cbranch_execz .LBB294_12
; %bb.32:                               ;   in Loop: Header=BB294_13 Depth=2
	s_mov_b64 s[12:13], 0
.LBB294_33:                             ;   Parent Loop BB294_7 Depth=1
                                        ;     Parent Loop BB294_13 Depth=2
                                        ; =>    This Inner Loop Header: Depth=3
	;;#ASMSTART
	s_sleep 0
	;;#ASMEND
	ds_read_b32 v85, v109 offset:43056
	s_waitcnt lgkmcnt(0)
	v_cmp_eq_u32_e32 vcc, v85, v90
	s_or_b64 s[12:13], vcc, s[12:13]
	s_andn2_b64 exec, exec, s[12:13]
	s_cbranch_execnz .LBB294_33
	s_branch .LBB294_12
.LBB294_34:                             ;   in Loop: Header=BB294_7 Depth=1
	s_or_b64 exec, exec, s[8:9]
.LBB294_35:                             ;   in Loop: Header=BB294_7 Depth=1
	s_or_b64 exec, exec, s[6:7]
	v_cmp_le_i32_e32 vcc, s45, v48
	v_cmp_eq_u32_e64 s[6:7], 2, v93
	v_cmp_eq_u32_e64 s[8:9], 3, v93
	s_waitcnt vmcnt(0)
	v_cndmask_b32_e32 v60, 0, v107, vcc
	v_pk_mul_f32 v[44:45], v[60:61], v[44:45] op_sel_hi:[0,1]
	v_cmp_eq_u32_e32 vcc, 1, v93
	v_pk_mul_f32 v[64:65], v[60:61], v[46:47] op_sel_hi:[0,1]
	v_cmp_eq_u32_e64 s[10:11], 0, v93
	v_cndmask_b32_e32 v46, v44, v45, vcc
	v_cndmask_b32_e64 v46, v46, v64, s[6:7]
	v_cndmask_b32_e64 v46, v46, v65, s[8:9]
	ds_bpermute_b32 v61, v105, v46
	v_cmp_le_i32_e64 s[14:15], s45, v95
	v_cmp_le_i32_e64 s[18:19], s45, v96
	v_cmp_eq_u32_e64 s[12:13], 1, v94
	v_cmp_eq_u32_e64 s[16:17], 3, v94
	s_waitcnt lgkmcnt(0)
	v_cndmask_b32_e64 v46, v65, v61, s[8:9]
	v_cndmask_b32_e64 v47, v64, v61, s[6:7]
	v_cndmask_b32_e32 v45, v45, v61, vcc
	v_cndmask_b32_e64 v61, v44, v61, s[10:11]
	v_cndmask_b32_e64 v44, 0, v107, s[14:15]
	v_pk_mul_f32 v[40:41], v[44:45], v[40:41] op_sel_hi:[0,1]
	v_pk_mul_f32 v[64:65], v[44:45], v[42:43] op_sel_hi:[0,1]
	v_cndmask_b32_e32 v42, v40, v41, vcc
	v_cndmask_b32_e64 v42, v42, v64, s[6:7]
	v_cndmask_b32_e64 v42, v42, v65, s[8:9]
	ds_bpermute_b32 v66, v105, v42
	v_cndmask_b32_e64 v63, v61, v45, s[12:13]
	v_cmp_eq_u32_e64 s[14:15], 2, v94
	s_waitcnt lgkmcnt(0)
	v_cndmask_b32_e32 v41, v41, v66, vcc
	v_cndmask_b32_e64 v67, v40, v66, s[10:11]
	v_cndmask_b32_e64 v40, 0, v107, s[18:19]
	v_pk_mul_f32 v[36:37], v[40:41], v[36:37] op_sel_hi:[0,1]
	v_cndmask_b32_e64 v42, v63, v47, s[14:15]
	v_cndmask_b32_e64 v43, v65, v66, s[8:9]
	;; [unrolled: 1-line block ×3, first 2 shown]
	v_pk_mul_f32 v[64:65], v[40:41], v[38:39] op_sel_hi:[0,1]
	v_cndmask_b32_e32 v38, v36, v37, vcc
	v_cndmask_b32_e64 v38, v38, v64, s[6:7]
	v_cndmask_b32_e64 v38, v38, v65, s[8:9]
	ds_bpermute_b32 v66, v105, v38
	v_cmp_le_i32_e64 s[18:19], s45, v97
	v_cndmask_b32_e64 v38, v67, v41, s[12:13]
	v_cndmask_b32_e64 v38, v38, v63, s[14:15]
	;; [unrolled: 1-line block ×3, first 2 shown]
	s_waitcnt lgkmcnt(0)
	v_cndmask_b32_e64 v69, v36, v66, s[10:11]
	v_cndmask_b32_e64 v36, 0, v107, s[18:19]
	v_pk_mul_f32 v[72:73], v[36:37], v[32:33] op_sel_hi:[0,1]
	v_pk_mul_f32 v[70:71], v[36:37], v[34:35] op_sel_hi:[0,1]
	v_cndmask_b32_e32 v32, v72, v73, vcc
	v_cndmask_b32_e64 v32, v32, v70, s[6:7]
	v_cndmask_b32_e64 v32, v32, v71, s[8:9]
	ds_bpermute_b32 v33, v105, v32
	v_cndmask_b32_e32 v68, v37, v66, vcc
	v_cndmask_b32_e64 v64, v64, v66, s[6:7]
	v_cndmask_b32_e64 v32, v69, v68, s[12:13]
	v_cndmask_b32_e64 v39, v65, v66, s[8:9]
	v_cndmask_b32_e64 v32, v32, v64, s[14:15]
	v_cndmask_b32_e64 v32, v32, v39, s[16:17]
	v_cmp_ne_u32_e32 vcc, 0, v93
	ds_bpermute_b32 v65, v105, v32
	s_waitcnt lgkmcnt(1)
	v_cndmask_b32_e64 v34, v71, v33, s[8:9]
	v_cndmask_b32_e64 v35, v70, v33, s[6:7]
	v_cndmask_b32_e32 v32, v73, v33, vcc
	v_cndmask_b32_e64 v33, v72, v33, s[10:11]
	v_cndmask_b32_e64 v37, v33, v32, s[12:13]
	v_cndmask_b32_e64 v37, v37, v35, s[14:15]
	v_cndmask_b32_e64 v38, v38, v43, s[16:17]
	v_cndmask_b32_e64 v37, v37, v34, s[16:17]
	ds_bpermute_b32 v42, v105, v42
	ds_bpermute_b32 v38, v105, v38
	;; [unrolled: 1-line block ×3, first 2 shown]
	v_add_u32_e32 v37, s67, v98
	v_cmp_gt_u32_e32 vcc, 48, v37
	s_and_saveexec_b64 s[18:19], vcc
	s_cbranch_execz .LBB294_42
; %bb.36:                               ;   in Loop: Header=BB294_7 Depth=1
	v_cmp_eq_u32_e64 s[8:9], 1, v94
	v_cmp_eq_u32_e64 s[10:11], 0, v94
	v_cmp_eq_u32_e32 vcc, 3, v94
	s_waitcnt lgkmcnt(2)
	v_cndmask_b32_e64 v45, v45, v42, s[8:9]
	s_waitcnt lgkmcnt(1)
	v_cndmask_b32_e64 v41, v41, v38, s[8:9]
	v_cndmask_b32_e64 v70, v68, v65, s[8:9]
	s_waitcnt lgkmcnt(0)
	v_cndmask_b32_e64 v72, v32, v66, s[8:9]
	s_mul_i32 s8, s65, s21
	s_ashr_i32 s9, s8, 31
	s_lshl_b64 s[8:9], s[8:9], 1
	v_cndmask_b32_e64 v61, v61, v42, s[10:11]
	v_cndmask_b32_e64 v67, v67, v38, s[10:11]
	;; [unrolled: 1-line block ×4, first 2 shown]
	s_add_u32 s10, s40, s8
	s_addc_u32 s11, s41, s9
	s_ashr_i32 s45, s44, 31
	v_cvt_f16_f32_e32 v61, v61
	v_cvt_f16_f32_sdwa v45, v45 dst_sel:WORD_1 dst_unused:UNUSED_PAD src0_sel:DWORD
	v_cvt_f16_f32_e32 v67, v67
	v_cvt_f16_f32_sdwa v41, v41 dst_sel:WORD_1 dst_unused:UNUSED_PAD src0_sel:DWORD
	s_lshl_b64 s[8:9], s[44:45], 1
	s_add_u32 s50, s10, s8
	s_addc_u32 s51, s11, s9
	v_lshl_add_u64 v[32:33], v[50:51], 1, s[50:51]
	v_or_b32_e32 v45, v45, v61
	v_or_b32_e32 v41, v41, v67
	;;#ASMSTART
	global_atomic_pk_add_f16 v[32:33], v45, off
	
	;;#ASMEND
	v_lshl_add_u64 v[68:69], v[32:33], 0, 32
	;;#ASMSTART
	global_atomic_pk_add_f16 v[68:69], v41, off
	
	;;#ASMEND
	v_cvt_f16_f32_e32 v41, v71
	v_cvt_f16_f32_sdwa v45, v70 dst_sel:WORD_1 dst_unused:UNUSED_PAD src0_sel:DWORD
	v_cvt_f16_f32_e32 v61, v73
	v_cvt_f16_f32_sdwa v67, v72 dst_sel:WORD_1 dst_unused:UNUSED_PAD src0_sel:DWORD
	v_cmp_eq_u32_e64 s[6:7], 2, v94
	v_lshl_add_u64 v[68:69], v[32:33], 0, 64
	v_or_b32_e32 v41, v45, v41
	v_cmp_gt_u32_e64 s[8:9], 46, v37
	;;#ASMSTART
	global_atomic_pk_add_f16 v[68:69], v41, off
	
	;;#ASMEND
	v_lshl_add_u64 v[68:69], v[32:33], 0, s[30:31]
	v_or_b32_e32 v41, v67, v61
	;;#ASMSTART
	global_atomic_pk_add_f16 v[68:69], v41, off
	
	;;#ASMEND
	s_and_b64 exec, exec, s[8:9]
	s_cbranch_execz .LBB294_42
; %bb.37:                               ;   in Loop: Header=BB294_7 Depth=1
	v_cndmask_b32_e32 v46, v46, v42, vcc
	v_cndmask_b32_e64 v42, v47, v42, s[6:7]
	v_cvt_f16_f32_e32 v42, v42
	v_cvt_f16_f32_sdwa v46, v46 dst_sel:WORD_1 dst_unused:UNUSED_PAD src0_sel:DWORD
	v_cndmask_b32_e32 v43, v43, v38, vcc
	v_cndmask_b32_e64 v38, v63, v38, s[6:7]
	v_cndmask_b32_e32 v39, v39, v65, vcc
	v_cndmask_b32_e64 v47, v64, v65, s[6:7]
	v_cndmask_b32_e32 v63, v34, v66, vcc
	v_or_b32_e32 v34, v46, v42
	v_cvt_f16_f32_e32 v38, v38
	v_cvt_f16_f32_sdwa v42, v43 dst_sel:WORD_1 dst_unused:UNUSED_PAD src0_sel:DWORD
	v_cvt_f16_f32_e32 v43, v47
	v_cvt_f16_f32_sdwa v39, v39 dst_sel:WORD_1 dst_unused:UNUSED_PAD src0_sel:DWORD
	v_lshl_add_u64 v[32:33], s[28:29], 2, v[32:33]
	v_or_b32_e32 v38, v42, v38
	v_mov_b32_e32 v61, v60
	v_cndmask_b32_e64 v64, v35, v66, s[6:7]
	;;#ASMSTART
	global_atomic_pk_add_f16 v[32:33], v34, off
	
	;;#ASMEND
	v_lshl_add_u64 v[34:35], v[32:33], 0, 32
	;;#ASMSTART
	global_atomic_pk_add_f16 v[34:35], v38, off
	
	;;#ASMEND
	v_or_b32_e32 v42, v39, v43
	v_mov_b32_e32 v38, v60
	v_mov_b32_e32 v39, v60
	v_pk_mul_f32 v[30:31], v[38:39], v[30:31]
	v_pk_mul_f32 v[38:39], v[60:61], v[28:29]
	v_cmp_eq_u32_e32 vcc, 1, v93
	v_mov_b32_e32 v45, v44
	v_lshl_add_u64 v[34:35], v[32:33], 0, 64
	v_cndmask_b32_e32 v28, v38, v39, vcc
	v_cmp_eq_u32_e64 s[6:7], 2, v93
	;;#ASMSTART
	global_atomic_pk_add_f16 v[34:35], v42, off
	
	;;#ASMEND
	v_lshl_add_u64 v[42:43], v[32:33], 0, s[30:31]
	v_mov_b32_e32 v32, v44
	v_mov_b32_e32 v33, v44
	v_cndmask_b32_e64 v28, v28, v30, s[6:7]
	v_cmp_eq_u32_e64 s[8:9], 3, v93
	v_pk_mul_f32 v[26:27], v[32:33], v[26:27]
	v_pk_mul_f32 v[32:33], v[44:45], v[24:25]
	v_cndmask_b32_e64 v28, v28, v31, s[8:9]
	v_cndmask_b32_e32 v24, v32, v33, vcc
	ds_bpermute_b32 v46, v105, v28
	v_cndmask_b32_e64 v24, v24, v26, s[6:7]
	v_cndmask_b32_e64 v24, v24, v27, s[8:9]
	ds_bpermute_b32 v35, v105, v24
	v_cmp_eq_u32_e64 s[10:11], 0, v93
	s_waitcnt lgkmcnt(1)
	v_cndmask_b32_e64 v28, v31, v46, s[8:9]
	v_cndmask_b32_e64 v29, v30, v46, s[6:7]
	v_cndmask_b32_e32 v30, v39, v46, vcc
	v_cndmask_b32_e64 v31, v38, v46, s[10:11]
	v_cmp_eq_u32_e64 s[12:13], 1, v94
	v_mov_b32_e32 v41, v40
	v_cmp_eq_u32_e64 s[14:15], 2, v94
	v_cndmask_b32_e64 v34, v31, v30, s[12:13]
	s_waitcnt lgkmcnt(0)
	v_cndmask_b32_e64 v25, v27, v35, s[8:9]
	v_cndmask_b32_e64 v24, v34, v29, s[14:15]
	;; [unrolled: 1-line block ×3, first 2 shown]
	v_cndmask_b32_e32 v27, v33, v35, vcc
	v_cndmask_b32_e64 v32, v32, v35, s[10:11]
	v_mov_b32_e32 v34, v40
	v_mov_b32_e32 v35, v40
	v_pk_mul_f32 v[38:39], v[40:41], v[20:21]
	v_pk_mul_f32 v[22:23], v[34:35], v[22:23]
	v_cndmask_b32_e32 v20, v38, v39, vcc
	v_cndmask_b32_e64 v20, v20, v22, s[6:7]
	v_cndmask_b32_e64 v20, v20, v23, s[8:9]
	ds_bpermute_b32 v33, v105, v20
	v_mov_b32_e32 v37, v36
	v_pk_mul_f32 v[46:47], v[36:37], v[16:17]
	v_cmp_eq_u32_e64 s[16:17], 3, v94
	v_cndmask_b32_e32 v16, v46, v47, vcc
	s_waitcnt lgkmcnt(0)
	v_cndmask_b32_e32 v34, v39, v33, vcc
	v_cndmask_b32_e64 v35, v38, v33, s[10:11]
	v_mov_b32_e32 v38, v36
	v_mov_b32_e32 v39, v36
	v_pk_mul_f32 v[38:39], v[38:39], v[18:19]
	v_cndmask_b32_e64 v22, v22, v33, s[6:7]
	v_cndmask_b32_e64 v16, v16, v38, s[6:7]
	;; [unrolled: 1-line block ×3, first 2 shown]
	ds_bpermute_b32 v17, v105, v16
	v_cndmask_b32_e64 v16, v35, v34, s[12:13]
	v_cndmask_b32_e64 v21, v23, v33, s[8:9]
	v_cndmask_b32_e64 v16, v16, v22, s[14:15]
	v_cndmask_b32_e64 v16, v16, v21, s[16:17]
	v_cmp_ne_u32_e32 vcc, 0, v93
	ds_bpermute_b32 v23, v105, v16
	s_waitcnt lgkmcnt(1)
	v_cndmask_b32_e64 v18, v39, v17, s[8:9]
	v_cndmask_b32_e64 v19, v38, v17, s[6:7]
	v_cndmask_b32_e32 v16, v47, v17, vcc
	v_cndmask_b32_e64 v17, v46, v17, s[10:11]
	v_cndmask_b32_e64 v20, v32, v27, s[12:13]
	;; [unrolled: 1-line block ×3, first 2 shown]
	v_cvt_f16_f32_e32 v64, v64
	v_cvt_f16_f32_sdwa v63, v63 dst_sel:WORD_1 dst_unused:UNUSED_PAD src0_sel:DWORD
	v_cndmask_b32_e64 v20, v20, v26, s[14:15]
	v_cndmask_b32_e64 v33, v33, v19, s[14:15]
	;; [unrolled: 1-line block ×5, first 2 shown]
	ds_bpermute_b32 v24, v105, v24
	ds_bpermute_b32 v20, v105, v20
	;; [unrolled: 1-line block ×3, first 2 shown]
	v_or_b32_e32 v38, v63, v64
	;;#ASMSTART
	global_atomic_pk_add_f16 v[42:43], v38, off
	
	;;#ASMEND
	v_add_u32_e32 v38, s67, v99
	v_cmp_gt_u32_e32 vcc, 48, v38
	s_and_b64 exec, exec, vcc
	s_cbranch_execz .LBB294_42
; %bb.38:                               ;   in Loop: Header=BB294_7 Depth=1
	v_cmp_eq_u32_e64 s[8:9], 1, v94
	v_cmp_eq_u32_e64 s[10:11], 0, v94
	v_cmp_eq_u32_e32 vcc, 3, v94
	s_waitcnt lgkmcnt(2)
	v_cndmask_b32_e64 v30, v30, v24, s[8:9]
	v_cndmask_b32_e64 v31, v31, v24, s[10:11]
	s_waitcnt lgkmcnt(1)
	v_cndmask_b32_e64 v27, v27, v20, s[8:9]
	v_cndmask_b32_e64 v32, v32, v20, s[10:11]
	v_cvt_f16_f32_e32 v31, v31
	v_cvt_f16_f32_sdwa v30, v30 dst_sel:WORD_1 dst_unused:UNUSED_PAD src0_sel:DWORD
	v_cvt_f16_f32_e32 v32, v32
	v_cvt_f16_f32_sdwa v27, v27 dst_sel:WORD_1 dst_unused:UNUSED_PAD src0_sel:DWORD
	v_cndmask_b32_e64 v34, v34, v23, s[8:9]
	v_cndmask_b32_e64 v35, v35, v23, s[10:11]
	s_waitcnt lgkmcnt(0)
	v_cndmask_b32_e64 v39, v16, v33, s[8:9]
	v_cndmask_b32_e64 v42, v17, v33, s[10:11]
	v_lshl_add_u64 v[16:17], v[52:53], 1, s[50:51]
	v_or_b32_e32 v30, v30, v31
	v_or_b32_e32 v27, v27, v32
	;;#ASMSTART
	global_atomic_pk_add_f16 v[16:17], v30, off
	
	;;#ASMEND
	v_lshl_add_u64 v[30:31], v[16:17], 0, 32
	;;#ASMSTART
	global_atomic_pk_add_f16 v[30:31], v27, off
	
	;;#ASMEND
	v_cvt_f16_f32_e32 v27, v35
	v_cvt_f16_f32_sdwa v32, v34 dst_sel:WORD_1 dst_unused:UNUSED_PAD src0_sel:DWORD
	v_cvt_f16_f32_e32 v34, v42
	v_cvt_f16_f32_sdwa v35, v39 dst_sel:WORD_1 dst_unused:UNUSED_PAD src0_sel:DWORD
	v_cmp_eq_u32_e64 s[6:7], 2, v94
	v_lshl_add_u64 v[30:31], v[16:17], 0, 64
	v_or_b32_e32 v27, v32, v27
	v_cmp_gt_u32_e64 s[8:9], 46, v38
	;;#ASMSTART
	global_atomic_pk_add_f16 v[30:31], v27, off
	
	;;#ASMEND
	v_lshl_add_u64 v[30:31], v[16:17], 0, s[30:31]
	v_or_b32_e32 v27, v35, v34
	;;#ASMSTART
	global_atomic_pk_add_f16 v[30:31], v27, off
	
	;;#ASMEND
	s_and_b64 exec, exec, s[8:9]
	s_cbranch_execz .LBB294_42
; %bb.39:                               ;   in Loop: Header=BB294_7 Depth=1
	v_cndmask_b32_e32 v27, v28, v24, vcc
	v_cndmask_b32_e64 v24, v29, v24, s[6:7]
	v_cndmask_b32_e32 v21, v21, v23, vcc
	v_cndmask_b32_e64 v22, v22, v23, s[6:7]
	v_cvt_f16_f32_e32 v23, v24
	v_cvt_f16_f32_sdwa v24, v27 dst_sel:WORD_1 dst_unused:UNUSED_PAD src0_sel:DWORD
	v_cndmask_b32_e32 v25, v25, v20, vcc
	v_cndmask_b32_e64 v20, v26, v20, s[6:7]
	v_cndmask_b32_e32 v26, v18, v33, vcc
	v_or_b32_e32 v18, v24, v23
	v_cvt_f16_f32_e32 v20, v20
	v_cvt_f16_f32_sdwa v23, v25 dst_sel:WORD_1 dst_unused:UNUSED_PAD src0_sel:DWORD
	v_cvt_f16_f32_e32 v22, v22
	v_cvt_f16_f32_sdwa v21, v21 dst_sel:WORD_1 dst_unused:UNUSED_PAD src0_sel:DWORD
	v_lshl_add_u64 v[16:17], s[28:29], 2, v[16:17]
	v_or_b32_e32 v20, v23, v20
	v_cndmask_b32_e64 v27, v19, v33, s[6:7]
	;;#ASMSTART
	global_atomic_pk_add_f16 v[16:17], v18, off
	
	;;#ASMEND
	v_lshl_add_u64 v[18:19], v[16:17], 0, 32
	;;#ASMSTART
	global_atomic_pk_add_f16 v[18:19], v20, off
	
	;;#ASMEND
	v_or_b32_e32 v22, v21, v22
	v_mov_b32_e32 v20, v60
	v_mov_b32_e32 v21, v60
	v_pk_mul_f32 v[14:15], v[20:21], v[14:15]
	v_pk_mul_f32 v[20:21], v[60:61], v[12:13]
	v_cmp_eq_u32_e32 vcc, 1, v93
	v_lshl_add_u64 v[18:19], v[16:17], 0, 64
	v_cmp_eq_u32_e64 s[6:7], 2, v93
	v_cndmask_b32_e32 v12, v20, v21, vcc
	v_cmp_eq_u32_e64 s[8:9], 3, v93
	v_cndmask_b32_e64 v12, v12, v14, s[6:7]
	;;#ASMSTART
	global_atomic_pk_add_f16 v[18:19], v22, off
	
	;;#ASMEND
	v_lshl_add_u64 v[22:23], v[16:17], 0, s[30:31]
	v_mov_b32_e32 v16, v44
	v_mov_b32_e32 v17, v44
	v_pk_mul_f32 v[18:19], v[44:45], v[8:9]
	v_cndmask_b32_e64 v12, v12, v15, s[8:9]
	v_pk_mul_f32 v[10:11], v[16:17], v[10:11]
	v_cndmask_b32_e32 v8, v18, v19, vcc
	ds_bpermute_b32 v24, v105, v12
	v_cndmask_b32_e64 v8, v8, v10, s[6:7]
	v_cndmask_b32_e64 v8, v8, v11, s[8:9]
	ds_bpermute_b32 v17, v105, v8
	v_cmp_eq_u32_e64 s[10:11], 0, v93
	s_waitcnt lgkmcnt(1)
	v_cndmask_b32_e64 v12, v15, v24, s[8:9]
	v_cndmask_b32_e64 v13, v14, v24, s[6:7]
	v_cndmask_b32_e32 v14, v21, v24, vcc
	v_cndmask_b32_e64 v15, v20, v24, s[10:11]
	v_cmp_eq_u32_e64 s[12:13], 1, v94
	v_cmp_eq_u32_e64 s[14:15], 2, v94
	s_waitcnt lgkmcnt(0)
	v_cndmask_b32_e64 v9, v11, v17, s[8:9]
	v_cndmask_b32_e64 v20, v15, v14, s[12:13]
	;; [unrolled: 1-line block ×4, first 2 shown]
	v_cndmask_b32_e32 v16, v19, v17, vcc
	v_cndmask_b32_e64 v17, v18, v17, s[10:11]
	v_mov_b32_e32 v18, v40
	v_mov_b32_e32 v19, v40
	v_pk_mul_f32 v[20:21], v[40:41], v[0:1]
	v_pk_mul_f32 v[18:19], v[18:19], v[2:3]
	v_cndmask_b32_e32 v0, v20, v21, vcc
	v_cndmask_b32_e64 v0, v0, v18, s[6:7]
	v_cndmask_b32_e64 v0, v0, v19, s[8:9]
	ds_bpermute_b32 v1, v105, v0
	v_cndmask_b32_e64 v0, v17, v16, s[12:13]
	v_cmp_eq_u32_e64 s[16:17], 3, v94
	v_cndmask_b32_e64 v0, v0, v10, s[14:15]
	v_cvt_f16_f32_e32 v25, v27
	s_waitcnt lgkmcnt(0)
	v_cndmask_b32_e64 v3, v19, v1, s[8:9]
	v_cndmask_b32_e64 v11, v18, v1, s[6:7]
	v_mov_b32_e32 v18, v36
	v_mov_b32_e32 v19, v36
	v_pk_mul_f32 v[6:7], v[18:19], v[6:7]
	v_pk_mul_f32 v[18:19], v[36:37], v[4:5]
	v_cndmask_b32_e64 v0, v0, v9, s[16:17]
	v_cndmask_b32_e32 v4, v18, v19, vcc
	v_cndmask_b32_e64 v4, v4, v6, s[6:7]
	v_cndmask_b32_e64 v4, v4, v7, s[8:9]
	ds_bpermute_b32 v2, v105, v0
	v_cndmask_b32_e32 v0, v21, v1, vcc
	v_cndmask_b32_e64 v1, v20, v1, s[10:11]
	ds_bpermute_b32 v20, v105, v4
	v_cmp_ne_u32_e32 vcc, 0, v93
	v_cndmask_b32_e64 v4, v1, v0, s[12:13]
	v_cvt_f16_f32_sdwa v26, v26 dst_sel:WORD_1 dst_unused:UNUSED_PAD src0_sel:DWORD
	v_cndmask_b32_e64 v4, v4, v11, s[14:15]
	s_waitcnt lgkmcnt(0)
	v_cndmask_b32_e64 v5, v7, v20, s[8:9]
	v_cndmask_b32_e64 v6, v6, v20, s[6:7]
	v_cndmask_b32_e32 v19, v19, v20, vcc
	v_cndmask_b32_e64 v20, v18, v20, s[10:11]
	v_cndmask_b32_e64 v7, v20, v19, s[12:13]
	;; [unrolled: 1-line block ×6, first 2 shown]
	ds_bpermute_b32 v8, v105, v8
	ds_bpermute_b32 v4, v105, v4
	;; [unrolled: 1-line block ×3, first 2 shown]
	v_or_b32_e32 v18, v26, v25
	;;#ASMSTART
	global_atomic_pk_add_f16 v[22:23], v18, off
	
	;;#ASMEND
	v_add_u32_e32 v18, s67, v100
	v_cmp_gt_u32_e32 vcc, 48, v18
	s_and_b64 exec, exec, vcc
	s_cbranch_execz .LBB294_42
; %bb.40:                               ;   in Loop: Header=BB294_7 Depth=1
	v_cmp_eq_u32_e64 s[8:9], 1, v94
	v_cmp_eq_u32_e64 s[10:11], 0, v94
	v_cmp_eq_u32_e32 vcc, 3, v94
	s_waitcnt lgkmcnt(2)
	v_cndmask_b32_e64 v14, v14, v8, s[8:9]
	v_cndmask_b32_e64 v15, v15, v8, s[10:11]
	;; [unrolled: 1-line block ×4, first 2 shown]
	v_cvt_f16_f32_e32 v15, v15
	v_cvt_f16_f32_sdwa v14, v14 dst_sel:WORD_1 dst_unused:UNUSED_PAD src0_sel:DWORD
	v_cvt_f16_f32_e32 v17, v17
	v_cvt_f16_f32_sdwa v16, v16 dst_sel:WORD_1 dst_unused:UNUSED_PAD src0_sel:DWORD
	s_waitcnt lgkmcnt(1)
	v_cndmask_b32_e64 v21, v0, v4, s[8:9]
	v_cndmask_b32_e64 v22, v1, v4, s[10:11]
	v_lshl_add_u64 v[0:1], v[54:55], 1, s[50:51]
	v_or_b32_e32 v14, v14, v15
	v_or_b32_e32 v16, v16, v17
	s_waitcnt lgkmcnt(0)
	v_cndmask_b32_e64 v19, v19, v7, s[8:9]
	v_cndmask_b32_e64 v20, v20, v7, s[10:11]
	;;#ASMSTART
	global_atomic_pk_add_f16 v[0:1], v14, off
	
	;;#ASMEND
	v_lshl_add_u64 v[14:15], v[0:1], 0, 32
	;;#ASMSTART
	global_atomic_pk_add_f16 v[14:15], v16, off
	
	;;#ASMEND
	v_cvt_f16_f32_e32 v16, v22
	v_cvt_f16_f32_sdwa v17, v21 dst_sel:WORD_1 dst_unused:UNUSED_PAD src0_sel:DWORD
	v_cvt_f16_f32_e32 v20, v20
	v_cvt_f16_f32_sdwa v19, v19 dst_sel:WORD_1 dst_unused:UNUSED_PAD src0_sel:DWORD
	v_cmp_eq_u32_e64 s[6:7], 2, v94
	v_lshl_add_u64 v[14:15], v[0:1], 0, 64
	v_or_b32_e32 v16, v17, v16
	v_cmp_gt_u32_e64 s[8:9], 46, v18
	;;#ASMSTART
	global_atomic_pk_add_f16 v[14:15], v16, off
	
	;;#ASMEND
	v_lshl_add_u64 v[14:15], v[0:1], 0, s[30:31]
	v_or_b32_e32 v16, v19, v20
	;;#ASMSTART
	global_atomic_pk_add_f16 v[14:15], v16, off
	
	;;#ASMEND
	s_and_b64 exec, exec, s[8:9]
	s_cbranch_execz .LBB294_42
; %bb.41:                               ;   in Loop: Header=BB294_7 Depth=1
	v_cndmask_b32_e32 v12, v12, v8, vcc
	v_cndmask_b32_e64 v8, v13, v8, s[6:7]
	v_cndmask_b32_e32 v9, v9, v2, vcc
	v_cndmask_b32_e64 v2, v10, v2, s[6:7]
	v_cndmask_b32_e32 v10, v3, v4, vcc
	v_cndmask_b32_e32 v5, v5, v7, vcc
	v_cndmask_b32_e64 v6, v6, v7, s[6:7]
	v_cvt_f16_f32_e32 v3, v8
	v_cvt_f16_f32_sdwa v7, v12 dst_sel:WORD_1 dst_unused:UNUSED_PAD src0_sel:DWORD
	v_cvt_f16_f32_e32 v8, v2
	v_cvt_f16_f32_sdwa v9, v9 dst_sel:WORD_1 dst_unused:UNUSED_PAD src0_sel:DWORD
	v_cndmask_b32_e64 v4, v11, v4, s[6:7]
	v_lshl_add_u64 v[0:1], s[28:29], 2, v[0:1]
	v_or_b32_e32 v2, v7, v3
	v_or_b32_e32 v7, v9, v8
	;;#ASMSTART
	global_atomic_pk_add_f16 v[0:1], v2, off
	
	;;#ASMEND
	v_lshl_add_u64 v[2:3], v[0:1], 0, 32
	;;#ASMSTART
	global_atomic_pk_add_f16 v[2:3], v7, off
	
	;;#ASMEND
	v_cvt_f16_f32_e32 v4, v4
	v_cvt_f16_f32_sdwa v7, v10 dst_sel:WORD_1 dst_unused:UNUSED_PAD src0_sel:DWORD
	v_cvt_f16_f32_e32 v6, v6
	v_cvt_f16_f32_sdwa v5, v5 dst_sel:WORD_1 dst_unused:UNUSED_PAD src0_sel:DWORD
	v_lshl_add_u64 v[2:3], v[0:1], 0, 64
	v_or_b32_e32 v4, v7, v4
	;;#ASMSTART
	global_atomic_pk_add_f16 v[2:3], v4, off
	
	;;#ASMEND
	v_lshl_add_u64 v[0:1], v[0:1], 0, s[30:31]
	v_or_b32_e32 v2, v5, v6
	;;#ASMSTART
	global_atomic_pk_add_f16 v[0:1], v2, off
	
	;;#ASMEND
.LBB294_42:                             ;   in Loop: Header=BB294_7 Depth=1
	s_or_b64 exec, exec, s[18:19]
	v_subrev_u32_e32 v106, s68, v106
.LBB294_43:                             ;   in Loop: Header=BB294_7 Depth=1
	s_or_b64 exec, exec, s[48:49]
.LBB294_44:                             ;   in Loop: Header=BB294_7 Depth=1
	s_andn2_saveexec_b64 s[6:7], s[46:47]
	s_cbranch_execz .LBB294_53
; %bb.45:                               ;   in Loop: Header=BB294_7 Depth=1
	s_lshl_b32 s16, s68, 2
	v_cmp_gt_i32_e32 vcc, s16, v106
	s_and_saveexec_b64 s[8:9], vcc
	s_cbranch_execz .LBB294_52
; %bb.46:                               ;   in Loop: Header=BB294_7 Depth=1
	s_mul_i32 s10, s44, s23
	s_ashr_i32 s11, s10, 31
	s_waitcnt lgkmcnt(0)
	s_add_u32 s10, s38, s10
	s_addc_u32 s11, s39, s11
	s_ashr_i32 s12, s66, 31
	s_add_u32 s10, s10, s66
	s_addc_u32 s11, s11, s12
	v_lshl_add_u64 v[0:1], s[10:11], 0, v[58:59]
	v_lshl_add_u64 v[8:9], v[0:1], 0, v[56:57]
	s_mov_b64 s[10:11], 0
	s_branch .LBB294_48
.LBB294_47:                             ;   in Loop: Header=BB294_48 Depth=2
	s_or_b64 exec, exec, s[12:13]
	v_lshl_or_b32 v12, v10, 11, v102
	;;#ASMSTART
	s_waitcnt vmcnt(1)
	;;#ASMEND
	ds_write2_b32 v12, v4, v5 offset1:32
	ds_write2_b32 v12, v6, v7 offset0:64 offset1:96
	v_add_u32_e32 v4, 0x400, v12
	v_add_u32_e32 v106, s26, v106
	;;#ASMSTART
	s_waitcnt vmcnt(0)
	;;#ASMEND
	ds_write2_b32 v4, v0, v1 offset1:32
	ds_write2_b32 v4, v2, v3 offset0:64 offset1:96
	v_add_u32_e32 v0, 1, v90
	v_add_u32_e32 v62, s26, v10
	v_cmp_le_i32_e32 vcc, s16, v106
	ds_write_b32 v11, v0 offset:36
	v_add_u32_e32 v0, 2, v90
	s_or_b64 s[10:11], vcc, s[10:11]
	v_cmp_lt_i32_e32 vcc, 11, v62
	s_nop 1
	v_cndmask_b32_e32 v90, v90, v0, vcc
	s_andn2_b64 exec, exec, s[10:11]
	s_cbranch_execz .LBB294_51
.LBB294_48:                             ;   Parent Loop BB294_7 Depth=1
                                        ; =>  This Loop Header: Depth=2
                                        ;       Child Loop BB294_50 Depth 3
	v_cmp_gt_i32_e32 vcc, 12, v62
	s_nop 1
	v_cndmask_b32_e64 v0, -12, 0, vcc
	v_add_u32_e32 v10, v0, v62
	v_ashrrev_i32_e32 v0, 31, v106
	v_lshrrev_b32_e32 v0, 30, v0
	v_add_u32_e32 v0, v106, v0
	v_and_b32_e32 v1, -4, v0
	v_lshlrev_b32_e32 v0, 5, v0
	v_sub_u32_e32 v2, v106, v1
	v_and_b32_e32 v0, 0xffffff80, v0
	v_ashrrev_i32_e32 v1, 31, v0
	v_mul_lo_u32 v2, s57, v2
	v_lshl_add_u64 v[0:1], v[8:9], 0, v[0:1]
	v_ashrrev_i32_e32 v3, 31, v2
	v_lshl_add_u64 v[0:1], v[0:1], 0, v[2:3]
	v_lshlrev_b32_e32 v11, 2, v10
	;;#ASMSTART
	global_load_dwordx4 v[4:7], v[0:1], off offset:0   sc0 sc1 nt  
	global_load_dwordx4 v[0:3], v[0:1], off offset:64  sc0 sc1 nt  
	
	;;#ASMEND
	ds_read_b32 v12, v11 offset:43044
	v_add_u32_e32 v11, 0xa800, v11
	s_waitcnt lgkmcnt(0)
	v_cmp_ne_u32_e32 vcc, v12, v90
	s_and_saveexec_b64 s[12:13], vcc
	s_cbranch_execz .LBB294_47
; %bb.49:                               ;   in Loop: Header=BB294_48 Depth=2
	s_mov_b64 s[14:15], 0
.LBB294_50:                             ;   Parent Loop BB294_7 Depth=1
                                        ;     Parent Loop BB294_48 Depth=2
                                        ; =>    This Inner Loop Header: Depth=3
	;;#ASMSTART
	s_sleep 0
	;;#ASMEND
	ds_read_b32 v12, v11 offset:36
	s_waitcnt lgkmcnt(0)
	v_cmp_eq_u32_e32 vcc, v12, v90
	s_or_b64 s[14:15], vcc, s[14:15]
	s_andn2_b64 exec, exec, s[14:15]
	s_cbranch_execnz .LBB294_50
	s_branch .LBB294_47
.LBB294_51:                             ;   in Loop: Header=BB294_7 Depth=1
	s_or_b64 exec, exec, s[10:11]
.LBB294_52:                             ;   in Loop: Header=BB294_7 Depth=1
	s_or_b64 exec, exec, s[8:9]
	v_subrev_u32_e32 v106, s16, v106
.LBB294_53:                             ;   in Loop: Header=BB294_7 Depth=1
	s_or_b64 exec, exec, s[6:7]
.LBB294_54:                             ;   in Loop: Header=BB294_7 Depth=1
	s_andn2_saveexec_b64 s[6:7], s[34:35]
	s_cbranch_execz .LBB294_6
; %bb.55:                               ;   in Loop: Header=BB294_7 Depth=1
	s_mul_i32 s68, s68, 3
	v_cmp_gt_i32_e32 vcc, s68, v106
	s_and_saveexec_b64 s[8:9], vcc
	s_cbranch_execz .LBB294_5
; %bb.56:                               ;   in Loop: Header=BB294_7 Depth=1
	s_mul_i32 s65, s65, s22
	s_ashr_i32 s10, s65, 31
	s_waitcnt lgkmcnt(0)
	s_add_u32 s11, s36, s65
	v_add_u32_e32 v2, s67, v101
	s_addc_u32 s12, s37, s10
	s_ashr_i32 s13, s66, 31
	v_cmp_gt_u32_e32 vcc, 48, v2
	s_add_u32 s10, s11, s66
	s_addc_u32 s11, s12, s13
	v_cndmask_b32_e32 v0, 0, v103, vcc
	v_ashrrev_i32_e32 v1, 31, v0
	v_lshl_add_u64 v[0:1], s[10:11], 0, v[0:1]
	v_lshl_add_u64 v[8:9], v[0:1], 0, v[56:57]
	v_sub_u32_e32 v10, 47, v2
	s_mov_b64 s[10:11], 0
	s_branch .LBB294_58
.LBB294_57:                             ;   in Loop: Header=BB294_58 Depth=2
	s_or_b64 exec, exec, s[12:13]
	v_lshl_add_u32 v13, v11, 11, v104
	;;#ASMSTART
	s_waitcnt vmcnt(1)
	;;#ASMEND
	ds_write2_b32 v13, v4, v5 offset1:32
	ds_write2_b32 v13, v6, v7 offset0:64 offset1:96
	v_add_u32_e32 v4, 0x400, v13
	v_add_u32_e32 v106, s25, v106
	;;#ASMSTART
	s_waitcnt vmcnt(0)
	;;#ASMEND
	ds_write2_b32 v4, v0, v1 offset1:32
	ds_write2_b32 v4, v2, v3 offset0:64 offset1:96
	v_add_u32_e32 v0, 1, v90
	v_add_u32_e32 v62, s25, v11
	v_cmp_le_i32_e32 vcc, s68, v106
	ds_write_b32 v12, v0
	v_add_u32_e32 v0, 2, v90
	s_or_b64 s[10:11], vcc, s[10:11]
	v_cmp_lt_i32_e32 vcc, 8, v62
	s_nop 1
	v_cndmask_b32_e32 v90, v90, v0, vcc
	s_andn2_b64 exec, exec, s[10:11]
	s_cbranch_execz .LBB294_4
.LBB294_58:                             ;   Parent Loop BB294_7 Depth=1
                                        ; =>  This Loop Header: Depth=2
                                        ;       Child Loop BB294_60 Depth 3
	v_cmp_gt_i32_e32 vcc, 9, v62
	s_nop 1
	v_cndmask_b32_e64 v0, -9, 0, vcc
	v_add_u32_e32 v11, v0, v62
	v_mul_hi_i32 v0, v106, s64
	v_lshrrev_b32_e32 v1, 31, v0
	v_add_u32_e32 v0, v0, v1
	v_lshl_add_u32 v1, v0, 1, v0
	v_sub_u32_e32 v1, v106, v1
	v_lshlrev_b32_e32 v1, 4, v1
	v_cmp_le_i32_e32 vcc, v1, v10
	v_lshlrev_b32_e32 v0, 7, v0
	v_lshlrev_b32_e32 v12, 2, v11
	v_cndmask_b32_e32 v2, 0, v1, vcc
	v_ashrrev_i32_e32 v1, 31, v0
	v_mul_lo_u32 v2, v2, s22
	v_lshl_add_u64 v[0:1], v[8:9], 0, v[0:1]
	v_ashrrev_i32_e32 v3, 31, v2
	v_lshl_add_u64 v[0:1], v[0:1], 0, v[2:3]
	;;#ASMSTART
	global_load_dwordx4 v[4:7], v[0:1], off offset:0   
	global_load_dwordx4 v[0:3], v[0:1], off offset:64  
	
	;;#ASMEND
	ds_read_b32 v13, v12 offset:43008
	v_add_u32_e32 v12, 0xa800, v12
	s_waitcnt lgkmcnt(0)
	v_cmp_ne_u32_e32 vcc, v13, v90
	s_and_saveexec_b64 s[12:13], vcc
	s_cbranch_execz .LBB294_57
; %bb.59:                               ;   in Loop: Header=BB294_58 Depth=2
	s_mov_b64 s[14:15], 0
.LBB294_60:                             ;   Parent Loop BB294_7 Depth=1
                                        ;     Parent Loop BB294_58 Depth=2
                                        ; =>    This Inner Loop Header: Depth=3
	;;#ASMSTART
	s_sleep 0
	;;#ASMEND
	ds_read_b32 v13, v12
	s_waitcnt lgkmcnt(0)
	v_cmp_eq_u32_e32 vcc, v13, v90
	s_or_b64 s[14:15], vcc, s[14:15]
	s_andn2_b64 exec, exec, s[14:15]
	s_cbranch_execnz .LBB294_60
	s_branch .LBB294_57
.LBB294_61:
	s_endpgm
	.section	.rodata,"a",@progbits
	.p2align	6, 0x0
	.amdhsa_kernel _Z19_skinny_gemm_kernelILi3ELi4ELi3ELi16ELi4EEvPKhS1_P6__halfPKfiiiiiiii
		.amdhsa_group_segment_fixed_size 43092
		.amdhsa_private_segment_fixed_size 0
		.amdhsa_kernarg_size 64
		.amdhsa_user_sgpr_count 2
		.amdhsa_user_sgpr_dispatch_ptr 0
		.amdhsa_user_sgpr_queue_ptr 0
		.amdhsa_user_sgpr_kernarg_segment_ptr 1
		.amdhsa_user_sgpr_dispatch_id 0
		.amdhsa_user_sgpr_kernarg_preload_length 0
		.amdhsa_user_sgpr_kernarg_preload_offset 0
		.amdhsa_user_sgpr_private_segment_size 0
		.amdhsa_uses_dynamic_stack 0
		.amdhsa_enable_private_segment 0
		.amdhsa_system_sgpr_workgroup_id_x 1
		.amdhsa_system_sgpr_workgroup_id_y 0
		.amdhsa_system_sgpr_workgroup_id_z 0
		.amdhsa_system_sgpr_workgroup_info 0
		.amdhsa_system_vgpr_workitem_id 0
		.amdhsa_next_free_vgpr 116
		.amdhsa_next_free_sgpr 69
		.amdhsa_accum_offset 116
		.amdhsa_reserve_vcc 1
		.amdhsa_float_round_mode_32 0
		.amdhsa_float_round_mode_16_64 0
		.amdhsa_float_denorm_mode_32 3
		.amdhsa_float_denorm_mode_16_64 3
		.amdhsa_dx10_clamp 1
		.amdhsa_ieee_mode 1
		.amdhsa_fp16_overflow 0
		.amdhsa_tg_split 0
		.amdhsa_exception_fp_ieee_invalid_op 0
		.amdhsa_exception_fp_denorm_src 0
		.amdhsa_exception_fp_ieee_div_zero 0
		.amdhsa_exception_fp_ieee_overflow 0
		.amdhsa_exception_fp_ieee_underflow 0
		.amdhsa_exception_fp_ieee_inexact 0
		.amdhsa_exception_int_div_zero 0
	.end_amdhsa_kernel
	.section	.text._Z19_skinny_gemm_kernelILi3ELi4ELi3ELi16ELi4EEvPKhS1_P6__halfPKfiiiiiiii,"axG",@progbits,_Z19_skinny_gemm_kernelILi3ELi4ELi3ELi16ELi4EEvPKhS1_P6__halfPKfiiiiiiii,comdat
.Lfunc_end294:
	.size	_Z19_skinny_gemm_kernelILi3ELi4ELi3ELi16ELi4EEvPKhS1_P6__halfPKfiiiiiiii, .Lfunc_end294-_Z19_skinny_gemm_kernelILi3ELi4ELi3ELi16ELi4EEvPKhS1_P6__halfPKfiiiiiiii
                                        ; -- End function
	.set _Z19_skinny_gemm_kernelILi3ELi4ELi3ELi16ELi4EEvPKhS1_P6__halfPKfiiiiiiii.num_vgpr, 116
	.set _Z19_skinny_gemm_kernelILi3ELi4ELi3ELi16ELi4EEvPKhS1_P6__halfPKfiiiiiiii.num_agpr, 0
	.set _Z19_skinny_gemm_kernelILi3ELi4ELi3ELi16ELi4EEvPKhS1_P6__halfPKfiiiiiiii.numbered_sgpr, 69
	.set _Z19_skinny_gemm_kernelILi3ELi4ELi3ELi16ELi4EEvPKhS1_P6__halfPKfiiiiiiii.num_named_barrier, 0
	.set _Z19_skinny_gemm_kernelILi3ELi4ELi3ELi16ELi4EEvPKhS1_P6__halfPKfiiiiiiii.private_seg_size, 0
	.set _Z19_skinny_gemm_kernelILi3ELi4ELi3ELi16ELi4EEvPKhS1_P6__halfPKfiiiiiiii.uses_vcc, 1
	.set _Z19_skinny_gemm_kernelILi3ELi4ELi3ELi16ELi4EEvPKhS1_P6__halfPKfiiiiiiii.uses_flat_scratch, 0
	.set _Z19_skinny_gemm_kernelILi3ELi4ELi3ELi16ELi4EEvPKhS1_P6__halfPKfiiiiiiii.has_dyn_sized_stack, 0
	.set _Z19_skinny_gemm_kernelILi3ELi4ELi3ELi16ELi4EEvPKhS1_P6__halfPKfiiiiiiii.has_recursion, 0
	.set _Z19_skinny_gemm_kernelILi3ELi4ELi3ELi16ELi4EEvPKhS1_P6__halfPKfiiiiiiii.has_indirect_call, 0
	.section	.AMDGPU.csdata,"",@progbits
; Kernel info:
; codeLenInByte = 7000
; TotalNumSgprs: 75
; NumVgprs: 116
; NumAgprs: 0
; TotalNumVgprs: 116
; ScratchSize: 0
; MemoryBound: 0
; FloatMode: 240
; IeeeMode: 1
; LDSByteSize: 43092 bytes/workgroup (compile time only)
; SGPRBlocks: 9
; VGPRBlocks: 14
; NumSGPRsForWavesPerEU: 75
; NumVGPRsForWavesPerEU: 116
; AccumOffset: 116
; Occupancy: 4
; WaveLimiterHint : 0
; COMPUTE_PGM_RSRC2:SCRATCH_EN: 0
; COMPUTE_PGM_RSRC2:USER_SGPR: 2
; COMPUTE_PGM_RSRC2:TRAP_HANDLER: 0
; COMPUTE_PGM_RSRC2:TGID_X_EN: 1
; COMPUTE_PGM_RSRC2:TGID_Y_EN: 0
; COMPUTE_PGM_RSRC2:TGID_Z_EN: 0
; COMPUTE_PGM_RSRC2:TIDIG_COMP_CNT: 0
; COMPUTE_PGM_RSRC3_GFX90A:ACCUM_OFFSET: 28
; COMPUTE_PGM_RSRC3_GFX90A:TG_SPLIT: 0
	.section	.text._Z19_skinny_gemm_kernelILi3ELi4ELi3ELi32ELi4EEvPKhS1_P6__halfPKfiiiiiiii,"axG",@progbits,_Z19_skinny_gemm_kernelILi3ELi4ELi3ELi32ELi4EEvPKhS1_P6__halfPKfiiiiiiii,comdat
	.protected	_Z19_skinny_gemm_kernelILi3ELi4ELi3ELi32ELi4EEvPKhS1_P6__halfPKfiiiiiiii ; -- Begin function _Z19_skinny_gemm_kernelILi3ELi4ELi3ELi32ELi4EEvPKhS1_P6__halfPKfiiiiiiii
	.globl	_Z19_skinny_gemm_kernelILi3ELi4ELi3ELi32ELi4EEvPKhS1_P6__halfPKfiiiiiiii
	.p2align	8
	.type	_Z19_skinny_gemm_kernelILi3ELi4ELi3ELi32ELi4EEvPKhS1_P6__halfPKfiiiiiiii,@function
_Z19_skinny_gemm_kernelILi3ELi4ELi3ELi32ELi4EEvPKhS1_P6__halfPKfiiiiiiii: ; @_Z19_skinny_gemm_kernelILi3ELi4ELi3ELi32ELi4EEvPKhS1_P6__halfPKfiiiiiiii
; %bb.0:
	v_cmp_gt_u32_e32 vcc, 21, v0
	s_and_saveexec_b64 s[4:5], vcc
; %bb.1:
	v_lshlrev_b32_e32 v1, 2, v0
	v_mov_b32_e32 v2, 0
	ds_write_b32 v1, v2 offset:43008
; %bb.2:
	s_or_b64 exec, exec, s[4:5]
	s_load_dwordx8 s[20:27], s[0:1], 0x20
	s_waitcnt lgkmcnt(0)
	s_barrier
	s_add_i32 s3, s20, 0x5f
	s_mul_hi_i32 s3, s3, 0x2aaaaaab
	s_add_i32 s4, s21, 0x7f
	s_lshr_b32 s5, s3, 31
	s_ashr_i32 s3, s3, 4
	s_add_i32 s12, s3, s5
	s_ashr_i32 s3, s4, 31
	s_lshr_b32 s3, s3, 25
	s_add_i32 s4, s4, s3
	s_ashr_i32 s14, s4, 7
	s_mul_i32 s3, s14, s12
	s_mul_i32 s3, s3, s24
	s_add_i32 s4, s3, 0x12f
	s_mul_hi_i32 s4, s4, 0x6bca1af3
	s_lshr_b32 s5, s4, 31
	s_ashr_i32 s4, s4, 7
	s_add_i32 s4, s4, s5
	s_add_i32 s5, s2, 1
	s_mul_i32 s5, s4, s5
	v_cvt_f64_i32_e32 v[2:3], s3
	v_cvt_f64_u32_e32 v[4:5], s5
	v_min_f64 v[2:3], v[2:3], v[4:5]
	v_cvt_i32_f64_e32 v78, v[2:3]
	s_mul_i32 s33, s4, s2
	v_cmp_ge_i32_e32 vcc, s33, v78
	s_cbranch_vccnz .LBB295_54
; %bb.3:
	s_load_dwordx8 s[72:79], s[0:1], 0x0
	v_lshrrev_b32_e32 v1, 6, v0
	s_add_i32 s0, s26, s25
	v_cmp_le_i32_e64 s[18:19], s0, v1
	v_mov_b32_e32 v2, s25
	v_cmp_le_i32_e64 s[28:29], s25, v1
	v_mov_b32_e32 v3, s26
	v_cndmask_b32_e64 v3, 0, v3, s[18:19]
	v_cndmask_b32_e64 v2, 0, v2, s[28:29]
	s_abs_i32 s1, s24
	v_add_u32_e32 v2, v2, v3
	v_cvt_f32_u32_e32 v3, s1
	v_sub_u32_e32 v72, v1, v2
	s_ashr_i32 s2, s22, 31
	s_lshr_b32 s2, s2, 26
	v_rcp_iflag_f32_e32 v2, v3
	s_sub_i32 s5, 0, s1
	s_add_i32 s2, s22, s2
	s_ashr_i32 s2, s2, 6
	v_mul_f32_e32 v2, 0x4f7ffffe, v2
	v_cvt_u32_f32_e32 v2, v2
	s_abs_i32 s4, s2
	s_xor_b32 s3, s2, s24
	s_ashr_i32 s3, s3, 31
	v_readfirstlane_b32 s6, v2
	s_mul_i32 s5, s5, s6
	s_mul_hi_u32 s5, s6, s5
	s_add_i32 s6, s6, s5
	s_mul_hi_u32 s5, s4, s6
	s_mul_i32 s6, s5, s1
	s_sub_i32 s4, s4, s6
	s_add_i32 s6, s5, 1
	s_sub_i32 s7, s4, s1
	s_cmp_ge_u32 s4, s1
	s_cselect_b32 s5, s6, s5
	s_cselect_b32 s4, s7, s4
	s_add_i32 s6, s5, 1
	s_cmp_ge_u32 s4, s1
	s_cselect_b32 s1, s6, s5
	s_add_i32 s0, s0, s27
	v_and_b32_e32 v80, 31, v0
	v_lshrrev_b32_e32 v2, 3, v0
	v_cmp_gt_i32_e64 s[34:35], s0, v1
	v_lshlrev_b32_e32 v1, 2, v80
	v_and_b32_e32 v3, 4, v2
	v_lshlrev_b32_e32 v2, 6, v3
	v_or_b32_e32 v4, 0x6000, v1
	v_and_b32_e32 v5, 1, v0
	v_or_b32_e32 v81, v4, v2
	v_or_b32_e32 v82, v1, v2
	v_lshlrev_b32_e32 v2, 1, v5
	v_lshrrev_b32_e32 v7, 1, v0
	s_abs_i32 s97, s12
	v_sub_u32_e32 v2, v0, v2
	v_and_b32_e32 v66, 16, v7
	v_cvt_f32_u32_e32 v7, s97
	v_add_u32_e32 v2, 1, v2
	v_and_b32_e32 v6, 63, v2
	v_bitop3_b32 v83, v0, 1, v0 bitop3:0xc
	v_bitop3_b32 v84, v0, 3, 1 bitop3:0x6c
	;; [unrolled: 1-line block ×8, first 2 shown]
	v_and_b32_e32 v2, 30, v0
	v_lshlrev_b32_e32 v0, 4, v0
                                        ; implicit-def: $vgpr127 : SGPR spill to VGPR lane
	v_and_b32_e32 v0, 0x200, v0
	v_writelane_b32 v127, s12, 0
	v_or_b32_e32 v94, v1, v0
	v_rcp_iflag_f32_e32 v1, v7
	v_writelane_b32 v127, s14, 1
	s_waitcnt lgkmcnt(0)
	v_writelane_b32 v127, s72, 2
	s_abs_i32 s98, s14
	v_or_b32_e32 v96, v4, v0
	v_writelane_b32 v127, s73, 3
	v_writelane_b32 v127, s74, 4
	v_mul_f32_e32 v0, 0x4f7ffffe, v1
	v_cvt_f32_u32_e32 v1, s98
	v_writelane_b32 v127, s75, 5
	v_writelane_b32 v127, s76, 6
	;; [unrolled: 1-line block ×4, first 2 shown]
	v_cvt_u32_f32_e32 v0, v0
	v_rcp_iflag_f32_e32 v1, v1
	v_writelane_b32 v127, s79, 9
	v_cndmask_b32_e64 v79, 0, 1, s[18:19]
	s_xor_b32 s1, s1, s3
	v_writelane_b32 v127, s18, 10
	s_sub_i32 s15, s1, s3
	s_add_i32 s30, s24, -1
	v_writelane_b32 v127, s19, 11
	s_mul_i32 s1, s15, s30
	v_writelane_b32 v127, s28, 12
	s_sub_i32 s31, s2, s1
	v_readfirstlane_b32 s1, v0
	v_mul_f32_e32 v0, 0x4f7ffffe, v1
	v_writelane_b32 v127, s29, 13
	v_cvt_u32_f32_e32 v0, v0
	v_writelane_b32 v127, s15, 14
	s_sub_i32 s0, 0, s97
	v_writelane_b32 v127, s30, 15
	s_mul_i32 s0, s0, s1
	v_writelane_b32 v127, s31, 16
	s_mul_hi_u32 s0, s1, s0
	v_writelane_b32 v127, s34, 17
	s_ashr_i32 s36, s12, 31
	s_add_i32 s37, s1, s0
	s_sub_i32 s0, 0, s98
	v_readfirstlane_b32 s1, v0
	v_writelane_b32 v127, s35, 18
	s_mul_i32 s0, s0, s1
	v_mbcnt_lo_u32_b32 v0, -1, 0
	v_writelane_b32 v127, s36, 19
	s_ashr_i32 s38, s14, 31
	s_mul_hi_u32 s0, s1, s0
	v_mbcnt_hi_u32_b32 v0, -1, v0
	v_writelane_b32 v127, s37, 20
	v_mov_b32_e32 v65, 0
	v_mul_lo_u32 v68, s23, v80
	v_or_b32_e32 v97, v5, v3
	s_add_i32 s39, s1, s0
	v_and_or_b32 v0, v0, 64, v6
	v_writelane_b32 v127, s38, 21
	v_ashrrev_i32_e32 v69, 31, v68
	v_mov_b32_e32 v67, v65
	s_lshl_b32 s24, s23, 5
	v_mul_lo_u32 v95, s22, v80
	v_or_b32_e32 v98, 2, v97
	v_lshlrev_b32_e32 v64, 1, v2
	v_lshlrev_b32_e32 v99, 2, v0
	v_mov_b32_e32 v100, v72
	v_writelane_b32 v127, s39, 22
	s_branch .LBB295_7
.LBB295_4:                              ;   in Loop: Header=BB295_7 Depth=1
	s_or_b64 exec, exec, s[4:5]
.LBB295_5:                              ;   in Loop: Header=BB295_7 Depth=1
	s_or_b64 exec, exec, s[2:3]
	v_subrev_u32_e32 v100, s10, v100
.LBB295_6:                              ;   in Loop: Header=BB295_7 Depth=1
	s_or_b64 exec, exec, s[0:1]
	s_add_i32 s33, s33, 1
	v_cmp_ge_i32_e32 vcc, s33, v78
	s_cbranch_vccnz .LBB295_54
.LBB295_7:                              ; =>This Loop Header: Depth=1
                                        ;     Child Loop BB295_13 Depth 2
                                        ;       Child Loop BB295_15 Depth 3
                                        ;       Child Loop BB295_18 Depth 3
	;; [unrolled: 1-line block ×5, first 2 shown]
                                        ;     Child Loop BB295_32 Depth 2
                                        ;     Child Loop BB295_41 Depth 2
                                        ;       Child Loop BB295_43 Depth 3
                                        ;     Child Loop BB295_51 Depth 2
                                        ;       Child Loop BB295_53 Depth 3
	s_abs_i32 s1, s33
	s_mul_hi_u32 s2, s1, s37
	s_mul_i32 s3, s2, s97
	s_ashr_i32 s0, s33, 31
	s_sub_i32 s1, s1, s3
	s_xor_b32 s0, s0, s36
	s_add_i32 s3, s2, 1
	s_sub_i32 s4, s1, s97
	s_cmp_ge_u32 s1, s97
	s_cselect_b32 s2, s3, s2
	s_cselect_b32 s1, s4, s1
	s_add_i32 s3, s2, 1
	s_cmp_ge_u32 s1, s97
	s_cselect_b32 s1, s3, s2
	s_xor_b32 s1, s1, s0
	s_sub_i32 s0, s1, s0
	s_abs_i32 s2, s0
	s_mul_hi_u32 s3, s2, s39
	s_mul_i32 s1, s0, s12
	s_mul_i32 s4, s3, s98
	s_sub_i32 s99, s33, s1
	s_ashr_i32 s1, s0, 31
	s_sub_i32 s2, s2, s4
	s_xor_b32 s1, s1, s38
	s_add_i32 s4, s3, 1
	s_sub_i32 s5, s2, s98
	s_cmp_ge_u32 s2, s98
	s_cselect_b32 s3, s4, s3
	s_cselect_b32 s2, s5, s2
	s_add_i32 s4, s3, 1
	s_cmp_ge_u32 s2, s98
	s_cselect_b32 s2, s4, s3
	s_xor_b32 s2, s2, s1
	s_sub_i32 s1, s2, s1
	s_mul_i32 s2, s1, s15
	s_lshl_b32 s44, s2, 6
	s_mulk_i32 s99, 0x60
	s_cmp_eq_u32 s1, s30
	s_cselect_b32 s4, s31, s15
	s_sub_i32 s2, s99, s20
	s_addk_i32 s2, 0x60
	s_max_i32 s96, s2, 0
	s_and_saveexec_b64 s[2:3], s[28:29]
	s_xor_b64 s[46:47], exec, s[2:3]
	s_cbranch_execz .LBB295_47
; %bb.8:                                ;   in Loop: Header=BB295_7 Depth=1
	s_mul_i32 s1, s1, s14
	s_sub_i32 s0, s0, s1
	s_lshl_b32 s0, s0, 7
	s_sub_i32 s5, s0, s21
	s_addk_i32 s5, 0x80
	s_max_i32 s1, s5, 0
	s_sub_i32 s0, s0, s1
	s_and_saveexec_b64 s[2:3], s[18:19]
	s_xor_b64 s[2:3], exec, s[2:3]
	s_cbranch_execz .LBB295_37
; %bb.9:                                ;   in Loop: Header=BB295_7 Depth=1
	s_and_saveexec_b64 s[48:49], s[34:35]
	s_cbranch_execz .LBB295_36
; %bb.10:                               ;   in Loop: Header=BB295_7 Depth=1
	global_load_dword v101, v65, s[78:79]
	v_mov_b32_e32 v63, 0
	v_cmp_gt_i32_e32 vcc, s4, v100
	v_mov_b32_e32 v62, v63
	v_mov_b32_e32 v61, v63
	v_mov_b32_e32 v60, v63
	v_mov_b32_e32 v59, v63
	v_mov_b32_e32 v58, v63
	v_mov_b32_e32 v57, v63
	v_mov_b32_e32 v56, v63
	v_mov_b32_e32 v55, v63
	v_mov_b32_e32 v54, v63
	v_mov_b32_e32 v53, v63
	v_mov_b32_e32 v52, v63
	v_mov_b32_e32 v51, v63
	v_mov_b32_e32 v50, v63
	v_mov_b32_e32 v49, v63
	v_mov_b32_e32 v48, v63
	v_mov_b32_e32 v47, v63
	v_mov_b32_e32 v46, v63
	v_mov_b32_e32 v45, v63
	v_mov_b32_e32 v44, v63
	v_mov_b32_e32 v43, v63
	v_mov_b32_e32 v42, v63
	v_mov_b32_e32 v41, v63
	v_mov_b32_e32 v40, v63
	v_mov_b32_e32 v39, v63
	v_mov_b32_e32 v38, v63
	v_mov_b32_e32 v37, v63
	v_mov_b32_e32 v36, v63
	v_mov_b32_e32 v35, v63
	v_mov_b32_e32 v34, v63
	v_mov_b32_e32 v33, v63
	v_mov_b32_e32 v32, v63
	v_mov_b32_e32 v31, v63
	v_mov_b32_e32 v30, v63
	v_mov_b32_e32 v29, v63
	v_mov_b32_e32 v28, v63
	v_mov_b32_e32 v27, v63
	v_mov_b32_e32 v26, v63
	v_mov_b32_e32 v25, v63
	v_mov_b32_e32 v24, v63
	v_mov_b32_e32 v23, v63
	v_mov_b32_e32 v22, v63
	v_mov_b32_e32 v21, v63
	v_mov_b32_e32 v20, v63
	v_mov_b32_e32 v19, v63
	v_mov_b32_e32 v18, v63
	v_mov_b32_e32 v17, v63
	v_mov_b32_e32 v16, v63
	v_mov_b32_e32 v15, v63
	v_mov_b32_e32 v14, v63
	v_mov_b32_e32 v13, v63
	v_mov_b32_e32 v12, v63
	v_mov_b32_e32 v11, v63
	v_mov_b32_e32 v10, v63
	v_mov_b32_e32 v9, v63
	v_mov_b32_e32 v8, v63
	v_mov_b32_e32 v7, v63
	v_mov_b32_e32 v6, v63
	v_mov_b32_e32 v5, v63
	v_mov_b32_e32 v4, v63
	v_mov_b32_e32 v3, v63
	v_mov_b32_e32 v2, v63
	v_mov_b32_e32 v1, v63
	v_mov_b32_e32 v0, v63
	s_and_saveexec_b64 s[6:7], vcc
	s_cbranch_execz .LBB295_29
; %bb.11:                               ;   in Loop: Header=BB295_7 Depth=1
	v_mov_b32_e32 v0, 0
	s_mov_b64 s[8:9], 0
	v_mov_b32_e32 v1, v0
	v_mov_b32_e32 v2, v0
	;; [unrolled: 1-line block ×63, first 2 shown]
	s_branch .LBB295_13
.LBB295_12:                             ;   in Loop: Header=BB295_13 Depth=2
	s_or_b64 exec, exec, s[10:11]
	v_add_u32_e32 v108, 0x1800, v105
	ds_read2_b32 v[106:107], v108 offset1:32
	v_add_u32_e32 v100, s27, v100
	s_waitcnt lgkmcnt(0)
	v_mfma_f32_32x32x16_fp8_fp8 v[0:15], v[76:77], v[106:107], v[0:15]
	ds_read2_b32 v[76:77], v108 offset0:128 offset1:160
	s_waitcnt lgkmcnt(0)
	v_mfma_f32_32x32x16_fp8_fp8 v[0:15], v[74:75], v[76:77], v[0:15]
	v_add_u32_e32 v76, 0x1c00, v105
	ds_read2_b32 v[74:75], v76 offset1:32
	ds_read2_b32 v[76:77], v76 offset0:128 offset1:160
	ds_write_b32 v103, v104 offset:43036
	s_waitcnt lgkmcnt(2)
	v_mfma_f32_32x32x16_fp8_fp8 v[0:15], v[72:73], v[74:75], v[0:15]
	v_add_u32_e32 v72, s27, v102
	v_add_u32_e32 v73, 2, v79
	v_cmp_lt_i32_e32 vcc, 2, v72
	s_nop 1
	v_cndmask_b32_e32 v79, v79, v73, vcc
	v_cmp_le_i32_e32 vcc, s4, v100
	s_waitcnt lgkmcnt(1)
	v_mfma_f32_32x32x16_fp8_fp8 v[0:15], v[70:71], v[76:77], v[0:15]
	s_or_b64 s[8:9], vcc, s[8:9]
	s_andn2_b64 exec, exec, s[8:9]
	s_cbranch_execz .LBB295_28
.LBB295_13:                             ;   Parent Loop BB295_7 Depth=1
                                        ; =>  This Loop Header: Depth=2
                                        ;       Child Loop BB295_15 Depth 3
                                        ;       Child Loop BB295_18 Depth 3
	;; [unrolled: 1-line block ×5, first 2 shown]
	v_cmp_gt_i32_e32 vcc, 3, v72
	s_nop 1
	v_cndmask_b32_e64 v70, -3, 0, vcc
	v_add_u32_e32 v102, v70, v72
	v_lshlrev_b32_e32 v103, 5, v102
	ds_read_b32 v70, v103 offset:43008
	s_waitcnt lgkmcnt(0)
	v_cmp_ne_u32_e32 vcc, v70, v79
	s_and_saveexec_b64 s[10:11], vcc
	s_cbranch_execz .LBB295_16
; %bb.14:                               ;   in Loop: Header=BB295_13 Depth=2
	s_mov_b64 s[12:13], 0
.LBB295_15:                             ;   Parent Loop BB295_7 Depth=1
                                        ;     Parent Loop BB295_13 Depth=2
                                        ; =>    This Inner Loop Header: Depth=3
	;;#ASMSTART
	s_sleep 0
	;;#ASMEND
	ds_read_b32 v70, v103 offset:43008
	s_waitcnt lgkmcnt(0)
	v_cmp_eq_u32_e32 vcc, v70, v79
	s_or_b64 s[12:13], vcc, s[12:13]
	s_andn2_b64 exec, exec, s[12:13]
	s_cbranch_execnz .LBB295_15
.LBB295_16:                             ;   in Loop: Header=BB295_13 Depth=2
	s_or_b64 exec, exec, s[10:11]
	v_lshl_add_u32 v70, v102, 11, v81
	ds_read2_b32 v[76:77], v70 offset1:32
	ds_read2_b32 v[74:75], v70 offset0:128 offset1:160
	v_add_u32_e32 v70, 0x400, v70
	ds_read2_b32 v[72:73], v70 offset1:32
	ds_read_b32 v105, v103 offset:43012
	ds_read2_b32 v[70:71], v70 offset0:128 offset1:160
	v_add_u32_e32 v104, 1, v79
	ds_write_b32 v103, v104 offset:43008
	s_waitcnt lgkmcnt(2)
	v_cmp_ne_u32_e32 vcc, v105, v79
	s_and_saveexec_b64 s[10:11], vcc
	s_cbranch_execz .LBB295_19
; %bb.17:                               ;   in Loop: Header=BB295_13 Depth=2
	s_mov_b64 s[12:13], 0
.LBB295_18:                             ;   Parent Loop BB295_7 Depth=1
                                        ;     Parent Loop BB295_13 Depth=2
                                        ; =>    This Inner Loop Header: Depth=3
	;;#ASMSTART
	s_sleep 0
	;;#ASMEND
	ds_read_b32 v105, v103 offset:43012
	s_waitcnt lgkmcnt(0)
	v_cmp_eq_u32_e32 vcc, v105, v79
	s_or_b64 s[12:13], vcc, s[12:13]
	s_andn2_b64 exec, exec, s[12:13]
	s_cbranch_execnz .LBB295_18
.LBB295_19:                             ;   in Loop: Header=BB295_13 Depth=2
	s_or_b64 exec, exec, s[10:11]
	v_lshlrev_b32_e32 v105, 13, v102
	v_or_b32_e32 v108, v82, v105
	ds_read2_b32 v[106:107], v108 offset1:32
	ds_write_b32 v103, v104 offset:43012
	s_waitcnt lgkmcnt(1)
	v_mfma_f32_32x32x16_fp8_fp8 v[48:63], v[76:77], v[106:107], v[48:63]
	ds_read2_b32 v[106:107], v108 offset0:128 offset1:160
	v_add_u32_e32 v108, 0x400, v108
	s_waitcnt lgkmcnt(0)
	v_mfma_f32_32x32x16_fp8_fp8 v[48:63], v[74:75], v[106:107], v[48:63]
	ds_read2_b32 v[106:107], v108 offset1:32
	s_waitcnt lgkmcnt(0)
	v_mfma_f32_32x32x16_fp8_fp8 v[48:63], v[72:73], v[106:107], v[48:63]
	ds_read2_b32 v[106:107], v108 offset0:128 offset1:160
	ds_read_b32 v108, v103 offset:43020
	s_waitcnt lgkmcnt(0)
	v_cmp_ne_u32_e32 vcc, v108, v79
	v_mfma_f32_32x32x16_fp8_fp8 v[48:63], v[70:71], v[106:107], v[48:63]
	s_and_saveexec_b64 s[10:11], vcc
	s_cbranch_execz .LBB295_22
; %bb.20:                               ;   in Loop: Header=BB295_13 Depth=2
	s_mov_b64 s[12:13], 0
.LBB295_21:                             ;   Parent Loop BB295_7 Depth=1
                                        ;     Parent Loop BB295_13 Depth=2
                                        ; =>    This Inner Loop Header: Depth=3
	;;#ASMSTART
	s_sleep 0
	;;#ASMEND
	ds_read_b32 v106, v103 offset:43020
	s_waitcnt lgkmcnt(0)
	v_cmp_eq_u32_e32 vcc, v106, v79
	s_or_b64 s[12:13], vcc, s[12:13]
	s_andn2_b64 exec, exec, s[12:13]
	s_cbranch_execnz .LBB295_21
.LBB295_22:                             ;   in Loop: Header=BB295_13 Depth=2
	s_or_b64 exec, exec, s[10:11]
	v_add_u32_e32 v105, v82, v105
	v_add_u32_e32 v108, 0x800, v105
	ds_read2_b32 v[106:107], v108 offset1:32
	ds_write_b32 v103, v104 offset:43020
	s_waitcnt lgkmcnt(1)
	v_mfma_f32_32x32x16_fp8_fp8 v[32:47], v[76:77], v[106:107], v[32:47]
	ds_read2_b32 v[106:107], v108 offset0:128 offset1:160
	v_add_u32_e32 v108, 0xc00, v105
	s_waitcnt lgkmcnt(0)
	v_mfma_f32_32x32x16_fp8_fp8 v[32:47], v[74:75], v[106:107], v[32:47]
	ds_read2_b32 v[106:107], v108 offset1:32
	s_waitcnt lgkmcnt(0)
	v_mfma_f32_32x32x16_fp8_fp8 v[32:47], v[72:73], v[106:107], v[32:47]
	ds_read2_b32 v[106:107], v108 offset0:128 offset1:160
	ds_read_b32 v108, v103 offset:43028
	s_waitcnt lgkmcnt(0)
	v_cmp_ne_u32_e32 vcc, v108, v79
	v_mfma_f32_32x32x16_fp8_fp8 v[32:47], v[70:71], v[106:107], v[32:47]
	s_and_saveexec_b64 s[10:11], vcc
	s_cbranch_execz .LBB295_25
; %bb.23:                               ;   in Loop: Header=BB295_13 Depth=2
	s_mov_b64 s[12:13], 0
.LBB295_24:                             ;   Parent Loop BB295_7 Depth=1
                                        ;     Parent Loop BB295_13 Depth=2
                                        ; =>    This Inner Loop Header: Depth=3
	;;#ASMSTART
	s_sleep 0
	;;#ASMEND
	ds_read_b32 v106, v103 offset:43028
	s_waitcnt lgkmcnt(0)
	v_cmp_eq_u32_e32 vcc, v106, v79
	s_or_b64 s[12:13], vcc, s[12:13]
	s_andn2_b64 exec, exec, s[12:13]
	s_cbranch_execnz .LBB295_24
.LBB295_25:                             ;   in Loop: Header=BB295_13 Depth=2
	s_or_b64 exec, exec, s[10:11]
	v_add_u32_e32 v108, 0x1000, v105
	ds_read2_b32 v[106:107], v108 offset1:32
	s_waitcnt lgkmcnt(0)
	v_mfma_f32_32x32x16_fp8_fp8 v[16:31], v[76:77], v[106:107], v[16:31]
	ds_read2_b32 v[106:107], v108 offset0:128 offset1:160
	v_add_u32_e32 v108, 0x1400, v105
	s_waitcnt lgkmcnt(0)
	v_mfma_f32_32x32x16_fp8_fp8 v[16:31], v[74:75], v[106:107], v[16:31]
	ds_read2_b32 v[106:107], v108 offset1:32
	s_waitcnt lgkmcnt(0)
	v_mfma_f32_32x32x16_fp8_fp8 v[16:31], v[72:73], v[106:107], v[16:31]
	ds_read_b32 v109, v103 offset:43036
	ds_read2_b32 v[106:107], v108 offset0:128 offset1:160
	ds_write_b32 v103, v104 offset:43028
	s_waitcnt lgkmcnt(2)
	v_cmp_ne_u32_e32 vcc, v109, v79
	s_waitcnt lgkmcnt(1)
	v_mfma_f32_32x32x16_fp8_fp8 v[16:31], v[70:71], v[106:107], v[16:31]
	s_and_saveexec_b64 s[10:11], vcc
	s_cbranch_execz .LBB295_12
; %bb.26:                               ;   in Loop: Header=BB295_13 Depth=2
	s_mov_b64 s[12:13], 0
.LBB295_27:                             ;   Parent Loop BB295_7 Depth=1
                                        ;     Parent Loop BB295_13 Depth=2
                                        ; =>    This Inner Loop Header: Depth=3
	;;#ASMSTART
	s_sleep 0
	;;#ASMEND
	ds_read_b32 v106, v103 offset:43036
	s_waitcnt lgkmcnt(0)
	v_cmp_eq_u32_e32 vcc, v106, v79
	s_or_b64 s[12:13], vcc, s[12:13]
	s_andn2_b64 exec, exec, s[12:13]
	s_cbranch_execnz .LBB295_27
	s_branch .LBB295_12
.LBB295_28:                             ;   in Loop: Header=BB295_7 Depth=1
	s_or_b64 exec, exec, s[8:9]
.LBB295_29:                             ;   in Loop: Header=BB295_7 Depth=1
	v_writelane_b32 v127, s48, 23
	s_nop 1
	v_writelane_b32 v127, s49, 24
	v_writelane_b32 v127, s46, 25
	s_nop 1
	v_writelane_b32 v127, s47, 26
	v_writelane_b32 v127, s44, 27
	s_or_b64 exec, exec, s[6:7]
	v_cmp_le_i32_e32 vcc, s5, v80
	v_cmp_eq_u32_e64 s[64:65], 1, v83
	v_cmp_eq_u32_e64 s[30:31], 2, v83
	s_waitcnt vmcnt(0)
	v_cndmask_b32_e32 v70, 0, v101, vcc
	v_pk_mul_f32 v[48:49], v[70:71], v[48:49] op_sel_hi:[0,1]
	v_pk_mul_f32 v[62:63], v[70:71], v[62:63] op_sel_hi:[0,1]
	;; [unrolled: 1-line block ×8, first 2 shown]
	v_cndmask_b32_e64 v70, v48, v49, s[64:65]
	v_cndmask_b32_e64 v70, v70, v50, s[30:31]
	v_cmp_eq_u32_e64 s[40:41], 3, v83
	v_cmp_eq_u32_e64 s[42:43], 4, v83
	v_cmp_eq_u32_e64 s[44:45], 5, v83
	v_cndmask_b32_e64 v70, v70, v51, s[40:41]
	v_cndmask_b32_e64 v70, v70, v52, s[42:43]
	v_cndmask_b32_e64 v70, v70, v53, s[44:45]
	v_cmp_eq_u32_e64 s[46:47], 6, v83
	v_cmp_eq_u32_e64 s[48:49], 7, v83
	v_cmp_eq_u32_e64 s[50:51], 8, v83
	v_cndmask_b32_e64 v70, v70, v54, s[46:47]
	;; [unrolled: 6-line block ×4, first 2 shown]
	v_cndmask_b32_e64 v70, v70, v61, s[60:61]
	v_cndmask_b32_e64 v70, v70, v62, s[62:63]
	v_cmp_eq_u32_e64 s[66:67], 15, v83
	s_mul_i32 s6, s99, s21
	s_ashr_i32 s7, s6, 31
	v_cndmask_b32_e64 v70, v70, v63, s[66:67]
	ds_bpermute_b32 v70, v99, v70
	s_lshl_b64 s[6:7], s[6:7], 1
	v_cmp_eq_u32_e64 s[36:37], 0, v83
	s_add_u32 s70, s76, s6
	v_cmp_eq_u32_e32 vcc, 1, v84
	s_waitcnt lgkmcnt(0)
	v_cndmask_b32_e64 v63, v63, v70, s[66:67]
	v_cndmask_b32_e64 v62, v62, v70, s[62:63]
	;; [unrolled: 1-line block ×16, first 2 shown]
	s_addc_u32 s71, s77, s7
	v_cndmask_b32_e32 v48, v70, v103, vcc
	v_cmp_eq_u32_e64 s[6:7], 2, v84
	v_cmp_eq_u32_e64 s[8:9], 3, v84
	v_cmp_eq_u32_e64 s[10:11], 4, v84
	v_cndmask_b32_e64 v48, v48, v102, s[6:7]
	v_cndmask_b32_e64 v48, v48, v77, s[8:9]
	v_cndmask_b32_e64 v48, v48, v76, s[10:11]
	v_cmp_eq_u32_e64 s[12:13], 5, v84
	v_cmp_eq_u32_e64 s[14:15], 6, v84
	v_cmp_eq_u32_e64 s[16:17], 7, v84
	v_cndmask_b32_e64 v48, v48, v75, s[12:13]
	v_cndmask_b32_e64 v48, v48, v74, s[14:15]
	v_cndmask_b32_e64 v48, v48, v73, s[16:17]
	;; [unrolled: 6-line block ×4, first 2 shown]
	v_cmp_eq_u32_e64 s[34:35], 14, v84
	v_cmp_eq_u32_e64 s[38:39], 15, v84
	s_ashr_i32 s1, s0, 31
	v_cndmask_b32_e64 v48, v48, v62, s[34:35]
	v_cndmask_b32_e64 v48, v48, v63, s[38:39]
	ds_bpermute_b32 v71, v99, v48
	s_lshl_b64 s[68:69], s[0:1], 1
	s_add_u32 s68, s70, s68
	s_addc_u32 s69, s71, s69
	v_writelane_b32 v127, s68, 28
	v_or_b32_e32 v48, 32, v80
	s_waitcnt lgkmcnt(0)
	v_cndmask_b32_e64 v55, v57, v71, s[76:77]
	v_writelane_b32 v127, s69, 29
	v_cndmask_b32_e64 v57, v73, v71, s[16:17]
	v_cmp_le_i32_e64 s[68:69], s5, v48
	v_or_b32_e32 v73, 64, v80
	v_cndmask_b32_e64 v49, v63, v71, s[38:39]
	v_cndmask_b32_e64 v48, 0, v101, s[68:69]
	v_cmp_le_i32_e64 s[68:69], s5, v73
	v_or_b32_e32 v73, 0x60, v80
	v_cndmask_b32_e64 v54, v58, v71, s[78:79]
	v_cndmask_b32_e64 v58, v74, v71, s[14:15]
	;; [unrolled: 1-line block ×3, first 2 shown]
	v_cmp_le_i32_e64 s[70:71], s5, v73
	v_cmp_eq_u32_e64 s[68:69], 0, v84
	v_pk_mul_f32 v[32:33], v[48:49], v[32:33] op_sel_hi:[0,1]
	v_pk_mul_f32 v[30:31], v[74:75], v[30:31] op_sel_hi:[0,1]
	;; [unrolled: 1-line block ×9, first 2 shown]
	v_cndmask_b32_e64 v74, 0, v101, s[70:71]
	v_cndmask_b32_e64 v50, v62, v71, s[34:35]
	;; [unrolled: 1-line block ×10, first 2 shown]
	v_cndmask_b32_e32 v63, v103, v71, vcc
	v_cndmask_b32_e64 v70, v70, v71, s[68:69]
	v_pk_mul_f32 v[46:47], v[48:49], v[46:47] op_sel_hi:[0,1]
	v_pk_mul_f32 v[44:45], v[48:49], v[44:45] op_sel_hi:[0,1]
	;; [unrolled: 1-line block ×7, first 2 shown]
	v_cndmask_b32_e64 v48, v32, v33, s[64:65]
	v_cndmask_b32_e64 v71, v16, v17, s[64:65]
	v_pk_mul_f32 v[0:1], v[74:75], v[0:1] op_sel_hi:[0,1]
	v_cndmask_b32_e64 v48, v48, v34, s[30:31]
	v_cndmask_b32_e64 v71, v71, v18, s[30:31]
	v_pk_mul_f32 v[14:15], v[74:75], v[14:15] op_sel_hi:[0,1]
	v_pk_mul_f32 v[12:13], v[74:75], v[12:13] op_sel_hi:[0,1]
	;; [unrolled: 1-line block ×7, first 2 shown]
	v_cndmask_b32_e64 v74, v0, v1, s[64:65]
	v_cndmask_b32_e64 v48, v48, v35, s[40:41]
	;; [unrolled: 1-line block ×40, first 2 shown]
	ds_bpermute_b32 v48, v99, v48
	ds_bpermute_b32 v71, v99, v71
	v_cndmask_b32_e64 v74, v74, v15, s[66:67]
	ds_bpermute_b32 v74, v99, v74
	v_cmp_eq_u32_e64 s[70:71], 1, v85
	s_waitcnt lgkmcnt(2)
	v_cndmask_b32_e64 v33, v33, v48, s[64:65]
	s_waitcnt lgkmcnt(1)
	v_cndmask_b32_e64 v17, v17, v71, s[64:65]
	v_cndmask_b32_e64 v73, v70, v63, s[70:71]
	v_cmp_eq_u32_e64 s[64:65], 2, v85
	v_cndmask_b32_e64 v47, v47, v48, s[66:67]
	v_cndmask_b32_e64 v31, v31, v71, s[66:67]
	;; [unrolled: 1-line block ×3, first 2 shown]
	s_waitcnt lgkmcnt(0)
	v_cndmask_b32_e64 v15, v15, v74, s[66:67]
	v_cmp_eq_u32_e64 s[66:67], 3, v85
	v_cndmask_b32_e64 v46, v46, v48, s[62:63]
	v_cndmask_b32_e64 v30, v30, v71, s[62:63]
	v_cndmask_b32_e64 v73, v73, v61, s[66:67]
	v_cndmask_b32_e64 v14, v14, v74, s[62:63]
	v_cmp_eq_u32_e64 s[62:63], 4, v85
	v_cndmask_b32_e64 v45, v45, v48, s[60:61]
	v_cndmask_b32_e64 v29, v29, v71, s[60:61]
	v_cndmask_b32_e64 v73, v73, v60, s[62:63]
	;; [unrolled: 5-line block ×4, first 2 shown]
	v_cndmask_b32_e64 v11, v11, v74, s[56:57]
	v_cmp_eq_u32_e64 s[56:57], 7, v85
	v_cmp_eq_u32_e64 s[72:73], 8, v85
	v_cndmask_b32_e64 v41, v41, v48, s[52:53]
	v_cndmask_b32_e64 v73, v73, v57, s[56:57]
	v_cndmask_b32_e64 v73, v73, v56, s[72:73]
	v_cndmask_b32_e64 v25, v25, v71, s[52:53]
	v_cndmask_b32_e64 v9, v9, v74, s[52:53]
	v_cmp_eq_u32_e64 s[52:53], 9, v85
	v_cmp_eq_u32_e64 s[74:75], 10, v85
	v_cndmask_b32_e64 v42, v42, v48, s[54:55]
	v_cndmask_b32_e64 v73, v73, v55, s[52:53]
	;; [unrolled: 1-line block ×5, first 2 shown]
	v_cmp_eq_u32_e64 s[54:55], 11, v85
	v_cndmask_b32_e64 v39, v39, v48, s[48:49]
	v_cndmask_b32_e64 v23, v23, v71, s[48:49]
	v_cndmask_b32_e64 v7, v7, v74, s[48:49]
	v_cndmask_b32_e64 v73, v73, v53, s[54:55]
	v_cmp_eq_u32_e64 s[48:49], 12, v85
	v_cndmask_b32_e64 v37, v37, v48, s[44:45]
	v_cndmask_b32_e64 v21, v21, v71, s[44:45]
	v_cndmask_b32_e64 v73, v73, v52, s[48:49]
	v_cndmask_b32_e64 v5, v5, v74, s[44:45]
	;; [unrolled: 5-line block ×4, first 2 shown]
	v_cmp_eq_u32_e64 s[42:43], 15, v85
	v_cndmask_b32_e64 v34, v34, v48, s[30:31]
	v_cndmask_b32_e64 v18, v18, v71, s[30:31]
	;; [unrolled: 1-line block ×3, first 2 shown]
	ds_bpermute_b32 v73, v99, v73
	v_cndmask_b32_e64 v2, v2, v74, s[30:31]
	v_cmp_ne_u32_e64 s[30:31], 0, v83
	v_cndmask_b32_e64 v32, v32, v48, s[36:37]
	v_cndmask_b32_e64 v40, v40, v48, s[50:51]
	;; [unrolled: 1-line block ×6, first 2 shown]
	v_cmp_eq_u32_e64 s[50:51], 0, v85
	v_cndmask_b32_e32 v48, v32, v33, vcc
	v_cndmask_b32_e64 v0, v0, v74, s[36:37]
	s_waitcnt lgkmcnt(0)
	v_cndmask_b32_e64 v49, v49, v73, s[42:43]
	v_cndmask_b32_e64 v50, v50, v73, s[46:47]
	;; [unrolled: 1-line block ×17, first 2 shown]
	v_cndmask_b32_e32 v73, v0, v1, vcc
	v_cndmask_b32_e64 v3, v3, v74, s[40:41]
	v_cndmask_b32_e64 v48, v48, v35, s[8:9]
	;; [unrolled: 1-line block ×22, first 2 shown]
	v_cndmask_b32_e32 v71, v16, v17, vcc
	v_cndmask_b32_e64 v73, v73, v11, s[80:81]
	v_cndmask_b32_e64 v48, v48, v45, s[28:29]
	;; [unrolled: 1-line block ×10, first 2 shown]
	ds_bpermute_b32 v48, v99, v48
	v_cndmask_b32_e64 v71, v71, v21, s[12:13]
	v_cndmask_b32_e64 v73, v73, v15, s[38:39]
	;; [unrolled: 1-line block ×3, first 2 shown]
	ds_bpermute_b32 v73, v99, v73
	v_cndmask_b32_e64 v71, v71, v23, s[16:17]
	v_cndmask_b32_e64 v71, v71, v24, s[18:19]
	;; [unrolled: 1-line block ×4, first 2 shown]
	s_waitcnt lgkmcnt(1)
	v_cndmask_b32_e32 v33, v33, v48, vcc
	v_cndmask_b32_e64 v32, v32, v48, s[68:69]
	v_cndmask_b32_e64 v71, v71, v27, s[80:81]
	;; [unrolled: 1-line block ×16, first 2 shown]
	s_waitcnt lgkmcnt(0)
	v_cndmask_b32_e32 v1, v1, v73, vcc
	v_cndmask_b32_e64 v48, v32, v33, s[70:71]
	v_cndmask_b32_e64 v0, v0, v73, s[68:69]
	;; [unrolled: 1-line block ×28, first 2 shown]
	ds_bpermute_b32 v71, v99, v71
	v_cndmask_b32_e64 v48, v48, v38, s[58:59]
	v_cndmask_b32_e64 v73, v73, v5, s[60:61]
	;; [unrolled: 1-line block ×8, first 2 shown]
	v_cmp_eq_u32_e64 s[30:31], 1, v86
	v_cndmask_b32_e64 v48, v48, v42, s[74:75]
	v_cndmask_b32_e64 v73, v73, v9, s[52:53]
	;; [unrolled: 1-line block ×3, first 2 shown]
	v_cmp_eq_u32_e64 s[36:37], 2, v86
	s_waitcnt lgkmcnt(0)
	v_cndmask_b32_e32 v17, v17, v71, vcc
	v_cndmask_b32_e64 v48, v48, v43, s[54:55]
	v_cndmask_b32_e64 v16, v16, v71, s[68:69]
	;; [unrolled: 1-line block ×6, first 2 shown]
	v_cmp_eq_u32_e64 s[34:35], 3, v86
	v_cndmask_b32_e64 v29, v29, v71, s[28:29]
	v_cndmask_b32_e64 v28, v28, v71, s[82:83]
	;; [unrolled: 1-line block ×16, first 2 shown]
	v_cmp_eq_u32_e64 s[40:41], 4, v86
	v_cndmask_b32_e64 v48, v48, v45, s[44:45]
	v_cndmask_b32_e64 v71, v71, v18, s[64:65]
	v_cndmask_b32_e64 v73, v73, v12, s[48:49]
	v_cndmask_b32_e64 v74, v74, v60, s[40:41]
	v_cmp_eq_u32_e64 s[84:85], 5, v86
	v_cndmask_b32_e64 v48, v48, v46, s[46:47]
	v_cndmask_b32_e64 v71, v71, v19, s[66:67]
	v_cndmask_b32_e64 v73, v73, v13, s[44:45]
	v_cndmask_b32_e64 v74, v74, v59, s[84:85]
	;; [unrolled: 5-line block ×3, first 2 shown]
	v_cmp_eq_u32_e64 s[78:79], 7, v86
	ds_bpermute_b32 v48, v99, v48
	v_cndmask_b32_e64 v71, v71, v21, s[60:61]
	v_cndmask_b32_e64 v73, v73, v15, s[42:43]
	;; [unrolled: 1-line block ×3, first 2 shown]
	v_cmp_eq_u32_e64 s[92:93], 8, v86
	v_cndmask_b32_e64 v71, v71, v22, s[58:59]
	ds_bpermute_b32 v73, v99, v73
	v_cndmask_b32_e64 v74, v74, v56, s[92:93]
	v_cmp_eq_u32_e64 s[18:19], 9, v86
	v_cndmask_b32_e64 v71, v71, v23, s[56:57]
	v_cmp_eq_u32_e64 s[16:17], 10, v86
	v_cndmask_b32_e64 v74, v74, v55, s[18:19]
	v_cndmask_b32_e64 v71, v71, v24, s[72:73]
	;; [unrolled: 1-line block ×3, first 2 shown]
	v_cmp_eq_u32_e64 s[14:15], 11, v86
	v_cndmask_b32_e64 v71, v71, v25, s[52:53]
	v_cmp_eq_u32_e64 s[12:13], 12, v86
	v_cndmask_b32_e64 v74, v74, v53, s[14:15]
	v_cndmask_b32_e64 v71, v71, v26, s[74:75]
	s_waitcnt lgkmcnt(1)
	v_cndmask_b32_e64 v33, v33, v48, s[70:71]
	v_cndmask_b32_e64 v32, v32, v48, s[50:51]
	;; [unrolled: 1-line block ×3, first 2 shown]
	v_cmp_eq_u32_e64 s[38:39], 13, v86
	v_cndmask_b32_e64 v71, v71, v27, s[54:55]
	v_cndmask_b32_e64 v47, v47, v48, s[42:43]
	;; [unrolled: 1-line block ×15, first 2 shown]
	s_waitcnt lgkmcnt(0)
	v_cndmask_b32_e64 v1, v1, v73, s[70:71]
	v_cndmask_b32_e64 v48, v32, v33, s[30:31]
	;; [unrolled: 1-line block ×4, first 2 shown]
	v_cmp_eq_u32_e64 s[8:9], 14, v86
	v_cndmask_b32_e64 v71, v71, v28, s[48:49]
	v_cndmask_b32_e64 v15, v15, v73, s[42:43]
	;; [unrolled: 1-line block ×18, first 2 shown]
	v_cmp_eq_u32_e64 s[6:7], 15, v86
	v_cndmask_b32_e64 v71, v71, v29, s[44:45]
	v_cndmask_b32_e64 v48, v48, v35, s[34:35]
	;; [unrolled: 1-line block ×7, first 2 shown]
	ds_bpermute_b32 v74, v99, v74
	v_cndmask_b32_e64 v71, v71, v31, s[42:43]
	v_cndmask_b32_e64 v48, v48, v37, s[84:85]
	;; [unrolled: 1-line block ×3, first 2 shown]
	ds_bpermute_b32 v71, v99, v71
	v_cndmask_b32_e64 v48, v48, v38, s[88:89]
	v_cndmask_b32_e64 v73, v73, v5, s[84:85]
	;; [unrolled: 1-line block ×6, first 2 shown]
	v_cmp_eq_u32_e64 s[10:11], 0, v86
	v_cndmask_b32_e64 v48, v48, v41, s[18:19]
	v_cndmask_b32_e64 v73, v73, v8, s[92:93]
	s_waitcnt lgkmcnt(1)
	v_cndmask_b32_e64 v63, v63, v74, s[30:31]
	v_cndmask_b32_e64 v70, v70, v74, s[10:11]
	v_cmp_eq_u32_e64 s[28:29], 1, v87
	v_cndmask_b32_e64 v48, v48, v42, s[16:17]
	v_cndmask_b32_e64 v73, v73, v9, s[18:19]
	;; [unrolled: 1-line block ×17, first 2 shown]
	s_waitcnt lgkmcnt(0)
	v_cndmask_b32_e64 v31, v31, v71, s[42:43]
	v_cmp_eq_u32_e64 s[42:43], 2, v87
	v_cndmask_b32_e64 v17, v17, v71, s[70:71]
	v_cndmask_b32_e64 v48, v48, v43, s[14:15]
	;; [unrolled: 1-line block ×6, first 2 shown]
	v_cmp_eq_u32_e64 s[46:47], 3, v87
	v_cndmask_b32_e64 v29, v29, v71, s[44:45]
	v_cndmask_b32_e64 v28, v28, v71, s[48:49]
	;; [unrolled: 1-line block ×16, first 2 shown]
	v_cmp_eq_u32_e64 s[44:45], 4, v87
	v_cndmask_b32_e64 v48, v48, v45, s[38:39]
	v_cndmask_b32_e64 v71, v71, v18, s[36:37]
	v_cndmask_b32_e64 v73, v73, v12, s[12:13]
	v_cndmask_b32_e64 v74, v74, v60, s[44:45]
	v_cmp_eq_u32_e64 s[48:49], 5, v87
	v_cndmask_b32_e64 v48, v48, v46, s[8:9]
	v_cndmask_b32_e64 v71, v71, v19, s[34:35]
	v_cndmask_b32_e64 v73, v73, v13, s[38:39]
	v_cndmask_b32_e64 v74, v74, v59, s[48:49]
	;; [unrolled: 5-line block ×3, first 2 shown]
	v_cmp_eq_u32_e64 s[68:69], 7, v87
	ds_bpermute_b32 v48, v99, v48
	v_cndmask_b32_e64 v71, v71, v21, s[84:85]
	v_cndmask_b32_e64 v73, v73, v15, s[6:7]
	;; [unrolled: 1-line block ×3, first 2 shown]
	v_cmp_eq_u32_e64 s[74:75], 8, v87
	v_cndmask_b32_e64 v71, v71, v22, s[88:89]
	ds_bpermute_b32 v73, v99, v73
	v_cndmask_b32_e64 v74, v74, v56, s[74:75]
	v_cmp_eq_u32_e64 s[72:73], 9, v87
	v_cndmask_b32_e64 v71, v71, v23, s[78:79]
	v_cmp_eq_u32_e64 s[76:77], 10, v87
	v_cndmask_b32_e64 v74, v74, v55, s[72:73]
	v_cndmask_b32_e64 v71, v71, v24, s[92:93]
	;; [unrolled: 1-line block ×3, first 2 shown]
	v_cmp_eq_u32_e64 s[80:81], 11, v87
	v_cndmask_b32_e64 v71, v71, v25, s[18:19]
	v_cmp_eq_u32_e64 s[60:61], 12, v87
	v_cndmask_b32_e64 v74, v74, v53, s[80:81]
	v_cndmask_b32_e64 v71, v71, v26, s[16:17]
	s_waitcnt lgkmcnt(1)
	v_cndmask_b32_e64 v33, v33, v48, s[30:31]
	v_cndmask_b32_e64 v32, v32, v48, s[10:11]
	;; [unrolled: 1-line block ×3, first 2 shown]
	v_cmp_eq_u32_e64 s[82:83], 13, v87
	v_cndmask_b32_e64 v71, v71, v27, s[14:15]
	v_cndmask_b32_e64 v34, v34, v48, s[36:37]
	s_waitcnt lgkmcnt(0)
	v_cndmask_b32_e64 v102, v1, v73, s[30:31]
	v_cndmask_b32_e64 v1, v32, v33, s[28:29]
	;; [unrolled: 1-line block ×3, first 2 shown]
	v_cmp_eq_u32_e64 s[86:87], 14, v87
	v_cndmask_b32_e64 v71, v71, v28, s[12:13]
	v_cndmask_b32_e64 v35, v35, v48, s[34:35]
	;; [unrolled: 1-line block ×4, first 2 shown]
	v_cmp_eq_u32_e64 s[90:91], 15, v87
	v_cndmask_b32_e64 v71, v71, v29, s[38:39]
	v_cndmask_b32_e64 v36, v36, v48, s[40:41]
	;; [unrolled: 1-line block ×7, first 2 shown]
	ds_bpermute_b32 v74, v99, v74
	v_cndmask_b32_e64 v71, v71, v31, s[6:7]
	v_cndmask_b32_e64 v38, v38, v48, s[88:89]
	;; [unrolled: 1-line block ×3, first 2 shown]
	ds_bpermute_b32 v71, v99, v71
	v_cndmask_b32_e64 v39, v39, v48, s[78:79]
	v_cndmask_b32_e64 v1, v1, v38, s[54:55]
	;; [unrolled: 1-line block ×6, first 2 shown]
	v_cmp_eq_u32_e64 s[52:53], 0, v87
	v_cndmask_b32_e64 v42, v42, v48, s[16:17]
	v_cndmask_b32_e64 v1, v1, v41, s[72:73]
	s_waitcnt lgkmcnt(1)
	v_cndmask_b32_e64 v63, v63, v74, s[28:29]
	v_cndmask_b32_e64 v70, v70, v74, s[52:53]
	v_cmp_eq_u32_e32 vcc, 1, v88
	v_cndmask_b32_e64 v43, v43, v48, s[14:15]
	v_cndmask_b32_e64 v1, v1, v42, s[76:77]
	v_cndmask_b32_e64 v49, v49, v74, s[90:91]
	v_cndmask_b32_e64 v50, v50, v74, s[86:87]
	v_cndmask_b32_e64 v51, v51, v74, s[82:83]
	v_cndmask_b32_e64 v52, v52, v74, s[60:61]
	v_cndmask_b32_e64 v53, v53, v74, s[80:81]
	v_cndmask_b32_e64 v54, v54, v74, s[76:77]
	v_cndmask_b32_e64 v55, v55, v74, s[72:73]
	v_cndmask_b32_e64 v56, v56, v74, s[74:75]
	v_cndmask_b32_e64 v57, v57, v74, s[68:69]
	v_cndmask_b32_e64 v58, v58, v74, s[54:55]
	v_cndmask_b32_e64 v59, v59, v74, s[48:49]
	v_cndmask_b32_e64 v60, v60, v74, s[44:45]
	v_cndmask_b32_e64 v61, v61, v74, s[46:47]
	v_cndmask_b32_e64 v62, v62, v74, s[42:43]
	v_cndmask_b32_e32 v74, v70, v63, vcc
	v_cndmask_b32_e64 v47, v47, v48, s[6:7]
	s_waitcnt lgkmcnt(0)
	v_cndmask_b32_e64 v31, v31, v71, s[6:7]
	v_cndmask_b32_e64 v15, v15, v73, s[6:7]
	v_cmp_eq_u32_e64 s[6:7], 2, v88
	v_cndmask_b32_e64 v44, v44, v48, s[12:13]
	v_cndmask_b32_e64 v1, v1, v43, s[80:81]
	;; [unrolled: 1-line block ×6, first 2 shown]
	v_cmp_eq_u32_e64 s[8:9], 3, v88
	v_cndmask_b32_e64 v45, v45, v48, s[38:39]
	v_cndmask_b32_e64 v1, v1, v44, s[60:61]
	;; [unrolled: 1-line block ×5, first 2 shown]
	v_cmp_eq_u32_e64 s[38:39], 4, v88
	v_cndmask_b32_e64 v1, v1, v45, s[82:83]
	v_cmp_eq_u32_e64 s[50:51], 5, v88
	v_cndmask_b32_e64 v74, v74, v60, s[38:39]
	v_cndmask_b32_e64 v1, v1, v46, s[86:87]
	;; [unrolled: 1-line block ×5, first 2 shown]
	v_cmp_eq_u32_e64 s[56:57], 6, v88
	v_cndmask_b32_e64 v10, v10, v73, s[16:17]
	v_cndmask_b32_e64 v9, v9, v73, s[18:19]
	;; [unrolled: 1-line block ×14, first 2 shown]
	v_cmp_eq_u32_e64 s[58:59], 7, v88
	v_cndmask_b32_e64 v18, v18, v71, s[36:37]
	ds_bpermute_b32 v48, v99, v1
	v_cndmask_b32_e64 v1, v16, v101, s[28:29]
	v_cndmask_b32_e64 v0, v73, v102, s[28:29]
	;; [unrolled: 1-line block ×3, first 2 shown]
	v_cmp_eq_u32_e64 s[64:65], 8, v88
	v_cndmask_b32_e64 v19, v19, v71, s[34:35]
	v_cndmask_b32_e64 v1, v1, v18, s[42:43]
	v_cndmask_b32_e64 v0, v0, v2, s[42:43]
	v_cndmask_b32_e64 v74, v74, v56, s[64:65]
	v_cmp_eq_u32_e64 s[70:71], 9, v88
	v_cndmask_b32_e64 v20, v20, v71, s[40:41]
	v_cndmask_b32_e64 v1, v1, v19, s[46:47]
	v_cndmask_b32_e64 v0, v0, v3, s[46:47]
	v_cndmask_b32_e64 v74, v74, v55, s[70:71]
	v_cndmask_b32_e64 v23, v23, v71, s[78:79]
	v_cmp_eq_u32_e64 s[78:79], 10, v88
	v_cndmask_b32_e64 v21, v21, v71, s[84:85]
	;; [unrolled: 6-line block ×3, first 2 shown]
	v_cndmask_b32_e64 v0, v0, v5, s[48:49]
	v_cndmask_b32_e64 v74, v74, v53, s[66:67]
	v_cmp_eq_u32_e64 s[62:63], 12, v88
	v_cndmask_b32_e64 v1, v1, v22, s[54:55]
	v_cndmask_b32_e64 v0, v0, v6, s[54:55]
	v_cndmask_b32_e64 v24, v24, v71, s[92:93]
	v_cndmask_b32_e64 v74, v74, v52, s[62:63]
	v_cmp_eq_u32_e64 s[84:85], 13, v88
	v_cndmask_b32_e64 v1, v1, v23, s[68:69]
	v_cndmask_b32_e64 v0, v0, v7, s[68:69]
	;; [unrolled: 5-line block ×4, first 2 shown]
	v_cndmask_b32_e64 v27, v27, v71, s[14:15]
	v_cndmask_b32_e64 v74, v74, v49, s[92:93]
	;; [unrolled: 1-line block ×5, first 2 shown]
	ds_bpermute_b32 v74, v99, v74
	v_cndmask_b32_e64 v1, v1, v27, s[80:81]
	v_cndmask_b32_e64 v0, v0, v11, s[80:81]
	;; [unrolled: 1-line block ×8, first 2 shown]
	v_cmp_eq_u32_e64 s[94:95], 0, v88
	v_cndmask_b32_e64 v1, v1, v31, s[90:91]
	v_cndmask_b32_e64 v0, v0, v15, s[90:91]
	s_waitcnt lgkmcnt(0)
	v_cndmask_b32_e64 v49, v49, v74, s[92:93]
	v_cndmask_b32_e64 v50, v50, v74, s[88:89]
	;; [unrolled: 1-line block ×14, first 2 shown]
	v_cndmask_b32_e32 v63, v63, v74, vcc
	v_cndmask_b32_e64 v70, v70, v74, s[94:95]
	ds_bpermute_b32 v71, v99, v1
	ds_bpermute_b32 v74, v99, v0
	v_cndmask_b32_e64 v57, v35, v48, s[46:47]
	v_cndmask_b32_e64 v93, v36, v48, s[44:45]
	;; [unrolled: 1-line block ×3, first 2 shown]
	s_waitcnt lgkmcnt(1)
	v_cndmask_b32_e64 v107, v29, v71, s[82:83]
	s_waitcnt lgkmcnt(0)
	v_cndmask_b32_e64 v110, v12, v74, s[60:61]
	v_cndmask_b32_e64 v12, v33, v48, s[28:29]
	;; [unrolled: 1-line block ×7, first 2 shown]
	v_cndmask_b32_e32 v19, v29, v12, vcc
	v_cndmask_b32_e64 v19, v19, v4, s[6:7]
	v_cndmask_b32_e64 v19, v19, v57, s[8:9]
	;; [unrolled: 1-line block ×30, first 2 shown]
	ds_bpermute_b32 v30, v99, v19
	v_cndmask_b32_e32 v19, v16, v13, vcc
	v_cndmask_b32_e64 v19, v19, v5, s[6:7]
	v_cndmask_b32_e64 v55, v20, v71, s[44:45]
	;; [unrolled: 1-line block ×17, first 2 shown]
	v_cmp_eq_u32_e64 s[10:11], 1, v89
	v_cndmask_b32_e64 v109, v28, v71, s[60:61]
	v_cndmask_b32_e64 v19, v19, v111, s[66:67]
	v_cndmask_b32_e64 v0, v70, v63, s[10:11]
	v_cmp_eq_u32_e64 s[12:13], 2, v89
	v_cndmask_b32_e64 v19, v19, v109, s[62:63]
	v_cmp_eq_u32_e64 s[14:15], 3, v89
	v_cndmask_b32_e64 v0, v0, v62, s[12:13]
	v_cndmask_b32_e64 v19, v19, v107, s[84:85]
	;; [unrolled: 1-line block ×4, first 2 shown]
	v_cmp_eq_u32_e64 s[16:17], 4, v89
	v_cndmask_b32_e64 v19, v19, v105, s[88:89]
	v_cndmask_b32_e64 v106, v14, v74, s[86:87]
	;; [unrolled: 1-line block ×3, first 2 shown]
	v_cmp_eq_u32_e64 s[18:19], 5, v89
	v_cndmask_b32_e64 v14, v102, v74, s[28:29]
	v_cndmask_b32_e64 v19, v19, v103, s[92:93]
	;; [unrolled: 1-line block ×5, first 2 shown]
	v_cmp_eq_u32_e64 s[80:81], 6, v89
	v_cndmask_b32_e64 v125, v6, v74, s[54:55]
	v_cndmask_b32_e64 v6, v2, v74, s[42:43]
	ds_bpermute_b32 v20, v99, v19
	v_cndmask_b32_e32 v19, v21, v14, vcc
	v_cndmask_b32_e64 v0, v0, v58, s[80:81]
	v_cndmask_b32_e64 v114, v10, v74, s[76:77]
	v_cmp_eq_u32_e64 s[76:77], 7, v89
	v_cndmask_b32_e64 v3, v3, v74, s[46:47]
	v_cndmask_b32_e64 v19, v19, v6, s[6:7]
	;; [unrolled: 1-line block ×4, first 2 shown]
	v_cmp_eq_u32_e64 s[72:73], 8, v89
	v_cndmask_b32_e64 v19, v19, v3, s[8:9]
	v_cmp_eq_u32_e64 s[30:31], 9, v89
	v_cndmask_b32_e64 v0, v0, v76, s[72:73]
	v_cndmask_b32_e64 v19, v19, v56, s[38:39]
	v_cndmask_b32_e64 v0, v0, v75, s[30:31]
	v_cmp_eq_u32_e64 s[34:35], 10, v89
	v_cndmask_b32_e64 v19, v19, v92, s[50:51]
	v_cndmask_b32_e64 v122, v7, v74, s[68:69]
	;; [unrolled: 4-line block ×3, first 2 shown]
	v_cndmask_b32_e64 v0, v0, v53, s[36:37]
	v_cmp_eq_u32_e64 s[40:41], 12, v89
	v_cndmask_b32_e64 v19, v19, v122, s[58:59]
	v_cmp_eq_u32_e64 s[44:45], 13, v89
	v_cndmask_b32_e64 v0, v0, v52, s[40:41]
	v_cndmask_b32_e64 v19, v19, v119, s[64:65]
	;; [unrolled: 1-line block ×3, first 2 shown]
	v_cmp_eq_u32_e64 s[46:47], 14, v89
	v_cndmask_b32_e64 v19, v19, v116, s[70:71]
	v_cmp_eq_u32_e64 s[42:43], 15, v89
	v_cndmask_b32_e64 v0, v0, v50, s[46:47]
	v_cndmask_b32_e64 v19, v19, v114, s[78:79]
	;; [unrolled: 1-line block ×4, first 2 shown]
	ds_bpermute_b32 v0, v99, v0
	v_cndmask_b32_e64 v19, v19, v110, s[62:63]
	v_cndmask_b32_e64 v19, v19, v108, s[84:85]
	;; [unrolled: 1-line block ×4, first 2 shown]
	v_cmp_eq_u32_e64 s[28:29], 0, v89
	ds_bpermute_b32 v28, v99, v19
	s_waitcnt lgkmcnt(1)
	v_cndmask_b32_e64 v7, v49, v0, s[42:43]
	v_cndmask_b32_e64 v8, v50, v0, s[46:47]
	;; [unrolled: 1-line block ×16, first 2 shown]
	v_cmp_eq_u32_e64 s[48:49], 1, v90
	v_cmp_eq_u32_e64 s[52:53], 2, v90
	;; [unrolled: 1-line block ×3, first 2 shown]
	v_cndmask_b32_e64 v33, v0, v18, s[48:49]
	v_cndmask_b32_e64 v34, v33, v17, s[52:53]
	;; [unrolled: 1-line block ×3, first 2 shown]
	v_cmp_eq_u32_e64 s[60:61], 4, v90
	v_cndmask_b32_e64 v58, v44, v30, s[62:63]
	v_cndmask_b32_e64 v38, v109, v20, s[62:63]
	;; [unrolled: 1-line block ×3, first 2 shown]
	s_waitcnt lgkmcnt(0)
	v_cndmask_b32_e64 v35, v110, v28, s[62:63]
	v_cmp_eq_u32_e64 s[62:63], 5, v90
	v_cndmask_b32_e64 v59, v43, v30, s[66:67]
	v_cndmask_b32_e64 v48, v112, v28, s[66:67]
	;; [unrolled: 1-line block ×4, first 2 shown]
	v_cmp_eq_u32_e64 s[66:67], 6, v90
	v_cmp_eq_u32_e64 s[68:69], 7, v90
	v_cndmask_b32_e64 v60, v42, v30, s[78:79]
	v_cndmask_b32_e64 v43, v40, v26, s[66:67]
	;; [unrolled: 1-line block ×6, first 2 shown]
	v_cmp_eq_u32_e64 s[70:71], 8, v90
	v_cndmask_b32_e64 v62, v117, v30, s[64:65]
	v_cndmask_b32_e64 v51, v119, v28, s[64:65]
	v_cndmask_b32_e64 v43, v42, v24, s[70:71]
	v_cndmask_b32_e64 v42, v118, v20, s[64:65]
	v_cmp_eq_u32_e64 s[64:65], 9, v90
	v_cndmask_b32_e64 v63, v120, v30, s[58:59]
	v_cndmask_b32_e64 v52, v122, v28, s[58:59]
	v_cndmask_b32_e64 v44, v43, v23, s[64:65]
	v_cndmask_b32_e64 v43, v121, v20, s[58:59]
	;; [unrolled: 5-line block ×3, first 2 shown]
	v_cndmask_b32_e64 v44, v124, v20, s[56:57]
	v_cndmask_b32_e64 v53, v125, v28, s[56:57]
	v_cmp_eq_u32_e64 s[56:57], 11, v90
	v_cndmask_b32_e64 v73, v126, v30, s[50:51]
	v_cndmask_b32_e64 v54, v92, v28, s[50:51]
	v_cndmask_b32_e64 v71, v45, v11, s[56:57]
	v_cndmask_b32_e64 v45, v91, v20, s[50:51]
	v_cmp_eq_u32_e64 s[50:51], 12, v90
	v_cndmask_b32_e64 v74, v93, v30, s[38:39]
	v_cndmask_b32_e64 v75, v55, v20, s[38:39]
	;; [unrolled: 5-line block ×4, first 2 shown]
	v_cndmask_b32_e64 v3, v56, v8, s[8:9]
	v_cndmask_b32_e64 v56, v4, v30, s[6:7]
	v_cmp_eq_u32_e64 s[6:7], 15, v90
	v_cndmask_b32_e32 v93, v12, v30, vcc
	v_cndmask_b32_e64 v46, v46, v30, s[88:89]
	v_cndmask_b32_e64 v3, v3, v7, s[6:7]
	ds_bpermute_b32 v92, v99, v3
	v_cndmask_b32_e32 v101, v13, v20, vcc
	v_cndmask_b32_e32 v102, v14, v28, vcc
	v_cndmask_b32_e64 v16, v16, v20, s[94:95]
	v_cndmask_b32_e64 v40, v113, v20, s[78:79]
	s_waitcnt lgkmcnt(0)
	v_cndmask_b32_e64 v12, v10, v92, s[50:51]
	v_cndmask_b32_e64 v10, v22, v92, s[58:59]
	;; [unrolled: 1-line block ×20, first 2 shown]
	ds_bpermute_b32 v23, v99, v3
	v_cndmask_b32_e64 v6, v26, v92, s[66:67]
	v_cndmask_b32_e64 v4, v1, v92, s[60:61]
	;; [unrolled: 1-line block ×4, first 2 shown]
	s_waitcnt lgkmcnt(0)
	v_cndmask_b32_e64 v18, v46, v23, s[46:47]
	v_cndmask_b32_e64 v26, v59, v23, s[36:37]
	;; [unrolled: 1-line block ×36, first 2 shown]
	ds_bpermute_b32 v73, v99, v22
	v_cndmask_b32_e64 v37, v107, v20, s[84:85]
	v_cndmask_b32_e64 v36, v105, v20, s[88:89]
	v_cndmask_b32_e64 v19, v103, v20, s[92:93]
	v_cmp_eq_u32_e32 vcc, 0, v90
	s_waitcnt lgkmcnt(0)
	v_cndmask_b32_e64 v31, v17, v73, s[6:7]
	v_cndmask_b32_e64 v17, v16, v101, s[10:11]
	;; [unrolled: 1-line block ×16, first 2 shown]
	ds_bpermute_b32 v17, v99, v17
	v_cndmask_b32_e64 v11, v11, v92, s[56:57]
	v_cndmask_b32_e64 v5, v27, v92, s[62:63]
	v_cndmask_b32_e32 v0, v0, v92, vcc
	v_cndmask_b32_e64 v20, v62, v73, s[60:61]
	s_waitcnt lgkmcnt(0)
	v_cndmask_b32_e64 v62, v75, v17, s[16:17]
	v_cndmask_b32_e64 v75, v77, v17, s[12:13]
	;; [unrolled: 1-line block ×39, first 2 shown]
	ds_bpermute_b32 v93, v99, v16
	v_cndmask_b32_e64 v32, v104, v28, s[92:93]
	v_cndmask_b32_e64 v33, v106, v28, s[88:89]
	;; [unrolled: 1-line block ×6, first 2 shown]
	s_waitcnt lgkmcnt(0)
	v_cndmask_b32_e64 v47, v46, v93, s[6:7]
	v_cndmask_b32_e64 v46, v36, v93, s[8:9]
	;; [unrolled: 1-line block ×19, first 2 shown]
	ds_bpermute_b32 v56, v99, v36
	v_cndmask_b32_e64 v19, v57, v73, s[54:55]
	v_cndmask_b32_e64 v17, v63, v73, s[48:49]
	v_cndmask_b32_e32 v16, v70, v73, vcc
	v_cndmask_b32_e64 v44, v38, v93, s[50:51]
	s_waitcnt lgkmcnt(0)
	v_cndmask_b32_e64 v101, v102, v56, s[10:11]
	v_cndmask_b32_e64 v74, v74, v56, s[28:29]
	v_cndmask_b32_e64 v57, v32, v56, s[42:43]
	v_cndmask_b32_e64 v91, v91, v56, s[12:13]
	v_cndmask_b32_e64 v32, v74, v101, s[48:49]
	v_cndmask_b32_e64 v76, v76, v56, s[14:15]
	v_cndmask_b32_e64 v32, v32, v91, s[52:53]
	v_cndmask_b32_e64 v73, v55, v56, s[16:17]
	v_cndmask_b32_e64 v32, v32, v76, s[54:55]
	v_cndmask_b32_e64 v70, v54, v56, s[18:19]
	v_cndmask_b32_e64 v32, v32, v73, s[60:61]
	v_cndmask_b32_e64 v53, v53, v56, s[80:81]
	v_cndmask_b32_e64 v32, v32, v70, s[62:63]
	v_cndmask_b32_e64 v52, v52, v56, s[76:77]
	v_cndmask_b32_e64 v32, v32, v53, s[66:67]
	v_cndmask_b32_e64 v51, v51, v56, s[72:73]
	v_cndmask_b32_e64 v32, v32, v52, s[68:69]
	v_cndmask_b32_e64 v50, v50, v56, s[30:31]
	v_cndmask_b32_e64 v32, v32, v51, s[70:71]
	v_cndmask_b32_e64 v49, v49, v56, s[34:35]
	v_cndmask_b32_e64 v32, v32, v50, s[64:65]
	v_cndmask_b32_e64 v48, v48, v56, s[36:37]
	v_cndmask_b32_e64 v32, v32, v49, s[58:59]
	v_cndmask_b32_e64 v38, v60, v93, s[66:67]
	v_cndmask_b32_e64 v60, v35, v56, s[40:41]
	v_cndmask_b32_e64 v32, v32, v48, s[56:57]
	v_cndmask_b32_e64 v43, v39, v93, s[56:57]
	v_cndmask_b32_e64 v39, v59, v93, s[68:69]
	v_cndmask_b32_e64 v59, v34, v56, s[44:45]
	v_cndmask_b32_e64 v32, v32, v60, s[50:51]
	v_cndmask_b32_e64 v42, v40, v93, s[58:59]
	v_cndmask_b32_e64 v40, v58, v93, s[70:71]
	v_cndmask_b32_e64 v58, v33, v56, s[46:47]
	v_cndmask_b32_e64 v32, v32, v59, s[38:39]
	v_cndmask_b32_e64 v32, v32, v58, s[8:9]
	v_cndmask_b32_e64 v32, v32, v57, s[6:7]
	ds_bpermute_b32 v102, v99, v32
	v_cndmask_b32_e64 v36, v62, v93, s[60:61]
	v_cndmask_b32_e64 v33, v77, v93, s[48:49]
	v_readlane_b32 s18, v127, 10
	v_readlane_b32 s28, v127, 12
	s_waitcnt lgkmcnt(0)
	v_cndmask_b32_e64 v63, v57, v102, s[6:7]
	v_readlane_b32 s6, v127, 28
	v_cndmask_b32_e64 v62, v58, v102, s[8:9]
	v_cndmask_b32_e64 v58, v49, v102, s[58:59]
	;; [unrolled: 1-line block ×3, first 2 shown]
	v_readlane_b32 s7, v127, 29
	v_readlane_b32 s34, v127, 17
	;; [unrolled: 1-line block ×4, first 2 shown]
	v_subrev_u32_e32 v100, s4, v100
	s_mov_b32 s1, 0
	v_cndmask_b32_e64 v45, v37, v93, s[38:39]
	v_cndmask_b32_e64 v41, v41, v93, s[64:65]
	;; [unrolled: 1-line block ×5, first 2 shown]
	v_cndmask_b32_e32 v32, v92, v93, vcc
	v_cndmask_b32_e64 v61, v59, v102, s[38:39]
	v_cndmask_b32_e64 v60, v60, v102, s[50:51]
	;; [unrolled: 1-line block ×11, first 2 shown]
	v_cndmask_b32_e32 v48, v74, v102, vcc
	v_lshl_add_u64 v[70:71], s[6:7], 0, v[64:65]
	s_mov_b64 s[6:7], 0
	s_mov_b32 s5, 0
	v_readlane_b32 s19, v127, 11
	v_readlane_b32 s29, v127, 13
	;; [unrolled: 1-line block ×9, first 2 shown]
	s_mov_b64 s[40:41], 0x80
	s_mov_b64 s[42:43], 0xc0
	v_readlane_b32 s44, v127, 27
	v_readlane_b32 s47, v127, 26
	;; [unrolled: 1-line block ×3, first 2 shown]
                                        ; implicit-def: $sgpr8_sgpr9
	s_branch .LBB295_32
.LBB295_30:                             ;   in Loop: Header=BB295_32 Depth=2
	s_or_b64 exec, exec, s[12:13]
	s_andn2_b64 s[8:9], s[8:9], exec
	s_and_b64 s[12:13], s[14:15], exec
	s_or_b64 s[8:9], s[8:9], s[12:13]
.LBB295_31:                             ;   in Loop: Header=BB295_32 Depth=2
	s_or_b64 exec, exec, s[10:11]
	s_and_b64 s[10:11], exec, s[8:9]
	s_or_b64 s[6:7], s[10:11], s[6:7]
	s_andn2_b64 exec, exec, s[6:7]
	s_cbranch_execz .LBB295_35
.LBB295_32:                             ;   Parent Loop BB295_7 Depth=1
                                        ; =>  This Inner Loop Header: Depth=2
	s_and_b32 s12, s1, 24
	v_or_b32_e32 v73, s12, v97
	v_add_u32_e32 v74, s96, v73
	v_cmp_gt_u32_e32 vcc, 32, v74
	s_or_b64 s[8:9], s[8:9], exec
	s_and_saveexec_b64 s[10:11], vcc
	s_cbranch_execz .LBB295_31
; %bb.33:                               ;   in Loop: Header=BB295_32 Depth=2
	s_add_i32 s13, s5, 1
	s_set_gpr_idx_on s5, gpr_idx(SRC0)
	v_mov_b32_e32 v74, v0
	s_set_gpr_idx_off
	v_cvt_f16_f32_e32 v76, v74
	s_set_gpr_idx_on s13, gpr_idx(SRC0)
	v_mov_b32_e32 v74, v0
	s_set_gpr_idx_off
	v_cvt_f16_f32_sdwa v77, v74 dst_sel:WORD_1 dst_unused:UNUSED_PAD src0_sel:DWORD
	v_mul_lo_u32 v74, v73, s21
	v_ashrrev_i32_e32 v75, 31, v74
	v_lshl_add_u64 v[74:75], v[74:75], 1, v[70:71]
	v_or_b32_e32 v73, v77, v76
	;;#ASMSTART
	global_atomic_pk_add_f16 v[74:75], v73, off
	
	;;#ASMEND
	s_set_gpr_idx_on s5, gpr_idx(SRC0)
	v_mov_b32_e32 v73, v16
	s_set_gpr_idx_off
	v_cvt_f16_f32_e32 v73, v73
	s_set_gpr_idx_on s13, gpr_idx(SRC0)
	v_mov_b32_e32 v76, v16
	s_set_gpr_idx_off
	v_cvt_f16_f32_sdwa v91, v76 dst_sel:WORD_1 dst_unused:UNUSED_PAD src0_sel:DWORD
	v_lshl_add_u64 v[76:77], v[74:75], 0, 64
	s_mov_b64 s[14:15], -1
	v_or_b32_e32 v73, v91, v73
	;;#ASMSTART
	global_atomic_pk_add_f16 v[76:77], v73, off
	
	;;#ASMEND
	s_set_gpr_idx_on s5, gpr_idx(SRC0)
	v_mov_b32_e32 v73, v32
	s_set_gpr_idx_off
	v_cvt_f16_f32_e32 v73, v73
	s_set_gpr_idx_on s13, gpr_idx(SRC0)
	v_mov_b32_e32 v76, v32
	s_set_gpr_idx_off
	v_cvt_f16_f32_sdwa v91, v76 dst_sel:WORD_1 dst_unused:UNUSED_PAD src0_sel:DWORD
	v_lshl_add_u64 v[76:77], v[74:75], 0, s[40:41]
	v_lshl_add_u64 v[74:75], v[74:75], 0, s[42:43]
	v_or_b32_e32 v73, v91, v73
	;;#ASMSTART
	global_atomic_pk_add_f16 v[76:77], v73, off
	
	;;#ASMEND
	s_set_gpr_idx_on s5, gpr_idx(SRC0)
	v_mov_b32_e32 v73, v48
	s_set_gpr_idx_off
	v_cvt_f16_f32_e32 v73, v73
	s_set_gpr_idx_on s13, gpr_idx(SRC0)
	v_mov_b32_e32 v76, v48
	s_set_gpr_idx_off
	v_cvt_f16_f32_sdwa v76, v76 dst_sel:WORD_1 dst_unused:UNUSED_PAD src0_sel:DWORD
	s_nop 0
	v_or_b32_e32 v73, v76, v73
	;;#ASMSTART
	global_atomic_pk_add_f16 v[74:75], v73, off
	
	;;#ASMEND
	v_or_b32_e32 v73, s12, v98
	v_add_u32_e32 v74, s96, v73
	v_cmp_gt_u32_e32 vcc, 32, v74
	s_and_saveexec_b64 s[12:13], vcc
	s_cbranch_execz .LBB295_30
; %bb.34:                               ;   in Loop: Header=BB295_32 Depth=2
	s_add_i32 s14, s5, 2
	s_add_i32 s15, s5, 3
	s_set_gpr_idx_on s14, gpr_idx(SRC0)
	v_mov_b32_e32 v74, v0
	s_set_gpr_idx_off
	v_cvt_f16_f32_e32 v76, v74
	s_set_gpr_idx_on s15, gpr_idx(SRC0)
	v_mov_b32_e32 v74, v0
	s_set_gpr_idx_off
	v_cvt_f16_f32_sdwa v77, v74 dst_sel:WORD_1 dst_unused:UNUSED_PAD src0_sel:DWORD
	v_mul_lo_u32 v74, v73, s21
	v_ashrrev_i32_e32 v75, 31, v74
	v_lshl_add_u64 v[74:75], v[74:75], 1, v[70:71]
	v_or_b32_e32 v73, v77, v76
	;;#ASMSTART
	global_atomic_pk_add_f16 v[74:75], v73, off
	
	;;#ASMEND
	s_set_gpr_idx_on s14, gpr_idx(SRC0)
	v_mov_b32_e32 v73, v16
	s_set_gpr_idx_off
	v_cvt_f16_f32_e32 v73, v73
	s_set_gpr_idx_on s15, gpr_idx(SRC0)
	v_mov_b32_e32 v76, v16
	s_set_gpr_idx_off
	v_cvt_f16_f32_sdwa v91, v76 dst_sel:WORD_1 dst_unused:UNUSED_PAD src0_sel:DWORD
	v_lshl_add_u64 v[76:77], v[74:75], 0, 64
	s_add_i32 s5, s5, 4
	s_add_i32 s1, s1, 8
	v_or_b32_e32 v73, v91, v73
	;;#ASMSTART
	global_atomic_pk_add_f16 v[76:77], v73, off
	
	;;#ASMEND
	s_set_gpr_idx_on s14, gpr_idx(SRC0)
	v_mov_b32_e32 v73, v32
	s_set_gpr_idx_off
	v_cvt_f16_f32_e32 v73, v73
	s_set_gpr_idx_on s15, gpr_idx(SRC0)
	v_mov_b32_e32 v76, v32
	s_set_gpr_idx_off
	v_cvt_f16_f32_sdwa v91, v76 dst_sel:WORD_1 dst_unused:UNUSED_PAD src0_sel:DWORD
	v_lshl_add_u64 v[76:77], v[74:75], 0, s[40:41]
	s_cmp_eq_u32 s5, 16
	v_lshl_add_u64 v[74:75], v[74:75], 0, s[42:43]
	v_or_b32_e32 v73, v91, v73
	;;#ASMSTART
	global_atomic_pk_add_f16 v[76:77], v73, off
	
	;;#ASMEND
	s_set_gpr_idx_on s14, gpr_idx(SRC0)
	v_mov_b32_e32 v73, v48
	s_set_gpr_idx_off
	v_cvt_f16_f32_e32 v73, v73
	s_set_gpr_idx_on s15, gpr_idx(SRC0)
	v_mov_b32_e32 v76, v48
	s_set_gpr_idx_off
	v_cvt_f16_f32_sdwa v76, v76 dst_sel:WORD_1 dst_unused:UNUSED_PAD src0_sel:DWORD
	s_cselect_b64 s[14:15], -1, 0
	s_orn2_b64 s[14:15], s[14:15], exec
	v_or_b32_e32 v73, v76, v73
	;;#ASMSTART
	global_atomic_pk_add_f16 v[74:75], v73, off
	
	;;#ASMEND
	s_branch .LBB295_30
.LBB295_35:                             ;   in Loop: Header=BB295_7 Depth=1
	s_or_b64 exec, exec, s[6:7]
	v_readlane_b32 s72, v127, 2
	v_readlane_b32 s12, v127, 0
	;; [unrolled: 1-line block ×11, first 2 shown]
.LBB295_36:                             ;   in Loop: Header=BB295_7 Depth=1
	s_or_b64 exec, exec, s[48:49]
.LBB295_37:                             ;   in Loop: Header=BB295_7 Depth=1
	s_andn2_saveexec_b64 s[2:3], s[2:3]
	s_cbranch_execz .LBB295_46
; %bb.38:                               ;   in Loop: Header=BB295_7 Depth=1
	s_lshl_b32 s5, s4, 2
	v_cmp_gt_i32_e32 vcc, s5, v100
	s_and_saveexec_b64 s[6:7], vcc
	s_cbranch_execz .LBB295_45
; %bb.39:                               ;   in Loop: Header=BB295_7 Depth=1
	s_mul_i32 s0, s0, s23
	s_ashr_i32 s1, s0, 31
	s_add_u32 s0, s74, s0
	s_addc_u32 s1, s75, s1
	s_ashr_i32 s8, s44, 31
	s_add_u32 s0, s0, s44
	s_addc_u32 s1, s1, s8
	v_lshl_add_u64 v[0:1], s[0:1], 0, v[68:69]
	v_lshl_add_u64 v[8:9], v[0:1], 0, v[66:67]
	s_mov_b64 s[0:1], 0
	s_branch .LBB295_41
.LBB295_40:                             ;   in Loop: Header=BB295_41 Depth=2
	s_or_b64 exec, exec, s[8:9]
	v_lshl_or_b32 v12, v10, 11, v94
	;;#ASMSTART
	s_waitcnt vmcnt(1)
	;;#ASMEND
	ds_write2_b32 v12, v4, v5 offset1:32
	ds_write2_b32 v12, v6, v7 offset0:64 offset1:96
	v_add_u32_e32 v4, 0x400, v12
	v_add_u32_e32 v100, s26, v100
	;;#ASMSTART
	s_waitcnt vmcnt(0)
	;;#ASMEND
	ds_write2_b32 v4, v0, v1 offset1:32
	ds_write2_b32 v4, v2, v3 offset0:64 offset1:96
	v_add_u32_e32 v0, 1, v79
	v_add_u32_e32 v72, s26, v10
	v_cmp_le_i32_e32 vcc, s5, v100
	ds_write_b32 v11, v0 offset:36
	v_add_u32_e32 v0, 2, v79
	s_or_b64 s[0:1], vcc, s[0:1]
	v_cmp_lt_i32_e32 vcc, 11, v72
	s_nop 1
	v_cndmask_b32_e32 v79, v79, v0, vcc
	s_andn2_b64 exec, exec, s[0:1]
	s_cbranch_execz .LBB295_44
.LBB295_41:                             ;   Parent Loop BB295_7 Depth=1
                                        ; =>  This Loop Header: Depth=2
                                        ;       Child Loop BB295_43 Depth 3
	v_cmp_gt_i32_e32 vcc, 12, v72
	s_nop 1
	v_cndmask_b32_e64 v0, -12, 0, vcc
	v_add_u32_e32 v10, v0, v72
	v_ashrrev_i32_e32 v0, 31, v100
	v_lshrrev_b32_e32 v0, 30, v0
	v_add_u32_e32 v0, v100, v0
	v_and_b32_e32 v1, -4, v0
	v_lshlrev_b32_e32 v0, 4, v0
	v_sub_u32_e32 v2, v100, v1
	v_and_b32_e32 v0, 0xffffffc0, v0
	v_ashrrev_i32_e32 v1, 31, v0
	v_mul_lo_u32 v2, s24, v2
	v_lshl_add_u64 v[0:1], v[8:9], 0, v[0:1]
	v_ashrrev_i32_e32 v3, 31, v2
	v_lshl_add_u64 v[0:1], v[0:1], 0, v[2:3]
	v_lshlrev_b32_e32 v11, 2, v10
	;;#ASMSTART
	global_load_dwordx4 v[4:7], v[0:1], off offset:0   sc0 sc1 nt  
	global_load_dwordx4 v[0:3], v[0:1], off offset:32  sc0 sc1 nt  
	
	;;#ASMEND
	ds_read_b32 v12, v11 offset:43044
	v_add_u32_e32 v11, 0xa800, v11
	s_waitcnt lgkmcnt(0)
	v_cmp_ne_u32_e32 vcc, v12, v79
	s_and_saveexec_b64 s[8:9], vcc
	s_cbranch_execz .LBB295_40
; %bb.42:                               ;   in Loop: Header=BB295_41 Depth=2
	s_mov_b64 s[10:11], 0
.LBB295_43:                             ;   Parent Loop BB295_7 Depth=1
                                        ;     Parent Loop BB295_41 Depth=2
                                        ; =>    This Inner Loop Header: Depth=3
	;;#ASMSTART
	s_sleep 0
	;;#ASMEND
	ds_read_b32 v12, v11 offset:36
	s_waitcnt lgkmcnt(0)
	v_cmp_eq_u32_e32 vcc, v12, v79
	s_or_b64 s[10:11], vcc, s[10:11]
	s_andn2_b64 exec, exec, s[10:11]
	s_cbranch_execnz .LBB295_43
	s_branch .LBB295_40
.LBB295_44:                             ;   in Loop: Header=BB295_7 Depth=1
	s_or_b64 exec, exec, s[0:1]
.LBB295_45:                             ;   in Loop: Header=BB295_7 Depth=1
	s_or_b64 exec, exec, s[6:7]
	v_subrev_u32_e32 v100, s5, v100
.LBB295_46:                             ;   in Loop: Header=BB295_7 Depth=1
	s_or_b64 exec, exec, s[2:3]
.LBB295_47:                             ;   in Loop: Header=BB295_7 Depth=1
	s_andn2_saveexec_b64 s[0:1], s[46:47]
	s_cbranch_execz .LBB295_6
; %bb.48:                               ;   in Loop: Header=BB295_7 Depth=1
	s_mul_i32 s10, s4, 3
	v_cmp_gt_i32_e32 vcc, s10, v100
	s_and_saveexec_b64 s[2:3], vcc
	s_cbranch_execz .LBB295_5
; %bb.49:                               ;   in Loop: Header=BB295_7 Depth=1
	s_mul_i32 s99, s99, s22
	s_ashr_i32 s4, s99, 31
	s_add_u32 s5, s72, s99
	s_addc_u32 s6, s73, s4
	s_ashr_i32 s7, s44, 31
	s_add_u32 s4, s5, s44
	s_addc_u32 s5, s6, s7
	v_add_u32_e32 v2, s96, v80
	s_movk_i32 s6, 0x60
	v_cmp_gt_u32_e32 vcc, s6, v2
	v_sub_u32_e32 v10, 0x5f, v2
	s_nop 0
	v_cndmask_b32_e32 v0, 0, v95, vcc
	v_ashrrev_i32_e32 v1, 31, v0
	v_lshl_add_u64 v[0:1], s[4:5], 0, v[0:1]
	v_lshl_add_u64 v[8:9], v[0:1], 0, v[66:67]
	s_mov_b64 s[4:5], 0
	s_branch .LBB295_51
.LBB295_50:                             ;   in Loop: Header=BB295_51 Depth=2
	s_or_b64 exec, exec, s[6:7]
	v_lshl_add_u32 v13, v11, 11, v96
	;;#ASMSTART
	s_waitcnt vmcnt(1)
	;;#ASMEND
	ds_write2_b32 v13, v4, v5 offset1:32
	ds_write2_b32 v13, v6, v7 offset0:64 offset1:96
	v_add_u32_e32 v4, 0x400, v13
	v_add_u32_e32 v100, s25, v100
	;;#ASMSTART
	s_waitcnt vmcnt(0)
	;;#ASMEND
	ds_write2_b32 v4, v0, v1 offset1:32
	ds_write2_b32 v4, v2, v3 offset0:64 offset1:96
	v_add_u32_e32 v0, 1, v79
	v_add_u32_e32 v72, s25, v11
	v_cmp_le_i32_e32 vcc, s10, v100
	ds_write_b32 v12, v0
	v_add_u32_e32 v0, 2, v79
	s_or_b64 s[4:5], vcc, s[4:5]
	v_cmp_lt_i32_e32 vcc, 8, v72
	s_nop 1
	v_cndmask_b32_e32 v79, v79, v0, vcc
	s_andn2_b64 exec, exec, s[4:5]
	s_cbranch_execz .LBB295_4
.LBB295_51:                             ;   Parent Loop BB295_7 Depth=1
                                        ; =>  This Loop Header: Depth=2
                                        ;       Child Loop BB295_53 Depth 3
	v_cmp_gt_i32_e32 vcc, 9, v72
	s_mov_b32 s6, 0x55555556
	s_nop 0
	v_cndmask_b32_e64 v0, -9, 0, vcc
	v_add_u32_e32 v11, v0, v72
	v_mul_hi_i32 v0, v100, s6
	v_lshrrev_b32_e32 v1, 31, v0
	v_add_u32_e32 v0, v0, v1
	v_lshl_add_u32 v1, v0, 1, v0
	v_sub_u32_e32 v1, v100, v1
	v_lshlrev_b32_e32 v1, 5, v1
	v_cmp_le_i32_e32 vcc, v1, v10
	v_lshlrev_b32_e32 v0, 6, v0
	v_lshlrev_b32_e32 v12, 2, v11
	v_cndmask_b32_e32 v2, 0, v1, vcc
	v_ashrrev_i32_e32 v1, 31, v0
	v_mul_lo_u32 v2, v2, s22
	v_lshl_add_u64 v[0:1], v[8:9], 0, v[0:1]
	v_ashrrev_i32_e32 v3, 31, v2
	v_lshl_add_u64 v[0:1], v[0:1], 0, v[2:3]
	;;#ASMSTART
	global_load_dwordx4 v[4:7], v[0:1], off offset:0   
	global_load_dwordx4 v[0:3], v[0:1], off offset:32  
	
	;;#ASMEND
	ds_read_b32 v13, v12 offset:43008
	v_add_u32_e32 v12, 0xa800, v12
	s_waitcnt lgkmcnt(0)
	v_cmp_ne_u32_e32 vcc, v13, v79
	s_and_saveexec_b64 s[6:7], vcc
	s_cbranch_execz .LBB295_50
; %bb.52:                               ;   in Loop: Header=BB295_51 Depth=2
	s_mov_b64 s[8:9], 0
.LBB295_53:                             ;   Parent Loop BB295_7 Depth=1
                                        ;     Parent Loop BB295_51 Depth=2
                                        ; =>    This Inner Loop Header: Depth=3
	;;#ASMSTART
	s_sleep 0
	;;#ASMEND
	ds_read_b32 v13, v12
	s_waitcnt lgkmcnt(0)
	v_cmp_eq_u32_e32 vcc, v13, v79
	s_or_b64 s[8:9], vcc, s[8:9]
	s_andn2_b64 exec, exec, s[8:9]
	s_cbranch_execnz .LBB295_53
	s_branch .LBB295_50
.LBB295_54:
	s_endpgm
	.section	.rodata,"a",@progbits
	.p2align	6, 0x0
	.amdhsa_kernel _Z19_skinny_gemm_kernelILi3ELi4ELi3ELi32ELi4EEvPKhS1_P6__halfPKfiiiiiiii
		.amdhsa_group_segment_fixed_size 43092
		.amdhsa_private_segment_fixed_size 0
		.amdhsa_kernarg_size 64
		.amdhsa_user_sgpr_count 2
		.amdhsa_user_sgpr_dispatch_ptr 0
		.amdhsa_user_sgpr_queue_ptr 0
		.amdhsa_user_sgpr_kernarg_segment_ptr 1
		.amdhsa_user_sgpr_dispatch_id 0
		.amdhsa_user_sgpr_kernarg_preload_length 0
		.amdhsa_user_sgpr_kernarg_preload_offset 0
		.amdhsa_user_sgpr_private_segment_size 0
		.amdhsa_uses_dynamic_stack 0
		.amdhsa_enable_private_segment 0
		.amdhsa_system_sgpr_workgroup_id_x 1
		.amdhsa_system_sgpr_workgroup_id_y 0
		.amdhsa_system_sgpr_workgroup_id_z 0
		.amdhsa_system_sgpr_workgroup_info 0
		.amdhsa_system_vgpr_workitem_id 0
		.amdhsa_next_free_vgpr 128
		.amdhsa_next_free_sgpr 100
		.amdhsa_accum_offset 128
		.amdhsa_reserve_vcc 1
		.amdhsa_float_round_mode_32 0
		.amdhsa_float_round_mode_16_64 0
		.amdhsa_float_denorm_mode_32 3
		.amdhsa_float_denorm_mode_16_64 3
		.amdhsa_dx10_clamp 1
		.amdhsa_ieee_mode 1
		.amdhsa_fp16_overflow 0
		.amdhsa_tg_split 0
		.amdhsa_exception_fp_ieee_invalid_op 0
		.amdhsa_exception_fp_denorm_src 0
		.amdhsa_exception_fp_ieee_div_zero 0
		.amdhsa_exception_fp_ieee_overflow 0
		.amdhsa_exception_fp_ieee_underflow 0
		.amdhsa_exception_fp_ieee_inexact 0
		.amdhsa_exception_int_div_zero 0
	.end_amdhsa_kernel
	.section	.text._Z19_skinny_gemm_kernelILi3ELi4ELi3ELi32ELi4EEvPKhS1_P6__halfPKfiiiiiiii,"axG",@progbits,_Z19_skinny_gemm_kernelILi3ELi4ELi3ELi32ELi4EEvPKhS1_P6__halfPKfiiiiiiii,comdat
.Lfunc_end295:
	.size	_Z19_skinny_gemm_kernelILi3ELi4ELi3ELi32ELi4EEvPKhS1_P6__halfPKfiiiiiiii, .Lfunc_end295-_Z19_skinny_gemm_kernelILi3ELi4ELi3ELi32ELi4EEvPKhS1_P6__halfPKfiiiiiiii
                                        ; -- End function
	.set _Z19_skinny_gemm_kernelILi3ELi4ELi3ELi32ELi4EEvPKhS1_P6__halfPKfiiiiiiii.num_vgpr, 128
	.set _Z19_skinny_gemm_kernelILi3ELi4ELi3ELi32ELi4EEvPKhS1_P6__halfPKfiiiiiiii.num_agpr, 0
	.set _Z19_skinny_gemm_kernelILi3ELi4ELi3ELi32ELi4EEvPKhS1_P6__halfPKfiiiiiiii.numbered_sgpr, 100
	.set _Z19_skinny_gemm_kernelILi3ELi4ELi3ELi32ELi4EEvPKhS1_P6__halfPKfiiiiiiii.num_named_barrier, 0
	.set _Z19_skinny_gemm_kernelILi3ELi4ELi3ELi32ELi4EEvPKhS1_P6__halfPKfiiiiiiii.private_seg_size, 0
	.set _Z19_skinny_gemm_kernelILi3ELi4ELi3ELi32ELi4EEvPKhS1_P6__halfPKfiiiiiiii.uses_vcc, 1
	.set _Z19_skinny_gemm_kernelILi3ELi4ELi3ELi32ELi4EEvPKhS1_P6__halfPKfiiiiiiii.uses_flat_scratch, 0
	.set _Z19_skinny_gemm_kernelILi3ELi4ELi3ELi32ELi4EEvPKhS1_P6__halfPKfiiiiiiii.has_dyn_sized_stack, 0
	.set _Z19_skinny_gemm_kernelILi3ELi4ELi3ELi32ELi4EEvPKhS1_P6__halfPKfiiiiiiii.has_recursion, 0
	.set _Z19_skinny_gemm_kernelILi3ELi4ELi3ELi32ELi4EEvPKhS1_P6__halfPKfiiiiiiii.has_indirect_call, 0
	.section	.AMDGPU.csdata,"",@progbits
; Kernel info:
; codeLenInByte = 14172
; TotalNumSgprs: 106
; NumVgprs: 128
; NumAgprs: 0
; TotalNumVgprs: 128
; ScratchSize: 0
; MemoryBound: 0
; FloatMode: 240
; IeeeMode: 1
; LDSByteSize: 43092 bytes/workgroup (compile time only)
; SGPRBlocks: 13
; VGPRBlocks: 15
; NumSGPRsForWavesPerEU: 106
; NumVGPRsForWavesPerEU: 128
; AccumOffset: 128
; Occupancy: 4
; WaveLimiterHint : 0
; COMPUTE_PGM_RSRC2:SCRATCH_EN: 0
; COMPUTE_PGM_RSRC2:USER_SGPR: 2
; COMPUTE_PGM_RSRC2:TRAP_HANDLER: 0
; COMPUTE_PGM_RSRC2:TGID_X_EN: 1
; COMPUTE_PGM_RSRC2:TGID_Y_EN: 0
; COMPUTE_PGM_RSRC2:TGID_Z_EN: 0
; COMPUTE_PGM_RSRC2:TIDIG_COMP_CNT: 0
; COMPUTE_PGM_RSRC3_GFX90A:ACCUM_OFFSET: 31
; COMPUTE_PGM_RSRC3_GFX90A:TG_SPLIT: 0
	.section	.text._Z19_skinny_gemm_kernelILi3ELi4ELi4ELi16ELi4EEvPKhS1_P6__halfPKfiiiiiiii,"axG",@progbits,_Z19_skinny_gemm_kernelILi3ELi4ELi4ELi16ELi4EEvPKhS1_P6__halfPKfiiiiiiii,comdat
	.protected	_Z19_skinny_gemm_kernelILi3ELi4ELi4ELi16ELi4EEvPKhS1_P6__halfPKfiiiiiiii ; -- Begin function _Z19_skinny_gemm_kernelILi3ELi4ELi4ELi16ELi4EEvPKhS1_P6__halfPKfiiiiiiii
	.globl	_Z19_skinny_gemm_kernelILi3ELi4ELi4ELi16ELi4EEvPKhS1_P6__halfPKfiiiiiiii
	.p2align	8
	.type	_Z19_skinny_gemm_kernelILi3ELi4ELi4ELi16ELi4EEvPKhS1_P6__halfPKfiiiiiiii,@function
_Z19_skinny_gemm_kernelILi3ELi4ELi4ELi16ELi4EEvPKhS1_P6__halfPKfiiiiiiii: ; @_Z19_skinny_gemm_kernelILi3ELi4ELi4ELi16ELi4EEvPKhS1_P6__halfPKfiiiiiiii
; %bb.0:
	v_cmp_gt_u32_e32 vcc, 28, v0
	v_lshlrev_b32_e32 v1, 2, v0
	s_and_saveexec_b64 s[4:5], vcc
; %bb.1:
	v_mov_b32_e32 v2, 0
	ds_write_b32 v1, v2 offset:57344
; %bb.2:
	s_or_b64 exec, exec, s[4:5]
	s_load_dwordx8 s[20:27], s[0:1], 0x20
	s_waitcnt lgkmcnt(0)
	s_barrier
	s_add_i32 s3, s20, 47
	s_add_i32 s4, s21, 63
	s_mul_hi_i32 s3, s3, 0x2aaaaaab
	s_lshr_b32 s5, s3, 31
	s_ashr_i32 s33, s3, 3
	s_ashr_i32 s3, s4, 31
	s_lshr_b32 s3, s3, 26
	s_add_i32 s4, s4, s3
	s_add_i32 s33, s33, s5
	s_ashr_i32 s52, s4, 6
	s_mul_i32 s3, s52, s33
	s_mul_i32 s3, s3, s24
	s_add_i32 s4, s3, 0x12f
	s_mul_hi_i32 s4, s4, 0x6bca1af3
	s_lshr_b32 s5, s4, 31
	s_ashr_i32 s4, s4, 7
	s_add_i32 s4, s4, s5
	s_add_i32 s5, s2, 1
	s_mul_i32 s5, s4, s5
	v_cvt_f64_i32_e32 v[2:3], s3
	v_cvt_f64_u32_e32 v[4:5], s5
	v_min_f64 v[2:3], v[2:3], v[4:5]
	v_cvt_i32_f64_e32 v49, v[2:3]
	s_mul_i32 s53, s4, s2
	v_cmp_ge_i32_e32 vcc, s53, v49
	s_cbranch_vccnz .LBB296_61
; %bb.3:
	v_lshrrev_b32_e32 v2, 6, v0
	s_add_i32 s4, s26, s25
	s_load_dwordx8 s[36:43], s[0:1], 0x0
	v_cmp_le_i32_e64 s[0:1], s4, v2
	v_mov_b32_e32 v3, s25
	v_cmp_le_i32_e64 s[2:3], s25, v2
	v_mov_b32_e32 v4, s26
	v_cndmask_b32_e64 v4, 0, v4, s[0:1]
	v_cndmask_b32_e64 v3, 0, v3, s[2:3]
	s_abs_i32 s5, s24
	v_add_u32_e32 v3, v3, v4
	v_cvt_f32_u32_e32 v4, s5
	v_sub_u32_e32 v62, v2, v3
	s_ashr_i32 s6, s22, 31
	s_lshr_b32 s6, s6, 25
	v_rcp_iflag_f32_e32 v3, v4
	s_sub_i32 s9, 0, s5
	s_add_i32 s6, s22, s6
	s_ashr_i32 s6, s6, 7
	v_mul_f32_e32 v3, 0x4f7ffffe, v3
	v_cvt_u32_f32_e32 v3, v3
	s_abs_i32 s8, s6
	s_xor_b32 s7, s6, s24
	s_ashr_i32 s7, s7, 31
	v_readfirstlane_b32 s10, v3
	s_mul_i32 s9, s9, s10
	s_mul_hi_u32 s9, s10, s9
	s_add_i32 s10, s10, s9
	s_mul_hi_u32 s9, s8, s10
	s_mul_i32 s10, s9, s5
	s_sub_i32 s8, s8, s10
	s_add_i32 s10, s9, 1
	s_sub_i32 s11, s8, s5
	s_cmp_ge_u32 s8, s5
	s_cselect_b32 s9, s10, s9
	s_cselect_b32 s8, s11, s8
	s_add_i32 s10, s9, 1
	s_cmp_ge_u32 s8, s5
	s_cselect_b32 s5, s10, s9
	s_xor_b32 s5, s5, s7
	s_sub_i32 s54, s5, s7
	s_add_i32 s24, s24, -1
	s_mul_i32 s5, s54, s24
	s_add_i32 s4, s4, s27
	s_sub_i32 s55, s6, s5
	v_cmp_gt_i32_e64 s[4:5], s4, v2
	v_lshlrev_b32_e32 v2, 1, v0
	v_lshlrev_b32_e32 v3, 4, v0
	v_and_b32_e32 v1, 60, v1
	v_and_b32_e32 v2, 64, v2
	;; [unrolled: 1-line block ×3, first 2 shown]
	v_or3_b32 v91, v1, v2, v4
	v_and_b32_e32 v1, 1, v0
	v_lshrrev_b32_e32 v4, 2, v0
	s_abs_i32 s56, s33
	v_and_or_b32 v98, v4, 12, v1
	v_cvt_f32_u32_e32 v4, s56
	v_lshlrev_b32_e32 v2, 1, v1
	v_and_b32_e32 v48, 14, v0
	v_sub_u32_e32 v2, v0, v2
	v_bitop3_b32 v93, v0, 1, v0 bitop3:0xc
	v_bitop3_b32 v94, v0, 3, 1 bitop3:0x6c
	v_and_b32_e32 v56, 48, v3
	v_bfe_u32 v101, v0, 2, 4
	v_and_b32_e32 v1, 60, v0
	v_lshlrev_b32_e32 v3, 8, v0
	v_lshlrev_b32_e32 v0, 6, v0
	v_and_b32_e32 v3, 0x200, v3
	v_and_b32_e32 v0, 64, v0
	v_or3_b32 v102, v1, v3, v0
	v_rcp_iflag_f32_e32 v0, v4
	s_abs_i32 s58, s52
	v_cvt_f32_u32_e32 v1, s58
	v_mad_u64_u32 v[50:51], s[6:7], s21, v98, v[48:49]
	v_mul_f32_e32 v0, 0x4f7ffffe, v0
	v_cvt_u32_f32_e32 v0, v0
	v_rcp_iflag_f32_e32 v1, v1
	s_lshl_b32 s6, s21, 4
	v_add_u32_e32 v52, s6, v50
	v_readfirstlane_b32 s7, v0
	v_mul_f32_e32 v0, 0x4f7ffffe, v1
	v_cvt_u32_f32_e32 v0, v0
	v_add_u32_e32 v54, s6, v52
	s_sub_i32 s6, 0, s56
	s_mul_i32 s6, s6, s7
	s_mul_hi_u32 s6, s7, s6
	v_add_u32_e32 v2, 1, v2
	s_add_i32 s60, s7, s6
	s_sub_i32 s6, 0, s58
	v_readfirstlane_b32 s7, v0
	v_mbcnt_lo_u32_b32 v0, -1, 0
	v_and_b32_e32 v2, 63, v2
	s_mul_i32 s6, s6, s7
	v_mbcnt_hi_u32_b32 v0, -1, v0
	v_mul_lo_u32 v58, s23, v101
	s_mul_hi_u32 s6, s7, s6
	v_and_or_b32 v0, v0, 64, v2
	v_cndmask_b32_e64 v90, 0, 1, s[0:1]
	v_or_b32_e32 v92, 0x8000, v91
	s_ashr_i32 s29, s21, 31
	s_mov_b32 s28, s21
	v_or_b32_e32 v95, 16, v48
	v_or_b32_e32 v96, 32, v48
	;; [unrolled: 1-line block ×3, first 2 shown]
	v_ashrrev_i32_e32 v51, 31, v50
	v_or_b32_e32 v99, 16, v98
	v_ashrrev_i32_e32 v53, 31, v52
	v_or_b32_e32 v100, 32, v98
	v_ashrrev_i32_e32 v55, 31, v54
	v_ashrrev_i32_e32 v59, 31, v58
	v_mov_b32_e32 v57, 0
	s_lshl_b32 s57, s23, 4
	v_mul_lo_u32 v103, s22, v101
	v_or_b32_e32 v104, 0x8000, v102
	s_ashr_i32 s59, s33, 31
	s_ashr_i32 s61, s52, 31
	s_add_i32 s62, s7, s6
	s_movk_i32 s63, 0x1800
	s_mov_b64 s[30:31], 0x60
	s_mov_b32 s64, 0x55555556
	v_lshlrev_b32_e32 v105, 2, v0
	v_mov_b32_e32 v106, v62
	s_branch .LBB296_7
.LBB296_4:                              ;   in Loop: Header=BB296_7 Depth=1
	s_or_b64 exec, exec, s[10:11]
.LBB296_5:                              ;   in Loop: Header=BB296_7 Depth=1
	s_or_b64 exec, exec, s[8:9]
	v_subrev_u32_e32 v106, s68, v106
.LBB296_6:                              ;   in Loop: Header=BB296_7 Depth=1
	s_or_b64 exec, exec, s[6:7]
	s_add_i32 s53, s53, 1
	v_cmp_ge_i32_e32 vcc, s53, v49
	s_cbranch_vccnz .LBB296_61
.LBB296_7:                              ; =>This Loop Header: Depth=1
                                        ;     Child Loop BB296_13 Depth 2
                                        ;       Child Loop BB296_15 Depth 3
                                        ;       Child Loop BB296_18 Depth 3
	;; [unrolled: 1-line block ×7, first 2 shown]
                                        ;     Child Loop BB296_48 Depth 2
                                        ;       Child Loop BB296_50 Depth 3
                                        ;     Child Loop BB296_58 Depth 2
                                        ;       Child Loop BB296_60 Depth 3
	s_abs_i32 s7, s53
	s_mul_hi_u32 s8, s7, s60
	s_mul_i32 s9, s8, s56
	s_ashr_i32 s6, s53, 31
	s_sub_i32 s7, s7, s9
	s_xor_b32 s6, s6, s59
	s_add_i32 s9, s8, 1
	s_sub_i32 s10, s7, s56
	s_cmp_ge_u32 s7, s56
	s_cselect_b32 s8, s9, s8
	s_cselect_b32 s7, s10, s7
	s_add_i32 s9, s8, 1
	s_cmp_ge_u32 s7, s56
	s_cselect_b32 s7, s9, s8
	s_xor_b32 s7, s7, s6
	s_sub_i32 s6, s7, s6
	s_abs_i32 s8, s6
	s_mul_hi_u32 s9, s8, s62
	s_mul_i32 s7, s6, s33
	s_mul_i32 s10, s9, s58
	s_sub_i32 s65, s53, s7
	s_ashr_i32 s7, s6, 31
	s_sub_i32 s8, s8, s10
	s_xor_b32 s7, s7, s61
	s_add_i32 s10, s9, 1
	s_sub_i32 s11, s8, s58
	s_cmp_ge_u32 s8, s58
	s_cselect_b32 s9, s10, s9
	s_cselect_b32 s8, s11, s8
	s_add_i32 s10, s9, 1
	s_cmp_ge_u32 s8, s58
	s_cselect_b32 s8, s10, s9
	s_xor_b32 s8, s8, s7
	s_sub_i32 s7, s8, s7
	s_mul_i32 s8, s7, s54
	s_lshl_b32 s66, s8, 7
	s_mul_i32 s65, s65, 48
	s_cmp_eq_u32 s7, s24
	s_cselect_b32 s68, s55, s54
	s_sub_i32 s8, s65, s20
	s_add_i32 s8, s8, 48
	s_max_i32 s67, s8, 0
	s_and_saveexec_b64 s[8:9], s[2:3]
	s_xor_b64 s[34:35], exec, s[8:9]
	s_cbranch_execz .LBB296_54
; %bb.8:                                ;   in Loop: Header=BB296_7 Depth=1
	s_mul_i32 s7, s7, s52
	s_sub_i32 s6, s6, s7
	s_lshl_b32 s6, s6, 6
	s_sub_i32 s45, s6, s21
	s_add_i32 s45, s45, 64
	s_max_i32 s7, s45, 0
	s_sub_i32 s44, s6, s7
	s_and_saveexec_b64 s[6:7], s[0:1]
	s_xor_b64 s[46:47], exec, s[6:7]
	s_cbranch_execz .LBB296_44
; %bb.9:                                ;   in Loop: Header=BB296_7 Depth=1
	s_and_saveexec_b64 s[48:49], s[4:5]
	s_cbranch_execz .LBB296_43
; %bb.10:                               ;   in Loop: Header=BB296_7 Depth=1
	s_waitcnt lgkmcnt(0)
	global_load_dword v107, v57, s[42:43]
	v_mov_b32_e32 v47, 0
	v_cmp_gt_i32_e32 vcc, s68, v106
	v_mov_b32_e32 v46, v47
	v_mov_b32_e32 v45, v47
	;; [unrolled: 1-line block ×47, first 2 shown]
	s_and_saveexec_b64 s[6:7], vcc
	s_cbranch_execz .LBB296_35
; %bb.11:                               ;   in Loop: Header=BB296_7 Depth=1
	v_mov_b32_e32 v4, 0
	s_mov_b64 s[8:9], 0
	v_mov_b32_e32 v5, v4
	v_mov_b32_e32 v6, v4
	;; [unrolled: 1-line block ×47, first 2 shown]
	s_branch .LBB296_13
.LBB296_12:                             ;   in Loop: Header=BB296_13 Depth=2
	s_or_b64 exec, exec, s[10:11]
	v_add_u32_e32 v85, 0x1800, v84
	ds_read2_b32 v[86:87], v85 offset1:32
	v_add_u32_e32 v88, 0x1c00, v84
	v_add_u32_e32 v106, s27, v106
	s_waitcnt lgkmcnt(0)
	v_mfma_f32_16x16x32_fp8_fp8 v[32:35], v[60:61], v[86:87], v[32:35]
	ds_read2_b32 v[60:61], v85 offset0:128 offset1:160
	ds_read2_b32 v[84:85], v88 offset1:32
	v_mfma_f32_16x16x32_fp8_fp8 v[16:19], v[68:69], v[86:87], v[16:19]
	v_mfma_f32_16x16x32_fp8_fp8 v[4:7], v[78:79], v[86:87], v[4:7]
	s_waitcnt lgkmcnt(1)
	v_mfma_f32_16x16x32_fp8_fp8 v[32:35], v[62:63], v[60:61], v[32:35]
	v_add_u32_e32 v62, s27, v108
	v_cmp_lt_i32_e32 vcc, 3, v62
	v_mfma_f32_16x16x32_fp8_fp8 v[16:19], v[72:73], v[60:61], v[16:19]
	v_mfma_f32_16x16x32_fp8_fp8 v[4:7], v[80:81], v[60:61], v[4:7]
	v_add_u32_e32 v60, 2, v90
	v_cndmask_b32_e32 v90, v90, v60, vcc
	v_cmp_le_i32_e32 vcc, s68, v106
	s_waitcnt lgkmcnt(0)
	v_mfma_f32_16x16x32_fp8_fp8 v[32:35], v[64:65], v[84:85], v[32:35]
	ds_read2_b32 v[64:65], v88 offset0:128 offset1:160
	s_or_b64 s[8:9], vcc, s[8:9]
	;;#ASMSTART
	s_waitcnt lgkmcnt(0)
	;;#ASMEND
	v_mfma_f32_16x16x32_fp8_fp8 v[16:19], v[74:75], v[84:85], v[16:19]
	ds_write_b32 v109, v110 offset:57404
	v_mfma_f32_16x16x32_fp8_fp8 v[4:7], v[82:83], v[84:85], v[4:7]
	s_waitcnt lgkmcnt(1)
	v_mfma_f32_16x16x32_fp8_fp8 v[32:35], v[66:67], v[64:65], v[32:35]
	v_mfma_f32_16x16x32_fp8_fp8 v[16:19], v[76:77], v[64:65], v[16:19]
	;; [unrolled: 1-line block ×3, first 2 shown]
	s_andn2_b64 exec, exec, s[8:9]
	s_cbranch_execz .LBB296_34
.LBB296_13:                             ;   Parent Loop BB296_7 Depth=1
                                        ; =>  This Loop Header: Depth=2
                                        ;       Child Loop BB296_15 Depth 3
                                        ;       Child Loop BB296_18 Depth 3
                                        ;       Child Loop BB296_21 Depth 3
                                        ;       Child Loop BB296_24 Depth 3
                                        ;       Child Loop BB296_27 Depth 3
                                        ;       Child Loop BB296_30 Depth 3
                                        ;       Child Loop BB296_33 Depth 3
	v_cmp_gt_i32_e32 vcc, 4, v62
	s_nop 1
	v_cndmask_b32_e64 v60, -4, 0, vcc
	v_add_u32_e32 v108, v60, v62
	v_lshlrev_b32_e32 v109, 4, v108
	ds_read_b32 v60, v109 offset:57392
	s_waitcnt lgkmcnt(0)
	v_cmp_ne_u32_e32 vcc, v60, v90
	s_and_saveexec_b64 s[10:11], vcc
	s_cbranch_execz .LBB296_16
; %bb.14:                               ;   in Loop: Header=BB296_13 Depth=2
	s_mov_b64 s[12:13], 0
.LBB296_15:                             ;   Parent Loop BB296_7 Depth=1
                                        ;     Parent Loop BB296_13 Depth=2
                                        ; =>    This Inner Loop Header: Depth=3
	;;#ASMSTART
	s_sleep 0
	;;#ASMEND
	ds_read_b32 v60, v109 offset:57392
	s_waitcnt lgkmcnt(0)
	v_cmp_eq_u32_e32 vcc, v60, v90
	s_or_b64 s[12:13], vcc, s[12:13]
	s_andn2_b64 exec, exec, s[12:13]
	s_cbranch_execnz .LBB296_15
.LBB296_16:                             ;   in Loop: Header=BB296_13 Depth=2
	s_or_b64 exec, exec, s[10:11]
	v_lshlrev_b32_e32 v111, 13, v108
	v_or_b32_e32 v60, v91, v111
	ds_read2_b32 v[70:71], v60 offset1:32
	ds_read2_b32 v[84:85], v60 offset0:128 offset1:160
	v_add_u32_e32 v60, 0x400, v60
	v_add_u32_e32 v110, 1, v90
	ds_read2_b32 v[88:89], v60 offset1:32
	ds_read2_b32 v[86:87], v60 offset0:128 offset1:160
	;;#ASMSTART
	s_waitcnt lgkmcnt(0)
	;;#ASMEND
	ds_write_b32 v109, v110 offset:57392
	v_mul_lo_u32 v112, v108, 12
	ds_read_b32 v60, v112 offset:57344
	s_waitcnt lgkmcnt(0)
	v_cmp_ne_u32_e32 vcc, v60, v90
	s_and_saveexec_b64 s[10:11], vcc
	s_cbranch_execz .LBB296_19
; %bb.17:                               ;   in Loop: Header=BB296_13 Depth=2
	s_mov_b64 s[12:13], 0
.LBB296_18:                             ;   Parent Loop BB296_7 Depth=1
                                        ;     Parent Loop BB296_13 Depth=2
                                        ; =>    This Inner Loop Header: Depth=3
	;;#ASMSTART
	s_sleep 0
	;;#ASMEND
	ds_read_b32 v60, v112 offset:57344
	s_waitcnt lgkmcnt(0)
	v_cmp_eq_u32_e32 vcc, v60, v90
	s_or_b64 s[12:13], vcc, s[12:13]
	s_andn2_b64 exec, exec, s[12:13]
	s_cbranch_execnz .LBB296_18
.LBB296_19:                             ;   in Loop: Header=BB296_13 Depth=2
	s_or_b64 exec, exec, s[10:11]
	v_mul_lo_u32 v60, v108, s63
	v_add_u32_e32 v82, v92, v60
	ds_read2_b32 v[60:61], v82 offset1:32
	ds_read2_b32 v[62:63], v82 offset0:128 offset1:160
	v_add_u32_e32 v66, 0x400, v82
	ds_read2_b32 v[64:65], v66 offset1:32
	ds_read2_b32 v[66:67], v66 offset0:128 offset1:160
	ds_read_b32 v68, v112 offset:57348
	ds_write_b32 v112, v110 offset:57344
	s_waitcnt lgkmcnt(5)
	v_mfma_f32_16x16x32_fp8_fp8 v[44:47], v[60:61], v[70:71], v[44:47]
	s_waitcnt lgkmcnt(1)
	v_cmp_ne_u32_e32 vcc, v68, v90
	v_mfma_f32_16x16x32_fp8_fp8 v[44:47], v[62:63], v[84:85], v[44:47]
	v_mfma_f32_16x16x32_fp8_fp8 v[44:47], v[64:65], v[88:89], v[44:47]
	;; [unrolled: 1-line block ×3, first 2 shown]
	s_and_saveexec_b64 s[10:11], vcc
	s_cbranch_execz .LBB296_22
; %bb.20:                               ;   in Loop: Header=BB296_13 Depth=2
	s_mov_b64 s[12:13], 0
.LBB296_21:                             ;   Parent Loop BB296_7 Depth=1
                                        ;     Parent Loop BB296_13 Depth=2
                                        ; =>    This Inner Loop Header: Depth=3
	;;#ASMSTART
	s_sleep 0
	;;#ASMEND
	ds_read_b32 v68, v112 offset:57348
	s_waitcnt lgkmcnt(0)
	v_cmp_eq_u32_e32 vcc, v68, v90
	s_or_b64 s[12:13], vcc, s[12:13]
	s_andn2_b64 exec, exec, s[12:13]
	s_cbranch_execnz .LBB296_21
.LBB296_22:                             ;   in Loop: Header=BB296_13 Depth=2
	s_or_b64 exec, exec, s[10:11]
	v_add_u32_e32 v72, 0x800, v82
	ds_read2_b32 v[68:69], v72 offset1:32
	ds_read2_b32 v[72:73], v72 offset0:128 offset1:160
	v_add_u32_e32 v76, 0xc00, v82
	ds_read2_b32 v[74:75], v76 offset1:32
	ds_read2_b32 v[76:77], v76 offset0:128 offset1:160
	ds_read_b32 v78, v112 offset:57352
	ds_write_b32 v112, v110 offset:57348
	s_waitcnt lgkmcnt(5)
	v_mfma_f32_16x16x32_fp8_fp8 v[28:31], v[68:69], v[70:71], v[28:31]
	s_waitcnt lgkmcnt(1)
	v_cmp_ne_u32_e32 vcc, v78, v90
	v_mfma_f32_16x16x32_fp8_fp8 v[28:31], v[72:73], v[84:85], v[28:31]
	v_mfma_f32_16x16x32_fp8_fp8 v[28:31], v[74:75], v[88:89], v[28:31]
	v_mfma_f32_16x16x32_fp8_fp8 v[28:31], v[76:77], v[86:87], v[28:31]
	s_and_saveexec_b64 s[10:11], vcc
	s_cbranch_execz .LBB296_25
; %bb.23:                               ;   in Loop: Header=BB296_13 Depth=2
	s_mov_b64 s[12:13], 0
.LBB296_24:                             ;   Parent Loop BB296_7 Depth=1
                                        ;     Parent Loop BB296_13 Depth=2
                                        ; =>    This Inner Loop Header: Depth=3
	;;#ASMSTART
	s_sleep 0
	;;#ASMEND
	ds_read_b32 v78, v112 offset:57352
	s_waitcnt lgkmcnt(0)
	v_cmp_eq_u32_e32 vcc, v78, v90
	s_or_b64 s[12:13], vcc, s[12:13]
	s_andn2_b64 exec, exec, s[12:13]
	s_cbranch_execnz .LBB296_24
.LBB296_25:                             ;   in Loop: Header=BB296_13 Depth=2
	s_or_b64 exec, exec, s[10:11]
	v_add_u32_e32 v80, 0x1000, v82
	ds_read2_b32 v[78:79], v80 offset1:32
	ds_read2_b32 v[80:81], v80 offset0:128 offset1:160
	v_add_u32_e32 v113, 0x1400, v82
	ds_read2_b32 v[82:83], v113 offset1:32
	ds_write_b32 v112, v110 offset:57352
	s_waitcnt lgkmcnt(3)
	v_mfma_f32_16x16x32_fp8_fp8 v[12:15], v[78:79], v[70:71], v[12:15]
	ds_read2_b32 v[70:71], v113 offset0:128 offset1:160
	s_waitcnt lgkmcnt(3)
	v_mfma_f32_16x16x32_fp8_fp8 v[12:15], v[80:81], v[84:85], v[12:15]
	ds_read_b32 v84, v109 offset:57396
	s_waitcnt lgkmcnt(0)
	v_cmp_ne_u32_e32 vcc, v84, v90
	v_mfma_f32_16x16x32_fp8_fp8 v[12:15], v[82:83], v[88:89], v[12:15]
	v_mfma_f32_16x16x32_fp8_fp8 v[12:15], v[70:71], v[86:87], v[12:15]
	s_and_saveexec_b64 s[10:11], vcc
	s_cbranch_execz .LBB296_28
; %bb.26:                               ;   in Loop: Header=BB296_13 Depth=2
	s_mov_b64 s[12:13], 0
.LBB296_27:                             ;   Parent Loop BB296_7 Depth=1
                                        ;     Parent Loop BB296_13 Depth=2
                                        ; =>    This Inner Loop Header: Depth=3
	;;#ASMSTART
	s_sleep 0
	;;#ASMEND
	ds_read_b32 v84, v109 offset:57396
	s_waitcnt lgkmcnt(0)
	v_cmp_eq_u32_e32 vcc, v84, v90
	s_or_b64 s[12:13], vcc, s[12:13]
	s_andn2_b64 exec, exec, s[12:13]
	s_cbranch_execnz .LBB296_27
.LBB296_28:                             ;   in Loop: Header=BB296_13 Depth=2
	s_or_b64 exec, exec, s[10:11]
	v_add_u32_e32 v84, v91, v111
	v_add_u32_e32 v85, 0x800, v84
	ds_read2_b32 v[86:87], v85 offset1:32
	ds_read2_b32 v[88:89], v85 offset0:128 offset1:160
	v_add_u32_e32 v85, 0xc00, v84
	ds_read2_b32 v[112:113], v85 offset1:32
	ds_read2_b32 v[114:115], v85 offset0:128 offset1:160
	s_waitcnt lgkmcnt(3)
	v_mfma_f32_16x16x32_fp8_fp8 v[40:43], v[60:61], v[86:87], v[40:43]
	;;#ASMSTART
	s_waitcnt lgkmcnt(0)
	;;#ASMEND
	ds_read_b32 v85, v109 offset:57400
	ds_write_b32 v109, v110 offset:57396
	v_mfma_f32_16x16x32_fp8_fp8 v[24:27], v[68:69], v[86:87], v[24:27]
	s_waitcnt lgkmcnt(1)
	v_cmp_ne_u32_e32 vcc, v85, v90
	v_mfma_f32_16x16x32_fp8_fp8 v[8:11], v[78:79], v[86:87], v[8:11]
	v_mfma_f32_16x16x32_fp8_fp8 v[40:43], v[62:63], v[88:89], v[40:43]
	;; [unrolled: 1-line block ×10, first 2 shown]
	s_and_saveexec_b64 s[10:11], vcc
	s_cbranch_execz .LBB296_31
; %bb.29:                               ;   in Loop: Header=BB296_13 Depth=2
	s_mov_b64 s[12:13], 0
.LBB296_30:                             ;   Parent Loop BB296_7 Depth=1
                                        ;     Parent Loop BB296_13 Depth=2
                                        ; =>    This Inner Loop Header: Depth=3
	;;#ASMSTART
	s_sleep 0
	;;#ASMEND
	ds_read_b32 v85, v109 offset:57400
	s_waitcnt lgkmcnt(0)
	v_cmp_eq_u32_e32 vcc, v85, v90
	s_or_b64 s[12:13], vcc, s[12:13]
	s_andn2_b64 exec, exec, s[12:13]
	s_cbranch_execnz .LBB296_30
.LBB296_31:                             ;   in Loop: Header=BB296_13 Depth=2
	s_or_b64 exec, exec, s[10:11]
	v_add_u32_e32 v85, 0x1000, v84
	ds_read2_b32 v[86:87], v85 offset1:32
	ds_read2_b32 v[88:89], v85 offset0:128 offset1:160
	v_add_u32_e32 v85, 0x1400, v84
	ds_read2_b32 v[112:113], v85 offset1:32
	ds_read2_b32 v[114:115], v85 offset0:128 offset1:160
	s_waitcnt lgkmcnt(3)
	v_mfma_f32_16x16x32_fp8_fp8 v[36:39], v[60:61], v[86:87], v[36:39]
	;;#ASMSTART
	s_waitcnt lgkmcnt(0)
	;;#ASMEND
	ds_read_b32 v85, v109 offset:57404
	ds_write_b32 v109, v110 offset:57400
	v_mfma_f32_16x16x32_fp8_fp8 v[20:23], v[68:69], v[86:87], v[20:23]
	s_waitcnt lgkmcnt(1)
	v_cmp_ne_u32_e32 vcc, v85, v90
	v_mfma_f32_16x16x32_fp8_fp8 v[0:3], v[78:79], v[86:87], v[0:3]
	v_mfma_f32_16x16x32_fp8_fp8 v[36:39], v[62:63], v[88:89], v[36:39]
	;; [unrolled: 1-line block ×10, first 2 shown]
	s_and_saveexec_b64 s[10:11], vcc
	s_cbranch_execz .LBB296_12
; %bb.32:                               ;   in Loop: Header=BB296_13 Depth=2
	s_mov_b64 s[12:13], 0
.LBB296_33:                             ;   Parent Loop BB296_7 Depth=1
                                        ;     Parent Loop BB296_13 Depth=2
                                        ; =>    This Inner Loop Header: Depth=3
	;;#ASMSTART
	s_sleep 0
	;;#ASMEND
	ds_read_b32 v85, v109 offset:57404
	s_waitcnt lgkmcnt(0)
	v_cmp_eq_u32_e32 vcc, v85, v90
	s_or_b64 s[12:13], vcc, s[12:13]
	s_andn2_b64 exec, exec, s[12:13]
	s_cbranch_execnz .LBB296_33
	s_branch .LBB296_12
.LBB296_34:                             ;   in Loop: Header=BB296_7 Depth=1
	s_or_b64 exec, exec, s[8:9]
.LBB296_35:                             ;   in Loop: Header=BB296_7 Depth=1
	s_or_b64 exec, exec, s[6:7]
	v_cmp_le_i32_e32 vcc, s45, v48
	v_cmp_eq_u32_e64 s[6:7], 2, v93
	v_cmp_eq_u32_e64 s[8:9], 3, v93
	s_waitcnt vmcnt(0)
	v_cndmask_b32_e32 v60, 0, v107, vcc
	v_pk_mul_f32 v[44:45], v[60:61], v[44:45] op_sel_hi:[0,1]
	v_cmp_eq_u32_e32 vcc, 1, v93
	v_pk_mul_f32 v[64:65], v[60:61], v[46:47] op_sel_hi:[0,1]
	v_cmp_eq_u32_e64 s[10:11], 0, v93
	v_cndmask_b32_e32 v46, v44, v45, vcc
	v_cndmask_b32_e64 v46, v46, v64, s[6:7]
	v_cndmask_b32_e64 v46, v46, v65, s[8:9]
	ds_bpermute_b32 v61, v105, v46
	v_cmp_le_i32_e64 s[14:15], s45, v95
	v_cmp_le_i32_e64 s[18:19], s45, v96
	v_cmp_eq_u32_e64 s[12:13], 1, v94
	v_cmp_eq_u32_e64 s[16:17], 3, v94
	s_waitcnt lgkmcnt(0)
	v_cndmask_b32_e64 v46, v65, v61, s[8:9]
	v_cndmask_b32_e64 v47, v64, v61, s[6:7]
	v_cndmask_b32_e32 v45, v45, v61, vcc
	v_cndmask_b32_e64 v61, v44, v61, s[10:11]
	v_cndmask_b32_e64 v44, 0, v107, s[14:15]
	v_pk_mul_f32 v[40:41], v[44:45], v[40:41] op_sel_hi:[0,1]
	v_pk_mul_f32 v[64:65], v[44:45], v[42:43] op_sel_hi:[0,1]
	v_cndmask_b32_e32 v42, v40, v41, vcc
	v_cndmask_b32_e64 v42, v42, v64, s[6:7]
	v_cndmask_b32_e64 v42, v42, v65, s[8:9]
	ds_bpermute_b32 v66, v105, v42
	v_cndmask_b32_e64 v63, v61, v45, s[12:13]
	v_cmp_eq_u32_e64 s[14:15], 2, v94
	s_waitcnt lgkmcnt(0)
	v_cndmask_b32_e32 v41, v41, v66, vcc
	v_cndmask_b32_e64 v67, v40, v66, s[10:11]
	v_cndmask_b32_e64 v40, 0, v107, s[18:19]
	v_pk_mul_f32 v[36:37], v[40:41], v[36:37] op_sel_hi:[0,1]
	v_cndmask_b32_e64 v42, v63, v47, s[14:15]
	v_cndmask_b32_e64 v43, v65, v66, s[8:9]
	;; [unrolled: 1-line block ×3, first 2 shown]
	v_pk_mul_f32 v[64:65], v[40:41], v[38:39] op_sel_hi:[0,1]
	v_cndmask_b32_e32 v38, v36, v37, vcc
	v_cndmask_b32_e64 v38, v38, v64, s[6:7]
	v_cndmask_b32_e64 v38, v38, v65, s[8:9]
	ds_bpermute_b32 v66, v105, v38
	v_cmp_le_i32_e64 s[18:19], s45, v97
	v_cndmask_b32_e64 v38, v67, v41, s[12:13]
	v_cndmask_b32_e64 v38, v38, v63, s[14:15]
	;; [unrolled: 1-line block ×3, first 2 shown]
	s_waitcnt lgkmcnt(0)
	v_cndmask_b32_e64 v69, v36, v66, s[10:11]
	v_cndmask_b32_e64 v36, 0, v107, s[18:19]
	v_pk_mul_f32 v[72:73], v[36:37], v[32:33] op_sel_hi:[0,1]
	v_pk_mul_f32 v[70:71], v[36:37], v[34:35] op_sel_hi:[0,1]
	v_cndmask_b32_e32 v32, v72, v73, vcc
	v_cndmask_b32_e64 v32, v32, v70, s[6:7]
	v_cndmask_b32_e64 v32, v32, v71, s[8:9]
	ds_bpermute_b32 v33, v105, v32
	v_cndmask_b32_e32 v68, v37, v66, vcc
	v_cndmask_b32_e64 v64, v64, v66, s[6:7]
	v_cndmask_b32_e64 v32, v69, v68, s[12:13]
	;; [unrolled: 1-line block ×5, first 2 shown]
	v_cmp_ne_u32_e32 vcc, 0, v93
	ds_bpermute_b32 v65, v105, v32
	s_waitcnt lgkmcnt(1)
	v_cndmask_b32_e64 v34, v71, v33, s[8:9]
	v_cndmask_b32_e64 v35, v70, v33, s[6:7]
	v_cndmask_b32_e32 v32, v73, v33, vcc
	v_cndmask_b32_e64 v33, v72, v33, s[10:11]
	v_cndmask_b32_e64 v37, v33, v32, s[12:13]
	;; [unrolled: 1-line block ×5, first 2 shown]
	ds_bpermute_b32 v42, v105, v42
	ds_bpermute_b32 v38, v105, v38
	;; [unrolled: 1-line block ×3, first 2 shown]
	v_add_u32_e32 v37, s67, v98
	v_cmp_gt_u32_e32 vcc, 48, v37
	s_and_saveexec_b64 s[18:19], vcc
	s_cbranch_execz .LBB296_42
; %bb.36:                               ;   in Loop: Header=BB296_7 Depth=1
	v_cmp_eq_u32_e64 s[8:9], 1, v94
	v_cmp_eq_u32_e64 s[10:11], 0, v94
	v_cmp_eq_u32_e32 vcc, 3, v94
	s_waitcnt lgkmcnt(2)
	v_cndmask_b32_e64 v45, v45, v42, s[8:9]
	s_waitcnt lgkmcnt(1)
	v_cndmask_b32_e64 v41, v41, v38, s[8:9]
	v_cndmask_b32_e64 v70, v68, v65, s[8:9]
	s_waitcnt lgkmcnt(0)
	v_cndmask_b32_e64 v72, v32, v66, s[8:9]
	s_mul_i32 s8, s65, s21
	s_ashr_i32 s9, s8, 31
	s_lshl_b64 s[8:9], s[8:9], 1
	v_cndmask_b32_e64 v61, v61, v42, s[10:11]
	v_cndmask_b32_e64 v67, v67, v38, s[10:11]
	;; [unrolled: 1-line block ×4, first 2 shown]
	s_add_u32 s10, s40, s8
	s_addc_u32 s11, s41, s9
	s_ashr_i32 s45, s44, 31
	v_cvt_f16_f32_e32 v61, v61
	v_cvt_f16_f32_sdwa v45, v45 dst_sel:WORD_1 dst_unused:UNUSED_PAD src0_sel:DWORD
	v_cvt_f16_f32_e32 v67, v67
	v_cvt_f16_f32_sdwa v41, v41 dst_sel:WORD_1 dst_unused:UNUSED_PAD src0_sel:DWORD
	s_lshl_b64 s[8:9], s[44:45], 1
	s_add_u32 s50, s10, s8
	s_addc_u32 s51, s11, s9
	v_lshl_add_u64 v[32:33], v[50:51], 1, s[50:51]
	v_or_b32_e32 v45, v45, v61
	v_or_b32_e32 v41, v41, v67
	;;#ASMSTART
	global_atomic_pk_add_f16 v[32:33], v45, off
	
	;;#ASMEND
	v_lshl_add_u64 v[68:69], v[32:33], 0, 32
	;;#ASMSTART
	global_atomic_pk_add_f16 v[68:69], v41, off
	
	;;#ASMEND
	v_cvt_f16_f32_e32 v41, v71
	v_cvt_f16_f32_sdwa v45, v70 dst_sel:WORD_1 dst_unused:UNUSED_PAD src0_sel:DWORD
	v_cvt_f16_f32_e32 v61, v73
	v_cvt_f16_f32_sdwa v67, v72 dst_sel:WORD_1 dst_unused:UNUSED_PAD src0_sel:DWORD
	v_cmp_eq_u32_e64 s[6:7], 2, v94
	v_lshl_add_u64 v[68:69], v[32:33], 0, 64
	v_or_b32_e32 v41, v45, v41
	v_cmp_gt_u32_e64 s[8:9], 46, v37
	;;#ASMSTART
	global_atomic_pk_add_f16 v[68:69], v41, off
	
	;;#ASMEND
	v_lshl_add_u64 v[68:69], v[32:33], 0, s[30:31]
	v_or_b32_e32 v41, v67, v61
	;;#ASMSTART
	global_atomic_pk_add_f16 v[68:69], v41, off
	
	;;#ASMEND
	s_and_b64 exec, exec, s[8:9]
	s_cbranch_execz .LBB296_42
; %bb.37:                               ;   in Loop: Header=BB296_7 Depth=1
	v_cndmask_b32_e32 v46, v46, v42, vcc
	v_cndmask_b32_e64 v42, v47, v42, s[6:7]
	v_cvt_f16_f32_e32 v42, v42
	v_cvt_f16_f32_sdwa v46, v46 dst_sel:WORD_1 dst_unused:UNUSED_PAD src0_sel:DWORD
	v_cndmask_b32_e32 v43, v43, v38, vcc
	v_cndmask_b32_e64 v38, v63, v38, s[6:7]
	v_cndmask_b32_e32 v39, v39, v65, vcc
	v_cndmask_b32_e64 v47, v64, v65, s[6:7]
	v_cndmask_b32_e32 v63, v34, v66, vcc
	v_or_b32_e32 v34, v46, v42
	v_cvt_f16_f32_e32 v38, v38
	v_cvt_f16_f32_sdwa v42, v43 dst_sel:WORD_1 dst_unused:UNUSED_PAD src0_sel:DWORD
	v_cvt_f16_f32_e32 v43, v47
	v_cvt_f16_f32_sdwa v39, v39 dst_sel:WORD_1 dst_unused:UNUSED_PAD src0_sel:DWORD
	v_lshl_add_u64 v[32:33], s[28:29], 2, v[32:33]
	v_or_b32_e32 v38, v42, v38
	v_mov_b32_e32 v61, v60
	v_cndmask_b32_e64 v64, v35, v66, s[6:7]
	;;#ASMSTART
	global_atomic_pk_add_f16 v[32:33], v34, off
	
	;;#ASMEND
	v_lshl_add_u64 v[34:35], v[32:33], 0, 32
	;;#ASMSTART
	global_atomic_pk_add_f16 v[34:35], v38, off
	
	;;#ASMEND
	v_or_b32_e32 v42, v39, v43
	v_mov_b32_e32 v38, v60
	v_mov_b32_e32 v39, v60
	v_pk_mul_f32 v[30:31], v[38:39], v[30:31]
	v_pk_mul_f32 v[38:39], v[60:61], v[28:29]
	v_cmp_eq_u32_e32 vcc, 1, v93
	v_mov_b32_e32 v45, v44
	v_lshl_add_u64 v[34:35], v[32:33], 0, 64
	v_cndmask_b32_e32 v28, v38, v39, vcc
	v_cmp_eq_u32_e64 s[6:7], 2, v93
	;;#ASMSTART
	global_atomic_pk_add_f16 v[34:35], v42, off
	
	;;#ASMEND
	v_lshl_add_u64 v[42:43], v[32:33], 0, s[30:31]
	v_mov_b32_e32 v32, v44
	v_mov_b32_e32 v33, v44
	v_cndmask_b32_e64 v28, v28, v30, s[6:7]
	v_cmp_eq_u32_e64 s[8:9], 3, v93
	v_pk_mul_f32 v[26:27], v[32:33], v[26:27]
	v_pk_mul_f32 v[32:33], v[44:45], v[24:25]
	v_cndmask_b32_e64 v28, v28, v31, s[8:9]
	v_cndmask_b32_e32 v24, v32, v33, vcc
	ds_bpermute_b32 v46, v105, v28
	v_cndmask_b32_e64 v24, v24, v26, s[6:7]
	v_cndmask_b32_e64 v24, v24, v27, s[8:9]
	ds_bpermute_b32 v35, v105, v24
	v_cmp_eq_u32_e64 s[10:11], 0, v93
	s_waitcnt lgkmcnt(1)
	v_cndmask_b32_e64 v28, v31, v46, s[8:9]
	v_cndmask_b32_e64 v29, v30, v46, s[6:7]
	v_cndmask_b32_e32 v30, v39, v46, vcc
	v_cndmask_b32_e64 v31, v38, v46, s[10:11]
	v_cmp_eq_u32_e64 s[12:13], 1, v94
	v_mov_b32_e32 v41, v40
	v_cmp_eq_u32_e64 s[14:15], 2, v94
	v_cndmask_b32_e64 v34, v31, v30, s[12:13]
	s_waitcnt lgkmcnt(0)
	v_cndmask_b32_e64 v25, v27, v35, s[8:9]
	v_cndmask_b32_e64 v24, v34, v29, s[14:15]
	;; [unrolled: 1-line block ×3, first 2 shown]
	v_cndmask_b32_e32 v27, v33, v35, vcc
	v_cndmask_b32_e64 v32, v32, v35, s[10:11]
	v_mov_b32_e32 v34, v40
	v_mov_b32_e32 v35, v40
	v_pk_mul_f32 v[38:39], v[40:41], v[20:21]
	v_pk_mul_f32 v[22:23], v[34:35], v[22:23]
	v_cndmask_b32_e32 v20, v38, v39, vcc
	v_cndmask_b32_e64 v20, v20, v22, s[6:7]
	v_cndmask_b32_e64 v20, v20, v23, s[8:9]
	ds_bpermute_b32 v33, v105, v20
	v_mov_b32_e32 v37, v36
	v_pk_mul_f32 v[46:47], v[36:37], v[16:17]
	v_cmp_eq_u32_e64 s[16:17], 3, v94
	v_cndmask_b32_e32 v16, v46, v47, vcc
	s_waitcnt lgkmcnt(0)
	v_cndmask_b32_e32 v34, v39, v33, vcc
	v_cndmask_b32_e64 v35, v38, v33, s[10:11]
	v_mov_b32_e32 v38, v36
	v_mov_b32_e32 v39, v36
	v_pk_mul_f32 v[38:39], v[38:39], v[18:19]
	v_cndmask_b32_e64 v22, v22, v33, s[6:7]
	v_cndmask_b32_e64 v16, v16, v38, s[6:7]
	;; [unrolled: 1-line block ×3, first 2 shown]
	ds_bpermute_b32 v17, v105, v16
	v_cndmask_b32_e64 v16, v35, v34, s[12:13]
	v_cndmask_b32_e64 v21, v23, v33, s[8:9]
	;; [unrolled: 1-line block ×4, first 2 shown]
	v_cmp_ne_u32_e32 vcc, 0, v93
	ds_bpermute_b32 v23, v105, v16
	s_waitcnt lgkmcnt(1)
	v_cndmask_b32_e64 v18, v39, v17, s[8:9]
	v_cndmask_b32_e64 v19, v38, v17, s[6:7]
	v_cndmask_b32_e32 v16, v47, v17, vcc
	v_cndmask_b32_e64 v17, v46, v17, s[10:11]
	v_cndmask_b32_e64 v20, v32, v27, s[12:13]
	;; [unrolled: 1-line block ×3, first 2 shown]
	v_cvt_f16_f32_e32 v64, v64
	v_cvt_f16_f32_sdwa v63, v63 dst_sel:WORD_1 dst_unused:UNUSED_PAD src0_sel:DWORD
	v_cndmask_b32_e64 v20, v20, v26, s[14:15]
	v_cndmask_b32_e64 v33, v33, v19, s[14:15]
	;; [unrolled: 1-line block ×5, first 2 shown]
	ds_bpermute_b32 v24, v105, v24
	ds_bpermute_b32 v20, v105, v20
	;; [unrolled: 1-line block ×3, first 2 shown]
	v_or_b32_e32 v38, v63, v64
	;;#ASMSTART
	global_atomic_pk_add_f16 v[42:43], v38, off
	
	;;#ASMEND
	v_add_u32_e32 v38, s67, v99
	v_cmp_gt_u32_e32 vcc, 48, v38
	s_and_b64 exec, exec, vcc
	s_cbranch_execz .LBB296_42
; %bb.38:                               ;   in Loop: Header=BB296_7 Depth=1
	v_cmp_eq_u32_e64 s[8:9], 1, v94
	v_cmp_eq_u32_e64 s[10:11], 0, v94
	v_cmp_eq_u32_e32 vcc, 3, v94
	s_waitcnt lgkmcnt(2)
	v_cndmask_b32_e64 v30, v30, v24, s[8:9]
	v_cndmask_b32_e64 v31, v31, v24, s[10:11]
	s_waitcnt lgkmcnt(1)
	v_cndmask_b32_e64 v27, v27, v20, s[8:9]
	v_cndmask_b32_e64 v32, v32, v20, s[10:11]
	v_cvt_f16_f32_e32 v31, v31
	v_cvt_f16_f32_sdwa v30, v30 dst_sel:WORD_1 dst_unused:UNUSED_PAD src0_sel:DWORD
	v_cvt_f16_f32_e32 v32, v32
	v_cvt_f16_f32_sdwa v27, v27 dst_sel:WORD_1 dst_unused:UNUSED_PAD src0_sel:DWORD
	v_cndmask_b32_e64 v34, v34, v23, s[8:9]
	v_cndmask_b32_e64 v35, v35, v23, s[10:11]
	s_waitcnt lgkmcnt(0)
	v_cndmask_b32_e64 v39, v16, v33, s[8:9]
	v_cndmask_b32_e64 v42, v17, v33, s[10:11]
	v_lshl_add_u64 v[16:17], v[52:53], 1, s[50:51]
	v_or_b32_e32 v30, v30, v31
	v_or_b32_e32 v27, v27, v32
	;;#ASMSTART
	global_atomic_pk_add_f16 v[16:17], v30, off
	
	;;#ASMEND
	v_lshl_add_u64 v[30:31], v[16:17], 0, 32
	;;#ASMSTART
	global_atomic_pk_add_f16 v[30:31], v27, off
	
	;;#ASMEND
	v_cvt_f16_f32_e32 v27, v35
	v_cvt_f16_f32_sdwa v32, v34 dst_sel:WORD_1 dst_unused:UNUSED_PAD src0_sel:DWORD
	v_cvt_f16_f32_e32 v34, v42
	v_cvt_f16_f32_sdwa v35, v39 dst_sel:WORD_1 dst_unused:UNUSED_PAD src0_sel:DWORD
	v_cmp_eq_u32_e64 s[6:7], 2, v94
	v_lshl_add_u64 v[30:31], v[16:17], 0, 64
	v_or_b32_e32 v27, v32, v27
	v_cmp_gt_u32_e64 s[8:9], 46, v38
	;;#ASMSTART
	global_atomic_pk_add_f16 v[30:31], v27, off
	
	;;#ASMEND
	v_lshl_add_u64 v[30:31], v[16:17], 0, s[30:31]
	v_or_b32_e32 v27, v35, v34
	;;#ASMSTART
	global_atomic_pk_add_f16 v[30:31], v27, off
	
	;;#ASMEND
	s_and_b64 exec, exec, s[8:9]
	s_cbranch_execz .LBB296_42
; %bb.39:                               ;   in Loop: Header=BB296_7 Depth=1
	v_cndmask_b32_e32 v27, v28, v24, vcc
	v_cndmask_b32_e64 v24, v29, v24, s[6:7]
	v_cndmask_b32_e32 v21, v21, v23, vcc
	v_cndmask_b32_e64 v22, v22, v23, s[6:7]
	v_cvt_f16_f32_e32 v23, v24
	v_cvt_f16_f32_sdwa v24, v27 dst_sel:WORD_1 dst_unused:UNUSED_PAD src0_sel:DWORD
	v_cndmask_b32_e32 v25, v25, v20, vcc
	v_cndmask_b32_e64 v20, v26, v20, s[6:7]
	v_cndmask_b32_e32 v26, v18, v33, vcc
	v_or_b32_e32 v18, v24, v23
	v_cvt_f16_f32_e32 v20, v20
	v_cvt_f16_f32_sdwa v23, v25 dst_sel:WORD_1 dst_unused:UNUSED_PAD src0_sel:DWORD
	v_cvt_f16_f32_e32 v22, v22
	v_cvt_f16_f32_sdwa v21, v21 dst_sel:WORD_1 dst_unused:UNUSED_PAD src0_sel:DWORD
	v_lshl_add_u64 v[16:17], s[28:29], 2, v[16:17]
	v_or_b32_e32 v20, v23, v20
	v_cndmask_b32_e64 v27, v19, v33, s[6:7]
	;;#ASMSTART
	global_atomic_pk_add_f16 v[16:17], v18, off
	
	;;#ASMEND
	v_lshl_add_u64 v[18:19], v[16:17], 0, 32
	;;#ASMSTART
	global_atomic_pk_add_f16 v[18:19], v20, off
	
	;;#ASMEND
	v_or_b32_e32 v22, v21, v22
	v_mov_b32_e32 v20, v60
	v_mov_b32_e32 v21, v60
	v_pk_mul_f32 v[14:15], v[20:21], v[14:15]
	v_pk_mul_f32 v[20:21], v[60:61], v[12:13]
	v_cmp_eq_u32_e32 vcc, 1, v93
	v_lshl_add_u64 v[18:19], v[16:17], 0, 64
	v_cmp_eq_u32_e64 s[6:7], 2, v93
	v_cndmask_b32_e32 v12, v20, v21, vcc
	v_cmp_eq_u32_e64 s[8:9], 3, v93
	v_cndmask_b32_e64 v12, v12, v14, s[6:7]
	;;#ASMSTART
	global_atomic_pk_add_f16 v[18:19], v22, off
	
	;;#ASMEND
	v_lshl_add_u64 v[22:23], v[16:17], 0, s[30:31]
	v_mov_b32_e32 v16, v44
	v_mov_b32_e32 v17, v44
	v_pk_mul_f32 v[18:19], v[44:45], v[8:9]
	v_cndmask_b32_e64 v12, v12, v15, s[8:9]
	v_pk_mul_f32 v[10:11], v[16:17], v[10:11]
	v_cndmask_b32_e32 v8, v18, v19, vcc
	ds_bpermute_b32 v24, v105, v12
	v_cndmask_b32_e64 v8, v8, v10, s[6:7]
	v_cndmask_b32_e64 v8, v8, v11, s[8:9]
	ds_bpermute_b32 v17, v105, v8
	v_cmp_eq_u32_e64 s[10:11], 0, v93
	s_waitcnt lgkmcnt(1)
	v_cndmask_b32_e64 v12, v15, v24, s[8:9]
	v_cndmask_b32_e64 v13, v14, v24, s[6:7]
	v_cndmask_b32_e32 v14, v21, v24, vcc
	v_cndmask_b32_e64 v15, v20, v24, s[10:11]
	v_cmp_eq_u32_e64 s[12:13], 1, v94
	v_cmp_eq_u32_e64 s[14:15], 2, v94
	s_waitcnt lgkmcnt(0)
	v_cndmask_b32_e64 v9, v11, v17, s[8:9]
	v_cndmask_b32_e64 v20, v15, v14, s[12:13]
	;; [unrolled: 1-line block ×4, first 2 shown]
	v_cndmask_b32_e32 v16, v19, v17, vcc
	v_cndmask_b32_e64 v17, v18, v17, s[10:11]
	v_mov_b32_e32 v18, v40
	v_mov_b32_e32 v19, v40
	v_pk_mul_f32 v[20:21], v[40:41], v[0:1]
	v_pk_mul_f32 v[18:19], v[18:19], v[2:3]
	v_cndmask_b32_e32 v0, v20, v21, vcc
	v_cndmask_b32_e64 v0, v0, v18, s[6:7]
	v_cndmask_b32_e64 v0, v0, v19, s[8:9]
	ds_bpermute_b32 v1, v105, v0
	v_cndmask_b32_e64 v0, v17, v16, s[12:13]
	v_cmp_eq_u32_e64 s[16:17], 3, v94
	v_cndmask_b32_e64 v0, v0, v10, s[14:15]
	v_cvt_f16_f32_e32 v25, v27
	s_waitcnt lgkmcnt(0)
	v_cndmask_b32_e64 v3, v19, v1, s[8:9]
	v_cndmask_b32_e64 v11, v18, v1, s[6:7]
	v_mov_b32_e32 v18, v36
	v_mov_b32_e32 v19, v36
	v_pk_mul_f32 v[6:7], v[18:19], v[6:7]
	v_pk_mul_f32 v[18:19], v[36:37], v[4:5]
	v_cndmask_b32_e64 v0, v0, v9, s[16:17]
	v_cndmask_b32_e32 v4, v18, v19, vcc
	v_cndmask_b32_e64 v4, v4, v6, s[6:7]
	v_cndmask_b32_e64 v4, v4, v7, s[8:9]
	ds_bpermute_b32 v2, v105, v0
	v_cndmask_b32_e32 v0, v21, v1, vcc
	v_cndmask_b32_e64 v1, v20, v1, s[10:11]
	ds_bpermute_b32 v20, v105, v4
	v_cmp_ne_u32_e32 vcc, 0, v93
	v_cndmask_b32_e64 v4, v1, v0, s[12:13]
	v_cvt_f16_f32_sdwa v26, v26 dst_sel:WORD_1 dst_unused:UNUSED_PAD src0_sel:DWORD
	v_cndmask_b32_e64 v4, v4, v11, s[14:15]
	s_waitcnt lgkmcnt(0)
	v_cndmask_b32_e64 v5, v7, v20, s[8:9]
	v_cndmask_b32_e64 v6, v6, v20, s[6:7]
	v_cndmask_b32_e32 v19, v19, v20, vcc
	v_cndmask_b32_e64 v20, v18, v20, s[10:11]
	v_cndmask_b32_e64 v7, v20, v19, s[12:13]
	;; [unrolled: 1-line block ×6, first 2 shown]
	ds_bpermute_b32 v8, v105, v8
	ds_bpermute_b32 v4, v105, v4
	ds_bpermute_b32 v7, v105, v7
	v_or_b32_e32 v18, v26, v25
	;;#ASMSTART
	global_atomic_pk_add_f16 v[22:23], v18, off
	
	;;#ASMEND
	v_add_u32_e32 v18, s67, v100
	v_cmp_gt_u32_e32 vcc, 48, v18
	s_and_b64 exec, exec, vcc
	s_cbranch_execz .LBB296_42
; %bb.40:                               ;   in Loop: Header=BB296_7 Depth=1
	v_cmp_eq_u32_e64 s[8:9], 1, v94
	v_cmp_eq_u32_e64 s[10:11], 0, v94
	v_cmp_eq_u32_e32 vcc, 3, v94
	s_waitcnt lgkmcnt(2)
	v_cndmask_b32_e64 v14, v14, v8, s[8:9]
	v_cndmask_b32_e64 v15, v15, v8, s[10:11]
	;; [unrolled: 1-line block ×4, first 2 shown]
	v_cvt_f16_f32_e32 v15, v15
	v_cvt_f16_f32_sdwa v14, v14 dst_sel:WORD_1 dst_unused:UNUSED_PAD src0_sel:DWORD
	v_cvt_f16_f32_e32 v17, v17
	v_cvt_f16_f32_sdwa v16, v16 dst_sel:WORD_1 dst_unused:UNUSED_PAD src0_sel:DWORD
	s_waitcnt lgkmcnt(1)
	v_cndmask_b32_e64 v21, v0, v4, s[8:9]
	v_cndmask_b32_e64 v22, v1, v4, s[10:11]
	v_lshl_add_u64 v[0:1], v[54:55], 1, s[50:51]
	v_or_b32_e32 v14, v14, v15
	v_or_b32_e32 v16, v16, v17
	s_waitcnt lgkmcnt(0)
	v_cndmask_b32_e64 v19, v19, v7, s[8:9]
	v_cndmask_b32_e64 v20, v20, v7, s[10:11]
	;;#ASMSTART
	global_atomic_pk_add_f16 v[0:1], v14, off
	
	;;#ASMEND
	v_lshl_add_u64 v[14:15], v[0:1], 0, 32
	;;#ASMSTART
	global_atomic_pk_add_f16 v[14:15], v16, off
	
	;;#ASMEND
	v_cvt_f16_f32_e32 v16, v22
	v_cvt_f16_f32_sdwa v17, v21 dst_sel:WORD_1 dst_unused:UNUSED_PAD src0_sel:DWORD
	v_cvt_f16_f32_e32 v20, v20
	v_cvt_f16_f32_sdwa v19, v19 dst_sel:WORD_1 dst_unused:UNUSED_PAD src0_sel:DWORD
	v_cmp_eq_u32_e64 s[6:7], 2, v94
	v_lshl_add_u64 v[14:15], v[0:1], 0, 64
	v_or_b32_e32 v16, v17, v16
	v_cmp_gt_u32_e64 s[8:9], 46, v18
	;;#ASMSTART
	global_atomic_pk_add_f16 v[14:15], v16, off
	
	;;#ASMEND
	v_lshl_add_u64 v[14:15], v[0:1], 0, s[30:31]
	v_or_b32_e32 v16, v19, v20
	;;#ASMSTART
	global_atomic_pk_add_f16 v[14:15], v16, off
	
	;;#ASMEND
	s_and_b64 exec, exec, s[8:9]
	s_cbranch_execz .LBB296_42
; %bb.41:                               ;   in Loop: Header=BB296_7 Depth=1
	v_cndmask_b32_e32 v12, v12, v8, vcc
	v_cndmask_b32_e64 v8, v13, v8, s[6:7]
	v_cndmask_b32_e32 v9, v9, v2, vcc
	v_cndmask_b32_e64 v2, v10, v2, s[6:7]
	v_cndmask_b32_e32 v10, v3, v4, vcc
	v_cndmask_b32_e32 v5, v5, v7, vcc
	v_cndmask_b32_e64 v6, v6, v7, s[6:7]
	v_cvt_f16_f32_e32 v3, v8
	v_cvt_f16_f32_sdwa v7, v12 dst_sel:WORD_1 dst_unused:UNUSED_PAD src0_sel:DWORD
	v_cvt_f16_f32_e32 v8, v2
	v_cvt_f16_f32_sdwa v9, v9 dst_sel:WORD_1 dst_unused:UNUSED_PAD src0_sel:DWORD
	v_cndmask_b32_e64 v4, v11, v4, s[6:7]
	v_lshl_add_u64 v[0:1], s[28:29], 2, v[0:1]
	v_or_b32_e32 v2, v7, v3
	v_or_b32_e32 v7, v9, v8
	;;#ASMSTART
	global_atomic_pk_add_f16 v[0:1], v2, off
	
	;;#ASMEND
	v_lshl_add_u64 v[2:3], v[0:1], 0, 32
	;;#ASMSTART
	global_atomic_pk_add_f16 v[2:3], v7, off
	
	;;#ASMEND
	v_cvt_f16_f32_e32 v4, v4
	v_cvt_f16_f32_sdwa v7, v10 dst_sel:WORD_1 dst_unused:UNUSED_PAD src0_sel:DWORD
	v_cvt_f16_f32_e32 v6, v6
	v_cvt_f16_f32_sdwa v5, v5 dst_sel:WORD_1 dst_unused:UNUSED_PAD src0_sel:DWORD
	v_lshl_add_u64 v[2:3], v[0:1], 0, 64
	v_or_b32_e32 v4, v7, v4
	;;#ASMSTART
	global_atomic_pk_add_f16 v[2:3], v4, off
	
	;;#ASMEND
	v_lshl_add_u64 v[0:1], v[0:1], 0, s[30:31]
	v_or_b32_e32 v2, v5, v6
	;;#ASMSTART
	global_atomic_pk_add_f16 v[0:1], v2, off
	
	;;#ASMEND
.LBB296_42:                             ;   in Loop: Header=BB296_7 Depth=1
	s_or_b64 exec, exec, s[18:19]
	v_subrev_u32_e32 v106, s68, v106
.LBB296_43:                             ;   in Loop: Header=BB296_7 Depth=1
	s_or_b64 exec, exec, s[48:49]
.LBB296_44:                             ;   in Loop: Header=BB296_7 Depth=1
	s_andn2_saveexec_b64 s[6:7], s[46:47]
	s_cbranch_execz .LBB296_53
; %bb.45:                               ;   in Loop: Header=BB296_7 Depth=1
	s_lshl_b32 s16, s68, 2
	v_cmp_gt_i32_e32 vcc, s16, v106
	s_and_saveexec_b64 s[8:9], vcc
	s_cbranch_execz .LBB296_52
; %bb.46:                               ;   in Loop: Header=BB296_7 Depth=1
	s_mul_i32 s10, s44, s23
	s_ashr_i32 s11, s10, 31
	s_waitcnt lgkmcnt(0)
	s_add_u32 s10, s38, s10
	s_addc_u32 s11, s39, s11
	s_ashr_i32 s12, s66, 31
	s_add_u32 s10, s10, s66
	s_addc_u32 s11, s11, s12
	v_lshl_add_u64 v[0:1], s[10:11], 0, v[58:59]
	v_lshl_add_u64 v[8:9], v[0:1], 0, v[56:57]
	s_mov_b64 s[10:11], 0
	s_branch .LBB296_48
.LBB296_47:                             ;   in Loop: Header=BB296_48 Depth=2
	s_or_b64 exec, exec, s[12:13]
	v_lshl_or_b32 v12, v10, 11, v102
	;;#ASMSTART
	s_waitcnt vmcnt(1)
	;;#ASMEND
	ds_write2_b32 v12, v4, v5 offset1:32
	ds_write2_b32 v12, v6, v7 offset0:64 offset1:96
	v_add_u32_e32 v4, 0x400, v12
	v_add_u32_e32 v106, s26, v106
	;;#ASMSTART
	s_waitcnt vmcnt(0)
	;;#ASMEND
	ds_write2_b32 v4, v0, v1 offset1:32
	ds_write2_b32 v4, v2, v3 offset0:64 offset1:96
	v_add_u32_e32 v0, 1, v90
	v_add_u32_e32 v62, s26, v10
	v_cmp_le_i32_e32 vcc, s16, v106
	ds_write_b32 v11, v0 offset:48
	v_add_u32_e32 v0, 2, v90
	s_or_b64 s[10:11], vcc, s[10:11]
	v_cmp_lt_i32_e32 vcc, 15, v62
	s_nop 1
	v_cndmask_b32_e32 v90, v90, v0, vcc
	s_andn2_b64 exec, exec, s[10:11]
	s_cbranch_execz .LBB296_51
.LBB296_48:                             ;   Parent Loop BB296_7 Depth=1
                                        ; =>  This Loop Header: Depth=2
                                        ;       Child Loop BB296_50 Depth 3
	v_cmp_gt_i32_e32 vcc, 16, v62
	s_nop 1
	v_cndmask_b32_e64 v0, -16, 0, vcc
	v_add_u32_e32 v10, v0, v62
	v_ashrrev_i32_e32 v0, 31, v106
	v_lshrrev_b32_e32 v0, 30, v0
	v_add_u32_e32 v0, v106, v0
	v_and_b32_e32 v1, -4, v0
	v_lshlrev_b32_e32 v0, 5, v0
	v_sub_u32_e32 v2, v106, v1
	v_and_b32_e32 v0, 0xffffff80, v0
	v_ashrrev_i32_e32 v1, 31, v0
	v_mul_lo_u32 v2, s57, v2
	v_lshl_add_u64 v[0:1], v[8:9], 0, v[0:1]
	v_ashrrev_i32_e32 v3, 31, v2
	v_lshl_add_u64 v[0:1], v[0:1], 0, v[2:3]
	v_lshlrev_b32_e32 v11, 2, v10
	;;#ASMSTART
	global_load_dwordx4 v[4:7], v[0:1], off offset:0   sc0 sc1 nt  
	global_load_dwordx4 v[0:3], v[0:1], off offset:64  sc0 sc1 nt  
	
	;;#ASMEND
	ds_read_b32 v12, v11 offset:57392
	v_add_u32_e32 v11, 0xe000, v11
	s_waitcnt lgkmcnt(0)
	v_cmp_ne_u32_e32 vcc, v12, v90
	s_and_saveexec_b64 s[12:13], vcc
	s_cbranch_execz .LBB296_47
; %bb.49:                               ;   in Loop: Header=BB296_48 Depth=2
	s_mov_b64 s[14:15], 0
.LBB296_50:                             ;   Parent Loop BB296_7 Depth=1
                                        ;     Parent Loop BB296_48 Depth=2
                                        ; =>    This Inner Loop Header: Depth=3
	;;#ASMSTART
	s_sleep 0
	;;#ASMEND
	ds_read_b32 v12, v11 offset:48
	s_waitcnt lgkmcnt(0)
	v_cmp_eq_u32_e32 vcc, v12, v90
	s_or_b64 s[14:15], vcc, s[14:15]
	s_andn2_b64 exec, exec, s[14:15]
	s_cbranch_execnz .LBB296_50
	s_branch .LBB296_47
.LBB296_51:                             ;   in Loop: Header=BB296_7 Depth=1
	s_or_b64 exec, exec, s[10:11]
.LBB296_52:                             ;   in Loop: Header=BB296_7 Depth=1
	s_or_b64 exec, exec, s[8:9]
	v_subrev_u32_e32 v106, s16, v106
.LBB296_53:                             ;   in Loop: Header=BB296_7 Depth=1
	s_or_b64 exec, exec, s[6:7]
.LBB296_54:                             ;   in Loop: Header=BB296_7 Depth=1
	s_andn2_saveexec_b64 s[6:7], s[34:35]
	s_cbranch_execz .LBB296_6
; %bb.55:                               ;   in Loop: Header=BB296_7 Depth=1
	s_mul_i32 s68, s68, 3
	v_cmp_gt_i32_e32 vcc, s68, v106
	s_and_saveexec_b64 s[8:9], vcc
	s_cbranch_execz .LBB296_5
; %bb.56:                               ;   in Loop: Header=BB296_7 Depth=1
	s_mul_i32 s65, s65, s22
	s_ashr_i32 s10, s65, 31
	s_waitcnt lgkmcnt(0)
	s_add_u32 s11, s36, s65
	v_add_u32_e32 v2, s67, v101
	s_addc_u32 s12, s37, s10
	s_ashr_i32 s13, s66, 31
	v_cmp_gt_u32_e32 vcc, 48, v2
	s_add_u32 s10, s11, s66
	s_addc_u32 s11, s12, s13
	v_cndmask_b32_e32 v0, 0, v103, vcc
	v_ashrrev_i32_e32 v1, 31, v0
	v_lshl_add_u64 v[0:1], s[10:11], 0, v[0:1]
	v_lshl_add_u64 v[8:9], v[0:1], 0, v[56:57]
	v_sub_u32_e32 v10, 47, v2
	s_mov_b64 s[10:11], 0
	s_branch .LBB296_58
.LBB296_57:                             ;   in Loop: Header=BB296_58 Depth=2
	s_or_b64 exec, exec, s[12:13]
	v_lshl_add_u32 v13, v11, 11, v104
	;;#ASMSTART
	s_waitcnt vmcnt(1)
	;;#ASMEND
	ds_write2_b32 v13, v4, v5 offset1:32
	ds_write2_b32 v13, v6, v7 offset0:64 offset1:96
	v_add_u32_e32 v4, 0x400, v13
	v_add_u32_e32 v106, s25, v106
	;;#ASMSTART
	s_waitcnt vmcnt(0)
	;;#ASMEND
	ds_write2_b32 v4, v0, v1 offset1:32
	ds_write2_b32 v4, v2, v3 offset0:64 offset1:96
	v_add_u32_e32 v0, 1, v90
	v_add_u32_e32 v62, s25, v11
	v_cmp_le_i32_e32 vcc, s68, v106
	ds_write_b32 v12, v0
	v_add_u32_e32 v0, 2, v90
	s_or_b64 s[10:11], vcc, s[10:11]
	v_cmp_lt_i32_e32 vcc, 11, v62
	s_nop 1
	v_cndmask_b32_e32 v90, v90, v0, vcc
	s_andn2_b64 exec, exec, s[10:11]
	s_cbranch_execz .LBB296_4
.LBB296_58:                             ;   Parent Loop BB296_7 Depth=1
                                        ; =>  This Loop Header: Depth=2
                                        ;       Child Loop BB296_60 Depth 3
	v_cmp_gt_i32_e32 vcc, 12, v62
	s_nop 1
	v_cndmask_b32_e64 v0, -12, 0, vcc
	v_add_u32_e32 v11, v0, v62
	v_mul_hi_i32 v0, v106, s64
	v_lshrrev_b32_e32 v1, 31, v0
	v_add_u32_e32 v0, v0, v1
	v_lshl_add_u32 v1, v0, 1, v0
	v_sub_u32_e32 v1, v106, v1
	v_lshlrev_b32_e32 v1, 4, v1
	v_cmp_le_i32_e32 vcc, v1, v10
	v_lshlrev_b32_e32 v0, 7, v0
	v_lshlrev_b32_e32 v12, 2, v11
	v_cndmask_b32_e32 v2, 0, v1, vcc
	v_ashrrev_i32_e32 v1, 31, v0
	v_mul_lo_u32 v2, v2, s22
	v_lshl_add_u64 v[0:1], v[8:9], 0, v[0:1]
	v_ashrrev_i32_e32 v3, 31, v2
	v_lshl_add_u64 v[0:1], v[0:1], 0, v[2:3]
	;;#ASMSTART
	global_load_dwordx4 v[4:7], v[0:1], off offset:0   
	global_load_dwordx4 v[0:3], v[0:1], off offset:64  
	
	;;#ASMEND
	ds_read_b32 v13, v12 offset:57344
	v_add_u32_e32 v12, 0xe000, v12
	s_waitcnt lgkmcnt(0)
	v_cmp_ne_u32_e32 vcc, v13, v90
	s_and_saveexec_b64 s[12:13], vcc
	s_cbranch_execz .LBB296_57
; %bb.59:                               ;   in Loop: Header=BB296_58 Depth=2
	s_mov_b64 s[14:15], 0
.LBB296_60:                             ;   Parent Loop BB296_7 Depth=1
                                        ;     Parent Loop BB296_58 Depth=2
                                        ; =>    This Inner Loop Header: Depth=3
	;;#ASMSTART
	s_sleep 0
	;;#ASMEND
	ds_read_b32 v13, v12
	s_waitcnt lgkmcnt(0)
	v_cmp_eq_u32_e32 vcc, v13, v90
	s_or_b64 s[14:15], vcc, s[14:15]
	s_andn2_b64 exec, exec, s[14:15]
	s_cbranch_execnz .LBB296_60
	s_branch .LBB296_57
.LBB296_61:
	s_endpgm
	.section	.rodata,"a",@progbits
	.p2align	6, 0x0
	.amdhsa_kernel _Z19_skinny_gemm_kernelILi3ELi4ELi4ELi16ELi4EEvPKhS1_P6__halfPKfiiiiiiii
		.amdhsa_group_segment_fixed_size 57456
		.amdhsa_private_segment_fixed_size 0
		.amdhsa_kernarg_size 64
		.amdhsa_user_sgpr_count 2
		.amdhsa_user_sgpr_dispatch_ptr 0
		.amdhsa_user_sgpr_queue_ptr 0
		.amdhsa_user_sgpr_kernarg_segment_ptr 1
		.amdhsa_user_sgpr_dispatch_id 0
		.amdhsa_user_sgpr_kernarg_preload_length 0
		.amdhsa_user_sgpr_kernarg_preload_offset 0
		.amdhsa_user_sgpr_private_segment_size 0
		.amdhsa_uses_dynamic_stack 0
		.amdhsa_enable_private_segment 0
		.amdhsa_system_sgpr_workgroup_id_x 1
		.amdhsa_system_sgpr_workgroup_id_y 0
		.amdhsa_system_sgpr_workgroup_id_z 0
		.amdhsa_system_sgpr_workgroup_info 0
		.amdhsa_system_vgpr_workitem_id 0
		.amdhsa_next_free_vgpr 116
		.amdhsa_next_free_sgpr 69
		.amdhsa_accum_offset 116
		.amdhsa_reserve_vcc 1
		.amdhsa_float_round_mode_32 0
		.amdhsa_float_round_mode_16_64 0
		.amdhsa_float_denorm_mode_32 3
		.amdhsa_float_denorm_mode_16_64 3
		.amdhsa_dx10_clamp 1
		.amdhsa_ieee_mode 1
		.amdhsa_fp16_overflow 0
		.amdhsa_tg_split 0
		.amdhsa_exception_fp_ieee_invalid_op 0
		.amdhsa_exception_fp_denorm_src 0
		.amdhsa_exception_fp_ieee_div_zero 0
		.amdhsa_exception_fp_ieee_overflow 0
		.amdhsa_exception_fp_ieee_underflow 0
		.amdhsa_exception_fp_ieee_inexact 0
		.amdhsa_exception_int_div_zero 0
	.end_amdhsa_kernel
	.section	.text._Z19_skinny_gemm_kernelILi3ELi4ELi4ELi16ELi4EEvPKhS1_P6__halfPKfiiiiiiii,"axG",@progbits,_Z19_skinny_gemm_kernelILi3ELi4ELi4ELi16ELi4EEvPKhS1_P6__halfPKfiiiiiiii,comdat
.Lfunc_end296:
	.size	_Z19_skinny_gemm_kernelILi3ELi4ELi4ELi16ELi4EEvPKhS1_P6__halfPKfiiiiiiii, .Lfunc_end296-_Z19_skinny_gemm_kernelILi3ELi4ELi4ELi16ELi4EEvPKhS1_P6__halfPKfiiiiiiii
                                        ; -- End function
	.set _Z19_skinny_gemm_kernelILi3ELi4ELi4ELi16ELi4EEvPKhS1_P6__halfPKfiiiiiiii.num_vgpr, 116
	.set _Z19_skinny_gemm_kernelILi3ELi4ELi4ELi16ELi4EEvPKhS1_P6__halfPKfiiiiiiii.num_agpr, 0
	.set _Z19_skinny_gemm_kernelILi3ELi4ELi4ELi16ELi4EEvPKhS1_P6__halfPKfiiiiiiii.numbered_sgpr, 69
	.set _Z19_skinny_gemm_kernelILi3ELi4ELi4ELi16ELi4EEvPKhS1_P6__halfPKfiiiiiiii.num_named_barrier, 0
	.set _Z19_skinny_gemm_kernelILi3ELi4ELi4ELi16ELi4EEvPKhS1_P6__halfPKfiiiiiiii.private_seg_size, 0
	.set _Z19_skinny_gemm_kernelILi3ELi4ELi4ELi16ELi4EEvPKhS1_P6__halfPKfiiiiiiii.uses_vcc, 1
	.set _Z19_skinny_gemm_kernelILi3ELi4ELi4ELi16ELi4EEvPKhS1_P6__halfPKfiiiiiiii.uses_flat_scratch, 0
	.set _Z19_skinny_gemm_kernelILi3ELi4ELi4ELi16ELi4EEvPKhS1_P6__halfPKfiiiiiiii.has_dyn_sized_stack, 0
	.set _Z19_skinny_gemm_kernelILi3ELi4ELi4ELi16ELi4EEvPKhS1_P6__halfPKfiiiiiiii.has_recursion, 0
	.set _Z19_skinny_gemm_kernelILi3ELi4ELi4ELi16ELi4EEvPKhS1_P6__halfPKfiiiiiiii.has_indirect_call, 0
	.section	.AMDGPU.csdata,"",@progbits
; Kernel info:
; codeLenInByte = 7000
; TotalNumSgprs: 75
; NumVgprs: 116
; NumAgprs: 0
; TotalNumVgprs: 116
; ScratchSize: 0
; MemoryBound: 0
; FloatMode: 240
; IeeeMode: 1
; LDSByteSize: 57456 bytes/workgroup (compile time only)
; SGPRBlocks: 9
; VGPRBlocks: 14
; NumSGPRsForWavesPerEU: 75
; NumVGPRsForWavesPerEU: 116
; AccumOffset: 116
; Occupancy: 4
; WaveLimiterHint : 0
; COMPUTE_PGM_RSRC2:SCRATCH_EN: 0
; COMPUTE_PGM_RSRC2:USER_SGPR: 2
; COMPUTE_PGM_RSRC2:TRAP_HANDLER: 0
; COMPUTE_PGM_RSRC2:TGID_X_EN: 1
; COMPUTE_PGM_RSRC2:TGID_Y_EN: 0
; COMPUTE_PGM_RSRC2:TGID_Z_EN: 0
; COMPUTE_PGM_RSRC2:TIDIG_COMP_CNT: 0
; COMPUTE_PGM_RSRC3_GFX90A:ACCUM_OFFSET: 28
; COMPUTE_PGM_RSRC3_GFX90A:TG_SPLIT: 0
	.section	.text._Z19_skinny_gemm_kernelILi3ELi4ELi4ELi32ELi4EEvPKhS1_P6__halfPKfiiiiiiii,"axG",@progbits,_Z19_skinny_gemm_kernelILi3ELi4ELi4ELi32ELi4EEvPKhS1_P6__halfPKfiiiiiiii,comdat
	.protected	_Z19_skinny_gemm_kernelILi3ELi4ELi4ELi32ELi4EEvPKhS1_P6__halfPKfiiiiiiii ; -- Begin function _Z19_skinny_gemm_kernelILi3ELi4ELi4ELi32ELi4EEvPKhS1_P6__halfPKfiiiiiiii
	.globl	_Z19_skinny_gemm_kernelILi3ELi4ELi4ELi32ELi4EEvPKhS1_P6__halfPKfiiiiiiii
	.p2align	8
	.type	_Z19_skinny_gemm_kernelILi3ELi4ELi4ELi32ELi4EEvPKhS1_P6__halfPKfiiiiiiii,@function
_Z19_skinny_gemm_kernelILi3ELi4ELi4ELi32ELi4EEvPKhS1_P6__halfPKfiiiiiiii: ; @_Z19_skinny_gemm_kernelILi3ELi4ELi4ELi32ELi4EEvPKhS1_P6__halfPKfiiiiiiii
; %bb.0:
	v_cmp_gt_u32_e32 vcc, 28, v0
	s_and_saveexec_b64 s[4:5], vcc
; %bb.1:
	v_lshlrev_b32_e32 v1, 2, v0
	v_mov_b32_e32 v2, 0
	ds_write_b32 v1, v2 offset:57344
; %bb.2:
	s_or_b64 exec, exec, s[4:5]
	s_load_dwordx8 s[20:27], s[0:1], 0x20
	s_waitcnt lgkmcnt(0)
	s_barrier
	s_add_i32 s3, s20, 0x5f
	s_mul_hi_i32 s3, s3, 0x2aaaaaab
	s_add_i32 s4, s21, 0x7f
	s_lshr_b32 s5, s3, 31
	s_ashr_i32 s3, s3, 4
	s_add_i32 s12, s3, s5
	s_ashr_i32 s3, s4, 31
	s_lshr_b32 s3, s3, 25
	s_add_i32 s4, s4, s3
	s_ashr_i32 s14, s4, 7
	s_mul_i32 s3, s14, s12
	s_mul_i32 s3, s3, s24
	s_add_i32 s4, s3, 0x12f
	s_mul_hi_i32 s4, s4, 0x6bca1af3
	s_lshr_b32 s5, s4, 31
	s_ashr_i32 s4, s4, 7
	s_add_i32 s4, s4, s5
	s_add_i32 s5, s2, 1
	s_mul_i32 s5, s4, s5
	v_cvt_f64_i32_e32 v[2:3], s3
	v_cvt_f64_u32_e32 v[4:5], s5
	v_min_f64 v[2:3], v[2:3], v[4:5]
	v_cvt_i32_f64_e32 v78, v[2:3]
	s_mul_i32 s33, s4, s2
	v_cmp_ge_i32_e32 vcc, s33, v78
	s_cbranch_vccnz .LBB297_54
; %bb.3:
	s_load_dwordx8 s[72:79], s[0:1], 0x0
	v_lshrrev_b32_e32 v1, 6, v0
	s_add_i32 s0, s26, s25
	v_cmp_le_i32_e64 s[18:19], s0, v1
	v_mov_b32_e32 v2, s25
	v_cmp_le_i32_e64 s[28:29], s25, v1
	v_mov_b32_e32 v3, s26
	v_cndmask_b32_e64 v3, 0, v3, s[18:19]
	v_cndmask_b32_e64 v2, 0, v2, s[28:29]
	s_abs_i32 s1, s24
	v_add_u32_e32 v2, v2, v3
	v_cvt_f32_u32_e32 v3, s1
	v_sub_u32_e32 v72, v1, v2
	s_ashr_i32 s2, s22, 31
	s_lshr_b32 s2, s2, 26
	v_rcp_iflag_f32_e32 v2, v3
	s_sub_i32 s5, 0, s1
	s_add_i32 s2, s22, s2
	s_ashr_i32 s2, s2, 6
	v_mul_f32_e32 v2, 0x4f7ffffe, v2
	v_cvt_u32_f32_e32 v2, v2
	s_abs_i32 s4, s2
	s_xor_b32 s3, s2, s24
	s_ashr_i32 s3, s3, 31
	v_readfirstlane_b32 s6, v2
	s_mul_i32 s5, s5, s6
	s_mul_hi_u32 s5, s6, s5
	s_add_i32 s6, s6, s5
	s_mul_hi_u32 s5, s4, s6
	s_mul_i32 s6, s5, s1
	s_sub_i32 s4, s4, s6
	s_add_i32 s6, s5, 1
	s_sub_i32 s7, s4, s1
	s_cmp_ge_u32 s4, s1
	s_cselect_b32 s5, s6, s5
	s_cselect_b32 s4, s7, s4
	s_add_i32 s6, s5, 1
	s_cmp_ge_u32 s4, s1
	s_cselect_b32 s1, s6, s5
	s_add_i32 s0, s0, s27
	v_and_b32_e32 v80, 31, v0
	v_lshrrev_b32_e32 v2, 3, v0
	v_cmp_gt_i32_e64 s[34:35], s0, v1
	v_lshlrev_b32_e32 v1, 2, v80
	v_and_b32_e32 v3, 4, v2
	v_lshlrev_b32_e32 v2, 6, v3
	v_or_b32_e32 v4, 0x8000, v1
	v_and_b32_e32 v5, 1, v0
	v_or_b32_e32 v81, v4, v2
	v_or_b32_e32 v82, v1, v2
	v_lshlrev_b32_e32 v2, 1, v5
	v_lshrrev_b32_e32 v7, 1, v0
	s_abs_i32 s97, s12
	v_sub_u32_e32 v2, v0, v2
	v_and_b32_e32 v66, 16, v7
	v_cvt_f32_u32_e32 v7, s97
	v_add_u32_e32 v2, 1, v2
	v_and_b32_e32 v6, 63, v2
	v_bitop3_b32 v83, v0, 1, v0 bitop3:0xc
	v_bitop3_b32 v84, v0, 3, 1 bitop3:0x6c
	;; [unrolled: 1-line block ×8, first 2 shown]
	v_and_b32_e32 v2, 30, v0
	v_lshlrev_b32_e32 v0, 4, v0
                                        ; implicit-def: $vgpr127 : SGPR spill to VGPR lane
	v_and_b32_e32 v0, 0x200, v0
	v_writelane_b32 v127, s12, 0
	v_or_b32_e32 v94, v1, v0
	v_rcp_iflag_f32_e32 v1, v7
	v_writelane_b32 v127, s14, 1
	s_waitcnt lgkmcnt(0)
	v_writelane_b32 v127, s72, 2
	s_abs_i32 s98, s14
	v_or_b32_e32 v96, v4, v0
	v_writelane_b32 v127, s73, 3
	v_writelane_b32 v127, s74, 4
	v_mul_f32_e32 v0, 0x4f7ffffe, v1
	v_cvt_f32_u32_e32 v1, s98
	v_writelane_b32 v127, s75, 5
	v_writelane_b32 v127, s76, 6
	;; [unrolled: 1-line block ×4, first 2 shown]
	v_cvt_u32_f32_e32 v0, v0
	v_rcp_iflag_f32_e32 v1, v1
	v_writelane_b32 v127, s79, 9
	v_cndmask_b32_e64 v79, 0, 1, s[18:19]
	s_xor_b32 s1, s1, s3
	v_writelane_b32 v127, s18, 10
	s_sub_i32 s15, s1, s3
	s_add_i32 s30, s24, -1
	v_writelane_b32 v127, s19, 11
	s_mul_i32 s1, s15, s30
	v_writelane_b32 v127, s28, 12
	s_sub_i32 s31, s2, s1
	v_readfirstlane_b32 s1, v0
	v_mul_f32_e32 v0, 0x4f7ffffe, v1
	v_writelane_b32 v127, s29, 13
	v_cvt_u32_f32_e32 v0, v0
	v_writelane_b32 v127, s15, 14
	s_sub_i32 s0, 0, s97
	v_writelane_b32 v127, s30, 15
	s_mul_i32 s0, s0, s1
	v_writelane_b32 v127, s31, 16
	s_mul_hi_u32 s0, s1, s0
	v_writelane_b32 v127, s34, 17
	s_ashr_i32 s36, s12, 31
	s_add_i32 s37, s1, s0
	s_sub_i32 s0, 0, s98
	v_readfirstlane_b32 s1, v0
	v_writelane_b32 v127, s35, 18
	s_mul_i32 s0, s0, s1
	v_mbcnt_lo_u32_b32 v0, -1, 0
	v_writelane_b32 v127, s36, 19
	s_ashr_i32 s38, s14, 31
	s_mul_hi_u32 s0, s1, s0
	v_mbcnt_hi_u32_b32 v0, -1, v0
	v_writelane_b32 v127, s37, 20
	v_mov_b32_e32 v65, 0
	v_mul_lo_u32 v68, s23, v80
	v_or_b32_e32 v97, v5, v3
	s_add_i32 s39, s1, s0
	v_and_or_b32 v0, v0, 64, v6
	v_writelane_b32 v127, s38, 21
	v_ashrrev_i32_e32 v69, 31, v68
	v_mov_b32_e32 v67, v65
	s_lshl_b32 s24, s23, 5
	v_mul_lo_u32 v95, s22, v80
	v_or_b32_e32 v98, 2, v97
	v_lshlrev_b32_e32 v64, 1, v2
	v_lshlrev_b32_e32 v99, 2, v0
	v_mov_b32_e32 v100, v72
	v_writelane_b32 v127, s39, 22
	s_branch .LBB297_7
.LBB297_4:                              ;   in Loop: Header=BB297_7 Depth=1
	s_or_b64 exec, exec, s[4:5]
.LBB297_5:                              ;   in Loop: Header=BB297_7 Depth=1
	s_or_b64 exec, exec, s[2:3]
	v_subrev_u32_e32 v100, s10, v100
.LBB297_6:                              ;   in Loop: Header=BB297_7 Depth=1
	s_or_b64 exec, exec, s[0:1]
	s_add_i32 s33, s33, 1
	v_cmp_ge_i32_e32 vcc, s33, v78
	s_cbranch_vccnz .LBB297_54
.LBB297_7:                              ; =>This Loop Header: Depth=1
                                        ;     Child Loop BB297_13 Depth 2
                                        ;       Child Loop BB297_15 Depth 3
                                        ;       Child Loop BB297_18 Depth 3
                                        ;       Child Loop BB297_21 Depth 3
                                        ;       Child Loop BB297_24 Depth 3
                                        ;       Child Loop BB297_27 Depth 3
                                        ;     Child Loop BB297_32 Depth 2
                                        ;     Child Loop BB297_41 Depth 2
                                        ;       Child Loop BB297_43 Depth 3
                                        ;     Child Loop BB297_51 Depth 2
                                        ;       Child Loop BB297_53 Depth 3
	s_abs_i32 s1, s33
	s_mul_hi_u32 s2, s1, s37
	s_mul_i32 s3, s2, s97
	s_ashr_i32 s0, s33, 31
	s_sub_i32 s1, s1, s3
	s_xor_b32 s0, s0, s36
	s_add_i32 s3, s2, 1
	s_sub_i32 s4, s1, s97
	s_cmp_ge_u32 s1, s97
	s_cselect_b32 s2, s3, s2
	s_cselect_b32 s1, s4, s1
	s_add_i32 s3, s2, 1
	s_cmp_ge_u32 s1, s97
	s_cselect_b32 s1, s3, s2
	s_xor_b32 s1, s1, s0
	s_sub_i32 s0, s1, s0
	s_abs_i32 s2, s0
	s_mul_hi_u32 s3, s2, s39
	s_mul_i32 s1, s0, s12
	s_mul_i32 s4, s3, s98
	s_sub_i32 s99, s33, s1
	s_ashr_i32 s1, s0, 31
	s_sub_i32 s2, s2, s4
	s_xor_b32 s1, s1, s38
	s_add_i32 s4, s3, 1
	s_sub_i32 s5, s2, s98
	s_cmp_ge_u32 s2, s98
	s_cselect_b32 s3, s4, s3
	s_cselect_b32 s2, s5, s2
	s_add_i32 s4, s3, 1
	s_cmp_ge_u32 s2, s98
	s_cselect_b32 s2, s4, s3
	s_xor_b32 s2, s2, s1
	s_sub_i32 s1, s2, s1
	s_mul_i32 s2, s1, s15
	s_lshl_b32 s44, s2, 6
	s_mulk_i32 s99, 0x60
	s_cmp_eq_u32 s1, s30
	s_cselect_b32 s4, s31, s15
	s_sub_i32 s2, s99, s20
	s_addk_i32 s2, 0x60
	s_max_i32 s96, s2, 0
	s_and_saveexec_b64 s[2:3], s[28:29]
	s_xor_b64 s[46:47], exec, s[2:3]
	s_cbranch_execz .LBB297_47
; %bb.8:                                ;   in Loop: Header=BB297_7 Depth=1
	s_mul_i32 s1, s1, s14
	s_sub_i32 s0, s0, s1
	s_lshl_b32 s0, s0, 7
	s_sub_i32 s5, s0, s21
	s_addk_i32 s5, 0x80
	s_max_i32 s1, s5, 0
	s_sub_i32 s0, s0, s1
	s_and_saveexec_b64 s[2:3], s[18:19]
	s_xor_b64 s[2:3], exec, s[2:3]
	s_cbranch_execz .LBB297_37
; %bb.9:                                ;   in Loop: Header=BB297_7 Depth=1
	s_and_saveexec_b64 s[48:49], s[34:35]
	s_cbranch_execz .LBB297_36
; %bb.10:                               ;   in Loop: Header=BB297_7 Depth=1
	global_load_dword v101, v65, s[78:79]
	v_mov_b32_e32 v63, 0
	v_cmp_gt_i32_e32 vcc, s4, v100
	v_mov_b32_e32 v62, v63
	v_mov_b32_e32 v61, v63
	;; [unrolled: 1-line block ×63, first 2 shown]
	s_and_saveexec_b64 s[6:7], vcc
	s_cbranch_execz .LBB297_29
; %bb.11:                               ;   in Loop: Header=BB297_7 Depth=1
	v_mov_b32_e32 v0, 0
	s_mov_b64 s[8:9], 0
	v_mov_b32_e32 v1, v0
	v_mov_b32_e32 v2, v0
	;; [unrolled: 1-line block ×63, first 2 shown]
	s_branch .LBB297_13
.LBB297_12:                             ;   in Loop: Header=BB297_13 Depth=2
	s_or_b64 exec, exec, s[10:11]
	v_add_u32_e32 v108, 0x1800, v105
	ds_read2_b32 v[106:107], v108 offset1:32
	v_add_u32_e32 v100, s27, v100
	s_waitcnt lgkmcnt(0)
	v_mfma_f32_32x32x16_fp8_fp8 v[0:15], v[76:77], v[106:107], v[0:15]
	ds_read2_b32 v[76:77], v108 offset0:128 offset1:160
	s_waitcnt lgkmcnt(0)
	v_mfma_f32_32x32x16_fp8_fp8 v[0:15], v[74:75], v[76:77], v[0:15]
	v_add_u32_e32 v76, 0x1c00, v105
	ds_read2_b32 v[74:75], v76 offset1:32
	ds_read2_b32 v[76:77], v76 offset0:128 offset1:160
	ds_write_b32 v103, v104 offset:57372
	s_waitcnt lgkmcnt(2)
	v_mfma_f32_32x32x16_fp8_fp8 v[0:15], v[72:73], v[74:75], v[0:15]
	v_add_u32_e32 v72, s27, v102
	v_add_u32_e32 v73, 2, v79
	v_cmp_lt_i32_e32 vcc, 3, v72
	s_nop 1
	v_cndmask_b32_e32 v79, v79, v73, vcc
	v_cmp_le_i32_e32 vcc, s4, v100
	s_waitcnt lgkmcnt(1)
	v_mfma_f32_32x32x16_fp8_fp8 v[0:15], v[70:71], v[76:77], v[0:15]
	s_or_b64 s[8:9], vcc, s[8:9]
	s_andn2_b64 exec, exec, s[8:9]
	s_cbranch_execz .LBB297_28
.LBB297_13:                             ;   Parent Loop BB297_7 Depth=1
                                        ; =>  This Loop Header: Depth=2
                                        ;       Child Loop BB297_15 Depth 3
                                        ;       Child Loop BB297_18 Depth 3
	;; [unrolled: 1-line block ×5, first 2 shown]
	v_cmp_gt_i32_e32 vcc, 4, v72
	s_nop 1
	v_cndmask_b32_e64 v70, -4, 0, vcc
	v_add_u32_e32 v102, v70, v72
	v_lshlrev_b32_e32 v103, 5, v102
	ds_read_b32 v70, v103 offset:57344
	s_waitcnt lgkmcnt(0)
	v_cmp_ne_u32_e32 vcc, v70, v79
	s_and_saveexec_b64 s[10:11], vcc
	s_cbranch_execz .LBB297_16
; %bb.14:                               ;   in Loop: Header=BB297_13 Depth=2
	s_mov_b64 s[12:13], 0
.LBB297_15:                             ;   Parent Loop BB297_7 Depth=1
                                        ;     Parent Loop BB297_13 Depth=2
                                        ; =>    This Inner Loop Header: Depth=3
	;;#ASMSTART
	s_sleep 0
	;;#ASMEND
	ds_read_b32 v70, v103 offset:57344
	s_waitcnt lgkmcnt(0)
	v_cmp_eq_u32_e32 vcc, v70, v79
	s_or_b64 s[12:13], vcc, s[12:13]
	s_andn2_b64 exec, exec, s[12:13]
	s_cbranch_execnz .LBB297_15
.LBB297_16:                             ;   in Loop: Header=BB297_13 Depth=2
	s_or_b64 exec, exec, s[10:11]
	v_lshl_add_u32 v70, v102, 11, v81
	ds_read2_b32 v[76:77], v70 offset1:32
	ds_read2_b32 v[74:75], v70 offset0:128 offset1:160
	v_add_u32_e32 v70, 0x400, v70
	ds_read2_b32 v[72:73], v70 offset1:32
	ds_read_b32 v105, v103 offset:57348
	ds_read2_b32 v[70:71], v70 offset0:128 offset1:160
	v_add_u32_e32 v104, 1, v79
	ds_write_b32 v103, v104 offset:57344
	s_waitcnt lgkmcnt(2)
	v_cmp_ne_u32_e32 vcc, v105, v79
	s_and_saveexec_b64 s[10:11], vcc
	s_cbranch_execz .LBB297_19
; %bb.17:                               ;   in Loop: Header=BB297_13 Depth=2
	s_mov_b64 s[12:13], 0
.LBB297_18:                             ;   Parent Loop BB297_7 Depth=1
                                        ;     Parent Loop BB297_13 Depth=2
                                        ; =>    This Inner Loop Header: Depth=3
	;;#ASMSTART
	s_sleep 0
	;;#ASMEND
	ds_read_b32 v105, v103 offset:57348
	s_waitcnt lgkmcnt(0)
	v_cmp_eq_u32_e32 vcc, v105, v79
	s_or_b64 s[12:13], vcc, s[12:13]
	s_andn2_b64 exec, exec, s[12:13]
	s_cbranch_execnz .LBB297_18
.LBB297_19:                             ;   in Loop: Header=BB297_13 Depth=2
	s_or_b64 exec, exec, s[10:11]
	v_lshlrev_b32_e32 v105, 13, v102
	v_or_b32_e32 v108, v82, v105
	ds_read2_b32 v[106:107], v108 offset1:32
	ds_write_b32 v103, v104 offset:57348
	s_waitcnt lgkmcnt(1)
	v_mfma_f32_32x32x16_fp8_fp8 v[48:63], v[76:77], v[106:107], v[48:63]
	ds_read2_b32 v[106:107], v108 offset0:128 offset1:160
	v_add_u32_e32 v108, 0x400, v108
	s_waitcnt lgkmcnt(0)
	v_mfma_f32_32x32x16_fp8_fp8 v[48:63], v[74:75], v[106:107], v[48:63]
	ds_read2_b32 v[106:107], v108 offset1:32
	s_waitcnt lgkmcnt(0)
	v_mfma_f32_32x32x16_fp8_fp8 v[48:63], v[72:73], v[106:107], v[48:63]
	ds_read2_b32 v[106:107], v108 offset0:128 offset1:160
	ds_read_b32 v108, v103 offset:57356
	s_waitcnt lgkmcnt(0)
	v_cmp_ne_u32_e32 vcc, v108, v79
	v_mfma_f32_32x32x16_fp8_fp8 v[48:63], v[70:71], v[106:107], v[48:63]
	s_and_saveexec_b64 s[10:11], vcc
	s_cbranch_execz .LBB297_22
; %bb.20:                               ;   in Loop: Header=BB297_13 Depth=2
	s_mov_b64 s[12:13], 0
.LBB297_21:                             ;   Parent Loop BB297_7 Depth=1
                                        ;     Parent Loop BB297_13 Depth=2
                                        ; =>    This Inner Loop Header: Depth=3
	;;#ASMSTART
	s_sleep 0
	;;#ASMEND
	ds_read_b32 v106, v103 offset:57356
	s_waitcnt lgkmcnt(0)
	v_cmp_eq_u32_e32 vcc, v106, v79
	s_or_b64 s[12:13], vcc, s[12:13]
	s_andn2_b64 exec, exec, s[12:13]
	s_cbranch_execnz .LBB297_21
.LBB297_22:                             ;   in Loop: Header=BB297_13 Depth=2
	s_or_b64 exec, exec, s[10:11]
	v_add_u32_e32 v105, v82, v105
	v_add_u32_e32 v108, 0x800, v105
	ds_read2_b32 v[106:107], v108 offset1:32
	ds_write_b32 v103, v104 offset:57356
	s_waitcnt lgkmcnt(1)
	v_mfma_f32_32x32x16_fp8_fp8 v[32:47], v[76:77], v[106:107], v[32:47]
	ds_read2_b32 v[106:107], v108 offset0:128 offset1:160
	v_add_u32_e32 v108, 0xc00, v105
	s_waitcnt lgkmcnt(0)
	v_mfma_f32_32x32x16_fp8_fp8 v[32:47], v[74:75], v[106:107], v[32:47]
	ds_read2_b32 v[106:107], v108 offset1:32
	s_waitcnt lgkmcnt(0)
	v_mfma_f32_32x32x16_fp8_fp8 v[32:47], v[72:73], v[106:107], v[32:47]
	ds_read2_b32 v[106:107], v108 offset0:128 offset1:160
	ds_read_b32 v108, v103 offset:57364
	s_waitcnt lgkmcnt(0)
	v_cmp_ne_u32_e32 vcc, v108, v79
	v_mfma_f32_32x32x16_fp8_fp8 v[32:47], v[70:71], v[106:107], v[32:47]
	s_and_saveexec_b64 s[10:11], vcc
	s_cbranch_execz .LBB297_25
; %bb.23:                               ;   in Loop: Header=BB297_13 Depth=2
	s_mov_b64 s[12:13], 0
.LBB297_24:                             ;   Parent Loop BB297_7 Depth=1
                                        ;     Parent Loop BB297_13 Depth=2
                                        ; =>    This Inner Loop Header: Depth=3
	;;#ASMSTART
	s_sleep 0
	;;#ASMEND
	ds_read_b32 v106, v103 offset:57364
	s_waitcnt lgkmcnt(0)
	v_cmp_eq_u32_e32 vcc, v106, v79
	s_or_b64 s[12:13], vcc, s[12:13]
	s_andn2_b64 exec, exec, s[12:13]
	s_cbranch_execnz .LBB297_24
.LBB297_25:                             ;   in Loop: Header=BB297_13 Depth=2
	s_or_b64 exec, exec, s[10:11]
	v_add_u32_e32 v108, 0x1000, v105
	ds_read2_b32 v[106:107], v108 offset1:32
	s_waitcnt lgkmcnt(0)
	v_mfma_f32_32x32x16_fp8_fp8 v[16:31], v[76:77], v[106:107], v[16:31]
	ds_read2_b32 v[106:107], v108 offset0:128 offset1:160
	v_add_u32_e32 v108, 0x1400, v105
	s_waitcnt lgkmcnt(0)
	v_mfma_f32_32x32x16_fp8_fp8 v[16:31], v[74:75], v[106:107], v[16:31]
	ds_read2_b32 v[106:107], v108 offset1:32
	s_waitcnt lgkmcnt(0)
	v_mfma_f32_32x32x16_fp8_fp8 v[16:31], v[72:73], v[106:107], v[16:31]
	ds_read_b32 v109, v103 offset:57372
	ds_read2_b32 v[106:107], v108 offset0:128 offset1:160
	ds_write_b32 v103, v104 offset:57364
	s_waitcnt lgkmcnt(2)
	v_cmp_ne_u32_e32 vcc, v109, v79
	s_waitcnt lgkmcnt(1)
	v_mfma_f32_32x32x16_fp8_fp8 v[16:31], v[70:71], v[106:107], v[16:31]
	s_and_saveexec_b64 s[10:11], vcc
	s_cbranch_execz .LBB297_12
; %bb.26:                               ;   in Loop: Header=BB297_13 Depth=2
	s_mov_b64 s[12:13], 0
.LBB297_27:                             ;   Parent Loop BB297_7 Depth=1
                                        ;     Parent Loop BB297_13 Depth=2
                                        ; =>    This Inner Loop Header: Depth=3
	;;#ASMSTART
	s_sleep 0
	;;#ASMEND
	ds_read_b32 v106, v103 offset:57372
	s_waitcnt lgkmcnt(0)
	v_cmp_eq_u32_e32 vcc, v106, v79
	s_or_b64 s[12:13], vcc, s[12:13]
	s_andn2_b64 exec, exec, s[12:13]
	s_cbranch_execnz .LBB297_27
	s_branch .LBB297_12
.LBB297_28:                             ;   in Loop: Header=BB297_7 Depth=1
	s_or_b64 exec, exec, s[8:9]
.LBB297_29:                             ;   in Loop: Header=BB297_7 Depth=1
	v_writelane_b32 v127, s48, 23
	s_nop 1
	v_writelane_b32 v127, s49, 24
	v_writelane_b32 v127, s46, 25
	s_nop 1
	v_writelane_b32 v127, s47, 26
	v_writelane_b32 v127, s44, 27
	s_or_b64 exec, exec, s[6:7]
	v_cmp_le_i32_e32 vcc, s5, v80
	v_cmp_eq_u32_e64 s[64:65], 1, v83
	v_cmp_eq_u32_e64 s[30:31], 2, v83
	s_waitcnt vmcnt(0)
	v_cndmask_b32_e32 v70, 0, v101, vcc
	v_pk_mul_f32 v[48:49], v[70:71], v[48:49] op_sel_hi:[0,1]
	v_pk_mul_f32 v[62:63], v[70:71], v[62:63] op_sel_hi:[0,1]
	;; [unrolled: 1-line block ×8, first 2 shown]
	v_cndmask_b32_e64 v70, v48, v49, s[64:65]
	v_cndmask_b32_e64 v70, v70, v50, s[30:31]
	v_cmp_eq_u32_e64 s[40:41], 3, v83
	v_cmp_eq_u32_e64 s[42:43], 4, v83
	v_cmp_eq_u32_e64 s[44:45], 5, v83
	v_cndmask_b32_e64 v70, v70, v51, s[40:41]
	v_cndmask_b32_e64 v70, v70, v52, s[42:43]
	v_cndmask_b32_e64 v70, v70, v53, s[44:45]
	v_cmp_eq_u32_e64 s[46:47], 6, v83
	v_cmp_eq_u32_e64 s[48:49], 7, v83
	v_cmp_eq_u32_e64 s[50:51], 8, v83
	v_cndmask_b32_e64 v70, v70, v54, s[46:47]
	;; [unrolled: 6-line block ×4, first 2 shown]
	v_cndmask_b32_e64 v70, v70, v61, s[60:61]
	v_cndmask_b32_e64 v70, v70, v62, s[62:63]
	v_cmp_eq_u32_e64 s[66:67], 15, v83
	s_mul_i32 s6, s99, s21
	s_ashr_i32 s7, s6, 31
	v_cndmask_b32_e64 v70, v70, v63, s[66:67]
	ds_bpermute_b32 v70, v99, v70
	s_lshl_b64 s[6:7], s[6:7], 1
	v_cmp_eq_u32_e64 s[36:37], 0, v83
	s_add_u32 s70, s76, s6
	v_cmp_eq_u32_e32 vcc, 1, v84
	s_waitcnt lgkmcnt(0)
	v_cndmask_b32_e64 v63, v63, v70, s[66:67]
	v_cndmask_b32_e64 v62, v62, v70, s[62:63]
	;; [unrolled: 1-line block ×16, first 2 shown]
	s_addc_u32 s71, s77, s7
	v_cndmask_b32_e32 v48, v70, v103, vcc
	v_cmp_eq_u32_e64 s[6:7], 2, v84
	v_cmp_eq_u32_e64 s[8:9], 3, v84
	v_cmp_eq_u32_e64 s[10:11], 4, v84
	v_cndmask_b32_e64 v48, v48, v102, s[6:7]
	v_cndmask_b32_e64 v48, v48, v77, s[8:9]
	v_cndmask_b32_e64 v48, v48, v76, s[10:11]
	v_cmp_eq_u32_e64 s[12:13], 5, v84
	v_cmp_eq_u32_e64 s[14:15], 6, v84
	v_cmp_eq_u32_e64 s[16:17], 7, v84
	v_cndmask_b32_e64 v48, v48, v75, s[12:13]
	v_cndmask_b32_e64 v48, v48, v74, s[14:15]
	v_cndmask_b32_e64 v48, v48, v73, s[16:17]
	;; [unrolled: 6-line block ×4, first 2 shown]
	v_cmp_eq_u32_e64 s[34:35], 14, v84
	v_cmp_eq_u32_e64 s[38:39], 15, v84
	s_ashr_i32 s1, s0, 31
	v_cndmask_b32_e64 v48, v48, v62, s[34:35]
	v_cndmask_b32_e64 v48, v48, v63, s[38:39]
	ds_bpermute_b32 v71, v99, v48
	s_lshl_b64 s[68:69], s[0:1], 1
	s_add_u32 s68, s70, s68
	s_addc_u32 s69, s71, s69
	v_writelane_b32 v127, s68, 28
	v_or_b32_e32 v48, 32, v80
	s_waitcnt lgkmcnt(0)
	v_cndmask_b32_e64 v55, v57, v71, s[76:77]
	v_writelane_b32 v127, s69, 29
	v_cndmask_b32_e64 v57, v73, v71, s[16:17]
	v_cmp_le_i32_e64 s[68:69], s5, v48
	v_or_b32_e32 v73, 64, v80
	v_cndmask_b32_e64 v49, v63, v71, s[38:39]
	v_cndmask_b32_e64 v48, 0, v101, s[68:69]
	v_cmp_le_i32_e64 s[68:69], s5, v73
	v_or_b32_e32 v73, 0x60, v80
	v_cndmask_b32_e64 v54, v58, v71, s[78:79]
	v_cndmask_b32_e64 v58, v74, v71, s[14:15]
	;; [unrolled: 1-line block ×3, first 2 shown]
	v_cmp_le_i32_e64 s[70:71], s5, v73
	v_cmp_eq_u32_e64 s[68:69], 0, v84
	v_pk_mul_f32 v[32:33], v[48:49], v[32:33] op_sel_hi:[0,1]
	v_pk_mul_f32 v[30:31], v[74:75], v[30:31] op_sel_hi:[0,1]
	v_pk_mul_f32 v[28:29], v[74:75], v[28:29] op_sel_hi:[0,1]
	v_pk_mul_f32 v[26:27], v[74:75], v[26:27] op_sel_hi:[0,1]
	v_pk_mul_f32 v[24:25], v[74:75], v[24:25] op_sel_hi:[0,1]
	v_pk_mul_f32 v[22:23], v[74:75], v[22:23] op_sel_hi:[0,1]
	v_pk_mul_f32 v[20:21], v[74:75], v[20:21] op_sel_hi:[0,1]
	v_pk_mul_f32 v[18:19], v[74:75], v[18:19] op_sel_hi:[0,1]
	v_pk_mul_f32 v[16:17], v[74:75], v[16:17] op_sel_hi:[0,1]
	v_cndmask_b32_e64 v74, 0, v101, s[70:71]
	v_cndmask_b32_e64 v50, v62, v71, s[34:35]
	v_cndmask_b32_e64 v51, v61, v71, s[28:29]
	v_cndmask_b32_e64 v52, v60, v71, s[82:83]
	v_cndmask_b32_e64 v53, v59, v71, s[80:81]
	v_cndmask_b32_e64 v56, v56, v71, s[18:19]
	v_cndmask_b32_e64 v59, v75, v71, s[12:13]
	v_cndmask_b32_e64 v60, v76, v71, s[10:11]
	v_cndmask_b32_e64 v61, v77, v71, s[8:9]
	v_cndmask_b32_e64 v62, v102, v71, s[6:7]
	v_cndmask_b32_e32 v63, v103, v71, vcc
	v_cndmask_b32_e64 v70, v70, v71, s[68:69]
	v_pk_mul_f32 v[46:47], v[48:49], v[46:47] op_sel_hi:[0,1]
	v_pk_mul_f32 v[44:45], v[48:49], v[44:45] op_sel_hi:[0,1]
	;; [unrolled: 1-line block ×7, first 2 shown]
	v_cndmask_b32_e64 v48, v32, v33, s[64:65]
	v_cndmask_b32_e64 v71, v16, v17, s[64:65]
	v_pk_mul_f32 v[0:1], v[74:75], v[0:1] op_sel_hi:[0,1]
	v_cndmask_b32_e64 v48, v48, v34, s[30:31]
	v_cndmask_b32_e64 v71, v71, v18, s[30:31]
	v_pk_mul_f32 v[14:15], v[74:75], v[14:15] op_sel_hi:[0,1]
	v_pk_mul_f32 v[12:13], v[74:75], v[12:13] op_sel_hi:[0,1]
	;; [unrolled: 1-line block ×7, first 2 shown]
	v_cndmask_b32_e64 v74, v0, v1, s[64:65]
	v_cndmask_b32_e64 v48, v48, v35, s[40:41]
	;; [unrolled: 1-line block ×40, first 2 shown]
	ds_bpermute_b32 v48, v99, v48
	ds_bpermute_b32 v71, v99, v71
	v_cndmask_b32_e64 v74, v74, v15, s[66:67]
	ds_bpermute_b32 v74, v99, v74
	v_cmp_eq_u32_e64 s[70:71], 1, v85
	s_waitcnt lgkmcnt(2)
	v_cndmask_b32_e64 v33, v33, v48, s[64:65]
	s_waitcnt lgkmcnt(1)
	v_cndmask_b32_e64 v17, v17, v71, s[64:65]
	v_cndmask_b32_e64 v73, v70, v63, s[70:71]
	v_cmp_eq_u32_e64 s[64:65], 2, v85
	v_cndmask_b32_e64 v47, v47, v48, s[66:67]
	v_cndmask_b32_e64 v31, v31, v71, s[66:67]
	;; [unrolled: 1-line block ×3, first 2 shown]
	s_waitcnt lgkmcnt(0)
	v_cndmask_b32_e64 v15, v15, v74, s[66:67]
	v_cmp_eq_u32_e64 s[66:67], 3, v85
	v_cndmask_b32_e64 v46, v46, v48, s[62:63]
	v_cndmask_b32_e64 v30, v30, v71, s[62:63]
	v_cndmask_b32_e64 v73, v73, v61, s[66:67]
	v_cndmask_b32_e64 v14, v14, v74, s[62:63]
	v_cmp_eq_u32_e64 s[62:63], 4, v85
	v_cndmask_b32_e64 v45, v45, v48, s[60:61]
	v_cndmask_b32_e64 v29, v29, v71, s[60:61]
	v_cndmask_b32_e64 v73, v73, v60, s[62:63]
	;; [unrolled: 5-line block ×4, first 2 shown]
	v_cndmask_b32_e64 v11, v11, v74, s[56:57]
	v_cmp_eq_u32_e64 s[56:57], 7, v85
	v_cmp_eq_u32_e64 s[72:73], 8, v85
	v_cndmask_b32_e64 v41, v41, v48, s[52:53]
	v_cndmask_b32_e64 v73, v73, v57, s[56:57]
	;; [unrolled: 1-line block ×5, first 2 shown]
	v_cmp_eq_u32_e64 s[52:53], 9, v85
	v_cmp_eq_u32_e64 s[74:75], 10, v85
	v_cndmask_b32_e64 v42, v42, v48, s[54:55]
	v_cndmask_b32_e64 v73, v73, v55, s[52:53]
	;; [unrolled: 1-line block ×5, first 2 shown]
	v_cmp_eq_u32_e64 s[54:55], 11, v85
	v_cndmask_b32_e64 v39, v39, v48, s[48:49]
	v_cndmask_b32_e64 v23, v23, v71, s[48:49]
	v_cndmask_b32_e64 v7, v7, v74, s[48:49]
	v_cndmask_b32_e64 v73, v73, v53, s[54:55]
	v_cmp_eq_u32_e64 s[48:49], 12, v85
	v_cndmask_b32_e64 v37, v37, v48, s[44:45]
	v_cndmask_b32_e64 v21, v21, v71, s[44:45]
	v_cndmask_b32_e64 v73, v73, v52, s[48:49]
	v_cndmask_b32_e64 v5, v5, v74, s[44:45]
	v_cmp_eq_u32_e64 s[44:45], 13, v85
	v_cndmask_b32_e64 v38, v38, v48, s[46:47]
	v_cndmask_b32_e64 v22, v22, v71, s[46:47]
	v_cndmask_b32_e64 v6, v6, v74, s[46:47]
	v_cndmask_b32_e64 v73, v73, v51, s[44:45]
	v_cmp_eq_u32_e64 s[46:47], 14, v85
	v_cndmask_b32_e64 v36, v36, v48, s[42:43]
	v_cndmask_b32_e64 v20, v20, v71, s[42:43]
	v_cndmask_b32_e64 v4, v4, v74, s[42:43]
	v_cndmask_b32_e64 v73, v73, v50, s[46:47]
	v_cmp_eq_u32_e64 s[42:43], 15, v85
	v_cndmask_b32_e64 v34, v34, v48, s[30:31]
	v_cndmask_b32_e64 v18, v18, v71, s[30:31]
	v_cndmask_b32_e64 v73, v73, v49, s[42:43]
	ds_bpermute_b32 v73, v99, v73
	v_cndmask_b32_e64 v2, v2, v74, s[30:31]
	v_cmp_ne_u32_e64 s[30:31], 0, v83
	v_cndmask_b32_e64 v32, v32, v48, s[36:37]
	v_cndmask_b32_e64 v40, v40, v48, s[50:51]
	;; [unrolled: 1-line block ×6, first 2 shown]
	v_cmp_eq_u32_e64 s[50:51], 0, v85
	v_cndmask_b32_e32 v48, v32, v33, vcc
	v_cndmask_b32_e64 v0, v0, v74, s[36:37]
	s_waitcnt lgkmcnt(0)
	v_cndmask_b32_e64 v49, v49, v73, s[42:43]
	v_cndmask_b32_e64 v50, v50, v73, s[46:47]
	;; [unrolled: 1-line block ×17, first 2 shown]
	v_cndmask_b32_e32 v73, v0, v1, vcc
	v_cndmask_b32_e64 v3, v3, v74, s[40:41]
	v_cndmask_b32_e64 v48, v48, v35, s[8:9]
	;; [unrolled: 1-line block ×22, first 2 shown]
	v_cndmask_b32_e32 v71, v16, v17, vcc
	v_cndmask_b32_e64 v73, v73, v11, s[80:81]
	v_cndmask_b32_e64 v48, v48, v45, s[28:29]
	;; [unrolled: 1-line block ×10, first 2 shown]
	ds_bpermute_b32 v48, v99, v48
	v_cndmask_b32_e64 v71, v71, v21, s[12:13]
	v_cndmask_b32_e64 v73, v73, v15, s[38:39]
	;; [unrolled: 1-line block ×3, first 2 shown]
	ds_bpermute_b32 v73, v99, v73
	v_cndmask_b32_e64 v71, v71, v23, s[16:17]
	v_cndmask_b32_e64 v71, v71, v24, s[18:19]
	;; [unrolled: 1-line block ×4, first 2 shown]
	s_waitcnt lgkmcnt(1)
	v_cndmask_b32_e32 v33, v33, v48, vcc
	v_cndmask_b32_e64 v32, v32, v48, s[68:69]
	v_cndmask_b32_e64 v71, v71, v27, s[80:81]
	;; [unrolled: 1-line block ×16, first 2 shown]
	s_waitcnt lgkmcnt(0)
	v_cndmask_b32_e32 v1, v1, v73, vcc
	v_cndmask_b32_e64 v48, v32, v33, s[70:71]
	v_cndmask_b32_e64 v0, v0, v73, s[68:69]
	v_cndmask_b32_e64 v71, v71, v28, s[82:83]
	v_cndmask_b32_e64 v15, v15, v73, s[38:39]
	v_cndmask_b32_e64 v14, v14, v73, s[34:35]
	v_cndmask_b32_e64 v13, v13, v73, s[28:29]
	v_cndmask_b32_e64 v12, v12, v73, s[82:83]
	v_cndmask_b32_e64 v11, v11, v73, s[80:81]
	v_cndmask_b32_e64 v10, v10, v73, s[78:79]
	v_cndmask_b32_e64 v9, v9, v73, s[76:77]
	v_cndmask_b32_e64 v8, v8, v73, s[18:19]
	v_cndmask_b32_e64 v7, v7, v73, s[16:17]
	v_cndmask_b32_e64 v6, v6, v73, s[14:15]
	v_cndmask_b32_e64 v5, v5, v73, s[12:13]
	v_cndmask_b32_e64 v4, v4, v73, s[10:11]
	v_cndmask_b32_e64 v3, v3, v73, s[8:9]
	v_cndmask_b32_e64 v2, v2, v73, s[6:7]
	v_cndmask_b32_e64 v48, v48, v34, s[64:65]
	v_cndmask_b32_e64 v73, v0, v1, s[70:71]
	v_cndmask_b32_e64 v71, v71, v29, s[28:29]
	v_cndmask_b32_e64 v48, v48, v35, s[66:67]
	v_cndmask_b32_e64 v73, v73, v2, s[64:65]
	v_cndmask_b32_e64 v71, v71, v30, s[34:35]
	v_cndmask_b32_e64 v48, v48, v36, s[62:63]
	v_cndmask_b32_e64 v73, v73, v3, s[66:67]
	v_cndmask_b32_e64 v71, v71, v31, s[38:39]
	v_cndmask_b32_e64 v48, v48, v37, s[60:61]
	v_cndmask_b32_e64 v73, v73, v4, s[62:63]
	ds_bpermute_b32 v71, v99, v71
	v_cndmask_b32_e64 v48, v48, v38, s[58:59]
	v_cndmask_b32_e64 v73, v73, v5, s[60:61]
	;; [unrolled: 1-line block ×8, first 2 shown]
	v_cmp_eq_u32_e64 s[30:31], 1, v86
	v_cndmask_b32_e64 v48, v48, v42, s[74:75]
	v_cndmask_b32_e64 v73, v73, v9, s[52:53]
	;; [unrolled: 1-line block ×3, first 2 shown]
	v_cmp_eq_u32_e64 s[36:37], 2, v86
	s_waitcnt lgkmcnt(0)
	v_cndmask_b32_e32 v17, v17, v71, vcc
	v_cndmask_b32_e64 v48, v48, v43, s[54:55]
	v_cndmask_b32_e64 v16, v16, v71, s[68:69]
	;; [unrolled: 1-line block ×6, first 2 shown]
	v_cmp_eq_u32_e64 s[34:35], 3, v86
	v_cndmask_b32_e64 v29, v29, v71, s[28:29]
	v_cndmask_b32_e64 v28, v28, v71, s[82:83]
	;; [unrolled: 1-line block ×16, first 2 shown]
	v_cmp_eq_u32_e64 s[40:41], 4, v86
	v_cndmask_b32_e64 v48, v48, v45, s[44:45]
	v_cndmask_b32_e64 v71, v71, v18, s[64:65]
	v_cndmask_b32_e64 v73, v73, v12, s[48:49]
	v_cndmask_b32_e64 v74, v74, v60, s[40:41]
	v_cmp_eq_u32_e64 s[84:85], 5, v86
	v_cndmask_b32_e64 v48, v48, v46, s[46:47]
	v_cndmask_b32_e64 v71, v71, v19, s[66:67]
	v_cndmask_b32_e64 v73, v73, v13, s[44:45]
	v_cndmask_b32_e64 v74, v74, v59, s[84:85]
	;; [unrolled: 5-line block ×3, first 2 shown]
	v_cmp_eq_u32_e64 s[78:79], 7, v86
	ds_bpermute_b32 v48, v99, v48
	v_cndmask_b32_e64 v71, v71, v21, s[60:61]
	v_cndmask_b32_e64 v73, v73, v15, s[42:43]
	;; [unrolled: 1-line block ×3, first 2 shown]
	v_cmp_eq_u32_e64 s[92:93], 8, v86
	v_cndmask_b32_e64 v71, v71, v22, s[58:59]
	ds_bpermute_b32 v73, v99, v73
	v_cndmask_b32_e64 v74, v74, v56, s[92:93]
	v_cmp_eq_u32_e64 s[18:19], 9, v86
	v_cndmask_b32_e64 v71, v71, v23, s[56:57]
	v_cmp_eq_u32_e64 s[16:17], 10, v86
	v_cndmask_b32_e64 v74, v74, v55, s[18:19]
	v_cndmask_b32_e64 v71, v71, v24, s[72:73]
	;; [unrolled: 1-line block ×3, first 2 shown]
	v_cmp_eq_u32_e64 s[14:15], 11, v86
	v_cndmask_b32_e64 v71, v71, v25, s[52:53]
	v_cmp_eq_u32_e64 s[12:13], 12, v86
	v_cndmask_b32_e64 v74, v74, v53, s[14:15]
	v_cndmask_b32_e64 v71, v71, v26, s[74:75]
	s_waitcnt lgkmcnt(1)
	v_cndmask_b32_e64 v33, v33, v48, s[70:71]
	v_cndmask_b32_e64 v32, v32, v48, s[50:51]
	;; [unrolled: 1-line block ×3, first 2 shown]
	v_cmp_eq_u32_e64 s[38:39], 13, v86
	v_cndmask_b32_e64 v71, v71, v27, s[54:55]
	v_cndmask_b32_e64 v47, v47, v48, s[42:43]
	;; [unrolled: 1-line block ×15, first 2 shown]
	s_waitcnt lgkmcnt(0)
	v_cndmask_b32_e64 v1, v1, v73, s[70:71]
	v_cndmask_b32_e64 v48, v32, v33, s[30:31]
	;; [unrolled: 1-line block ×4, first 2 shown]
	v_cmp_eq_u32_e64 s[8:9], 14, v86
	v_cndmask_b32_e64 v71, v71, v28, s[48:49]
	v_cndmask_b32_e64 v15, v15, v73, s[42:43]
	;; [unrolled: 1-line block ×18, first 2 shown]
	v_cmp_eq_u32_e64 s[6:7], 15, v86
	v_cndmask_b32_e64 v71, v71, v29, s[44:45]
	v_cndmask_b32_e64 v48, v48, v35, s[34:35]
	;; [unrolled: 1-line block ×7, first 2 shown]
	ds_bpermute_b32 v74, v99, v74
	v_cndmask_b32_e64 v71, v71, v31, s[42:43]
	v_cndmask_b32_e64 v48, v48, v37, s[84:85]
	;; [unrolled: 1-line block ×3, first 2 shown]
	ds_bpermute_b32 v71, v99, v71
	v_cndmask_b32_e64 v48, v48, v38, s[88:89]
	v_cndmask_b32_e64 v73, v73, v5, s[84:85]
	;; [unrolled: 1-line block ×6, first 2 shown]
	v_cmp_eq_u32_e64 s[10:11], 0, v86
	v_cndmask_b32_e64 v48, v48, v41, s[18:19]
	v_cndmask_b32_e64 v73, v73, v8, s[92:93]
	s_waitcnt lgkmcnt(1)
	v_cndmask_b32_e64 v63, v63, v74, s[30:31]
	v_cndmask_b32_e64 v70, v70, v74, s[10:11]
	v_cmp_eq_u32_e64 s[28:29], 1, v87
	v_cndmask_b32_e64 v48, v48, v42, s[16:17]
	v_cndmask_b32_e64 v73, v73, v9, s[18:19]
	;; [unrolled: 1-line block ×17, first 2 shown]
	s_waitcnt lgkmcnt(0)
	v_cndmask_b32_e64 v31, v31, v71, s[42:43]
	v_cmp_eq_u32_e64 s[42:43], 2, v87
	v_cndmask_b32_e64 v17, v17, v71, s[70:71]
	v_cndmask_b32_e64 v48, v48, v43, s[14:15]
	;; [unrolled: 1-line block ×6, first 2 shown]
	v_cmp_eq_u32_e64 s[46:47], 3, v87
	v_cndmask_b32_e64 v29, v29, v71, s[44:45]
	v_cndmask_b32_e64 v28, v28, v71, s[48:49]
	;; [unrolled: 1-line block ×16, first 2 shown]
	v_cmp_eq_u32_e64 s[44:45], 4, v87
	v_cndmask_b32_e64 v48, v48, v45, s[38:39]
	v_cndmask_b32_e64 v71, v71, v18, s[36:37]
	v_cndmask_b32_e64 v73, v73, v12, s[12:13]
	v_cndmask_b32_e64 v74, v74, v60, s[44:45]
	v_cmp_eq_u32_e64 s[48:49], 5, v87
	v_cndmask_b32_e64 v48, v48, v46, s[8:9]
	v_cndmask_b32_e64 v71, v71, v19, s[34:35]
	v_cndmask_b32_e64 v73, v73, v13, s[38:39]
	v_cndmask_b32_e64 v74, v74, v59, s[48:49]
	;; [unrolled: 5-line block ×3, first 2 shown]
	v_cmp_eq_u32_e64 s[68:69], 7, v87
	ds_bpermute_b32 v48, v99, v48
	v_cndmask_b32_e64 v71, v71, v21, s[84:85]
	v_cndmask_b32_e64 v73, v73, v15, s[6:7]
	;; [unrolled: 1-line block ×3, first 2 shown]
	v_cmp_eq_u32_e64 s[74:75], 8, v87
	v_cndmask_b32_e64 v71, v71, v22, s[88:89]
	ds_bpermute_b32 v73, v99, v73
	v_cndmask_b32_e64 v74, v74, v56, s[74:75]
	v_cmp_eq_u32_e64 s[72:73], 9, v87
	v_cndmask_b32_e64 v71, v71, v23, s[78:79]
	v_cmp_eq_u32_e64 s[76:77], 10, v87
	v_cndmask_b32_e64 v74, v74, v55, s[72:73]
	v_cndmask_b32_e64 v71, v71, v24, s[92:93]
	v_cndmask_b32_e64 v74, v74, v54, s[76:77]
	v_cmp_eq_u32_e64 s[80:81], 11, v87
	v_cndmask_b32_e64 v71, v71, v25, s[18:19]
	v_cmp_eq_u32_e64 s[60:61], 12, v87
	v_cndmask_b32_e64 v74, v74, v53, s[80:81]
	v_cndmask_b32_e64 v71, v71, v26, s[16:17]
	s_waitcnt lgkmcnt(1)
	v_cndmask_b32_e64 v33, v33, v48, s[30:31]
	v_cndmask_b32_e64 v32, v32, v48, s[10:11]
	;; [unrolled: 1-line block ×3, first 2 shown]
	v_cmp_eq_u32_e64 s[82:83], 13, v87
	v_cndmask_b32_e64 v71, v71, v27, s[14:15]
	v_cndmask_b32_e64 v34, v34, v48, s[36:37]
	s_waitcnt lgkmcnt(0)
	v_cndmask_b32_e64 v102, v1, v73, s[30:31]
	v_cndmask_b32_e64 v1, v32, v33, s[28:29]
	;; [unrolled: 1-line block ×3, first 2 shown]
	v_cmp_eq_u32_e64 s[86:87], 14, v87
	v_cndmask_b32_e64 v71, v71, v28, s[12:13]
	v_cndmask_b32_e64 v35, v35, v48, s[34:35]
	;; [unrolled: 1-line block ×4, first 2 shown]
	v_cmp_eq_u32_e64 s[90:91], 15, v87
	v_cndmask_b32_e64 v71, v71, v29, s[38:39]
	v_cndmask_b32_e64 v36, v36, v48, s[40:41]
	;; [unrolled: 1-line block ×7, first 2 shown]
	ds_bpermute_b32 v74, v99, v74
	v_cndmask_b32_e64 v71, v71, v31, s[6:7]
	v_cndmask_b32_e64 v38, v38, v48, s[88:89]
	v_cndmask_b32_e64 v1, v1, v37, s[48:49]
	ds_bpermute_b32 v71, v99, v71
	v_cndmask_b32_e64 v39, v39, v48, s[78:79]
	v_cndmask_b32_e64 v1, v1, v38, s[54:55]
	;; [unrolled: 1-line block ×6, first 2 shown]
	v_cmp_eq_u32_e64 s[52:53], 0, v87
	v_cndmask_b32_e64 v42, v42, v48, s[16:17]
	v_cndmask_b32_e64 v1, v1, v41, s[72:73]
	s_waitcnt lgkmcnt(1)
	v_cndmask_b32_e64 v63, v63, v74, s[28:29]
	v_cndmask_b32_e64 v70, v70, v74, s[52:53]
	v_cmp_eq_u32_e32 vcc, 1, v88
	v_cndmask_b32_e64 v43, v43, v48, s[14:15]
	v_cndmask_b32_e64 v1, v1, v42, s[76:77]
	;; [unrolled: 1-line block ×16, first 2 shown]
	v_cndmask_b32_e32 v74, v70, v63, vcc
	v_cndmask_b32_e64 v47, v47, v48, s[6:7]
	s_waitcnt lgkmcnt(0)
	v_cndmask_b32_e64 v31, v31, v71, s[6:7]
	v_cndmask_b32_e64 v15, v15, v73, s[6:7]
	v_cmp_eq_u32_e64 s[6:7], 2, v88
	v_cndmask_b32_e64 v44, v44, v48, s[12:13]
	v_cndmask_b32_e64 v1, v1, v43, s[80:81]
	;; [unrolled: 1-line block ×6, first 2 shown]
	v_cmp_eq_u32_e64 s[8:9], 3, v88
	v_cndmask_b32_e64 v45, v45, v48, s[38:39]
	v_cndmask_b32_e64 v1, v1, v44, s[60:61]
	;; [unrolled: 1-line block ×5, first 2 shown]
	v_cmp_eq_u32_e64 s[38:39], 4, v88
	v_cndmask_b32_e64 v1, v1, v45, s[82:83]
	v_cmp_eq_u32_e64 s[50:51], 5, v88
	v_cndmask_b32_e64 v74, v74, v60, s[38:39]
	v_cndmask_b32_e64 v1, v1, v46, s[86:87]
	;; [unrolled: 1-line block ×5, first 2 shown]
	v_cmp_eq_u32_e64 s[56:57], 6, v88
	v_cndmask_b32_e64 v10, v10, v73, s[16:17]
	v_cndmask_b32_e64 v9, v9, v73, s[18:19]
	;; [unrolled: 1-line block ×14, first 2 shown]
	v_cmp_eq_u32_e64 s[58:59], 7, v88
	v_cndmask_b32_e64 v18, v18, v71, s[36:37]
	ds_bpermute_b32 v48, v99, v1
	v_cndmask_b32_e64 v1, v16, v101, s[28:29]
	v_cndmask_b32_e64 v0, v73, v102, s[28:29]
	;; [unrolled: 1-line block ×3, first 2 shown]
	v_cmp_eq_u32_e64 s[64:65], 8, v88
	v_cndmask_b32_e64 v19, v19, v71, s[34:35]
	v_cndmask_b32_e64 v1, v1, v18, s[42:43]
	v_cndmask_b32_e64 v0, v0, v2, s[42:43]
	v_cndmask_b32_e64 v74, v74, v56, s[64:65]
	v_cmp_eq_u32_e64 s[70:71], 9, v88
	v_cndmask_b32_e64 v20, v20, v71, s[40:41]
	v_cndmask_b32_e64 v1, v1, v19, s[46:47]
	v_cndmask_b32_e64 v0, v0, v3, s[46:47]
	v_cndmask_b32_e64 v74, v74, v55, s[70:71]
	v_cndmask_b32_e64 v23, v23, v71, s[78:79]
	v_cmp_eq_u32_e64 s[78:79], 10, v88
	v_cndmask_b32_e64 v21, v21, v71, s[84:85]
	;; [unrolled: 6-line block ×3, first 2 shown]
	v_cndmask_b32_e64 v0, v0, v5, s[48:49]
	v_cndmask_b32_e64 v74, v74, v53, s[66:67]
	v_cmp_eq_u32_e64 s[62:63], 12, v88
	v_cndmask_b32_e64 v1, v1, v22, s[54:55]
	v_cndmask_b32_e64 v0, v0, v6, s[54:55]
	v_cndmask_b32_e64 v24, v24, v71, s[92:93]
	v_cndmask_b32_e64 v74, v74, v52, s[62:63]
	v_cmp_eq_u32_e64 s[84:85], 13, v88
	v_cndmask_b32_e64 v1, v1, v23, s[68:69]
	v_cndmask_b32_e64 v0, v0, v7, s[68:69]
	;; [unrolled: 5-line block ×4, first 2 shown]
	v_cndmask_b32_e64 v27, v27, v71, s[14:15]
	v_cndmask_b32_e64 v74, v74, v49, s[92:93]
	;; [unrolled: 1-line block ×5, first 2 shown]
	ds_bpermute_b32 v74, v99, v74
	v_cndmask_b32_e64 v1, v1, v27, s[80:81]
	v_cndmask_b32_e64 v0, v0, v11, s[80:81]
	;; [unrolled: 1-line block ×8, first 2 shown]
	v_cmp_eq_u32_e64 s[94:95], 0, v88
	v_cndmask_b32_e64 v1, v1, v31, s[90:91]
	v_cndmask_b32_e64 v0, v0, v15, s[90:91]
	s_waitcnt lgkmcnt(0)
	v_cndmask_b32_e64 v49, v49, v74, s[92:93]
	v_cndmask_b32_e64 v50, v50, v74, s[88:89]
	;; [unrolled: 1-line block ×14, first 2 shown]
	v_cndmask_b32_e32 v63, v63, v74, vcc
	v_cndmask_b32_e64 v70, v70, v74, s[94:95]
	ds_bpermute_b32 v71, v99, v1
	ds_bpermute_b32 v74, v99, v0
	v_cndmask_b32_e64 v57, v35, v48, s[46:47]
	v_cndmask_b32_e64 v93, v36, v48, s[44:45]
	;; [unrolled: 1-line block ×3, first 2 shown]
	s_waitcnt lgkmcnt(1)
	v_cndmask_b32_e64 v107, v29, v71, s[82:83]
	s_waitcnt lgkmcnt(0)
	v_cndmask_b32_e64 v110, v12, v74, s[60:61]
	v_cndmask_b32_e64 v12, v33, v48, s[28:29]
	;; [unrolled: 1-line block ×7, first 2 shown]
	v_cndmask_b32_e32 v19, v29, v12, vcc
	v_cndmask_b32_e64 v19, v19, v4, s[6:7]
	v_cndmask_b32_e64 v19, v19, v57, s[8:9]
	;; [unrolled: 1-line block ×30, first 2 shown]
	ds_bpermute_b32 v30, v99, v19
	v_cndmask_b32_e32 v19, v16, v13, vcc
	v_cndmask_b32_e64 v19, v19, v5, s[6:7]
	v_cndmask_b32_e64 v55, v20, v71, s[44:45]
	;; [unrolled: 1-line block ×17, first 2 shown]
	v_cmp_eq_u32_e64 s[10:11], 1, v89
	v_cndmask_b32_e64 v109, v28, v71, s[60:61]
	v_cndmask_b32_e64 v19, v19, v111, s[66:67]
	;; [unrolled: 1-line block ×3, first 2 shown]
	v_cmp_eq_u32_e64 s[12:13], 2, v89
	v_cndmask_b32_e64 v19, v19, v109, s[62:63]
	v_cmp_eq_u32_e64 s[14:15], 3, v89
	v_cndmask_b32_e64 v0, v0, v62, s[12:13]
	v_cndmask_b32_e64 v19, v19, v107, s[84:85]
	;; [unrolled: 1-line block ×4, first 2 shown]
	v_cmp_eq_u32_e64 s[16:17], 4, v89
	v_cndmask_b32_e64 v19, v19, v105, s[88:89]
	v_cndmask_b32_e64 v106, v14, v74, s[86:87]
	;; [unrolled: 1-line block ×3, first 2 shown]
	v_cmp_eq_u32_e64 s[18:19], 5, v89
	v_cndmask_b32_e64 v14, v102, v74, s[28:29]
	v_cndmask_b32_e64 v19, v19, v103, s[92:93]
	;; [unrolled: 1-line block ×5, first 2 shown]
	v_cmp_eq_u32_e64 s[80:81], 6, v89
	v_cndmask_b32_e64 v125, v6, v74, s[54:55]
	v_cndmask_b32_e64 v6, v2, v74, s[42:43]
	ds_bpermute_b32 v20, v99, v19
	v_cndmask_b32_e32 v19, v21, v14, vcc
	v_cndmask_b32_e64 v0, v0, v58, s[80:81]
	v_cndmask_b32_e64 v114, v10, v74, s[76:77]
	v_cmp_eq_u32_e64 s[76:77], 7, v89
	v_cndmask_b32_e64 v3, v3, v74, s[46:47]
	v_cndmask_b32_e64 v19, v19, v6, s[6:7]
	v_cndmask_b32_e64 v0, v0, v77, s[76:77]
	v_cndmask_b32_e64 v116, v9, v74, s[72:73]
	v_cmp_eq_u32_e64 s[72:73], 8, v89
	v_cndmask_b32_e64 v19, v19, v3, s[8:9]
	v_cmp_eq_u32_e64 s[30:31], 9, v89
	v_cndmask_b32_e64 v0, v0, v76, s[72:73]
	v_cndmask_b32_e64 v19, v19, v56, s[38:39]
	v_cndmask_b32_e64 v0, v0, v75, s[30:31]
	v_cmp_eq_u32_e64 s[34:35], 10, v89
	v_cndmask_b32_e64 v19, v19, v92, s[50:51]
	v_cndmask_b32_e64 v122, v7, v74, s[68:69]
	;; [unrolled: 4-line block ×3, first 2 shown]
	v_cndmask_b32_e64 v0, v0, v53, s[36:37]
	v_cmp_eq_u32_e64 s[40:41], 12, v89
	v_cndmask_b32_e64 v19, v19, v122, s[58:59]
	v_cmp_eq_u32_e64 s[44:45], 13, v89
	v_cndmask_b32_e64 v0, v0, v52, s[40:41]
	v_cndmask_b32_e64 v19, v19, v119, s[64:65]
	;; [unrolled: 1-line block ×3, first 2 shown]
	v_cmp_eq_u32_e64 s[46:47], 14, v89
	v_cndmask_b32_e64 v19, v19, v116, s[70:71]
	v_cmp_eq_u32_e64 s[42:43], 15, v89
	v_cndmask_b32_e64 v0, v0, v50, s[46:47]
	v_cndmask_b32_e64 v19, v19, v114, s[78:79]
	;; [unrolled: 1-line block ×4, first 2 shown]
	ds_bpermute_b32 v0, v99, v0
	v_cndmask_b32_e64 v19, v19, v110, s[62:63]
	v_cndmask_b32_e64 v19, v19, v108, s[84:85]
	;; [unrolled: 1-line block ×4, first 2 shown]
	v_cmp_eq_u32_e64 s[28:29], 0, v89
	ds_bpermute_b32 v28, v99, v19
	s_waitcnt lgkmcnt(1)
	v_cndmask_b32_e64 v7, v49, v0, s[42:43]
	v_cndmask_b32_e64 v8, v50, v0, s[46:47]
	;; [unrolled: 1-line block ×16, first 2 shown]
	v_cmp_eq_u32_e64 s[48:49], 1, v90
	v_cmp_eq_u32_e64 s[52:53], 2, v90
	;; [unrolled: 1-line block ×3, first 2 shown]
	v_cndmask_b32_e64 v33, v0, v18, s[48:49]
	v_cndmask_b32_e64 v34, v33, v17, s[52:53]
	;; [unrolled: 1-line block ×3, first 2 shown]
	v_cmp_eq_u32_e64 s[60:61], 4, v90
	v_cndmask_b32_e64 v58, v44, v30, s[62:63]
	v_cndmask_b32_e64 v38, v109, v20, s[62:63]
	;; [unrolled: 1-line block ×3, first 2 shown]
	s_waitcnt lgkmcnt(0)
	v_cndmask_b32_e64 v35, v110, v28, s[62:63]
	v_cmp_eq_u32_e64 s[62:63], 5, v90
	v_cndmask_b32_e64 v59, v43, v30, s[66:67]
	v_cndmask_b32_e64 v48, v112, v28, s[66:67]
	;; [unrolled: 1-line block ×4, first 2 shown]
	v_cmp_eq_u32_e64 s[66:67], 6, v90
	v_cmp_eq_u32_e64 s[68:69], 7, v90
	v_cndmask_b32_e64 v60, v42, v30, s[78:79]
	v_cndmask_b32_e64 v43, v40, v26, s[66:67]
	;; [unrolled: 1-line block ×6, first 2 shown]
	v_cmp_eq_u32_e64 s[70:71], 8, v90
	v_cndmask_b32_e64 v62, v117, v30, s[64:65]
	v_cndmask_b32_e64 v51, v119, v28, s[64:65]
	v_cndmask_b32_e64 v43, v42, v24, s[70:71]
	v_cndmask_b32_e64 v42, v118, v20, s[64:65]
	v_cmp_eq_u32_e64 s[64:65], 9, v90
	v_cndmask_b32_e64 v63, v120, v30, s[58:59]
	v_cndmask_b32_e64 v52, v122, v28, s[58:59]
	v_cndmask_b32_e64 v44, v43, v23, s[64:65]
	v_cndmask_b32_e64 v43, v121, v20, s[58:59]
	v_cmp_eq_u32_e64 s[58:59], 10, v90
	v_cndmask_b32_e64 v31, v47, v30, s[92:93]
	v_cndmask_b32_e64 v47, v45, v30, s[84:85]
	v_cndmask_b32_e64 v45, v44, v22, s[58:59]
	v_cndmask_b32_e64 v70, v123, v30, s[56:57]
	v_cndmask_b32_e64 v44, v124, v20, s[56:57]
	v_cndmask_b32_e64 v53, v125, v28, s[56:57]
	v_cmp_eq_u32_e64 s[56:57], 11, v90
	v_cndmask_b32_e64 v73, v126, v30, s[50:51]
	v_cndmask_b32_e64 v54, v92, v28, s[50:51]
	v_cndmask_b32_e64 v71, v45, v11, s[56:57]
	v_cndmask_b32_e64 v45, v91, v20, s[50:51]
	v_cmp_eq_u32_e64 s[50:51], 12, v90
	v_cndmask_b32_e64 v74, v93, v30, s[38:39]
	v_cndmask_b32_e64 v75, v55, v20, s[38:39]
	;; [unrolled: 5-line block ×4, first 2 shown]
	v_cndmask_b32_e64 v3, v56, v8, s[8:9]
	v_cndmask_b32_e64 v56, v4, v30, s[6:7]
	v_cmp_eq_u32_e64 s[6:7], 15, v90
	v_cndmask_b32_e32 v93, v12, v30, vcc
	v_cndmask_b32_e64 v46, v46, v30, s[88:89]
	v_cndmask_b32_e64 v3, v3, v7, s[6:7]
	ds_bpermute_b32 v92, v99, v3
	v_cndmask_b32_e32 v101, v13, v20, vcc
	v_cndmask_b32_e32 v102, v14, v28, vcc
	v_cndmask_b32_e64 v16, v16, v20, s[94:95]
	v_cndmask_b32_e64 v40, v113, v20, s[78:79]
	s_waitcnt lgkmcnt(0)
	v_cndmask_b32_e64 v12, v10, v92, s[50:51]
	v_cndmask_b32_e64 v10, v22, v92, s[58:59]
	;; [unrolled: 1-line block ×20, first 2 shown]
	ds_bpermute_b32 v23, v99, v3
	v_cndmask_b32_e64 v6, v26, v92, s[66:67]
	v_cndmask_b32_e64 v4, v1, v92, s[60:61]
	v_cndmask_b32_e64 v1, v18, v92, s[48:49]
	v_cndmask_b32_e64 v15, v7, v92, s[6:7]
	s_waitcnt lgkmcnt(0)
	v_cndmask_b32_e64 v18, v46, v23, s[46:47]
	v_cndmask_b32_e64 v26, v59, v23, s[36:37]
	v_cndmask_b32_e64 v46, v60, v23, s[34:35]
	v_cndmask_b32_e64 v59, v63, v23, s[76:77]
	v_cndmask_b32_e64 v60, v70, v23, s[80:81]
	v_cndmask_b32_e64 v63, v93, v23, s[10:11]
	v_cndmask_b32_e64 v70, v22, v23, s[28:29]
	v_cndmask_b32_e64 v56, v56, v23, s[12:13]
	v_cndmask_b32_e64 v22, v70, v63, s[48:49]
	v_cndmask_b32_e64 v57, v57, v23, s[14:15]
	v_cndmask_b32_e64 v22, v22, v56, s[52:53]
	v_cndmask_b32_e64 v7, v25, v92, s[68:69]
	v_cndmask_b32_e64 v25, v58, v23, s[40:41]
	v_cndmask_b32_e64 v58, v62, v23, s[72:73]
	v_cndmask_b32_e64 v62, v74, v23, s[16:17]
	v_cndmask_b32_e64 v22, v22, v57, s[54:55]
	v_cndmask_b32_e64 v14, v8, v92, s[8:9]
	v_cndmask_b32_e64 v8, v24, v92, s[70:71]
	v_cndmask_b32_e64 v24, v47, v23, s[44:45]
	v_cndmask_b32_e64 v47, v61, v23, s[30:31]
	v_cndmask_b32_e64 v61, v73, v23, s[18:19]
	v_cndmask_b32_e64 v22, v22, v62, s[60:61]
	v_cndmask_b32_e64 v22, v22, v61, s[62:63]
	v_cndmask_b32_e64 v22, v22, v60, s[66:67]
	v_cndmask_b32_e64 v22, v22, v59, s[68:69]
	v_cndmask_b32_e64 v22, v22, v58, s[70:71]
	v_cndmask_b32_e64 v22, v22, v47, s[64:65]
	v_cndmask_b32_e64 v22, v22, v46, s[58:59]
	v_cndmask_b32_e64 v22, v22, v26, s[56:57]
	v_cndmask_b32_e64 v22, v22, v25, s[50:51]
	v_cndmask_b32_e64 v22, v22, v24, s[38:39]
	v_cndmask_b32_e64 v3, v2, v92, s[54:55]
	v_cndmask_b32_e64 v2, v17, v92, s[52:53]
	v_cndmask_b32_e64 v17, v31, v23, s[42:43]
	v_cndmask_b32_e64 v22, v22, v18, s[8:9]
	v_cndmask_b32_e64 v22, v22, v17, s[6:7]
	ds_bpermute_b32 v73, v99, v22
	v_cndmask_b32_e64 v37, v107, v20, s[84:85]
	v_cndmask_b32_e64 v36, v105, v20, s[88:89]
	;; [unrolled: 1-line block ×3, first 2 shown]
	v_cmp_eq_u32_e32 vcc, 0, v90
	s_waitcnt lgkmcnt(0)
	v_cndmask_b32_e64 v31, v17, v73, s[6:7]
	v_cndmask_b32_e64 v17, v16, v101, s[10:11]
	;; [unrolled: 1-line block ×16, first 2 shown]
	ds_bpermute_b32 v17, v99, v17
	v_cndmask_b32_e64 v11, v11, v92, s[56:57]
	v_cndmask_b32_e64 v5, v27, v92, s[62:63]
	v_cndmask_b32_e32 v0, v0, v92, vcc
	v_cndmask_b32_e64 v20, v62, v73, s[60:61]
	s_waitcnt lgkmcnt(0)
	v_cndmask_b32_e64 v62, v75, v17, s[16:17]
	v_cndmask_b32_e64 v75, v77, v17, s[12:13]
	;; [unrolled: 1-line block ×39, first 2 shown]
	ds_bpermute_b32 v93, v99, v16
	v_cndmask_b32_e64 v32, v104, v28, s[92:93]
	v_cndmask_b32_e64 v33, v106, v28, s[88:89]
	;; [unrolled: 1-line block ×6, first 2 shown]
	s_waitcnt lgkmcnt(0)
	v_cndmask_b32_e64 v47, v46, v93, s[6:7]
	v_cndmask_b32_e64 v46, v36, v93, s[8:9]
	;; [unrolled: 1-line block ×19, first 2 shown]
	ds_bpermute_b32 v56, v99, v36
	v_cndmask_b32_e64 v19, v57, v73, s[54:55]
	v_cndmask_b32_e64 v17, v63, v73, s[48:49]
	v_cndmask_b32_e32 v16, v70, v73, vcc
	v_cndmask_b32_e64 v44, v38, v93, s[50:51]
	s_waitcnt lgkmcnt(0)
	v_cndmask_b32_e64 v101, v102, v56, s[10:11]
	v_cndmask_b32_e64 v74, v74, v56, s[28:29]
	;; [unrolled: 1-line block ×36, first 2 shown]
	ds_bpermute_b32 v102, v99, v32
	v_cndmask_b32_e64 v36, v62, v93, s[60:61]
	v_cndmask_b32_e64 v33, v77, v93, s[48:49]
	v_readlane_b32 s18, v127, 10
	v_readlane_b32 s28, v127, 12
	s_waitcnt lgkmcnt(0)
	v_cndmask_b32_e64 v63, v57, v102, s[6:7]
	v_readlane_b32 s6, v127, 28
	v_cndmask_b32_e64 v62, v58, v102, s[8:9]
	v_cndmask_b32_e64 v58, v49, v102, s[58:59]
	;; [unrolled: 1-line block ×3, first 2 shown]
	v_readlane_b32 s7, v127, 29
	v_readlane_b32 s34, v127, 17
	;; [unrolled: 1-line block ×4, first 2 shown]
	v_subrev_u32_e32 v100, s4, v100
	s_mov_b32 s1, 0
	v_cndmask_b32_e64 v45, v37, v93, s[38:39]
	v_cndmask_b32_e64 v41, v41, v93, s[64:65]
	;; [unrolled: 1-line block ×5, first 2 shown]
	v_cndmask_b32_e32 v32, v92, v93, vcc
	v_cndmask_b32_e64 v61, v59, v102, s[38:39]
	v_cndmask_b32_e64 v60, v60, v102, s[50:51]
	;; [unrolled: 1-line block ×11, first 2 shown]
	v_cndmask_b32_e32 v48, v74, v102, vcc
	v_lshl_add_u64 v[70:71], s[6:7], 0, v[64:65]
	s_mov_b64 s[6:7], 0
	s_mov_b32 s5, 0
	v_readlane_b32 s19, v127, 11
	v_readlane_b32 s29, v127, 13
	;; [unrolled: 1-line block ×9, first 2 shown]
	s_mov_b64 s[40:41], 0x80
	s_mov_b64 s[42:43], 0xc0
	v_readlane_b32 s44, v127, 27
	v_readlane_b32 s47, v127, 26
	;; [unrolled: 1-line block ×3, first 2 shown]
                                        ; implicit-def: $sgpr8_sgpr9
	s_branch .LBB297_32
.LBB297_30:                             ;   in Loop: Header=BB297_32 Depth=2
	s_or_b64 exec, exec, s[12:13]
	s_andn2_b64 s[8:9], s[8:9], exec
	s_and_b64 s[12:13], s[14:15], exec
	s_or_b64 s[8:9], s[8:9], s[12:13]
.LBB297_31:                             ;   in Loop: Header=BB297_32 Depth=2
	s_or_b64 exec, exec, s[10:11]
	s_and_b64 s[10:11], exec, s[8:9]
	s_or_b64 s[6:7], s[10:11], s[6:7]
	s_andn2_b64 exec, exec, s[6:7]
	s_cbranch_execz .LBB297_35
.LBB297_32:                             ;   Parent Loop BB297_7 Depth=1
                                        ; =>  This Inner Loop Header: Depth=2
	s_and_b32 s12, s1, 24
	v_or_b32_e32 v73, s12, v97
	v_add_u32_e32 v74, s96, v73
	v_cmp_gt_u32_e32 vcc, 32, v74
	s_or_b64 s[8:9], s[8:9], exec
	s_and_saveexec_b64 s[10:11], vcc
	s_cbranch_execz .LBB297_31
; %bb.33:                               ;   in Loop: Header=BB297_32 Depth=2
	s_add_i32 s13, s5, 1
	s_set_gpr_idx_on s5, gpr_idx(SRC0)
	v_mov_b32_e32 v74, v0
	s_set_gpr_idx_off
	v_cvt_f16_f32_e32 v76, v74
	s_set_gpr_idx_on s13, gpr_idx(SRC0)
	v_mov_b32_e32 v74, v0
	s_set_gpr_idx_off
	v_cvt_f16_f32_sdwa v77, v74 dst_sel:WORD_1 dst_unused:UNUSED_PAD src0_sel:DWORD
	v_mul_lo_u32 v74, v73, s21
	v_ashrrev_i32_e32 v75, 31, v74
	v_lshl_add_u64 v[74:75], v[74:75], 1, v[70:71]
	v_or_b32_e32 v73, v77, v76
	;;#ASMSTART
	global_atomic_pk_add_f16 v[74:75], v73, off
	
	;;#ASMEND
	s_set_gpr_idx_on s5, gpr_idx(SRC0)
	v_mov_b32_e32 v73, v16
	s_set_gpr_idx_off
	v_cvt_f16_f32_e32 v73, v73
	s_set_gpr_idx_on s13, gpr_idx(SRC0)
	v_mov_b32_e32 v76, v16
	s_set_gpr_idx_off
	v_cvt_f16_f32_sdwa v91, v76 dst_sel:WORD_1 dst_unused:UNUSED_PAD src0_sel:DWORD
	v_lshl_add_u64 v[76:77], v[74:75], 0, 64
	s_mov_b64 s[14:15], -1
	v_or_b32_e32 v73, v91, v73
	;;#ASMSTART
	global_atomic_pk_add_f16 v[76:77], v73, off
	
	;;#ASMEND
	s_set_gpr_idx_on s5, gpr_idx(SRC0)
	v_mov_b32_e32 v73, v32
	s_set_gpr_idx_off
	v_cvt_f16_f32_e32 v73, v73
	s_set_gpr_idx_on s13, gpr_idx(SRC0)
	v_mov_b32_e32 v76, v32
	s_set_gpr_idx_off
	v_cvt_f16_f32_sdwa v91, v76 dst_sel:WORD_1 dst_unused:UNUSED_PAD src0_sel:DWORD
	v_lshl_add_u64 v[76:77], v[74:75], 0, s[40:41]
	v_lshl_add_u64 v[74:75], v[74:75], 0, s[42:43]
	v_or_b32_e32 v73, v91, v73
	;;#ASMSTART
	global_atomic_pk_add_f16 v[76:77], v73, off
	
	;;#ASMEND
	s_set_gpr_idx_on s5, gpr_idx(SRC0)
	v_mov_b32_e32 v73, v48
	s_set_gpr_idx_off
	v_cvt_f16_f32_e32 v73, v73
	s_set_gpr_idx_on s13, gpr_idx(SRC0)
	v_mov_b32_e32 v76, v48
	s_set_gpr_idx_off
	v_cvt_f16_f32_sdwa v76, v76 dst_sel:WORD_1 dst_unused:UNUSED_PAD src0_sel:DWORD
	s_nop 0
	v_or_b32_e32 v73, v76, v73
	;;#ASMSTART
	global_atomic_pk_add_f16 v[74:75], v73, off
	
	;;#ASMEND
	v_or_b32_e32 v73, s12, v98
	v_add_u32_e32 v74, s96, v73
	v_cmp_gt_u32_e32 vcc, 32, v74
	s_and_saveexec_b64 s[12:13], vcc
	s_cbranch_execz .LBB297_30
; %bb.34:                               ;   in Loop: Header=BB297_32 Depth=2
	s_add_i32 s14, s5, 2
	s_add_i32 s15, s5, 3
	s_set_gpr_idx_on s14, gpr_idx(SRC0)
	v_mov_b32_e32 v74, v0
	s_set_gpr_idx_off
	v_cvt_f16_f32_e32 v76, v74
	s_set_gpr_idx_on s15, gpr_idx(SRC0)
	v_mov_b32_e32 v74, v0
	s_set_gpr_idx_off
	v_cvt_f16_f32_sdwa v77, v74 dst_sel:WORD_1 dst_unused:UNUSED_PAD src0_sel:DWORD
	v_mul_lo_u32 v74, v73, s21
	v_ashrrev_i32_e32 v75, 31, v74
	v_lshl_add_u64 v[74:75], v[74:75], 1, v[70:71]
	v_or_b32_e32 v73, v77, v76
	;;#ASMSTART
	global_atomic_pk_add_f16 v[74:75], v73, off
	
	;;#ASMEND
	s_set_gpr_idx_on s14, gpr_idx(SRC0)
	v_mov_b32_e32 v73, v16
	s_set_gpr_idx_off
	v_cvt_f16_f32_e32 v73, v73
	s_set_gpr_idx_on s15, gpr_idx(SRC0)
	v_mov_b32_e32 v76, v16
	s_set_gpr_idx_off
	v_cvt_f16_f32_sdwa v91, v76 dst_sel:WORD_1 dst_unused:UNUSED_PAD src0_sel:DWORD
	v_lshl_add_u64 v[76:77], v[74:75], 0, 64
	s_add_i32 s5, s5, 4
	s_add_i32 s1, s1, 8
	v_or_b32_e32 v73, v91, v73
	;;#ASMSTART
	global_atomic_pk_add_f16 v[76:77], v73, off
	
	;;#ASMEND
	s_set_gpr_idx_on s14, gpr_idx(SRC0)
	v_mov_b32_e32 v73, v32
	s_set_gpr_idx_off
	v_cvt_f16_f32_e32 v73, v73
	s_set_gpr_idx_on s15, gpr_idx(SRC0)
	v_mov_b32_e32 v76, v32
	s_set_gpr_idx_off
	v_cvt_f16_f32_sdwa v91, v76 dst_sel:WORD_1 dst_unused:UNUSED_PAD src0_sel:DWORD
	v_lshl_add_u64 v[76:77], v[74:75], 0, s[40:41]
	s_cmp_eq_u32 s5, 16
	v_lshl_add_u64 v[74:75], v[74:75], 0, s[42:43]
	v_or_b32_e32 v73, v91, v73
	;;#ASMSTART
	global_atomic_pk_add_f16 v[76:77], v73, off
	
	;;#ASMEND
	s_set_gpr_idx_on s14, gpr_idx(SRC0)
	v_mov_b32_e32 v73, v48
	s_set_gpr_idx_off
	v_cvt_f16_f32_e32 v73, v73
	s_set_gpr_idx_on s15, gpr_idx(SRC0)
	v_mov_b32_e32 v76, v48
	s_set_gpr_idx_off
	v_cvt_f16_f32_sdwa v76, v76 dst_sel:WORD_1 dst_unused:UNUSED_PAD src0_sel:DWORD
	s_cselect_b64 s[14:15], -1, 0
	s_orn2_b64 s[14:15], s[14:15], exec
	v_or_b32_e32 v73, v76, v73
	;;#ASMSTART
	global_atomic_pk_add_f16 v[74:75], v73, off
	
	;;#ASMEND
	s_branch .LBB297_30
.LBB297_35:                             ;   in Loop: Header=BB297_7 Depth=1
	s_or_b64 exec, exec, s[6:7]
	v_readlane_b32 s72, v127, 2
	v_readlane_b32 s12, v127, 0
	;; [unrolled: 1-line block ×11, first 2 shown]
.LBB297_36:                             ;   in Loop: Header=BB297_7 Depth=1
	s_or_b64 exec, exec, s[48:49]
.LBB297_37:                             ;   in Loop: Header=BB297_7 Depth=1
	s_andn2_saveexec_b64 s[2:3], s[2:3]
	s_cbranch_execz .LBB297_46
; %bb.38:                               ;   in Loop: Header=BB297_7 Depth=1
	s_lshl_b32 s5, s4, 2
	v_cmp_gt_i32_e32 vcc, s5, v100
	s_and_saveexec_b64 s[6:7], vcc
	s_cbranch_execz .LBB297_45
; %bb.39:                               ;   in Loop: Header=BB297_7 Depth=1
	s_mul_i32 s0, s0, s23
	s_ashr_i32 s1, s0, 31
	s_add_u32 s0, s74, s0
	s_addc_u32 s1, s75, s1
	s_ashr_i32 s8, s44, 31
	s_add_u32 s0, s0, s44
	s_addc_u32 s1, s1, s8
	v_lshl_add_u64 v[0:1], s[0:1], 0, v[68:69]
	v_lshl_add_u64 v[8:9], v[0:1], 0, v[66:67]
	s_mov_b64 s[0:1], 0
	s_branch .LBB297_41
.LBB297_40:                             ;   in Loop: Header=BB297_41 Depth=2
	s_or_b64 exec, exec, s[8:9]
	v_lshl_or_b32 v12, v10, 11, v94
	;;#ASMSTART
	s_waitcnt vmcnt(1)
	;;#ASMEND
	ds_write2_b32 v12, v4, v5 offset1:32
	ds_write2_b32 v12, v6, v7 offset0:64 offset1:96
	v_add_u32_e32 v4, 0x400, v12
	v_add_u32_e32 v100, s26, v100
	;;#ASMSTART
	s_waitcnt vmcnt(0)
	;;#ASMEND
	ds_write2_b32 v4, v0, v1 offset1:32
	ds_write2_b32 v4, v2, v3 offset0:64 offset1:96
	v_add_u32_e32 v0, 1, v79
	v_add_u32_e32 v72, s26, v10
	v_cmp_le_i32_e32 vcc, s5, v100
	ds_write_b32 v11, v0 offset:48
	v_add_u32_e32 v0, 2, v79
	s_or_b64 s[0:1], vcc, s[0:1]
	v_cmp_lt_i32_e32 vcc, 15, v72
	s_nop 1
	v_cndmask_b32_e32 v79, v79, v0, vcc
	s_andn2_b64 exec, exec, s[0:1]
	s_cbranch_execz .LBB297_44
.LBB297_41:                             ;   Parent Loop BB297_7 Depth=1
                                        ; =>  This Loop Header: Depth=2
                                        ;       Child Loop BB297_43 Depth 3
	v_cmp_gt_i32_e32 vcc, 16, v72
	s_nop 1
	v_cndmask_b32_e64 v0, -16, 0, vcc
	v_add_u32_e32 v10, v0, v72
	v_ashrrev_i32_e32 v0, 31, v100
	v_lshrrev_b32_e32 v0, 30, v0
	v_add_u32_e32 v0, v100, v0
	v_and_b32_e32 v1, -4, v0
	v_lshlrev_b32_e32 v0, 4, v0
	v_sub_u32_e32 v2, v100, v1
	v_and_b32_e32 v0, 0xffffffc0, v0
	v_ashrrev_i32_e32 v1, 31, v0
	v_mul_lo_u32 v2, s24, v2
	v_lshl_add_u64 v[0:1], v[8:9], 0, v[0:1]
	v_ashrrev_i32_e32 v3, 31, v2
	v_lshl_add_u64 v[0:1], v[0:1], 0, v[2:3]
	v_lshlrev_b32_e32 v11, 2, v10
	;;#ASMSTART
	global_load_dwordx4 v[4:7], v[0:1], off offset:0   sc0 sc1 nt  
	global_load_dwordx4 v[0:3], v[0:1], off offset:32  sc0 sc1 nt  
	
	;;#ASMEND
	ds_read_b32 v12, v11 offset:57392
	v_add_u32_e32 v11, 0xe000, v11
	s_waitcnt lgkmcnt(0)
	v_cmp_ne_u32_e32 vcc, v12, v79
	s_and_saveexec_b64 s[8:9], vcc
	s_cbranch_execz .LBB297_40
; %bb.42:                               ;   in Loop: Header=BB297_41 Depth=2
	s_mov_b64 s[10:11], 0
.LBB297_43:                             ;   Parent Loop BB297_7 Depth=1
                                        ;     Parent Loop BB297_41 Depth=2
                                        ; =>    This Inner Loop Header: Depth=3
	;;#ASMSTART
	s_sleep 0
	;;#ASMEND
	ds_read_b32 v12, v11 offset:48
	s_waitcnt lgkmcnt(0)
	v_cmp_eq_u32_e32 vcc, v12, v79
	s_or_b64 s[10:11], vcc, s[10:11]
	s_andn2_b64 exec, exec, s[10:11]
	s_cbranch_execnz .LBB297_43
	s_branch .LBB297_40
.LBB297_44:                             ;   in Loop: Header=BB297_7 Depth=1
	s_or_b64 exec, exec, s[0:1]
.LBB297_45:                             ;   in Loop: Header=BB297_7 Depth=1
	s_or_b64 exec, exec, s[6:7]
	v_subrev_u32_e32 v100, s5, v100
.LBB297_46:                             ;   in Loop: Header=BB297_7 Depth=1
	s_or_b64 exec, exec, s[2:3]
.LBB297_47:                             ;   in Loop: Header=BB297_7 Depth=1
	s_andn2_saveexec_b64 s[0:1], s[46:47]
	s_cbranch_execz .LBB297_6
; %bb.48:                               ;   in Loop: Header=BB297_7 Depth=1
	s_mul_i32 s10, s4, 3
	v_cmp_gt_i32_e32 vcc, s10, v100
	s_and_saveexec_b64 s[2:3], vcc
	s_cbranch_execz .LBB297_5
; %bb.49:                               ;   in Loop: Header=BB297_7 Depth=1
	s_mul_i32 s99, s99, s22
	s_ashr_i32 s4, s99, 31
	s_add_u32 s5, s72, s99
	s_addc_u32 s6, s73, s4
	s_ashr_i32 s7, s44, 31
	s_add_u32 s4, s5, s44
	s_addc_u32 s5, s6, s7
	v_add_u32_e32 v2, s96, v80
	s_movk_i32 s6, 0x60
	v_cmp_gt_u32_e32 vcc, s6, v2
	v_sub_u32_e32 v10, 0x5f, v2
	s_nop 0
	v_cndmask_b32_e32 v0, 0, v95, vcc
	v_ashrrev_i32_e32 v1, 31, v0
	v_lshl_add_u64 v[0:1], s[4:5], 0, v[0:1]
	v_lshl_add_u64 v[8:9], v[0:1], 0, v[66:67]
	s_mov_b64 s[4:5], 0
	s_branch .LBB297_51
.LBB297_50:                             ;   in Loop: Header=BB297_51 Depth=2
	s_or_b64 exec, exec, s[6:7]
	v_lshl_add_u32 v13, v11, 11, v96
	;;#ASMSTART
	s_waitcnt vmcnt(1)
	;;#ASMEND
	ds_write2_b32 v13, v4, v5 offset1:32
	ds_write2_b32 v13, v6, v7 offset0:64 offset1:96
	v_add_u32_e32 v4, 0x400, v13
	v_add_u32_e32 v100, s25, v100
	;;#ASMSTART
	s_waitcnt vmcnt(0)
	;;#ASMEND
	ds_write2_b32 v4, v0, v1 offset1:32
	ds_write2_b32 v4, v2, v3 offset0:64 offset1:96
	v_add_u32_e32 v0, 1, v79
	v_add_u32_e32 v72, s25, v11
	v_cmp_le_i32_e32 vcc, s10, v100
	ds_write_b32 v12, v0
	v_add_u32_e32 v0, 2, v79
	s_or_b64 s[4:5], vcc, s[4:5]
	v_cmp_lt_i32_e32 vcc, 11, v72
	s_nop 1
	v_cndmask_b32_e32 v79, v79, v0, vcc
	s_andn2_b64 exec, exec, s[4:5]
	s_cbranch_execz .LBB297_4
.LBB297_51:                             ;   Parent Loop BB297_7 Depth=1
                                        ; =>  This Loop Header: Depth=2
                                        ;       Child Loop BB297_53 Depth 3
	v_cmp_gt_i32_e32 vcc, 12, v72
	s_mov_b32 s6, 0x55555556
	s_nop 0
	v_cndmask_b32_e64 v0, -12, 0, vcc
	v_add_u32_e32 v11, v0, v72
	v_mul_hi_i32 v0, v100, s6
	v_lshrrev_b32_e32 v1, 31, v0
	v_add_u32_e32 v0, v0, v1
	v_lshl_add_u32 v1, v0, 1, v0
	v_sub_u32_e32 v1, v100, v1
	v_lshlrev_b32_e32 v1, 5, v1
	v_cmp_le_i32_e32 vcc, v1, v10
	v_lshlrev_b32_e32 v0, 6, v0
	v_lshlrev_b32_e32 v12, 2, v11
	v_cndmask_b32_e32 v2, 0, v1, vcc
	v_ashrrev_i32_e32 v1, 31, v0
	v_mul_lo_u32 v2, v2, s22
	v_lshl_add_u64 v[0:1], v[8:9], 0, v[0:1]
	v_ashrrev_i32_e32 v3, 31, v2
	v_lshl_add_u64 v[0:1], v[0:1], 0, v[2:3]
	;;#ASMSTART
	global_load_dwordx4 v[4:7], v[0:1], off offset:0   
	global_load_dwordx4 v[0:3], v[0:1], off offset:32  
	
	;;#ASMEND
	ds_read_b32 v13, v12 offset:57344
	v_add_u32_e32 v12, 0xe000, v12
	s_waitcnt lgkmcnt(0)
	v_cmp_ne_u32_e32 vcc, v13, v79
	s_and_saveexec_b64 s[6:7], vcc
	s_cbranch_execz .LBB297_50
; %bb.52:                               ;   in Loop: Header=BB297_51 Depth=2
	s_mov_b64 s[8:9], 0
.LBB297_53:                             ;   Parent Loop BB297_7 Depth=1
                                        ;     Parent Loop BB297_51 Depth=2
                                        ; =>    This Inner Loop Header: Depth=3
	;;#ASMSTART
	s_sleep 0
	;;#ASMEND
	ds_read_b32 v13, v12
	s_waitcnt lgkmcnt(0)
	v_cmp_eq_u32_e32 vcc, v13, v79
	s_or_b64 s[8:9], vcc, s[8:9]
	s_andn2_b64 exec, exec, s[8:9]
	s_cbranch_execnz .LBB297_53
	s_branch .LBB297_50
.LBB297_54:
	s_endpgm
	.section	.rodata,"a",@progbits
	.p2align	6, 0x0
	.amdhsa_kernel _Z19_skinny_gemm_kernelILi3ELi4ELi4ELi32ELi4EEvPKhS1_P6__halfPKfiiiiiiii
		.amdhsa_group_segment_fixed_size 57456
		.amdhsa_private_segment_fixed_size 0
		.amdhsa_kernarg_size 64
		.amdhsa_user_sgpr_count 2
		.amdhsa_user_sgpr_dispatch_ptr 0
		.amdhsa_user_sgpr_queue_ptr 0
		.amdhsa_user_sgpr_kernarg_segment_ptr 1
		.amdhsa_user_sgpr_dispatch_id 0
		.amdhsa_user_sgpr_kernarg_preload_length 0
		.amdhsa_user_sgpr_kernarg_preload_offset 0
		.amdhsa_user_sgpr_private_segment_size 0
		.amdhsa_uses_dynamic_stack 0
		.amdhsa_enable_private_segment 0
		.amdhsa_system_sgpr_workgroup_id_x 1
		.amdhsa_system_sgpr_workgroup_id_y 0
		.amdhsa_system_sgpr_workgroup_id_z 0
		.amdhsa_system_sgpr_workgroup_info 0
		.amdhsa_system_vgpr_workitem_id 0
		.amdhsa_next_free_vgpr 128
		.amdhsa_next_free_sgpr 100
		.amdhsa_accum_offset 128
		.amdhsa_reserve_vcc 1
		.amdhsa_float_round_mode_32 0
		.amdhsa_float_round_mode_16_64 0
		.amdhsa_float_denorm_mode_32 3
		.amdhsa_float_denorm_mode_16_64 3
		.amdhsa_dx10_clamp 1
		.amdhsa_ieee_mode 1
		.amdhsa_fp16_overflow 0
		.amdhsa_tg_split 0
		.amdhsa_exception_fp_ieee_invalid_op 0
		.amdhsa_exception_fp_denorm_src 0
		.amdhsa_exception_fp_ieee_div_zero 0
		.amdhsa_exception_fp_ieee_overflow 0
		.amdhsa_exception_fp_ieee_underflow 0
		.amdhsa_exception_fp_ieee_inexact 0
		.amdhsa_exception_int_div_zero 0
	.end_amdhsa_kernel
	.section	.text._Z19_skinny_gemm_kernelILi3ELi4ELi4ELi32ELi4EEvPKhS1_P6__halfPKfiiiiiiii,"axG",@progbits,_Z19_skinny_gemm_kernelILi3ELi4ELi4ELi32ELi4EEvPKhS1_P6__halfPKfiiiiiiii,comdat
.Lfunc_end297:
	.size	_Z19_skinny_gemm_kernelILi3ELi4ELi4ELi32ELi4EEvPKhS1_P6__halfPKfiiiiiiii, .Lfunc_end297-_Z19_skinny_gemm_kernelILi3ELi4ELi4ELi32ELi4EEvPKhS1_P6__halfPKfiiiiiiii
                                        ; -- End function
	.set _Z19_skinny_gemm_kernelILi3ELi4ELi4ELi32ELi4EEvPKhS1_P6__halfPKfiiiiiiii.num_vgpr, 128
	.set _Z19_skinny_gemm_kernelILi3ELi4ELi4ELi32ELi4EEvPKhS1_P6__halfPKfiiiiiiii.num_agpr, 0
	.set _Z19_skinny_gemm_kernelILi3ELi4ELi4ELi32ELi4EEvPKhS1_P6__halfPKfiiiiiiii.numbered_sgpr, 100
	.set _Z19_skinny_gemm_kernelILi3ELi4ELi4ELi32ELi4EEvPKhS1_P6__halfPKfiiiiiiii.num_named_barrier, 0
	.set _Z19_skinny_gemm_kernelILi3ELi4ELi4ELi32ELi4EEvPKhS1_P6__halfPKfiiiiiiii.private_seg_size, 0
	.set _Z19_skinny_gemm_kernelILi3ELi4ELi4ELi32ELi4EEvPKhS1_P6__halfPKfiiiiiiii.uses_vcc, 1
	.set _Z19_skinny_gemm_kernelILi3ELi4ELi4ELi32ELi4EEvPKhS1_P6__halfPKfiiiiiiii.uses_flat_scratch, 0
	.set _Z19_skinny_gemm_kernelILi3ELi4ELi4ELi32ELi4EEvPKhS1_P6__halfPKfiiiiiiii.has_dyn_sized_stack, 0
	.set _Z19_skinny_gemm_kernelILi3ELi4ELi4ELi32ELi4EEvPKhS1_P6__halfPKfiiiiiiii.has_recursion, 0
	.set _Z19_skinny_gemm_kernelILi3ELi4ELi4ELi32ELi4EEvPKhS1_P6__halfPKfiiiiiiii.has_indirect_call, 0
	.section	.AMDGPU.csdata,"",@progbits
; Kernel info:
; codeLenInByte = 14172
; TotalNumSgprs: 106
; NumVgprs: 128
; NumAgprs: 0
; TotalNumVgprs: 128
; ScratchSize: 0
; MemoryBound: 0
; FloatMode: 240
; IeeeMode: 1
; LDSByteSize: 57456 bytes/workgroup (compile time only)
; SGPRBlocks: 13
; VGPRBlocks: 15
; NumSGPRsForWavesPerEU: 106
; NumVGPRsForWavesPerEU: 128
; AccumOffset: 128
; Occupancy: 4
; WaveLimiterHint : 0
; COMPUTE_PGM_RSRC2:SCRATCH_EN: 0
; COMPUTE_PGM_RSRC2:USER_SGPR: 2
; COMPUTE_PGM_RSRC2:TRAP_HANDLER: 0
; COMPUTE_PGM_RSRC2:TGID_X_EN: 1
; COMPUTE_PGM_RSRC2:TGID_Y_EN: 0
; COMPUTE_PGM_RSRC2:TGID_Z_EN: 0
; COMPUTE_PGM_RSRC2:TIDIG_COMP_CNT: 0
; COMPUTE_PGM_RSRC3_GFX90A:ACCUM_OFFSET: 31
; COMPUTE_PGM_RSRC3_GFX90A:TG_SPLIT: 0
	.section	.text._Z19_skinny_gemm_kernelILi3ELi5ELi1ELi16ELi4EEvPKhS1_P6__halfPKfiiiiiiii,"axG",@progbits,_Z19_skinny_gemm_kernelILi3ELi5ELi1ELi16ELi4EEvPKhS1_P6__halfPKfiiiiiiii,comdat
	.protected	_Z19_skinny_gemm_kernelILi3ELi5ELi1ELi16ELi4EEvPKhS1_P6__halfPKfiiiiiiii ; -- Begin function _Z19_skinny_gemm_kernelILi3ELi5ELi1ELi16ELi4EEvPKhS1_P6__halfPKfiiiiiiii
	.globl	_Z19_skinny_gemm_kernelILi3ELi5ELi1ELi16ELi4EEvPKhS1_P6__halfPKfiiiiiiii
	.p2align	8
	.type	_Z19_skinny_gemm_kernelILi3ELi5ELi1ELi16ELi4EEvPKhS1_P6__halfPKfiiiiiiii,@function
_Z19_skinny_gemm_kernelILi3ELi5ELi1ELi16ELi4EEvPKhS1_P6__halfPKfiiiiiiii: ; @_Z19_skinny_gemm_kernelILi3ELi5ELi1ELi16ELi4EEvPKhS1_P6__halfPKfiiiiiiii
; %bb.0:
	v_cmp_gt_u32_e32 vcc, 8, v0
	v_lshlrev_b32_e32 v1, 2, v0
	s_and_saveexec_b64 s[4:5], vcc
; %bb.1:
	v_mov_b32_e32 v2, 0
	ds_write_b32 v1, v2 offset:16384
; %bb.2:
	s_or_b64 exec, exec, s[4:5]
	s_load_dwordx8 s[20:27], s[0:1], 0x20
	s_mov_b32 s56, 0x66666667
	s_waitcnt lgkmcnt(0)
	s_barrier
	s_add_i32 s3, s20, 47
	s_mul_hi_i32 s3, s3, 0x2aaaaaab
	s_lshr_b32 s4, s3, 31
	s_ashr_i32 s33, s3, 3
	s_add_i32 s3, s21, 0x4f
	s_mul_hi_i32 s3, s3, 0x66666667
	s_add_i32 s33, s33, s4
	s_lshr_b32 s4, s3, 31
	s_ashr_i32 s54, s3, 5
	s_add_i32 s54, s54, s4
	s_mul_i32 s3, s54, s33
	s_mul_i32 s3, s3, s24
	s_add_i32 s4, s3, 0x12f
	s_mul_hi_i32 s4, s4, 0x6bca1af3
	s_lshr_b32 s5, s4, 31
	s_ashr_i32 s4, s4, 7
	s_add_i32 s4, s4, s5
	s_add_i32 s5, s2, 1
	s_mul_i32 s5, s4, s5
	v_cvt_f64_i32_e32 v[2:3], s3
	v_cvt_f64_u32_e32 v[4:5], s5
	v_min_f64 v[2:3], v[2:3], v[4:5]
	v_cvt_i32_f64_e32 v61, v[2:3]
	s_mul_i32 s55, s4, s2
	v_cmp_ge_i32_e32 vcc, s55, v61
	s_cbranch_vccnz .LBB298_64
; %bb.3:
	v_lshrrev_b32_e32 v2, 6, v0
	s_add_i32 s4, s26, s25
	s_load_dwordx8 s[36:43], s[0:1], 0x0
	v_cmp_le_i32_e64 s[0:1], s4, v2
	v_mov_b32_e32 v3, s25
	v_cmp_le_i32_e64 s[2:3], s25, v2
	v_mov_b32_e32 v4, s26
	v_cndmask_b32_e64 v4, 0, v4, s[0:1]
	v_cndmask_b32_e64 v3, 0, v3, s[2:3]
	s_abs_i32 s5, s24
	v_add_u32_e32 v3, v3, v4
	v_cvt_f32_u32_e32 v4, s5
	v_sub_u32_e32 v74, v2, v3
	s_ashr_i32 s6, s22, 31
	s_lshr_b32 s6, s6, 25
	v_rcp_iflag_f32_e32 v3, v4
	s_sub_i32 s9, 0, s5
	s_add_i32 s6, s22, s6
	s_ashr_i32 s6, s6, 7
	v_mul_f32_e32 v3, 0x4f7ffffe, v3
	v_cvt_u32_f32_e32 v3, v3
	s_abs_i32 s8, s6
	s_xor_b32 s7, s6, s24
	s_ashr_i32 s7, s7, 31
	v_readfirstlane_b32 s10, v3
	s_mul_i32 s9, s9, s10
	s_mul_hi_u32 s9, s10, s9
	s_add_i32 s10, s10, s9
	s_mul_hi_u32 s9, s8, s10
	s_mul_i32 s10, s9, s5
	s_sub_i32 s8, s8, s10
	s_add_i32 s10, s9, 1
	s_sub_i32 s11, s8, s5
	s_cmp_ge_u32 s8, s5
	s_cselect_b32 s9, s10, s9
	s_cselect_b32 s8, s11, s8
	s_add_i32 s10, s9, 1
	s_cmp_ge_u32 s8, s5
	s_cselect_b32 s5, s10, s9
	s_xor_b32 s5, s5, s7
	s_sub_i32 s57, s5, s7
	s_add_i32 s24, s24, -1
	s_mul_i32 s5, s57, s24
	s_add_i32 s4, s4, s27
	s_sub_i32 s58, s6, s5
	v_cmp_gt_i32_e64 s[4:5], s4, v2
	v_lshlrev_b32_e32 v2, 1, v0
	v_lshlrev_b32_e32 v3, 4, v0
	v_and_b32_e32 v1, 60, v1
	v_and_b32_e32 v2, 64, v2
	;; [unrolled: 1-line block ×3, first 2 shown]
	v_or3_b32 v103, v1, v2, v4
	v_and_b32_e32 v1, 1, v0
	v_lshrrev_b32_e32 v4, 2, v0
	s_abs_i32 s60, s33
	v_and_or_b32 v108, v4, 12, v1
	v_cvt_f32_u32_e32 v4, s60
	v_lshlrev_b32_e32 v2, 1, v1
	v_and_b32_e32 v60, 14, v0
	v_sub_u32_e32 v2, v0, v2
	v_bitop3_b32 v104, v0, 1, v0 bitop3:0xc
	v_bitop3_b32 v105, v0, 3, 1 bitop3:0x6c
	v_and_b32_e32 v68, 48, v3
	v_bfe_u32 v111, v0, 2, 4
	v_and_b32_e32 v1, 60, v0
	v_lshlrev_b32_e32 v3, 8, v0
	v_lshlrev_b32_e32 v0, 6, v0
	v_and_b32_e32 v3, 0x200, v3
	v_and_b32_e32 v0, 64, v0
	v_or3_b32 v112, v1, v3, v0
	v_rcp_iflag_f32_e32 v0, v4
	s_abs_i32 s62, s54
	v_cvt_f32_u32_e32 v1, s62
	v_mad_u64_u32 v[62:63], s[6:7], s21, v108, v[60:61]
	v_mul_f32_e32 v0, 0x4f7ffffe, v0
	v_cvt_u32_f32_e32 v0, v0
	v_rcp_iflag_f32_e32 v1, v1
	s_lshl_b32 s6, s21, 4
	v_add_u32_e32 v64, s6, v62
	v_readfirstlane_b32 s7, v0
	v_mul_f32_e32 v0, 0x4f7ffffe, v1
	v_cvt_u32_f32_e32 v0, v0
	v_add_u32_e32 v66, s6, v64
	s_sub_i32 s6, 0, s60
	s_mul_i32 s6, s6, s7
	s_mul_hi_u32 s6, s7, s6
	v_add_u32_e32 v2, 1, v2
	s_add_i32 s64, s7, s6
	s_sub_i32 s6, 0, s62
	v_readfirstlane_b32 s7, v0
	v_mbcnt_lo_u32_b32 v0, -1, 0
	v_and_b32_e32 v2, 63, v2
	s_mul_i32 s6, s6, s7
	v_mbcnt_hi_u32_b32 v0, -1, v0
	v_mul_lo_u32 v70, s23, v111
	s_mul_hi_u32 s6, s7, s6
	v_and_or_b32 v0, v0, 64, v2
	v_cndmask_b32_e64 v102, 0, 1, s[0:1]
	s_movk_i32 s59, 0x2800
	s_ashr_i32 s29, s21, 31
	s_mov_b32 s28, s21
	v_or_b32_e32 v106, 48, v60
	v_or_b32_e32 v107, 64, v60
	v_ashrrev_i32_e32 v63, 31, v62
	v_or_b32_e32 v109, 16, v108
	v_ashrrev_i32_e32 v65, 31, v64
	;; [unrolled: 2-line block ×3, first 2 shown]
	v_ashrrev_i32_e32 v71, 31, v70
	v_mov_b32_e32 v69, 0
	s_lshl_b32 s61, s23, 4
	v_mul_lo_u32 v113, s22, v111
	v_or_b32_e32 v114, 0x2800, v112
	s_ashr_i32 s63, s33, 31
	s_ashr_i32 s65, s54, 31
	s_add_i32 s66, s7, s6
	s_movk_i32 s67, 0x1800
	s_mov_b64 s[30:31], 0x60
	s_mov_b64 s[34:35], 0x80
	s_mov_b32 s68, 0x55555556
	v_lshlrev_b32_e32 v115, 2, v0
	v_mov_b32_e32 v116, v74
	s_branch .LBB298_7
.LBB298_4:                              ;   in Loop: Header=BB298_7 Depth=1
	s_or_b64 exec, exec, s[10:11]
.LBB298_5:                              ;   in Loop: Header=BB298_7 Depth=1
	s_or_b64 exec, exec, s[8:9]
	v_subrev_u32_e32 v116, s72, v116
.LBB298_6:                              ;   in Loop: Header=BB298_7 Depth=1
	s_or_b64 exec, exec, s[6:7]
	s_add_i32 s55, s55, 1
	v_cmp_ge_i32_e32 vcc, s55, v61
	s_cbranch_vccnz .LBB298_64
.LBB298_7:                              ; =>This Loop Header: Depth=1
                                        ;     Child Loop BB298_13 Depth 2
                                        ;       Child Loop BB298_15 Depth 3
                                        ;       Child Loop BB298_18 Depth 3
	;; [unrolled: 1-line block ×8, first 2 shown]
                                        ;     Child Loop BB298_51 Depth 2
                                        ;       Child Loop BB298_53 Depth 3
                                        ;     Child Loop BB298_61 Depth 2
                                        ;       Child Loop BB298_63 Depth 3
	s_abs_i32 s7, s55
	s_mul_hi_u32 s8, s7, s64
	s_mul_i32 s9, s8, s60
	s_ashr_i32 s6, s55, 31
	s_sub_i32 s7, s7, s9
	s_xor_b32 s6, s6, s63
	s_add_i32 s9, s8, 1
	s_sub_i32 s10, s7, s60
	s_cmp_ge_u32 s7, s60
	s_cselect_b32 s8, s9, s8
	s_cselect_b32 s7, s10, s7
	s_add_i32 s9, s8, 1
	s_cmp_ge_u32 s7, s60
	s_cselect_b32 s7, s9, s8
	s_xor_b32 s7, s7, s6
	s_sub_i32 s6, s7, s6
	s_abs_i32 s8, s6
	s_mul_hi_u32 s9, s8, s66
	s_mul_i32 s7, s6, s33
	s_mul_i32 s10, s9, s62
	s_sub_i32 s69, s55, s7
	s_ashr_i32 s7, s6, 31
	s_sub_i32 s8, s8, s10
	s_xor_b32 s7, s7, s65
	s_add_i32 s10, s9, 1
	s_sub_i32 s11, s8, s62
	s_cmp_ge_u32 s8, s62
	s_cselect_b32 s9, s10, s9
	s_cselect_b32 s8, s11, s8
	s_add_i32 s10, s9, 1
	s_cmp_ge_u32 s8, s62
	s_cselect_b32 s8, s10, s9
	s_xor_b32 s8, s8, s7
	s_sub_i32 s7, s8, s7
	s_mul_i32 s8, s7, s57
	s_lshl_b32 s70, s8, 7
	s_mul_i32 s69, s69, 48
	s_cmp_eq_u32 s7, s24
	s_cselect_b32 s72, s58, s57
	s_sub_i32 s8, s69, s20
	s_add_i32 s8, s8, 48
	s_max_i32 s71, s8, 0
	s_and_saveexec_b64 s[8:9], s[2:3]
	s_xor_b64 s[44:45], exec, s[8:9]
	s_cbranch_execz .LBB298_57
; %bb.8:                                ;   in Loop: Header=BB298_7 Depth=1
	s_mul_i32 s7, s7, s54
	s_sub_i32 s6, s6, s7
	s_mulk_i32 s6, 0x50
	s_sub_i32 s47, s6, s21
	s_addk_i32 s47, 0x50
	s_max_i32 s7, s47, 0
	s_sub_i32 s46, s6, s7
	s_and_saveexec_b64 s[6:7], s[0:1]
	s_xor_b64 s[48:49], exec, s[6:7]
	s_cbranch_execz .LBB298_47
; %bb.9:                                ;   in Loop: Header=BB298_7 Depth=1
	s_and_saveexec_b64 s[50:51], s[4:5]
	s_cbranch_execz .LBB298_46
; %bb.10:                               ;   in Loop: Header=BB298_7 Depth=1
	s_waitcnt lgkmcnt(0)
	global_load_dword v117, v69, s[42:43]
	v_mov_b32_e32 v59, 0
	v_cmp_gt_i32_e32 vcc, s72, v116
	v_mov_b32_e32 v58, v59
	v_mov_b32_e32 v57, v59
	;; [unrolled: 1-line block ×59, first 2 shown]
	s_and_saveexec_b64 s[6:7], vcc
	s_cbranch_execz .LBB298_38
; %bb.11:                               ;   in Loop: Header=BB298_7 Depth=1
	v_mov_b32_e32 v8, 0
	s_mov_b64 s[8:9], 0
	v_mov_b32_e32 v9, v8
	v_mov_b32_e32 v10, v8
	;; [unrolled: 1-line block ×59, first 2 shown]
	s_branch .LBB298_13
.LBB298_12:                             ;   in Loop: Header=BB298_13 Depth=2
	s_or_b64 exec, exec, s[10:11]
	v_add_u32_e32 v97, 0x2000, v96
	ds_read2_b32 v[98:99], v97 offset1:32
	v_add_u32_e32 v100, 0x2400, v96
	v_add_u32_e32 v116, s27, v116
	s_waitcnt lgkmcnt(0)
	v_mfma_f32_16x16x32_fp8_fp8 v[40:43], v[72:73], v[98:99], v[40:43]
	ds_read2_b32 v[72:73], v97 offset0:128 offset1:160
	ds_read2_b32 v[96:97], v100 offset1:32
	v_mfma_f32_16x16x32_fp8_fp8 v[20:23], v[80:81], v[98:99], v[20:23]
	v_mfma_f32_16x16x32_fp8_fp8 v[8:11], v[90:91], v[98:99], v[8:11]
	s_waitcnt lgkmcnt(1)
	v_mfma_f32_16x16x32_fp8_fp8 v[40:43], v[74:75], v[72:73], v[40:43]
	v_add_u32_e32 v74, s27, v118
	v_cmp_lt_i32_e32 vcc, 0, v74
	v_mfma_f32_16x16x32_fp8_fp8 v[20:23], v[84:85], v[72:73], v[20:23]
	v_mfma_f32_16x16x32_fp8_fp8 v[8:11], v[92:93], v[72:73], v[8:11]
	v_add_u32_e32 v72, 2, v102
	v_cndmask_b32_e32 v102, v102, v72, vcc
	v_cmp_le_i32_e32 vcc, s72, v116
	s_waitcnt lgkmcnt(0)
	v_mfma_f32_16x16x32_fp8_fp8 v[40:43], v[76:77], v[96:97], v[40:43]
	ds_read2_b32 v[76:77], v100 offset0:128 offset1:160
	s_or_b64 s[8:9], vcc, s[8:9]
	;;#ASMSTART
	s_waitcnt lgkmcnt(0)
	;;#ASMEND
	v_mfma_f32_16x16x32_fp8_fp8 v[20:23], v[86:87], v[96:97], v[20:23]
	ds_write_b32 v119, v120 offset:16412
	v_mfma_f32_16x16x32_fp8_fp8 v[8:11], v[94:95], v[96:97], v[8:11]
	s_waitcnt lgkmcnt(1)
	v_mfma_f32_16x16x32_fp8_fp8 v[40:43], v[78:79], v[76:77], v[40:43]
	v_mfma_f32_16x16x32_fp8_fp8 v[20:23], v[88:89], v[76:77], v[20:23]
	;; [unrolled: 1-line block ×3, first 2 shown]
	s_andn2_b64 exec, exec, s[8:9]
	s_cbranch_execz .LBB298_37
.LBB298_13:                             ;   Parent Loop BB298_7 Depth=1
                                        ; =>  This Loop Header: Depth=2
                                        ;       Child Loop BB298_15 Depth 3
                                        ;       Child Loop BB298_18 Depth 3
	;; [unrolled: 1-line block ×8, first 2 shown]
	v_cmp_lt_i32_e32 vcc, 0, v74
	s_nop 1
	v_subbrev_co_u32_e32 v118, vcc, 0, v74, vcc
	v_mul_lo_u32 v119, v118, 20
	ds_read_b32 v72, v119 offset:16396
	s_waitcnt lgkmcnt(0)
	v_cmp_ne_u32_e32 vcc, v72, v102
	s_and_saveexec_b64 s[10:11], vcc
	s_cbranch_execz .LBB298_16
; %bb.14:                               ;   in Loop: Header=BB298_13 Depth=2
	s_mov_b64 s[12:13], 0
.LBB298_15:                             ;   Parent Loop BB298_7 Depth=1
                                        ;     Parent Loop BB298_13 Depth=2
                                        ; =>    This Inner Loop Header: Depth=3
	;;#ASMSTART
	s_sleep 0
	;;#ASMEND
	ds_read_b32 v72, v119 offset:16396
	s_waitcnt lgkmcnt(0)
	v_cmp_eq_u32_e32 vcc, v72, v102
	s_or_b64 s[12:13], vcc, s[12:13]
	s_andn2_b64 exec, exec, s[12:13]
	s_cbranch_execnz .LBB298_15
.LBB298_16:                             ;   in Loop: Header=BB298_13 Depth=2
	s_or_b64 exec, exec, s[10:11]
	v_mul_lo_u32 v121, v118, s59
	v_or_b32_e32 v72, v103, v121
	ds_read2_b32 v[82:83], v72 offset1:32
	ds_read2_b32 v[96:97], v72 offset0:128 offset1:160
	v_add_u32_e32 v72, 0x400, v72
	v_mul_lo_u32 v122, v118, 12
	ds_read2_b32 v[100:101], v72 offset1:32
	ds_read2_b32 v[98:99], v72 offset0:128 offset1:160
	;;#ASMSTART
	s_waitcnt lgkmcnt(0)
	;;#ASMEND
	ds_read_b32 v72, v122 offset:16384
	v_add_u32_e32 v120, 1, v102
	ds_write_b32 v119, v120 offset:16396
	s_waitcnt lgkmcnt(1)
	v_cmp_ne_u32_e32 vcc, v72, v102
	s_and_saveexec_b64 s[10:11], vcc
	s_cbranch_execz .LBB298_19
; %bb.17:                               ;   in Loop: Header=BB298_13 Depth=2
	s_mov_b64 s[12:13], 0
.LBB298_18:                             ;   Parent Loop BB298_7 Depth=1
                                        ;     Parent Loop BB298_13 Depth=2
                                        ; =>    This Inner Loop Header: Depth=3
	;;#ASMSTART
	s_sleep 0
	;;#ASMEND
	ds_read_b32 v72, v122 offset:16384
	s_waitcnt lgkmcnt(0)
	v_cmp_eq_u32_e32 vcc, v72, v102
	s_or_b64 s[12:13], vcc, s[12:13]
	s_andn2_b64 exec, exec, s[12:13]
	s_cbranch_execnz .LBB298_18
.LBB298_19:                             ;   in Loop: Header=BB298_13 Depth=2
	s_or_b64 exec, exec, s[10:11]
	v_mul_lo_u32 v72, v118, s67
	v_or_b32_e32 v73, 0x2800, v103
	v_add_u32_e32 v94, v73, v72
	ds_read2_b32 v[72:73], v94 offset1:32
	ds_read2_b32 v[74:75], v94 offset0:128 offset1:160
	v_add_u32_e32 v78, 0x400, v94
	ds_read2_b32 v[76:77], v78 offset1:32
	ds_read2_b32 v[78:79], v78 offset0:128 offset1:160
	ds_read_b32 v80, v122 offset:16388
	ds_write_b32 v122, v120 offset:16384
	s_waitcnt lgkmcnt(5)
	v_mfma_f32_16x16x32_fp8_fp8 v[56:59], v[72:73], v[82:83], v[56:59]
	s_waitcnt lgkmcnt(1)
	v_cmp_ne_u32_e32 vcc, v80, v102
	v_mfma_f32_16x16x32_fp8_fp8 v[56:59], v[74:75], v[96:97], v[56:59]
	v_mfma_f32_16x16x32_fp8_fp8 v[56:59], v[76:77], v[100:101], v[56:59]
	;; [unrolled: 1-line block ×3, first 2 shown]
	s_and_saveexec_b64 s[10:11], vcc
	s_cbranch_execz .LBB298_22
; %bb.20:                               ;   in Loop: Header=BB298_13 Depth=2
	s_mov_b64 s[12:13], 0
.LBB298_21:                             ;   Parent Loop BB298_7 Depth=1
                                        ;     Parent Loop BB298_13 Depth=2
                                        ; =>    This Inner Loop Header: Depth=3
	;;#ASMSTART
	s_sleep 0
	;;#ASMEND
	ds_read_b32 v80, v122 offset:16388
	s_waitcnt lgkmcnt(0)
	v_cmp_eq_u32_e32 vcc, v80, v102
	s_or_b64 s[12:13], vcc, s[12:13]
	s_andn2_b64 exec, exec, s[12:13]
	s_cbranch_execnz .LBB298_21
.LBB298_22:                             ;   in Loop: Header=BB298_13 Depth=2
	s_or_b64 exec, exec, s[10:11]
	v_add_u32_e32 v84, 0x800, v94
	ds_read2_b32 v[80:81], v84 offset1:32
	ds_read2_b32 v[84:85], v84 offset0:128 offset1:160
	v_add_u32_e32 v88, 0xc00, v94
	ds_read2_b32 v[86:87], v88 offset1:32
	ds_read2_b32 v[88:89], v88 offset0:128 offset1:160
	ds_read_b32 v90, v122 offset:16392
	ds_write_b32 v122, v120 offset:16388
	s_waitcnt lgkmcnt(5)
	v_mfma_f32_16x16x32_fp8_fp8 v[36:39], v[80:81], v[82:83], v[36:39]
	s_waitcnt lgkmcnt(1)
	v_cmp_ne_u32_e32 vcc, v90, v102
	v_mfma_f32_16x16x32_fp8_fp8 v[36:39], v[84:85], v[96:97], v[36:39]
	v_mfma_f32_16x16x32_fp8_fp8 v[36:39], v[86:87], v[100:101], v[36:39]
	v_mfma_f32_16x16x32_fp8_fp8 v[36:39], v[88:89], v[98:99], v[36:39]
	s_and_saveexec_b64 s[10:11], vcc
	s_cbranch_execz .LBB298_25
; %bb.23:                               ;   in Loop: Header=BB298_13 Depth=2
	s_mov_b64 s[12:13], 0
.LBB298_24:                             ;   Parent Loop BB298_7 Depth=1
                                        ;     Parent Loop BB298_13 Depth=2
                                        ; =>    This Inner Loop Header: Depth=3
	;;#ASMSTART
	s_sleep 0
	;;#ASMEND
	ds_read_b32 v90, v122 offset:16392
	s_waitcnt lgkmcnt(0)
	v_cmp_eq_u32_e32 vcc, v90, v102
	s_or_b64 s[12:13], vcc, s[12:13]
	s_andn2_b64 exec, exec, s[12:13]
	s_cbranch_execnz .LBB298_24
.LBB298_25:                             ;   in Loop: Header=BB298_13 Depth=2
	s_or_b64 exec, exec, s[10:11]
	v_add_u32_e32 v92, 0x1000, v94
	ds_read2_b32 v[90:91], v92 offset1:32
	ds_read2_b32 v[92:93], v92 offset0:128 offset1:160
	v_add_u32_e32 v123, 0x1400, v94
	ds_read2_b32 v[94:95], v123 offset1:32
	ds_write_b32 v122, v120 offset:16392
	s_waitcnt lgkmcnt(3)
	v_mfma_f32_16x16x32_fp8_fp8 v[16:19], v[90:91], v[82:83], v[16:19]
	ds_read2_b32 v[82:83], v123 offset0:128 offset1:160
	s_waitcnt lgkmcnt(3)
	v_mfma_f32_16x16x32_fp8_fp8 v[16:19], v[92:93], v[96:97], v[16:19]
	ds_read_b32 v96, v119 offset:16400
	s_waitcnt lgkmcnt(0)
	v_cmp_ne_u32_e32 vcc, v96, v102
	v_mfma_f32_16x16x32_fp8_fp8 v[16:19], v[94:95], v[100:101], v[16:19]
	v_mfma_f32_16x16x32_fp8_fp8 v[16:19], v[82:83], v[98:99], v[16:19]
	s_and_saveexec_b64 s[10:11], vcc
	s_cbranch_execz .LBB298_28
; %bb.26:                               ;   in Loop: Header=BB298_13 Depth=2
	s_mov_b64 s[12:13], 0
.LBB298_27:                             ;   Parent Loop BB298_7 Depth=1
                                        ;     Parent Loop BB298_13 Depth=2
                                        ; =>    This Inner Loop Header: Depth=3
	;;#ASMSTART
	s_sleep 0
	;;#ASMEND
	ds_read_b32 v96, v119 offset:16400
	s_waitcnt lgkmcnt(0)
	v_cmp_eq_u32_e32 vcc, v96, v102
	s_or_b64 s[12:13], vcc, s[12:13]
	s_andn2_b64 exec, exec, s[12:13]
	s_cbranch_execnz .LBB298_27
.LBB298_28:                             ;   in Loop: Header=BB298_13 Depth=2
	s_or_b64 exec, exec, s[10:11]
	v_add_u32_e32 v96, v103, v121
	v_add_u32_e32 v97, 0x800, v96
	ds_read2_b32 v[98:99], v97 offset1:32
	ds_read2_b32 v[100:101], v97 offset0:128 offset1:160
	v_add_u32_e32 v97, 0xc00, v96
	ds_read2_b32 v[122:123], v97 offset1:32
	ds_read2_b32 v[124:125], v97 offset0:128 offset1:160
	s_waitcnt lgkmcnt(3)
	v_mfma_f32_16x16x32_fp8_fp8 v[52:55], v[72:73], v[98:99], v[52:55]
	;;#ASMSTART
	s_waitcnt lgkmcnt(0)
	;;#ASMEND
	ds_read_b32 v97, v119 offset:16404
	ds_write_b32 v119, v120 offset:16400
	v_mfma_f32_16x16x32_fp8_fp8 v[32:35], v[80:81], v[98:99], v[32:35]
	s_waitcnt lgkmcnt(1)
	v_cmp_ne_u32_e32 vcc, v97, v102
	v_mfma_f32_16x16x32_fp8_fp8 v[12:15], v[90:91], v[98:99], v[12:15]
	v_mfma_f32_16x16x32_fp8_fp8 v[52:55], v[74:75], v[100:101], v[52:55]
	;; [unrolled: 1-line block ×10, first 2 shown]
	s_and_saveexec_b64 s[10:11], vcc
	s_cbranch_execz .LBB298_31
; %bb.29:                               ;   in Loop: Header=BB298_13 Depth=2
	s_mov_b64 s[12:13], 0
.LBB298_30:                             ;   Parent Loop BB298_7 Depth=1
                                        ;     Parent Loop BB298_13 Depth=2
                                        ; =>    This Inner Loop Header: Depth=3
	;;#ASMSTART
	s_sleep 0
	;;#ASMEND
	ds_read_b32 v97, v119 offset:16404
	s_waitcnt lgkmcnt(0)
	v_cmp_eq_u32_e32 vcc, v97, v102
	s_or_b64 s[12:13], vcc, s[12:13]
	s_andn2_b64 exec, exec, s[12:13]
	s_cbranch_execnz .LBB298_30
.LBB298_31:                             ;   in Loop: Header=BB298_13 Depth=2
	s_or_b64 exec, exec, s[10:11]
	v_add_u32_e32 v97, 0x1000, v96
	ds_read2_b32 v[98:99], v97 offset1:32
	ds_read2_b32 v[100:101], v97 offset0:128 offset1:160
	v_add_u32_e32 v97, 0x1400, v96
	ds_read2_b32 v[122:123], v97 offset1:32
	ds_read2_b32 v[124:125], v97 offset0:128 offset1:160
	s_waitcnt lgkmcnt(3)
	v_mfma_f32_16x16x32_fp8_fp8 v[48:51], v[72:73], v[98:99], v[48:51]
	;;#ASMSTART
	s_waitcnt lgkmcnt(0)
	;;#ASMEND
	ds_read_b32 v97, v119 offset:16408
	ds_write_b32 v119, v120 offset:16404
	v_mfma_f32_16x16x32_fp8_fp8 v[28:31], v[80:81], v[98:99], v[28:31]
	s_waitcnt lgkmcnt(1)
	v_cmp_ne_u32_e32 vcc, v97, v102
	v_mfma_f32_16x16x32_fp8_fp8 v[4:7], v[90:91], v[98:99], v[4:7]
	v_mfma_f32_16x16x32_fp8_fp8 v[48:51], v[74:75], v[100:101], v[48:51]
	;; [unrolled: 1-line block ×10, first 2 shown]
	s_and_saveexec_b64 s[10:11], vcc
	s_cbranch_execz .LBB298_34
; %bb.32:                               ;   in Loop: Header=BB298_13 Depth=2
	s_mov_b64 s[12:13], 0
.LBB298_33:                             ;   Parent Loop BB298_7 Depth=1
                                        ;     Parent Loop BB298_13 Depth=2
                                        ; =>    This Inner Loop Header: Depth=3
	;;#ASMSTART
	s_sleep 0
	;;#ASMEND
	ds_read_b32 v97, v119 offset:16408
	s_waitcnt lgkmcnt(0)
	v_cmp_eq_u32_e32 vcc, v97, v102
	s_or_b64 s[12:13], vcc, s[12:13]
	s_andn2_b64 exec, exec, s[12:13]
	s_cbranch_execnz .LBB298_33
.LBB298_34:                             ;   in Loop: Header=BB298_13 Depth=2
	s_or_b64 exec, exec, s[10:11]
	v_add_u32_e32 v97, 0x1800, v96
	ds_read2_b32 v[98:99], v97 offset1:32
	ds_read2_b32 v[100:101], v97 offset0:128 offset1:160
	v_add_u32_e32 v97, 0x1c00, v96
	ds_read2_b32 v[122:123], v97 offset1:32
	ds_read2_b32 v[124:125], v97 offset0:128 offset1:160
	s_waitcnt lgkmcnt(3)
	v_mfma_f32_16x16x32_fp8_fp8 v[44:47], v[72:73], v[98:99], v[44:47]
	;;#ASMSTART
	s_waitcnt lgkmcnt(0)
	;;#ASMEND
	ds_read_b32 v97, v119 offset:16412
	ds_write_b32 v119, v120 offset:16408
	v_mfma_f32_16x16x32_fp8_fp8 v[24:27], v[80:81], v[98:99], v[24:27]
	s_waitcnt lgkmcnt(1)
	v_cmp_ne_u32_e32 vcc, v97, v102
	v_mfma_f32_16x16x32_fp8_fp8 v[0:3], v[90:91], v[98:99], v[0:3]
	v_mfma_f32_16x16x32_fp8_fp8 v[44:47], v[74:75], v[100:101], v[44:47]
	v_mfma_f32_16x16x32_fp8_fp8 v[24:27], v[84:85], v[100:101], v[24:27]
	v_mfma_f32_16x16x32_fp8_fp8 v[0:3], v[92:93], v[100:101], v[0:3]
	v_mfma_f32_16x16x32_fp8_fp8 v[44:47], v[76:77], v[122:123], v[44:47]
	v_mfma_f32_16x16x32_fp8_fp8 v[24:27], v[86:87], v[122:123], v[24:27]
	v_mfma_f32_16x16x32_fp8_fp8 v[0:3], v[94:95], v[122:123], v[0:3]
	v_mfma_f32_16x16x32_fp8_fp8 v[44:47], v[78:79], v[124:125], v[44:47]
	v_mfma_f32_16x16x32_fp8_fp8 v[24:27], v[88:89], v[124:125], v[24:27]
	v_mfma_f32_16x16x32_fp8_fp8 v[0:3], v[82:83], v[124:125], v[0:3]
	s_and_saveexec_b64 s[10:11], vcc
	s_cbranch_execz .LBB298_12
; %bb.35:                               ;   in Loop: Header=BB298_13 Depth=2
	s_mov_b64 s[12:13], 0
.LBB298_36:                             ;   Parent Loop BB298_7 Depth=1
                                        ;     Parent Loop BB298_13 Depth=2
                                        ; =>    This Inner Loop Header: Depth=3
	;;#ASMSTART
	s_sleep 0
	;;#ASMEND
	ds_read_b32 v97, v119 offset:16412
	s_waitcnt lgkmcnt(0)
	v_cmp_eq_u32_e32 vcc, v97, v102
	s_or_b64 s[12:13], vcc, s[12:13]
	s_andn2_b64 exec, exec, s[12:13]
	s_cbranch_execnz .LBB298_36
	s_branch .LBB298_12
.LBB298_37:                             ;   in Loop: Header=BB298_7 Depth=1
	s_or_b64 exec, exec, s[8:9]
.LBB298_38:                             ;   in Loop: Header=BB298_7 Depth=1
	s_or_b64 exec, exec, s[6:7]
	v_cmp_le_i32_e32 vcc, s47, v60
	v_cmp_eq_u32_e64 s[12:13], 1, v104
	v_cmp_eq_u32_e64 s[6:7], 3, v104
	s_waitcnt vmcnt(0)
	v_cndmask_b32_e32 v72, 0, v117, vcc
	v_pk_mul_f32 v[56:57], v[72:73], v[56:57] op_sel_hi:[0,1]
	v_pk_mul_f32 v[76:77], v[72:73], v[58:59] op_sel_hi:[0,1]
	v_cndmask_b32_e64 v58, v56, v57, s[12:13]
	v_cmp_eq_u32_e32 vcc, 2, v104
	v_cmp_eq_u32_e64 s[8:9], 0, v104
	v_cmp_eq_u32_e64 s[10:11], 1, v105
	v_cndmask_b32_e32 v58, v58, v76, vcc
	v_cndmask_b32_e64 v58, v58, v77, s[6:7]
	ds_bpermute_b32 v73, v115, v58
	v_cmp_eq_u32_e64 s[16:17], 3, v105
	s_waitcnt lgkmcnt(0)
	v_cndmask_b32_e64 v58, v77, v73, s[6:7]
	v_cndmask_b32_e32 v59, v76, v73, vcc
	v_cndmask_b32_e64 v57, v57, v73, s[12:13]
	v_cndmask_b32_e64 v73, v56, v73, s[8:9]
	v_or_b32_e32 v56, 16, v60
	v_cmp_le_i32_e64 s[14:15], s47, v56
	v_cndmask_b32_e64 v75, v73, v57, s[10:11]
	s_nop 0
	v_cndmask_b32_e64 v56, 0, v117, s[14:15]
	v_pk_mul_f32 v[52:53], v[56:57], v[52:53] op_sel_hi:[0,1]
	v_pk_mul_f32 v[76:77], v[56:57], v[54:55] op_sel_hi:[0,1]
	v_cndmask_b32_e64 v54, v52, v53, s[12:13]
	v_cndmask_b32_e32 v54, v54, v76, vcc
	v_cndmask_b32_e64 v54, v54, v77, s[6:7]
	ds_bpermute_b32 v78, v115, v54
	v_cmp_eq_u32_e64 s[14:15], 2, v105
	s_waitcnt lgkmcnt(0)
	v_cndmask_b32_e64 v79, v52, v78, s[8:9]
	v_or_b32_e32 v52, 32, v60
	v_cmp_le_i32_e64 s[18:19], s47, v52
	v_cndmask_b32_e64 v53, v53, v78, s[12:13]
	v_cndmask_b32_e64 v54, v75, v59, s[14:15]
	;; [unrolled: 1-line block ×3, first 2 shown]
	v_pk_mul_f32 v[48:49], v[52:53], v[48:49] op_sel_hi:[0,1]
	v_cndmask_b32_e64 v55, v77, v78, s[6:7]
	v_cndmask_b32_e32 v75, v76, v78, vcc
	v_pk_mul_f32 v[76:77], v[52:53], v[50:51] op_sel_hi:[0,1]
	v_cndmask_b32_e64 v50, v48, v49, s[12:13]
	v_cndmask_b32_e32 v50, v50, v76, vcc
	v_cndmask_b32_e64 v50, v50, v77, s[6:7]
	ds_bpermute_b32 v78, v115, v50
	v_cmp_le_i32_e64 s[18:19], s47, v106
	v_cndmask_b32_e64 v50, v79, v53, s[10:11]
	v_cndmask_b32_e64 v50, v50, v75, s[14:15]
	;; [unrolled: 1-line block ×3, first 2 shown]
	s_waitcnt lgkmcnt(0)
	v_cndmask_b32_e64 v49, v49, v78, s[12:13]
	v_cndmask_b32_e64 v81, v48, v78, s[8:9]
	;; [unrolled: 1-line block ×3, first 2 shown]
	v_pk_mul_f32 v[44:45], v[48:49], v[44:45] op_sel_hi:[0,1]
	v_pk_mul_f32 v[82:83], v[48:49], v[46:47] op_sel_hi:[0,1]
	v_cndmask_b32_e64 v46, v44, v45, s[12:13]
	v_cndmask_b32_e32 v46, v46, v82, vcc
	v_cndmask_b32_e64 v46, v46, v83, s[6:7]
	v_cndmask_b32_e64 v51, v77, v78, s[6:7]
	v_cndmask_b32_e32 v76, v76, v78, vcc
	ds_bpermute_b32 v78, v115, v46
	v_cmp_le_i32_e64 s[18:19], s47, v107
	v_cndmask_b32_e64 v46, v81, v49, s[10:11]
	v_cndmask_b32_e64 v46, v46, v76, s[14:15]
	;; [unrolled: 1-line block ×3, first 2 shown]
	s_waitcnt lgkmcnt(0)
	v_cndmask_b32_e64 v47, v83, v78, s[6:7]
	v_cndmask_b32_e64 v83, v44, v78, s[8:9]
	;; [unrolled: 1-line block ×3, first 2 shown]
	v_pk_mul_f32 v[86:87], v[44:45], v[40:41] op_sel_hi:[0,1]
	v_pk_mul_f32 v[84:85], v[44:45], v[42:43] op_sel_hi:[0,1]
	v_cndmask_b32_e64 v40, v86, v87, s[12:13]
	v_cndmask_b32_e32 v40, v40, v84, vcc
	v_cndmask_b32_e64 v40, v40, v85, s[6:7]
	ds_bpermute_b32 v41, v115, v40
	v_cndmask_b32_e32 v77, v82, v78, vcc
	v_cndmask_b32_e64 v82, v45, v78, s[12:13]
	v_cndmask_b32_e64 v40, v83, v82, s[10:11]
	;; [unrolled: 1-line block ×4, first 2 shown]
	s_waitcnt lgkmcnt(0)
	v_cndmask_b32_e32 v78, v84, v41, vcc
	v_cmp_ne_u32_e32 vcc, 0, v104
	ds_bpermute_b32 v42, v115, v40
	v_cndmask_b32_e64 v43, v85, v41, s[6:7]
	v_cndmask_b32_e32 v40, v87, v41, vcc
	v_cndmask_b32_e64 v41, v86, v41, s[8:9]
	v_cndmask_b32_e64 v45, v41, v40, s[10:11]
	;; [unrolled: 1-line block ×5, first 2 shown]
	ds_bpermute_b32 v54, v115, v54
	ds_bpermute_b32 v50, v115, v50
	;; [unrolled: 1-line block ×4, first 2 shown]
	v_add_u32_e32 v45, s71, v108
	v_cmp_gt_u32_e32 vcc, 48, v45
	s_and_saveexec_b64 s[18:19], vcc
	s_cbranch_execz .LBB298_45
; %bb.39:                               ;   in Loop: Header=BB298_7 Depth=1
	v_cmp_eq_u32_e64 s[8:9], 1, v105
	v_cmp_eq_u32_e64 s[10:11], 0, v105
	v_cmp_eq_u32_e32 vcc, 3, v105
	s_waitcnt lgkmcnt(3)
	v_cndmask_b32_e64 v57, v57, v54, s[8:9]
	s_waitcnt lgkmcnt(2)
	v_cndmask_b32_e64 v53, v53, v50, s[8:9]
	;; [unrolled: 2-line block ×3, first 2 shown]
	v_cndmask_b32_e64 v84, v82, v42, s[8:9]
	s_waitcnt lgkmcnt(0)
	v_cndmask_b32_e64 v86, v40, v80, s[8:9]
	s_mul_i32 s8, s69, s21
	s_ashr_i32 s9, s8, 31
	v_cndmask_b32_e64 v73, v73, v54, s[10:11]
	s_lshl_b64 s[8:9], s[8:9], 1
	v_cndmask_b32_e64 v79, v79, v50, s[10:11]
	v_cndmask_b32_e64 v81, v81, v46, s[10:11]
	;; [unrolled: 1-line block ×4, first 2 shown]
	s_add_u32 s10, s40, s8
	v_cvt_f16_f32_e32 v73, v73
	v_cvt_f16_f32_sdwa v57, v57 dst_sel:WORD_1 dst_unused:UNUSED_PAD src0_sel:DWORD
	s_addc_u32 s11, s41, s9
	s_ashr_i32 s47, s46, 31
	s_lshl_b64 s[8:9], s[46:47], 1
	s_add_u32 s52, s10, s8
	s_addc_u32 s53, s11, s9
	v_or_b32_e32 v57, v57, v73
	v_lshl_add_u64 v[40:41], v[62:63], 1, s[52:53]
	;;#ASMSTART
	global_atomic_pk_add_f16 v[40:41], v57, off
	
	;;#ASMEND
	v_cvt_f16_f32_e32 v57, v79
	v_cvt_f16_f32_sdwa v53, v53 dst_sel:WORD_1 dst_unused:UNUSED_PAD src0_sel:DWORD
	v_cvt_f16_f32_e32 v73, v81
	v_cvt_f16_f32_sdwa v49, v49 dst_sel:WORD_1 dst_unused:UNUSED_PAD src0_sel:DWORD
	v_lshl_add_u64 v[82:83], v[40:41], 0, 32
	v_or_b32_e32 v53, v53, v57
	;;#ASMSTART
	global_atomic_pk_add_f16 v[82:83], v53, off
	
	;;#ASMEND
	v_or_b32_e32 v49, v49, v73
	v_lshl_add_u64 v[82:83], v[40:41], 0, 64
	;;#ASMSTART
	global_atomic_pk_add_f16 v[82:83], v49, off
	
	;;#ASMEND
	v_cvt_f16_f32_e32 v49, v85
	v_cvt_f16_f32_sdwa v53, v84 dst_sel:WORD_1 dst_unused:UNUSED_PAD src0_sel:DWORD
	v_cvt_f16_f32_e32 v57, v87
	v_cvt_f16_f32_sdwa v73, v86 dst_sel:WORD_1 dst_unused:UNUSED_PAD src0_sel:DWORD
	v_cmp_eq_u32_e64 s[6:7], 2, v105
	v_lshl_add_u64 v[82:83], v[40:41], 0, s[30:31]
	v_or_b32_e32 v49, v53, v49
	v_cmp_gt_u32_e64 s[8:9], 46, v45
	;;#ASMSTART
	global_atomic_pk_add_f16 v[82:83], v49, off
	
	;;#ASMEND
	v_lshl_add_u64 v[82:83], v[40:41], 0, s[34:35]
	v_or_b32_e32 v49, v73, v57
	;;#ASMSTART
	global_atomic_pk_add_f16 v[82:83], v49, off
	
	;;#ASMEND
	s_and_b64 exec, exec, s[8:9]
	s_cbranch_execz .LBB298_45
; %bb.40:                               ;   in Loop: Header=BB298_7 Depth=1
	v_cndmask_b32_e32 v58, v58, v54, vcc
	v_cndmask_b32_e64 v54, v59, v54, s[6:7]
	v_cndmask_b32_e32 v55, v55, v50, vcc
	v_cndmask_b32_e64 v50, v75, v50, s[6:7]
	;; [unrolled: 2-line block ×3, first 2 shown]
	v_cndmask_b32_e32 v75, v43, v80, vcc
	v_cvt_f16_f32_e32 v42, v54
	v_cvt_f16_f32_sdwa v43, v58 dst_sel:WORD_1 dst_unused:UNUSED_PAD src0_sel:DWORD
	v_cvt_f16_f32_e32 v50, v50
	v_cvt_f16_f32_sdwa v54, v55 dst_sel:WORD_1 dst_unused:UNUSED_PAD src0_sel:DWORD
	v_cndmask_b32_e32 v51, v51, v46, vcc
	v_cndmask_b32_e64 v46, v76, v46, s[6:7]
	v_lshl_add_u64 v[40:41], s[28:29], 2, v[40:41]
	v_or_b32_e32 v42, v43, v42
	v_or_b32_e32 v50, v54, v50
	;;#ASMSTART
	global_atomic_pk_add_f16 v[40:41], v42, off
	
	;;#ASMEND
	v_lshl_add_u64 v[42:43], v[40:41], 0, 32
	;;#ASMSTART
	global_atomic_pk_add_f16 v[42:43], v50, off
	
	;;#ASMEND
	v_cvt_f16_f32_e32 v46, v46
	v_cvt_f16_f32_sdwa v50, v51 dst_sel:WORD_1 dst_unused:UNUSED_PAD src0_sel:DWORD
	v_cvt_f16_f32_e32 v51, v59
	v_cvt_f16_f32_sdwa v47, v47 dst_sel:WORD_1 dst_unused:UNUSED_PAD src0_sel:DWORD
	v_mov_b32_e32 v73, v72
	v_or_b32_e32 v46, v50, v46
	v_lshl_add_u64 v[42:43], v[40:41], 0, 64
	;;#ASMSTART
	global_atomic_pk_add_f16 v[42:43], v46, off
	
	;;#ASMEND
	v_or_b32_e32 v50, v47, v51
	v_mov_b32_e32 v46, v72
	v_mov_b32_e32 v47, v72
	v_pk_mul_f32 v[38:39], v[46:47], v[38:39]
	v_pk_mul_f32 v[46:47], v[72:73], v[36:37]
	v_cmp_eq_u32_e64 s[8:9], 1, v104
	v_mov_b32_e32 v57, v56
	v_lshl_add_u64 v[42:43], v[40:41], 0, s[30:31]
	v_cndmask_b32_e64 v36, v46, v47, s[8:9]
	v_cmp_eq_u32_e32 vcc, 2, v104
	;;#ASMSTART
	global_atomic_pk_add_f16 v[42:43], v50, off
	
	;;#ASMEND
	v_lshl_add_u64 v[50:51], v[40:41], 0, s[34:35]
	v_mov_b32_e32 v40, v56
	v_mov_b32_e32 v41, v56
	v_cndmask_b32_e64 v76, v78, v80, s[6:7]
	v_cndmask_b32_e32 v36, v36, v38, vcc
	v_cmp_eq_u32_e64 s[6:7], 3, v104
	v_pk_mul_f32 v[34:35], v[40:41], v[34:35]
	v_pk_mul_f32 v[40:41], v[56:57], v[32:33]
	v_cndmask_b32_e64 v36, v36, v39, s[6:7]
	v_cndmask_b32_e64 v32, v40, v41, s[8:9]
	ds_bpermute_b32 v54, v115, v36
	v_cndmask_b32_e32 v32, v32, v34, vcc
	v_cndmask_b32_e64 v32, v32, v35, s[6:7]
	ds_bpermute_b32 v43, v115, v32
	v_cmp_eq_u32_e64 s[10:11], 0, v104
	s_waitcnt lgkmcnt(1)
	v_cndmask_b32_e64 v36, v39, v54, s[6:7]
	v_cndmask_b32_e32 v37, v38, v54, vcc
	v_cndmask_b32_e64 v38, v47, v54, s[8:9]
	v_cndmask_b32_e64 v39, v46, v54, s[10:11]
	v_cmp_eq_u32_e64 s[12:13], 1, v105
	v_cmp_eq_u32_e64 s[14:15], 2, v105
	v_mov_b32_e32 v53, v52
	v_cndmask_b32_e64 v42, v39, v38, s[12:13]
	v_cndmask_b32_e64 v32, v42, v37, s[14:15]
	s_waitcnt lgkmcnt(0)
	v_cndmask_b32_e64 v33, v35, v43, s[6:7]
	v_cndmask_b32_e32 v34, v34, v43, vcc
	v_cndmask_b32_e64 v35, v41, v43, s[8:9]
	v_cndmask_b32_e64 v40, v40, v43, s[10:11]
	v_mov_b32_e32 v42, v52
	v_mov_b32_e32 v43, v52
	v_pk_mul_f32 v[30:31], v[42:43], v[30:31]
	v_pk_mul_f32 v[42:43], v[52:53], v[28:29]
	v_mov_b32_e32 v49, v48
	v_cndmask_b32_e64 v28, v42, v43, s[8:9]
	v_cndmask_b32_e32 v28, v28, v30, vcc
	v_cndmask_b32_e64 v28, v28, v31, s[6:7]
	ds_bpermute_b32 v46, v115, v28
	v_mov_b32_e32 v47, v48
	v_pk_mul_f32 v[54:55], v[48:49], v[24:25]
	v_mov_b32_e32 v45, v44
	v_cndmask_b32_e64 v24, v54, v55, s[8:9]
	s_waitcnt lgkmcnt(0)
	v_cndmask_b32_e64 v29, v31, v46, s[6:7]
	v_cndmask_b32_e32 v30, v30, v46, vcc
	v_cndmask_b32_e64 v41, v43, v46, s[8:9]
	v_cndmask_b32_e64 v42, v42, v46, s[10:11]
	v_mov_b32_e32 v46, v48
	v_pk_mul_f32 v[26:27], v[46:47], v[26:27]
	v_pk_mul_f32 v[58:59], v[44:45], v[20:21]
	v_cndmask_b32_e32 v24, v24, v26, vcc
	v_cndmask_b32_e64 v24, v24, v27, s[6:7]
	ds_bpermute_b32 v31, v115, v24
	v_cndmask_b32_e64 v20, v58, v59, s[8:9]
	v_cmp_eq_u32_e64 s[16:17], 3, v105
	v_cndmask_b32_e64 v28, v40, v35, s[12:13]
	v_cndmask_b32_e64 v24, v42, v41, s[12:13]
	s_waitcnt lgkmcnt(0)
	v_cndmask_b32_e64 v46, v55, v31, s[8:9]
	v_cndmask_b32_e64 v47, v54, v31, s[10:11]
	v_mov_b32_e32 v54, v44
	v_mov_b32_e32 v55, v44
	v_pk_mul_f32 v[54:55], v[54:55], v[22:23]
	v_cndmask_b32_e32 v26, v26, v31, vcc
	v_cndmask_b32_e32 v20, v20, v54, vcc
	v_cndmask_b32_e64 v20, v20, v55, s[6:7]
	ds_bpermute_b32 v21, v115, v20
	v_cndmask_b32_e64 v20, v47, v46, s[12:13]
	v_cndmask_b32_e64 v25, v27, v31, s[6:7]
	;; [unrolled: 1-line block ×4, first 2 shown]
	s_waitcnt lgkmcnt(0)
	v_cndmask_b32_e32 v27, v54, v21, vcc
	v_cmp_ne_u32_e32 vcc, 0, v104
	ds_bpermute_b32 v22, v115, v20
	v_cndmask_b32_e64 v23, v55, v21, s[6:7]
	v_cndmask_b32_e32 v20, v59, v21, vcc
	v_cndmask_b32_e64 v21, v58, v21, s[10:11]
	v_cndmask_b32_e64 v31, v21, v20, s[12:13]
	v_cvt_f16_f32_e32 v76, v76
	v_cvt_f16_f32_sdwa v75, v75 dst_sel:WORD_1 dst_unused:UNUSED_PAD src0_sel:DWORD
	v_cndmask_b32_e64 v28, v28, v34, s[14:15]
	v_cndmask_b32_e64 v24, v24, v30, s[14:15]
	;; [unrolled: 1-line block ×7, first 2 shown]
	ds_bpermute_b32 v32, v115, v32
	ds_bpermute_b32 v28, v115, v28
	;; [unrolled: 1-line block ×4, first 2 shown]
	v_or_b32_e32 v43, v75, v76
	;;#ASMSTART
	global_atomic_pk_add_f16 v[50:51], v43, off
	
	;;#ASMEND
	v_add_u32_e32 v43, s71, v109
	v_cmp_gt_u32_e32 vcc, 48, v43
	s_and_b64 exec, exec, vcc
	s_cbranch_execz .LBB298_45
; %bb.41:                               ;   in Loop: Header=BB298_7 Depth=1
	v_cmp_eq_u32_e64 s[8:9], 1, v105
	v_cmp_eq_u32_e64 s[10:11], 0, v105
	v_cmp_eq_u32_e32 vcc, 3, v105
	s_waitcnt lgkmcnt(3)
	v_cndmask_b32_e64 v38, v38, v32, s[8:9]
	v_cndmask_b32_e64 v39, v39, v32, s[10:11]
	s_waitcnt lgkmcnt(2)
	v_cndmask_b32_e64 v35, v35, v28, s[8:9]
	v_cndmask_b32_e64 v40, v40, v28, s[10:11]
	;; [unrolled: 3-line block ×3, first 2 shown]
	v_cvt_f16_f32_e32 v39, v39
	v_cvt_f16_f32_sdwa v38, v38 dst_sel:WORD_1 dst_unused:UNUSED_PAD src0_sel:DWORD
	v_cvt_f16_f32_e32 v40, v40
	v_cvt_f16_f32_sdwa v35, v35 dst_sel:WORD_1 dst_unused:UNUSED_PAD src0_sel:DWORD
	;; [unrolled: 2-line block ×3, first 2 shown]
	s_waitcnt lgkmcnt(0)
	v_cndmask_b32_e64 v50, v20, v31, s[8:9]
	v_cndmask_b32_e64 v51, v21, v31, s[10:11]
	v_lshl_add_u64 v[20:21], v[64:65], 1, s[52:53]
	v_or_b32_e32 v38, v38, v39
	v_or_b32_e32 v35, v35, v40
	v_cndmask_b32_e64 v46, v46, v22, s[8:9]
	v_cndmask_b32_e64 v47, v47, v22, s[10:11]
	;;#ASMSTART
	global_atomic_pk_add_f16 v[20:21], v38, off
	
	;;#ASMEND
	v_lshl_add_u64 v[38:39], v[20:21], 0, 32
	;;#ASMSTART
	global_atomic_pk_add_f16 v[38:39], v35, off
	
	;;#ASMEND
	v_or_b32_e32 v35, v41, v42
	v_lshl_add_u64 v[38:39], v[20:21], 0, 64
	;;#ASMSTART
	global_atomic_pk_add_f16 v[38:39], v35, off
	
	;;#ASMEND
	v_cvt_f16_f32_e32 v35, v47
	v_cvt_f16_f32_sdwa v40, v46 dst_sel:WORD_1 dst_unused:UNUSED_PAD src0_sel:DWORD
	v_cvt_f16_f32_e32 v41, v51
	v_cvt_f16_f32_sdwa v42, v50 dst_sel:WORD_1 dst_unused:UNUSED_PAD src0_sel:DWORD
	v_cmp_eq_u32_e64 s[6:7], 2, v105
	v_lshl_add_u64 v[38:39], v[20:21], 0, s[30:31]
	v_or_b32_e32 v35, v40, v35
	v_cmp_gt_u32_e64 s[8:9], 46, v43
	;;#ASMSTART
	global_atomic_pk_add_f16 v[38:39], v35, off
	
	;;#ASMEND
	v_lshl_add_u64 v[38:39], v[20:21], 0, s[34:35]
	v_or_b32_e32 v35, v42, v41
	;;#ASMSTART
	global_atomic_pk_add_f16 v[38:39], v35, off
	
	;;#ASMEND
	s_and_b64 exec, exec, s[8:9]
	s_cbranch_execz .LBB298_45
; %bb.42:                               ;   in Loop: Header=BB298_7 Depth=1
	v_cndmask_b32_e32 v35, v36, v32, vcc
	v_cndmask_b32_e64 v32, v37, v32, s[6:7]
	v_cndmask_b32_e32 v33, v33, v28, vcc
	v_cndmask_b32_e64 v28, v34, v28, s[6:7]
	;; [unrolled: 2-line block ×5, first 2 shown]
	v_cvt_f16_f32_e32 v22, v32
	v_cvt_f16_f32_sdwa v23, v35 dst_sel:WORD_1 dst_unused:UNUSED_PAD src0_sel:DWORD
	v_cvt_f16_f32_e32 v28, v28
	v_cvt_f16_f32_sdwa v31, v33 dst_sel:WORD_1 dst_unused:UNUSED_PAD src0_sel:DWORD
	v_lshl_add_u64 v[20:21], s[28:29], 2, v[20:21]
	v_or_b32_e32 v22, v23, v22
	;;#ASMSTART
	global_atomic_pk_add_f16 v[20:21], v22, off
	
	;;#ASMEND
	v_or_b32_e32 v28, v31, v28
	v_lshl_add_u64 v[22:23], v[20:21], 0, 32
	;;#ASMSTART
	global_atomic_pk_add_f16 v[22:23], v28, off
	
	;;#ASMEND
	v_cvt_f16_f32_e32 v24, v24
	v_cvt_f16_f32_sdwa v28, v29 dst_sel:WORD_1 dst_unused:UNUSED_PAD src0_sel:DWORD
	v_cvt_f16_f32_e32 v26, v26
	v_cvt_f16_f32_sdwa v25, v25 dst_sel:WORD_1 dst_unused:UNUSED_PAD src0_sel:DWORD
	v_lshl_add_u64 v[22:23], v[20:21], 0, 64
	v_or_b32_e32 v24, v28, v24
	;;#ASMSTART
	global_atomic_pk_add_f16 v[22:23], v24, off
	
	;;#ASMEND
	v_or_b32_e32 v26, v25, v26
	v_mov_b32_e32 v24, v72
	v_mov_b32_e32 v25, v72
	v_pk_mul_f32 v[18:19], v[24:25], v[18:19]
	v_pk_mul_f32 v[24:25], v[72:73], v[16:17]
	v_cmp_eq_u32_e64 s[8:9], 1, v104
	v_lshl_add_u64 v[22:23], v[20:21], 0, s[30:31]
	v_cmp_eq_u32_e32 vcc, 2, v104
	v_cndmask_b32_e64 v16, v24, v25, s[8:9]
	;;#ASMSTART
	global_atomic_pk_add_f16 v[22:23], v26, off
	
	;;#ASMEND
	v_cvt_f16_f32_e32 v31, v27
	v_lshl_add_u64 v[26:27], v[20:21], 0, s[34:35]
	v_mov_b32_e32 v20, v56
	v_mov_b32_e32 v21, v56
	v_cndmask_b32_e32 v16, v16, v18, vcc
	v_cmp_eq_u32_e64 s[6:7], 3, v104
	v_pk_mul_f32 v[14:15], v[20:21], v[14:15]
	v_pk_mul_f32 v[20:21], v[56:57], v[12:13]
	v_cndmask_b32_e64 v16, v16, v19, s[6:7]
	v_cndmask_b32_e64 v12, v20, v21, s[8:9]
	ds_bpermute_b32 v28, v115, v16
	v_cndmask_b32_e32 v12, v12, v14, vcc
	v_cndmask_b32_e64 v12, v12, v15, s[6:7]
	ds_bpermute_b32 v23, v115, v12
	v_cmp_eq_u32_e64 s[10:11], 0, v104
	s_waitcnt lgkmcnt(1)
	v_cndmask_b32_e64 v16, v19, v28, s[6:7]
	v_cndmask_b32_e32 v17, v18, v28, vcc
	v_cndmask_b32_e64 v18, v25, v28, s[8:9]
	v_cndmask_b32_e64 v19, v24, v28, s[10:11]
	v_cmp_eq_u32_e64 s[12:13], 1, v105
	v_cmp_eq_u32_e64 s[14:15], 2, v105
	s_waitcnt lgkmcnt(0)
	v_cndmask_b32_e64 v13, v15, v23, s[6:7]
	v_cndmask_b32_e64 v22, v19, v18, s[12:13]
	v_cndmask_b32_e64 v12, v22, v17, s[14:15]
	v_cndmask_b32_e32 v14, v14, v23, vcc
	v_cndmask_b32_e64 v15, v21, v23, s[8:9]
	v_cndmask_b32_e64 v20, v20, v23, s[10:11]
	v_mov_b32_e32 v22, v52
	v_mov_b32_e32 v23, v52
	v_pk_mul_f32 v[6:7], v[22:23], v[6:7]
	v_pk_mul_f32 v[22:23], v[52:53], v[4:5]
	v_mov_b32_e32 v25, v48
	v_cndmask_b32_e64 v4, v22, v23, s[8:9]
	v_cndmask_b32_e32 v4, v4, v6, vcc
	v_cndmask_b32_e64 v4, v4, v7, s[6:7]
	ds_bpermute_b32 v24, v115, v4
	v_pk_mul_f32 v[28:29], v[48:49], v[0:1]
	v_cmp_eq_u32_e64 s[16:17], 3, v105
	v_cndmask_b32_e64 v0, v28, v29, s[8:9]
	v_cndmask_b32_e64 v4, v20, v15, s[12:13]
	s_waitcnt lgkmcnt(0)
	v_cndmask_b32_e64 v5, v7, v24, s[6:7]
	v_cndmask_b32_e32 v6, v6, v24, vcc
	v_cndmask_b32_e64 v21, v23, v24, s[8:9]
	v_cndmask_b32_e64 v22, v22, v24, s[10:11]
	v_mov_b32_e32 v24, v48
	v_pk_mul_f32 v[24:25], v[24:25], v[2:3]
	v_cvt_f16_f32_sdwa v30, v30 dst_sel:WORD_1 dst_unused:UNUSED_PAD src0_sel:DWORD
	v_cndmask_b32_e32 v0, v0, v24, vcc
	v_cndmask_b32_e64 v0, v0, v25, s[6:7]
	ds_bpermute_b32 v1, v115, v0
	v_cndmask_b32_e64 v0, v22, v21, s[12:13]
	v_cndmask_b32_e64 v0, v0, v6, s[14:15]
	v_cndmask_b32_e64 v0, v0, v5, s[16:17]
	ds_bpermute_b32 v2, v115, v0
	s_waitcnt lgkmcnt(1)
	v_cndmask_b32_e64 v3, v25, v1, s[6:7]
	v_cndmask_b32_e32 v7, v24, v1, vcc
	v_cndmask_b32_e64 v0, v29, v1, s[8:9]
	v_cndmask_b32_e64 v1, v28, v1, s[10:11]
	v_mov_b32_e32 v24, v44
	v_mov_b32_e32 v25, v44
	v_pk_mul_f32 v[28:29], v[44:45], v[8:9]
	v_pk_mul_f32 v[24:25], v[24:25], v[10:11]
	v_cndmask_b32_e64 v8, v28, v29, s[8:9]
	v_cndmask_b32_e32 v8, v8, v24, vcc
	v_cndmask_b32_e64 v8, v8, v25, s[6:7]
	ds_bpermute_b32 v11, v115, v8
	v_cndmask_b32_e64 v8, v1, v0, s[12:13]
	v_cndmask_b32_e64 v8, v8, v7, s[14:15]
	;; [unrolled: 1-line block ×3, first 2 shown]
	ds_bpermute_b32 v10, v115, v8
	s_waitcnt lgkmcnt(1)
	v_cndmask_b32_e32 v9, v24, v11, vcc
	v_cmp_ne_u32_e32 vcc, 0, v104
	v_cndmask_b32_e64 v8, v25, v11, s[6:7]
	v_cndmask_b32_e64 v25, v28, v11, s[10:11]
	v_cndmask_b32_e32 v24, v29, v11, vcc
	v_cndmask_b32_e64 v11, v25, v24, s[12:13]
	v_cndmask_b32_e64 v4, v4, v14, s[14:15]
	;; [unrolled: 1-line block ×6, first 2 shown]
	ds_bpermute_b32 v12, v115, v12
	ds_bpermute_b32 v4, v115, v4
	;; [unrolled: 1-line block ×3, first 2 shown]
	v_or_b32_e32 v23, v30, v31
	;;#ASMSTART
	global_atomic_pk_add_f16 v[26:27], v23, off
	
	;;#ASMEND
	v_add_u32_e32 v23, s71, v110
	v_cmp_gt_u32_e32 vcc, 48, v23
	s_and_b64 exec, exec, vcc
	s_cbranch_execz .LBB298_45
; %bb.43:                               ;   in Loop: Header=BB298_7 Depth=1
	v_cmp_eq_u32_e64 s[8:9], 1, v105
	v_cmp_eq_u32_e64 s[10:11], 0, v105
	v_cmp_eq_u32_e32 vcc, 3, v105
	s_waitcnt lgkmcnt(2)
	v_cndmask_b32_e64 v18, v18, v12, s[8:9]
	v_cndmask_b32_e64 v19, v19, v12, s[10:11]
	s_waitcnt lgkmcnt(1)
	v_cndmask_b32_e64 v15, v15, v4, s[8:9]
	v_cndmask_b32_e64 v20, v20, v4, s[10:11]
	;; [unrolled: 1-line block ×4, first 2 shown]
	v_cvt_f16_f32_e32 v19, v19
	v_cvt_f16_f32_sdwa v18, v18 dst_sel:WORD_1 dst_unused:UNUSED_PAD src0_sel:DWORD
	v_cvt_f16_f32_e32 v20, v20
	v_cvt_f16_f32_sdwa v15, v15 dst_sel:WORD_1 dst_unused:UNUSED_PAD src0_sel:DWORD
	;; [unrolled: 2-line block ×3, first 2 shown]
	v_cndmask_b32_e64 v26, v0, v10, s[8:9]
	v_cndmask_b32_e64 v27, v1, v10, s[10:11]
	v_lshl_add_u64 v[0:1], v[66:67], 1, s[52:53]
	v_or_b32_e32 v18, v18, v19
	v_or_b32_e32 v15, v15, v20
	;;#ASMSTART
	global_atomic_pk_add_f16 v[0:1], v18, off
	
	;;#ASMEND
	v_lshl_add_u64 v[18:19], v[0:1], 0, 32
	;;#ASMSTART
	global_atomic_pk_add_f16 v[18:19], v15, off
	
	;;#ASMEND
	v_or_b32_e32 v15, v21, v22
	s_waitcnt lgkmcnt(0)
	v_cndmask_b32_e64 v24, v24, v11, s[8:9]
	v_cndmask_b32_e64 v25, v25, v11, s[10:11]
	v_lshl_add_u64 v[18:19], v[0:1], 0, 64
	;;#ASMSTART
	global_atomic_pk_add_f16 v[18:19], v15, off
	
	;;#ASMEND
	v_cvt_f16_f32_e32 v15, v27
	v_cvt_f16_f32_sdwa v20, v26 dst_sel:WORD_1 dst_unused:UNUSED_PAD src0_sel:DWORD
	v_cvt_f16_f32_e32 v21, v25
	v_cvt_f16_f32_sdwa v22, v24 dst_sel:WORD_1 dst_unused:UNUSED_PAD src0_sel:DWORD
	v_cmp_eq_u32_e64 s[6:7], 2, v105
	v_lshl_add_u64 v[18:19], v[0:1], 0, s[30:31]
	v_or_b32_e32 v15, v20, v15
	v_cmp_gt_u32_e64 s[8:9], 46, v23
	;;#ASMSTART
	global_atomic_pk_add_f16 v[18:19], v15, off
	
	;;#ASMEND
	v_lshl_add_u64 v[18:19], v[0:1], 0, s[34:35]
	v_or_b32_e32 v15, v22, v21
	;;#ASMSTART
	global_atomic_pk_add_f16 v[18:19], v15, off
	
	;;#ASMEND
	s_and_b64 exec, exec, s[8:9]
	s_cbranch_execz .LBB298_45
; %bb.44:                               ;   in Loop: Header=BB298_7 Depth=1
	v_cndmask_b32_e32 v15, v16, v12, vcc
	v_cndmask_b32_e64 v12, v17, v12, s[6:7]
	v_cndmask_b32_e32 v13, v13, v4, vcc
	v_cndmask_b32_e64 v4, v14, v4, s[6:7]
	;; [unrolled: 2-line block ×4, first 2 shown]
	v_cvt_f16_f32_e32 v2, v12
	v_cvt_f16_f32_sdwa v3, v15 dst_sel:WORD_1 dst_unused:UNUSED_PAD src0_sel:DWORD
	v_cvt_f16_f32_e32 v4, v4
	v_cvt_f16_f32_sdwa v10, v13 dst_sel:WORD_1 dst_unused:UNUSED_PAD src0_sel:DWORD
	;; [unrolled: 2-line block ×3, first 2 shown]
	v_lshl_add_u64 v[0:1], s[28:29], 2, v[0:1]
	v_or_b32_e32 v2, v3, v2
	v_or_b32_e32 v4, v10, v4
	v_cndmask_b32_e32 v8, v8, v11, vcc
	v_cndmask_b32_e64 v9, v9, v11, s[6:7]
	;;#ASMSTART
	global_atomic_pk_add_f16 v[0:1], v2, off
	
	;;#ASMEND
	v_lshl_add_u64 v[2:3], v[0:1], 0, 32
	;;#ASMSTART
	global_atomic_pk_add_f16 v[2:3], v4, off
	
	;;#ASMEND
	v_or_b32_e32 v4, v5, v6
	v_lshl_add_u64 v[2:3], v[0:1], 0, 64
	;;#ASMSTART
	global_atomic_pk_add_f16 v[2:3], v4, off
	
	;;#ASMEND
	v_cvt_f16_f32_e32 v4, v7
	v_cvt_f16_f32_sdwa v5, v14 dst_sel:WORD_1 dst_unused:UNUSED_PAD src0_sel:DWORD
	v_cvt_f16_f32_e32 v6, v9
	v_cvt_f16_f32_sdwa v7, v8 dst_sel:WORD_1 dst_unused:UNUSED_PAD src0_sel:DWORD
	v_lshl_add_u64 v[2:3], v[0:1], 0, s[30:31]
	v_or_b32_e32 v4, v5, v4
	;;#ASMSTART
	global_atomic_pk_add_f16 v[2:3], v4, off
	
	;;#ASMEND
	v_lshl_add_u64 v[0:1], v[0:1], 0, s[34:35]
	v_or_b32_e32 v2, v7, v6
	;;#ASMSTART
	global_atomic_pk_add_f16 v[0:1], v2, off
	
	;;#ASMEND
.LBB298_45:                             ;   in Loop: Header=BB298_7 Depth=1
	s_or_b64 exec, exec, s[18:19]
	v_subrev_u32_e32 v116, s72, v116
.LBB298_46:                             ;   in Loop: Header=BB298_7 Depth=1
	s_or_b64 exec, exec, s[50:51]
.LBB298_47:                             ;   in Loop: Header=BB298_7 Depth=1
	s_andn2_saveexec_b64 s[6:7], s[48:49]
	s_cbranch_execz .LBB298_56
; %bb.48:                               ;   in Loop: Header=BB298_7 Depth=1
	s_mul_i32 s16, s72, 5
	v_cmp_gt_i32_e32 vcc, s16, v116
	s_and_saveexec_b64 s[8:9], vcc
	s_cbranch_execz .LBB298_55
; %bb.49:                               ;   in Loop: Header=BB298_7 Depth=1
	s_mul_i32 s10, s46, s23
	s_ashr_i32 s11, s10, 31
	s_waitcnt lgkmcnt(0)
	s_add_u32 s10, s38, s10
	s_addc_u32 s11, s39, s11
	s_ashr_i32 s12, s70, 31
	s_add_u32 s10, s10, s70
	s_addc_u32 s11, s11, s12
	v_lshl_add_u64 v[0:1], s[10:11], 0, v[70:71]
	v_lshl_add_u64 v[8:9], v[0:1], 0, v[68:69]
	s_mov_b64 s[10:11], 0
	s_branch .LBB298_51
.LBB298_50:                             ;   in Loop: Header=BB298_51 Depth=2
	s_or_b64 exec, exec, s[12:13]
	v_lshl_or_b32 v12, v10, 11, v112
	;;#ASMSTART
	s_waitcnt vmcnt(1)
	;;#ASMEND
	ds_write2_b32 v12, v4, v5 offset1:32
	ds_write2_b32 v12, v6, v7 offset0:64 offset1:96
	v_add_u32_e32 v4, 0x400, v12
	v_add_u32_e32 v116, s26, v116
	;;#ASMSTART
	s_waitcnt vmcnt(0)
	;;#ASMEND
	ds_write2_b32 v4, v0, v1 offset1:32
	ds_write2_b32 v4, v2, v3 offset0:64 offset1:96
	v_add_u32_e32 v0, 1, v102
	v_add_u32_e32 v74, s26, v10
	v_cmp_le_i32_e32 vcc, s16, v116
	ds_write_b32 v11, v0 offset:12
	v_add_u32_e32 v0, 2, v102
	s_or_b64 s[10:11], vcc, s[10:11]
	v_cmp_lt_i32_e32 vcc, 4, v74
	s_nop 1
	v_cndmask_b32_e32 v102, v102, v0, vcc
	s_andn2_b64 exec, exec, s[10:11]
	s_cbranch_execz .LBB298_54
.LBB298_51:                             ;   Parent Loop BB298_7 Depth=1
                                        ; =>  This Loop Header: Depth=2
                                        ;       Child Loop BB298_53 Depth 3
	v_cmp_gt_i32_e32 vcc, 5, v74
	s_nop 1
	v_cndmask_b32_e64 v0, -5, 0, vcc
	v_add_u32_e32 v10, v0, v74
	v_mul_hi_i32 v0, v116, s56
	v_lshrrev_b32_e32 v1, 31, v0
	v_ashrrev_i32_e32 v0, 1, v0
	v_add_u32_e32 v0, v0, v1
	v_lshl_add_u32 v1, v0, 2, v0
	v_sub_u32_e32 v2, v116, v1
	v_lshlrev_b32_e32 v0, 7, v0
	v_ashrrev_i32_e32 v1, 31, v0
	v_mul_lo_u32 v2, s61, v2
	v_lshl_add_u64 v[0:1], v[8:9], 0, v[0:1]
	v_ashrrev_i32_e32 v3, 31, v2
	v_lshl_add_u64 v[0:1], v[0:1], 0, v[2:3]
	v_lshlrev_b32_e32 v11, 2, v10
	;;#ASMSTART
	global_load_dwordx4 v[4:7], v[0:1], off offset:0   sc0 sc1 nt  
	global_load_dwordx4 v[0:3], v[0:1], off offset:64  sc0 sc1 nt  
	
	;;#ASMEND
	ds_read_b32 v12, v11 offset:16396
	v_add_u32_e32 v11, 0x4000, v11
	s_waitcnt lgkmcnt(0)
	v_cmp_ne_u32_e32 vcc, v12, v102
	s_and_saveexec_b64 s[12:13], vcc
	s_cbranch_execz .LBB298_50
; %bb.52:                               ;   in Loop: Header=BB298_51 Depth=2
	s_mov_b64 s[14:15], 0
.LBB298_53:                             ;   Parent Loop BB298_7 Depth=1
                                        ;     Parent Loop BB298_51 Depth=2
                                        ; =>    This Inner Loop Header: Depth=3
	;;#ASMSTART
	s_sleep 0
	;;#ASMEND
	ds_read_b32 v12, v11 offset:12
	s_waitcnt lgkmcnt(0)
	v_cmp_eq_u32_e32 vcc, v12, v102
	s_or_b64 s[14:15], vcc, s[14:15]
	s_andn2_b64 exec, exec, s[14:15]
	s_cbranch_execnz .LBB298_53
	s_branch .LBB298_50
.LBB298_54:                             ;   in Loop: Header=BB298_7 Depth=1
	s_or_b64 exec, exec, s[10:11]
.LBB298_55:                             ;   in Loop: Header=BB298_7 Depth=1
	s_or_b64 exec, exec, s[8:9]
	v_subrev_u32_e32 v116, s16, v116
.LBB298_56:                             ;   in Loop: Header=BB298_7 Depth=1
	s_or_b64 exec, exec, s[6:7]
.LBB298_57:                             ;   in Loop: Header=BB298_7 Depth=1
	s_andn2_saveexec_b64 s[6:7], s[44:45]
	s_cbranch_execz .LBB298_6
; %bb.58:                               ;   in Loop: Header=BB298_7 Depth=1
	s_mul_i32 s72, s72, 3
	v_cmp_gt_i32_e32 vcc, s72, v116
	s_and_saveexec_b64 s[8:9], vcc
	s_cbranch_execz .LBB298_5
; %bb.59:                               ;   in Loop: Header=BB298_7 Depth=1
	s_mul_i32 s69, s69, s22
	s_ashr_i32 s10, s69, 31
	s_waitcnt lgkmcnt(0)
	s_add_u32 s11, s36, s69
	v_add_u32_e32 v2, s71, v111
	s_addc_u32 s12, s37, s10
	s_ashr_i32 s13, s70, 31
	v_cmp_gt_u32_e32 vcc, 48, v2
	s_add_u32 s10, s11, s70
	s_addc_u32 s11, s12, s13
	v_cndmask_b32_e32 v0, 0, v113, vcc
	v_ashrrev_i32_e32 v1, 31, v0
	v_lshl_add_u64 v[0:1], s[10:11], 0, v[0:1]
	v_lshl_add_u64 v[8:9], v[0:1], 0, v[68:69]
	v_sub_u32_e32 v10, 47, v2
	s_mov_b64 s[10:11], 0
	s_branch .LBB298_61
.LBB298_60:                             ;   in Loop: Header=BB298_61 Depth=2
	s_or_b64 exec, exec, s[12:13]
	v_lshl_add_u32 v13, v11, 11, v114
	;;#ASMSTART
	s_waitcnt vmcnt(1)
	;;#ASMEND
	ds_write2_b32 v13, v4, v5 offset1:32
	ds_write2_b32 v13, v6, v7 offset0:64 offset1:96
	v_add_u32_e32 v4, 0x400, v13
	v_add_u32_e32 v116, s25, v116
	;;#ASMSTART
	s_waitcnt vmcnt(0)
	;;#ASMEND
	ds_write2_b32 v4, v0, v1 offset1:32
	ds_write2_b32 v4, v2, v3 offset0:64 offset1:96
	v_add_u32_e32 v0, 1, v102
	v_add_u32_e32 v74, s25, v11
	v_cmp_le_i32_e32 vcc, s72, v116
	ds_write_b32 v12, v0
	v_add_u32_e32 v0, 2, v102
	s_or_b64 s[10:11], vcc, s[10:11]
	v_cmp_lt_i32_e32 vcc, 2, v74
	s_nop 1
	v_cndmask_b32_e32 v102, v102, v0, vcc
	s_andn2_b64 exec, exec, s[10:11]
	s_cbranch_execz .LBB298_4
.LBB298_61:                             ;   Parent Loop BB298_7 Depth=1
                                        ; =>  This Loop Header: Depth=2
                                        ;       Child Loop BB298_63 Depth 3
	v_cmp_gt_i32_e32 vcc, 3, v74
	s_nop 1
	v_cndmask_b32_e64 v0, -3, 0, vcc
	v_add_u32_e32 v11, v0, v74
	v_mul_hi_i32 v0, v116, s68
	v_lshrrev_b32_e32 v1, 31, v0
	v_add_u32_e32 v0, v0, v1
	v_lshl_add_u32 v1, v0, 1, v0
	v_sub_u32_e32 v1, v116, v1
	v_lshlrev_b32_e32 v1, 4, v1
	v_cmp_le_i32_e32 vcc, v1, v10
	v_lshlrev_b32_e32 v0, 7, v0
	v_lshlrev_b32_e32 v12, 2, v11
	v_cndmask_b32_e32 v2, 0, v1, vcc
	v_ashrrev_i32_e32 v1, 31, v0
	v_mul_lo_u32 v2, v2, s22
	v_lshl_add_u64 v[0:1], v[8:9], 0, v[0:1]
	v_ashrrev_i32_e32 v3, 31, v2
	v_lshl_add_u64 v[0:1], v[0:1], 0, v[2:3]
	;;#ASMSTART
	global_load_dwordx4 v[4:7], v[0:1], off offset:0   
	global_load_dwordx4 v[0:3], v[0:1], off offset:64  
	
	;;#ASMEND
	ds_read_b32 v13, v12 offset:16384
	v_add_u32_e32 v12, 0x4000, v12
	s_waitcnt lgkmcnt(0)
	v_cmp_ne_u32_e32 vcc, v13, v102
	s_and_saveexec_b64 s[12:13], vcc
	s_cbranch_execz .LBB298_60
; %bb.62:                               ;   in Loop: Header=BB298_61 Depth=2
	s_mov_b64 s[14:15], 0
.LBB298_63:                             ;   Parent Loop BB298_7 Depth=1
                                        ;     Parent Loop BB298_61 Depth=2
                                        ; =>    This Inner Loop Header: Depth=3
	;;#ASMSTART
	s_sleep 0
	;;#ASMEND
	ds_read_b32 v13, v12
	s_waitcnt lgkmcnt(0)
	v_cmp_eq_u32_e32 vcc, v13, v102
	s_or_b64 s[14:15], vcc, s[14:15]
	s_andn2_b64 exec, exec, s[14:15]
	s_cbranch_execnz .LBB298_63
	s_branch .LBB298_60
.LBB298_64:
	s_endpgm
	.section	.rodata,"a",@progbits
	.p2align	6, 0x0
	.amdhsa_kernel _Z19_skinny_gemm_kernelILi3ELi5ELi1ELi16ELi4EEvPKhS1_P6__halfPKfiiiiiiii
		.amdhsa_group_segment_fixed_size 16416
		.amdhsa_private_segment_fixed_size 0
		.amdhsa_kernarg_size 64
		.amdhsa_user_sgpr_count 2
		.amdhsa_user_sgpr_dispatch_ptr 0
		.amdhsa_user_sgpr_queue_ptr 0
		.amdhsa_user_sgpr_kernarg_segment_ptr 1
		.amdhsa_user_sgpr_dispatch_id 0
		.amdhsa_user_sgpr_kernarg_preload_length 0
		.amdhsa_user_sgpr_kernarg_preload_offset 0
		.amdhsa_user_sgpr_private_segment_size 0
		.amdhsa_uses_dynamic_stack 0
		.amdhsa_enable_private_segment 0
		.amdhsa_system_sgpr_workgroup_id_x 1
		.amdhsa_system_sgpr_workgroup_id_y 0
		.amdhsa_system_sgpr_workgroup_id_z 0
		.amdhsa_system_sgpr_workgroup_info 0
		.amdhsa_system_vgpr_workitem_id 0
		.amdhsa_next_free_vgpr 126
		.amdhsa_next_free_sgpr 73
		.amdhsa_accum_offset 128
		.amdhsa_reserve_vcc 1
		.amdhsa_float_round_mode_32 0
		.amdhsa_float_round_mode_16_64 0
		.amdhsa_float_denorm_mode_32 3
		.amdhsa_float_denorm_mode_16_64 3
		.amdhsa_dx10_clamp 1
		.amdhsa_ieee_mode 1
		.amdhsa_fp16_overflow 0
		.amdhsa_tg_split 0
		.amdhsa_exception_fp_ieee_invalid_op 0
		.amdhsa_exception_fp_denorm_src 0
		.amdhsa_exception_fp_ieee_div_zero 0
		.amdhsa_exception_fp_ieee_overflow 0
		.amdhsa_exception_fp_ieee_underflow 0
		.amdhsa_exception_fp_ieee_inexact 0
		.amdhsa_exception_int_div_zero 0
	.end_amdhsa_kernel
	.section	.text._Z19_skinny_gemm_kernelILi3ELi5ELi1ELi16ELi4EEvPKhS1_P6__halfPKfiiiiiiii,"axG",@progbits,_Z19_skinny_gemm_kernelILi3ELi5ELi1ELi16ELi4EEvPKhS1_P6__halfPKfiiiiiiii,comdat
.Lfunc_end298:
	.size	_Z19_skinny_gemm_kernelILi3ELi5ELi1ELi16ELi4EEvPKhS1_P6__halfPKfiiiiiiii, .Lfunc_end298-_Z19_skinny_gemm_kernelILi3ELi5ELi1ELi16ELi4EEvPKhS1_P6__halfPKfiiiiiiii
                                        ; -- End function
	.set _Z19_skinny_gemm_kernelILi3ELi5ELi1ELi16ELi4EEvPKhS1_P6__halfPKfiiiiiiii.num_vgpr, 126
	.set _Z19_skinny_gemm_kernelILi3ELi5ELi1ELi16ELi4EEvPKhS1_P6__halfPKfiiiiiiii.num_agpr, 0
	.set _Z19_skinny_gemm_kernelILi3ELi5ELi1ELi16ELi4EEvPKhS1_P6__halfPKfiiiiiiii.numbered_sgpr, 73
	.set _Z19_skinny_gemm_kernelILi3ELi5ELi1ELi16ELi4EEvPKhS1_P6__halfPKfiiiiiiii.num_named_barrier, 0
	.set _Z19_skinny_gemm_kernelILi3ELi5ELi1ELi16ELi4EEvPKhS1_P6__halfPKfiiiiiiii.private_seg_size, 0
	.set _Z19_skinny_gemm_kernelILi3ELi5ELi1ELi16ELi4EEvPKhS1_P6__halfPKfiiiiiiii.uses_vcc, 1
	.set _Z19_skinny_gemm_kernelILi3ELi5ELi1ELi16ELi4EEvPKhS1_P6__halfPKfiiiiiiii.uses_flat_scratch, 0
	.set _Z19_skinny_gemm_kernelILi3ELi5ELi1ELi16ELi4EEvPKhS1_P6__halfPKfiiiiiiii.has_dyn_sized_stack, 0
	.set _Z19_skinny_gemm_kernelILi3ELi5ELi1ELi16ELi4EEvPKhS1_P6__halfPKfiiiiiiii.has_recursion, 0
	.set _Z19_skinny_gemm_kernelILi3ELi5ELi1ELi16ELi4EEvPKhS1_P6__halfPKfiiiiiiii.has_indirect_call, 0
	.section	.AMDGPU.csdata,"",@progbits
; Kernel info:
; codeLenInByte = 8064
; TotalNumSgprs: 79
; NumVgprs: 126
; NumAgprs: 0
; TotalNumVgprs: 126
; ScratchSize: 0
; MemoryBound: 0
; FloatMode: 240
; IeeeMode: 1
; LDSByteSize: 16416 bytes/workgroup (compile time only)
; SGPRBlocks: 9
; VGPRBlocks: 15
; NumSGPRsForWavesPerEU: 79
; NumVGPRsForWavesPerEU: 126
; AccumOffset: 128
; Occupancy: 4
; WaveLimiterHint : 0
; COMPUTE_PGM_RSRC2:SCRATCH_EN: 0
; COMPUTE_PGM_RSRC2:USER_SGPR: 2
; COMPUTE_PGM_RSRC2:TRAP_HANDLER: 0
; COMPUTE_PGM_RSRC2:TGID_X_EN: 1
; COMPUTE_PGM_RSRC2:TGID_Y_EN: 0
; COMPUTE_PGM_RSRC2:TGID_Z_EN: 0
; COMPUTE_PGM_RSRC2:TIDIG_COMP_CNT: 0
; COMPUTE_PGM_RSRC3_GFX90A:ACCUM_OFFSET: 31
; COMPUTE_PGM_RSRC3_GFX90A:TG_SPLIT: 0
	.section	.text._Z19_skinny_gemm_kernelILi3ELi5ELi1ELi16ELi8EEvPKhS1_P6__halfPKfiiiiiiii,"axG",@progbits,_Z19_skinny_gemm_kernelILi3ELi5ELi1ELi16ELi8EEvPKhS1_P6__halfPKfiiiiiiii,comdat
	.protected	_Z19_skinny_gemm_kernelILi3ELi5ELi1ELi16ELi8EEvPKhS1_P6__halfPKfiiiiiiii ; -- Begin function _Z19_skinny_gemm_kernelILi3ELi5ELi1ELi16ELi8EEvPKhS1_P6__halfPKfiiiiiiii
	.globl	_Z19_skinny_gemm_kernelILi3ELi5ELi1ELi16ELi8EEvPKhS1_P6__halfPKfiiiiiiii
	.p2align	8
	.type	_Z19_skinny_gemm_kernelILi3ELi5ELi1ELi16ELi8EEvPKhS1_P6__halfPKfiiiiiiii,@function
_Z19_skinny_gemm_kernelILi3ELi5ELi1ELi16ELi8EEvPKhS1_P6__halfPKfiiiiiiii: ; @_Z19_skinny_gemm_kernelILi3ELi5ELi1ELi16ELi8EEvPKhS1_P6__halfPKfiiiiiiii
; %bb.0:
	v_cmp_gt_u32_e32 vcc, 8, v0
	v_lshlrev_b32_e32 v1, 2, v0
	s_and_saveexec_b64 s[4:5], vcc
; %bb.1:
	v_mov_b32_e32 v2, 0
	ds_write_b32 v1, v2 offset:32768
; %bb.2:
	s_or_b64 exec, exec, s[4:5]
	s_load_dwordx8 s[20:27], s[0:1], 0x20
	s_mov_b32 s56, 0x66666667
	s_waitcnt lgkmcnt(0)
	s_barrier
	s_add_i32 s3, s20, 47
	s_mul_hi_i32 s3, s3, 0x2aaaaaab
	s_lshr_b32 s4, s3, 31
	s_ashr_i32 s33, s3, 3
	s_add_i32 s3, s21, 0x4f
	s_mul_hi_i32 s3, s3, 0x66666667
	s_add_i32 s33, s33, s4
	s_lshr_b32 s4, s3, 31
	s_ashr_i32 s54, s3, 5
	s_add_i32 s54, s54, s4
	s_mul_i32 s3, s54, s33
	s_mul_i32 s3, s3, s24
	s_add_i32 s4, s3, 0x12f
	s_mul_hi_i32 s4, s4, 0x6bca1af3
	s_lshr_b32 s5, s4, 31
	s_ashr_i32 s4, s4, 7
	s_add_i32 s4, s4, s5
	s_add_i32 s5, s2, 1
	s_mul_i32 s5, s4, s5
	v_cvt_f64_i32_e32 v[2:3], s3
	v_cvt_f64_u32_e32 v[4:5], s5
	v_min_f64 v[2:3], v[2:3], v[4:5]
	v_cvt_i32_f64_e32 v22, v[2:3]
	s_mul_i32 s55, s4, s2
	v_cmp_ge_i32_e32 vcc, s55, v22
	s_cbranch_vccnz .LBB299_64
; %bb.3:
	v_lshrrev_b32_e32 v2, 6, v0
	s_add_i32 s4, s26, s25
	s_load_dwordx8 s[36:43], s[0:1], 0x0
	v_cmp_le_i32_e64 s[0:1], s4, v2
	v_mov_b32_e32 v3, s25
	v_cmp_le_i32_e64 s[2:3], s25, v2
	v_mov_b32_e32 v4, s26
	v_cndmask_b32_e64 v4, 0, v4, s[0:1]
	v_cndmask_b32_e64 v3, 0, v3, s[2:3]
	s_abs_i32 s5, s24
	v_add_u32_e32 v3, v3, v4
	v_cvt_f32_u32_e32 v4, s5
	v_sub_u32_e32 v74, v2, v3
	s_ashr_i32 s6, s22, 31
	s_lshr_b32 s6, s6, 24
	v_rcp_iflag_f32_e32 v3, v4
	s_sub_i32 s9, 0, s5
	s_add_i32 s6, s22, s6
	s_ashr_i32 s6, s6, 8
	v_mul_f32_e32 v3, 0x4f7ffffe, v3
	v_cvt_u32_f32_e32 v3, v3
	s_abs_i32 s8, s6
	s_xor_b32 s7, s6, s24
	s_ashr_i32 s7, s7, 31
	v_readfirstlane_b32 s10, v3
	s_mul_i32 s9, s9, s10
	s_mul_hi_u32 s9, s10, s9
	s_add_i32 s10, s10, s9
	s_mul_hi_u32 s9, s8, s10
	s_mul_i32 s10, s9, s5
	s_sub_i32 s8, s8, s10
	s_add_i32 s10, s9, 1
	s_sub_i32 s11, s8, s5
	s_cmp_ge_u32 s8, s5
	s_cselect_b32 s9, s10, s9
	s_cselect_b32 s8, s11, s8
	s_add_i32 s10, s9, 1
	s_cmp_ge_u32 s8, s5
	s_cselect_b32 s5, s10, s9
	s_xor_b32 s5, s5, s7
	s_sub_i32 s57, s5, s7
	s_add_i32 s24, s24, -1
	s_mul_i32 s5, s57, s24
	s_add_i32 s4, s4, s27
	s_sub_i32 s58, s6, s5
	v_cmp_gt_i32_e64 s[4:5], s4, v2
	v_lshlrev_b32_e32 v2, 1, v0
	v_lshlrev_b32_e32 v3, 4, v0
	v_and_b32_e32 v1, 60, v1
	v_and_b32_e32 v2, 64, v2
	;; [unrolled: 1-line block ×3, first 2 shown]
	v_or3_b32 v67, v1, v2, v4
	v_and_b32_e32 v6, 14, v0
	v_and_b32_e32 v1, 1, v0
	v_lshrrev_b32_e32 v4, 2, v0
	v_lshlrev_b32_e32 v2, 1, v1
	v_bitop3_b32 v5, v0, 1, v0 bitop3:0xc
	v_and_or_b32 v1, v4, 12, v1
	v_mov_b32_e32 v4, v6
	scratch_store_dword off, v5, off offset:64 ; 4-byte Folded Spill
	scratch_store_dwordx2 off, v[4:5], off offset:76 ; 8-byte Folded Spill
	scratch_store_dword off, v1, off offset:68 ; 4-byte Folded Spill
	v_mad_u64_u32 v[4:5], s[6:7], s21, v1, v[6:7]
	v_ashrrev_i32_e32 v5, 31, v4
	s_lshl_b32 s6, s21, 4
	scratch_store_dwordx2 off, v[4:5], off offset:108 ; 8-byte Folded Spill
	v_add_u32_e32 v4, s6, v4
	v_ashrrev_i32_e32 v5, 31, v4
	scratch_store_dwordx2 off, v[4:5], off offset:116 ; 8-byte Folded Spill
	v_add_u32_e32 v4, s6, v4
	s_abs_i32 s60, s33
	v_ashrrev_i32_e32 v5, 31, v4
	v_and_b32_e32 v24, 48, v3
	v_bfe_u32 v23, v0, 2, 4
	v_cvt_f32_u32_e32 v3, s60
	scratch_store_dwordx2 off, v[4:5], off offset:124 ; 8-byte Folded Spill
	v_mul_lo_u32 v4, s23, v23
	v_ashrrev_i32_e32 v5, 31, v4
	v_sub_u32_e32 v2, v0, v2
	v_bitop3_b32 v61, v0, 3, 1 bitop3:0x6c
	scratch_store_dwordx2 off, v[4:5], off offset:96 ; 8-byte Folded Spill
	v_and_b32_e32 v1, 60, v0
	v_lshlrev_b32_e32 v4, 8, v0
	v_lshlrev_b32_e32 v0, 6, v0
	v_and_b32_e32 v4, 0x200, v4
	v_rcp_iflag_f32_e32 v3, v3
	v_and_b32_e32 v0, 64, v0
	s_abs_i32 s62, s54
	v_or3_b32 v70, v1, v4, v0
	v_cvt_f32_u32_e32 v1, s62
	v_mul_f32_e32 v0, 0x4f7ffffe, v3
	v_cvt_u32_f32_e32 v0, v0
	s_sub_i32 s6, 0, s60
	v_rcp_iflag_f32_e32 v1, v1
	v_add_u32_e32 v2, 1, v2
	v_readfirstlane_b32 s7, v0
	s_mul_i32 s6, s6, s7
	v_mul_f32_e32 v0, 0x4f7ffffe, v1
	v_cvt_u32_f32_e32 v0, v0
	s_mul_hi_u32 s6, s7, s6
	s_add_i32 s64, s7, s6
	s_sub_i32 s6, 0, s62
	v_readfirstlane_b32 s7, v0
	v_mbcnt_lo_u32_b32 v0, -1, 0
	v_and_b32_e32 v2, 63, v2
	s_mul_i32 s6, s6, s7
	v_mbcnt_hi_u32_b32 v0, -1, v0
	s_mul_hi_u32 s6, s7, s6
	v_and_or_b32 v0, v0, 64, v2
	v_cndmask_b32_e64 v66, 0, 1, s[0:1]
	s_movk_i32 s59, 0x5000
	s_ashr_i32 s29, s21, 31
	s_mov_b32 s28, s21
	v_mov_b32_e32 v25, 0
	s_lshl_b32 s61, s23, 4
	s_ashr_i32 s63, s33, 31
	s_ashr_i32 s65, s54, 31
	s_add_i32 s66, s7, s6
	s_movk_i32 s67, 0x3000
	s_mov_b64 s[30:31], 0x60
	s_mov_b64 s[34:35], 0x80
	s_mov_b32 s68, 0x55555556
	v_lshlrev_b32_e32 v71, 2, v0
	v_mov_b32_e32 v62, v74
	scratch_store_dword off, v22, off offset:72 ; 4-byte Folded Spill
	scratch_store_dword off, v61, off offset:104 ; 4-byte Folded Spill
	scratch_store_dwordx2 off, v[24:25], off offset:84 ; 8-byte Folded Spill
	scratch_store_dword off, v23, off offset:92 ; 4-byte Folded Spill
	s_branch .LBB299_7
.LBB299_4:                              ;   in Loop: Header=BB299_7 Depth=1
	s_or_b64 exec, exec, s[10:11]
.LBB299_5:                              ;   in Loop: Header=BB299_7 Depth=1
	s_or_b64 exec, exec, s[8:9]
	v_subrev_u32_e32 v62, s72, v62
.LBB299_6:                              ;   in Loop: Header=BB299_7 Depth=1
	s_or_b64 exec, exec, s[6:7]
	s_add_i32 s55, s55, 1
	s_waitcnt vmcnt(2)
	v_cmp_ge_i32_e32 vcc, s55, v22
	s_cbranch_vccnz .LBB299_64
.LBB299_7:                              ; =>This Loop Header: Depth=1
                                        ;     Child Loop BB299_13 Depth 2
                                        ;       Child Loop BB299_15 Depth 3
                                        ;       Child Loop BB299_18 Depth 3
	;; [unrolled: 1-line block ×8, first 2 shown]
                                        ;     Child Loop BB299_51 Depth 2
                                        ;       Child Loop BB299_53 Depth 3
                                        ;     Child Loop BB299_61 Depth 2
                                        ;       Child Loop BB299_63 Depth 3
	s_abs_i32 s7, s55
	s_mul_hi_u32 s8, s7, s64
	s_mul_i32 s9, s8, s60
	s_ashr_i32 s6, s55, 31
	s_sub_i32 s7, s7, s9
	s_xor_b32 s6, s6, s63
	s_add_i32 s9, s8, 1
	s_sub_i32 s10, s7, s60
	s_cmp_ge_u32 s7, s60
	s_cselect_b32 s8, s9, s8
	s_cselect_b32 s7, s10, s7
	s_add_i32 s9, s8, 1
	s_cmp_ge_u32 s7, s60
	s_cselect_b32 s7, s9, s8
	s_xor_b32 s7, s7, s6
	s_sub_i32 s6, s7, s6
	s_abs_i32 s8, s6
	s_mul_hi_u32 s9, s8, s66
	s_mul_i32 s7, s6, s33
	s_mul_i32 s10, s9, s62
	s_sub_i32 s69, s55, s7
	s_ashr_i32 s7, s6, 31
	s_sub_i32 s8, s8, s10
	s_xor_b32 s7, s7, s65
	s_add_i32 s10, s9, 1
	s_sub_i32 s11, s8, s62
	s_cmp_ge_u32 s8, s62
	s_cselect_b32 s9, s10, s9
	s_cselect_b32 s8, s11, s8
	s_add_i32 s10, s9, 1
	s_cmp_ge_u32 s8, s62
	s_cselect_b32 s8, s10, s9
	s_xor_b32 s8, s8, s7
	s_sub_i32 s7, s8, s7
	s_mul_i32 s8, s7, s57
	s_lshl_b32 s70, s8, 8
	s_mul_i32 s69, s69, 48
	s_cmp_eq_u32 s7, s24
	s_cselect_b32 s72, s58, s57
	s_sub_i32 s8, s69, s20
	s_add_i32 s8, s8, 48
	s_max_i32 s71, s8, 0
	s_and_saveexec_b64 s[8:9], s[2:3]
	s_xor_b64 s[44:45], exec, s[8:9]
	s_cbranch_execz .LBB299_57
; %bb.8:                                ;   in Loop: Header=BB299_7 Depth=1
	s_mul_i32 s7, s7, s54
	s_sub_i32 s6, s6, s7
	s_mulk_i32 s6, 0x50
	s_sub_i32 s47, s6, s21
	s_addk_i32 s47, 0x50
	s_max_i32 s7, s47, 0
	s_sub_i32 s46, s6, s7
	s_and_saveexec_b64 s[6:7], s[0:1]
	s_xor_b64 s[48:49], exec, s[6:7]
	s_cbranch_execz .LBB299_47
; %bb.9:                                ;   in Loop: Header=BB299_7 Depth=1
	s_and_saveexec_b64 s[50:51], s[4:5]
	s_cbranch_execz .LBB299_46
; %bb.10:                               ;   in Loop: Header=BB299_7 Depth=1
	s_waitcnt vmcnt(1) lgkmcnt(0)
	global_load_dword v63, v25, s[42:43]
	v_mov_b32_e32 v59, 0
	v_cmp_gt_i32_e32 vcc, s72, v62
	v_mov_b32_e32 v58, v59
	v_mov_b32_e32 v57, v59
	;; [unrolled: 1-line block ×31, first 2 shown]
	s_waitcnt vmcnt(1)
	v_mov_b32_e32 v23, v59
	v_mov_b32_e32 v22, v59
	;; [unrolled: 1-line block ×20, first 2 shown]
	scratch_store_dwordx4 off, v[0:3], off offset:16 ; 16-byte Folded Spill
	scratch_store_dwordx4 off, v[0:3], off  ; 16-byte Folded Spill
	scratch_store_dwordx4 off, v[0:3], off offset:32 ; 16-byte Folded Spill
	s_and_saveexec_b64 s[6:7], vcc
	s_cbranch_execz .LBB299_38
; %bb.11:                               ;   in Loop: Header=BB299_7 Depth=1
	v_mov_b32_e32 v8, 0
	s_mov_b64 s[8:9], 0
	v_mov_b32_e32 v9, v8
	v_mov_b32_e32 v10, v8
	;; [unrolled: 1-line block ×51, first 2 shown]
	scratch_store_dwordx4 off, v[0:3], off offset:32 ; 16-byte Folded Spill
	scratch_store_dwordx4 off, v[0:3], off  ; 16-byte Folded Spill
	scratch_store_dwordx4 off, v[0:3], off offset:16 ; 16-byte Folded Spill
	s_branch .LBB299_13
.LBB299_12:                             ;   in Loop: Header=BB299_13 Depth=2
	s_or_b64 exec, exec, s[10:11]
	v_add_u32_e32 v2, 0x4000, v60
	ds_read2_b32 v[0:1], v2 offset1:32
	ds_read2_b32 v[2:3], v2 offset0:128 offset1:160
	v_add_u32_e32 v6, 0x4400, v60
	ds_read2_b32 v[4:5], v6 offset1:32
	ds_read2_b32 v[6:7], v6 offset0:128 offset1:160
	s_waitcnt lgkmcnt(3)
	v_mfma_f32_16x16x32_fp8_fp8 v[40:43], v[72:73], v[0:1], v[40:43]
	v_add_u32_e32 v14, 0x4800, v60
	ds_read2_b32 v[12:13], v14 offset1:32
	ds_read2_b32 v[14:15], v14 offset0:128 offset1:160
	v_mfma_f32_16x16x32_fp8_fp8 v[20:23], v[88:89], v[0:1], v[20:23]
	v_add_u32_e32 v65, 0x4c00, v60
	ds_read2_b32 v[60:61], v65 offset1:32
	ds_read2_b32 v[72:73], v65 offset0:128 offset1:160
	v_mfma_f32_16x16x32_fp8_fp8 v[8:11], v[106:107], v[0:1], v[8:11]
	v_add_u32_e32 v0, 2, v66
	v_add_u32_e32 v62, s27, v62
	v_mov_b64_e32 v[16:17], v[28:29]
	s_waitcnt lgkmcnt(6)
	v_mfma_f32_16x16x32_fp8_fp8 v[40:43], v[74:75], v[2:3], v[40:43]
	v_add_u32_e32 v74, s27, v68
	v_cmp_lt_i32_e32 vcc, 0, v74
	v_mov_b64_e32 v[18:19], v[30:31]
	v_mfma_f32_16x16x32_fp8_fp8 v[20:23], v[90:91], v[2:3], v[20:23]
	v_cndmask_b32_e32 v66, v66, v0, vcc
	v_cmp_le_i32_e32 vcc, s72, v62
	s_or_b64 s[8:9], vcc, s[8:9]
	v_mfma_f32_16x16x32_fp8_fp8 v[8:11], v[108:109], v[2:3], v[8:11]
	;;#ASMSTART
	s_waitcnt lgkmcnt(0)
	;;#ASMEND
	ds_write_b32 v69, v64 offset:32796
	s_waitcnt lgkmcnt(6)
	v_mfma_f32_16x16x32_fp8_fp8 v[40:43], v[76:77], v[4:5], v[40:43]
	v_mfma_f32_16x16x32_fp8_fp8 v[20:23], v[92:93], v[4:5], v[20:23]
	v_mfma_f32_16x16x32_fp8_fp8 v[8:11], v[112:113], v[4:5], v[8:11]
	s_waitcnt lgkmcnt(5)
	v_mfma_f32_16x16x32_fp8_fp8 v[40:43], v[78:79], v[6:7], v[40:43]
	v_mfma_f32_16x16x32_fp8_fp8 v[20:23], v[94:95], v[6:7], v[20:23]
	v_mfma_f32_16x16x32_fp8_fp8 v[8:11], v[114:115], v[6:7], v[8:11]
	;; [unrolled: 4-line block ×4, first 2 shown]
	v_mov_b64_e32 v[12:13], v[32:33]
	v_mov_b64_e32 v[14:15], v[34:35]
	s_waitcnt lgkmcnt(2)
	v_mfma_f32_16x16x32_fp8_fp8 v[40:43], v[84:85], v[60:61], v[40:43]
	v_mfma_f32_16x16x32_fp8_fp8 v[20:23], v[100:101], v[60:61], v[20:23]
	;; [unrolled: 1-line block ×3, first 2 shown]
	s_waitcnt lgkmcnt(1)
	v_mfma_f32_16x16x32_fp8_fp8 v[40:43], v[86:87], v[72:73], v[40:43]
	v_mfma_f32_16x16x32_fp8_fp8 v[20:23], v[102:103], v[72:73], v[20:23]
	;; [unrolled: 1-line block ×3, first 2 shown]
	s_andn2_b64 exec, exec, s[8:9]
	s_cbranch_execz .LBB299_37
.LBB299_13:                             ;   Parent Loop BB299_7 Depth=1
                                        ; =>  This Loop Header: Depth=2
                                        ;       Child Loop BB299_15 Depth 3
                                        ;       Child Loop BB299_18 Depth 3
	;; [unrolled: 1-line block ×8, first 2 shown]
	v_cmp_lt_i32_e32 vcc, 0, v74
	s_nop 1
	v_subbrev_co_u32_e32 v68, vcc, 0, v74, vcc
	v_mul_lo_u32 v69, v68, 20
	ds_read_b32 v0, v69 offset:32780
	s_waitcnt lgkmcnt(0)
	v_cmp_ne_u32_e32 vcc, v0, v66
	s_and_saveexec_b64 s[10:11], vcc
	s_cbranch_execz .LBB299_16
; %bb.14:                               ;   in Loop: Header=BB299_13 Depth=2
	s_mov_b64 s[12:13], 0
.LBB299_15:                             ;   Parent Loop BB299_7 Depth=1
                                        ;     Parent Loop BB299_13 Depth=2
                                        ; =>    This Inner Loop Header: Depth=3
	;;#ASMSTART
	s_sleep 0
	;;#ASMEND
	ds_read_b32 v0, v69 offset:32780
	s_waitcnt lgkmcnt(0)
	v_cmp_eq_u32_e32 vcc, v0, v66
	s_or_b64 s[12:13], vcc, s[12:13]
	s_andn2_b64 exec, exec, s[12:13]
	s_cbranch_execnz .LBB299_15
.LBB299_16:                             ;   in Loop: Header=BB299_13 Depth=2
	s_or_b64 exec, exec, s[10:11]
	v_mul_lo_u32 v0, v68, s59
	v_or_b32_e32 v60, v67, v0
	scratch_store_dwordx4 off, v[120:123], off offset:48 ; 16-byte Folded Spill
	v_add_u32_e32 v0, 0x400, v60
	ds_read2_b32 v[104:105], v60 offset1:32
	ds_read2_b32 v[110:111], v60 offset0:128 offset1:160
	ds_read2_b32 v[116:117], v0 offset1:32
	ds_read2_b32 v[118:119], v0 offset0:128 offset1:160
	v_add_u32_e32 v0, 0x800, v60
	ds_read2_b32 v[120:121], v0 offset1:32
	ds_read2_b32 v[122:123], v0 offset0:128 offset1:160
	v_add_u32_e32 v0, 0xc00, v60
	v_mul_lo_u32 v65, v68, 12
	ds_read2_b32 v[126:127], v0 offset1:32
	ds_read2_b32 v[124:125], v0 offset0:128 offset1:160
	;;#ASMSTART
	s_waitcnt lgkmcnt(0)
	;;#ASMEND
	ds_read_b32 v0, v65 offset:32768
	v_add_u32_e32 v64, 1, v66
	ds_write_b32 v69, v64 offset:32780
	s_waitcnt lgkmcnt(1)
	v_cmp_ne_u32_e32 vcc, v0, v66
	s_and_saveexec_b64 s[10:11], vcc
	s_cbranch_execz .LBB299_19
; %bb.17:                               ;   in Loop: Header=BB299_13 Depth=2
	s_mov_b64 s[12:13], 0
.LBB299_18:                             ;   Parent Loop BB299_7 Depth=1
                                        ;     Parent Loop BB299_13 Depth=2
                                        ; =>    This Inner Loop Header: Depth=3
	;;#ASMSTART
	s_sleep 0
	;;#ASMEND
	ds_read_b32 v0, v65 offset:32768
	s_waitcnt lgkmcnt(0)
	v_cmp_eq_u32_e32 vcc, v0, v66
	s_or_b64 s[12:13], vcc, s[12:13]
	s_andn2_b64 exec, exec, s[12:13]
	s_cbranch_execnz .LBB299_18
.LBB299_19:                             ;   in Loop: Header=BB299_13 Depth=2
	s_or_b64 exec, exec, s[10:11]
	v_mul_lo_u32 v0, v68, s67
	v_or_b32_e32 v1, 0x5000, v67
	v_add_u32_e32 v61, v1, v0
	ds_read2_b32 v[72:73], v61 offset1:32
	ds_read2_b32 v[74:75], v61 offset0:128 offset1:160
	v_add_u32_e32 v0, 0x400, v61
	ds_read2_b32 v[76:77], v0 offset1:32
	ds_read2_b32 v[78:79], v0 offset0:128 offset1:160
	;; [unrolled: 3-line block ×3, first 2 shown]
	s_waitcnt lgkmcnt(5)
	v_mfma_f32_16x16x32_fp8_fp8 v[56:59], v[72:73], v[104:105], v[56:59]
	v_add_u32_e32 v0, 0xc00, v61
	ds_read2_b32 v[84:85], v0 offset1:32
	ds_read2_b32 v[86:87], v0 offset0:128 offset1:160
	ds_read_b32 v0, v65 offset:32772
	s_waitcnt lgkmcnt(7)
	v_mfma_f32_16x16x32_fp8_fp8 v[56:59], v[74:75], v[110:111], v[56:59]
	ds_write_b32 v65, v64 offset:32768
	s_waitcnt lgkmcnt(1)
	v_cmp_ne_u32_e32 vcc, v0, v66
	v_mfma_f32_16x16x32_fp8_fp8 v[56:59], v[76:77], v[116:117], v[56:59]
	v_mfma_f32_16x16x32_fp8_fp8 v[56:59], v[78:79], v[118:119], v[56:59]
	;; [unrolled: 1-line block ×6, first 2 shown]
	s_and_saveexec_b64 s[10:11], vcc
	s_cbranch_execz .LBB299_22
; %bb.20:                               ;   in Loop: Header=BB299_13 Depth=2
	s_mov_b64 s[12:13], 0
.LBB299_21:                             ;   Parent Loop BB299_7 Depth=1
                                        ;     Parent Loop BB299_13 Depth=2
                                        ; =>    This Inner Loop Header: Depth=3
	;;#ASMSTART
	s_sleep 0
	;;#ASMEND
	ds_read_b32 v0, v65 offset:32772
	s_waitcnt lgkmcnt(0)
	v_cmp_eq_u32_e32 vcc, v0, v66
	s_or_b64 s[12:13], vcc, s[12:13]
	s_andn2_b64 exec, exec, s[12:13]
	s_cbranch_execnz .LBB299_21
.LBB299_22:                             ;   in Loop: Header=BB299_13 Depth=2
	s_or_b64 exec, exec, s[10:11]
	v_add_u32_e32 v0, 0x1000, v61
	ds_read2_b32 v[88:89], v0 offset1:32
	ds_read2_b32 v[90:91], v0 offset0:128 offset1:160
	v_add_u32_e32 v0, 0x1400, v61
	ds_read2_b32 v[92:93], v0 offset1:32
	ds_read2_b32 v[94:95], v0 offset0:128 offset1:160
	v_add_u32_e32 v0, 0x1800, v61
	s_waitcnt lgkmcnt(3)
	v_mfma_f32_16x16x32_fp8_fp8 v[36:39], v[88:89], v[104:105], v[36:39]
	ds_read2_b32 v[96:97], v0 offset1:32
	ds_read2_b32 v[98:99], v0 offset0:128 offset1:160
	v_add_u32_e32 v0, 0x1c00, v61
	ds_read2_b32 v[100:101], v0 offset1:32
	ds_read2_b32 v[102:103], v0 offset0:128 offset1:160
	s_waitcnt lgkmcnt(6)
	v_mfma_f32_16x16x32_fp8_fp8 v[36:39], v[90:91], v[110:111], v[36:39]
	ds_read_b32 v0, v65 offset:32776
	ds_write_b32 v65, v64 offset:32772
	s_waitcnt lgkmcnt(1)
	v_cmp_ne_u32_e32 vcc, v0, v66
	v_mfma_f32_16x16x32_fp8_fp8 v[36:39], v[92:93], v[116:117], v[36:39]
	v_mfma_f32_16x16x32_fp8_fp8 v[36:39], v[94:95], v[118:119], v[36:39]
	;; [unrolled: 1-line block ×6, first 2 shown]
	s_and_saveexec_b64 s[10:11], vcc
	s_cbranch_execz .LBB299_25
; %bb.23:                               ;   in Loop: Header=BB299_13 Depth=2
	s_mov_b64 s[12:13], 0
.LBB299_24:                             ;   Parent Loop BB299_7 Depth=1
                                        ;     Parent Loop BB299_13 Depth=2
                                        ; =>    This Inner Loop Header: Depth=3
	;;#ASMSTART
	s_sleep 0
	;;#ASMEND
	ds_read_b32 v0, v65 offset:32776
	s_waitcnt lgkmcnt(0)
	v_cmp_eq_u32_e32 vcc, v0, v66
	s_or_b64 s[12:13], vcc, s[12:13]
	s_andn2_b64 exec, exec, s[12:13]
	s_cbranch_execnz .LBB299_24
.LBB299_25:                             ;   in Loop: Header=BB299_13 Depth=2
	s_or_b64 exec, exec, s[10:11]
	v_add_u32_e32 v0, 0x2000, v61
	ds_read2_b32 v[106:107], v0 offset1:32
	ds_read2_b32 v[108:109], v0 offset0:128 offset1:160
	v_add_u32_e32 v0, 0x2400, v61
	ds_read2_b32 v[112:113], v0 offset1:32
	ds_read2_b32 v[114:115], v0 offset0:128 offset1:160
	s_waitcnt lgkmcnt(3)
	v_mfma_f32_16x16x32_fp8_fp8 v[16:19], v[106:107], v[104:105], v[16:19]
	v_add_u32_e32 v0, 0x2800, v61
	ds_write_b32 v65, v64 offset:32776
	s_waitcnt lgkmcnt(3)
	v_mfma_f32_16x16x32_fp8_fp8 v[16:19], v[108:109], v[110:111], v[16:19]
	s_waitcnt lgkmcnt(2)
	v_mfma_f32_16x16x32_fp8_fp8 v[16:19], v[112:113], v[116:117], v[16:19]
	ds_read2_b32 v[116:117], v0 offset1:32
	s_waitcnt lgkmcnt(2)
	v_mfma_f32_16x16x32_fp8_fp8 v[16:19], v[114:115], v[118:119], v[16:19]
	ds_read2_b32 v[118:119], v0 offset0:128 offset1:160
	v_add_u32_e32 v0, 0x2c00, v61
	ds_read2_b32 v[110:111], v0 offset1:32
	ds_read2_b32 v[104:105], v0 offset0:128 offset1:160
	s_waitcnt lgkmcnt(3)
	v_mfma_f32_16x16x32_fp8_fp8 v[16:19], v[116:117], v[120:121], v[16:19]
	ds_read_b32 v0, v69 offset:32784
	s_waitcnt lgkmcnt(0)
	v_cmp_ne_u32_e32 vcc, v0, v66
	v_mfma_f32_16x16x32_fp8_fp8 v[16:19], v[118:119], v[122:123], v[16:19]
	v_mfma_f32_16x16x32_fp8_fp8 v[16:19], v[110:111], v[126:127], v[16:19]
	;; [unrolled: 1-line block ×3, first 2 shown]
	s_and_saveexec_b64 s[10:11], vcc
	s_cbranch_execz .LBB299_28
; %bb.26:                               ;   in Loop: Header=BB299_13 Depth=2
	s_mov_b64 s[12:13], 0
.LBB299_27:                             ;   Parent Loop BB299_7 Depth=1
                                        ;     Parent Loop BB299_13 Depth=2
                                        ; =>    This Inner Loop Header: Depth=3
	;;#ASMSTART
	s_sleep 0
	;;#ASMEND
	ds_read_b32 v0, v69 offset:32784
	s_waitcnt lgkmcnt(0)
	v_cmp_eq_u32_e32 vcc, v0, v66
	s_or_b64 s[12:13], vcc, s[12:13]
	s_andn2_b64 exec, exec, s[12:13]
	s_cbranch_execnz .LBB299_27
.LBB299_28:                             ;   in Loop: Header=BB299_13 Depth=2
	s_or_b64 exec, exec, s[10:11]
	scratch_load_dwordx4 v[28:31], off, off offset:16 ; 16-byte Folded Reload
	v_add_u32_e32 v0, 0x1000, v60
	ds_read2_b32 v[120:121], v0 offset1:32
	ds_read2_b32 v[122:123], v0 offset0:128 offset1:160
	v_add_u32_e32 v0, 0x1400, v60
	ds_read2_b32 v[124:125], v0 offset1:32
	s_waitcnt lgkmcnt(2)
	v_mfma_f32_16x16x32_fp8_fp8 v[52:55], v[72:73], v[120:121], v[52:55]
	ds_read2_b32 v[126:127], v0 offset0:128 offset1:160
	v_add_u32_e32 v2, 0x1800, v60
	ds_read2_b32 v[0:1], v2 offset1:32
	v_mfma_f32_16x16x32_fp8_fp8 v[12:15], v[106:107], v[120:121], v[12:15]
	ds_read2_b32 v[2:3], v2 offset0:128 offset1:160
	v_add_u32_e32 v6, 0x1c00, v60
	ds_read2_b32 v[4:5], v6 offset1:32
	s_waitcnt lgkmcnt(5)
	v_mfma_f32_16x16x32_fp8_fp8 v[52:55], v[74:75], v[122:123], v[52:55]
	ds_read2_b32 v[6:7], v6 offset0:128 offset1:160
	v_mfma_f32_16x16x32_fp8_fp8 v[12:15], v[108:109], v[122:123], v[12:15]
	s_waitcnt lgkmcnt(5)
	v_mfma_f32_16x16x32_fp8_fp8 v[52:55], v[76:77], v[124:125], v[52:55]
	v_mfma_f32_16x16x32_fp8_fp8 v[12:15], v[112:113], v[124:125], v[12:15]
	s_waitcnt lgkmcnt(4)
	v_mfma_f32_16x16x32_fp8_fp8 v[52:55], v[78:79], v[126:127], v[52:55]
	;; [unrolled: 3-line block ×6, first 2 shown]
	s_waitcnt vmcnt(0)
	v_mfma_f32_16x16x32_fp8_fp8 v[32:35], v[88:89], v[120:121], v[28:31]
	v_mfma_f32_16x16x32_fp8_fp8 v[32:35], v[90:91], v[122:123], v[32:35]
	;; [unrolled: 1-line block ×9, first 2 shown]
	s_nop 6
	scratch_store_dwordx4 off, v[28:31], off offset:16 ; 16-byte Folded Spill
	;;#ASMSTART
	s_waitcnt lgkmcnt(0)
	;;#ASMEND
	ds_read_b32 v0, v69 offset:32788
	ds_write_b32 v69, v64 offset:32784
	s_waitcnt lgkmcnt(1)
	v_cmp_ne_u32_e32 vcc, v0, v66
	s_and_saveexec_b64 s[10:11], vcc
	s_cbranch_execz .LBB299_31
; %bb.29:                               ;   in Loop: Header=BB299_13 Depth=2
	s_mov_b64 s[12:13], 0
.LBB299_30:                             ;   Parent Loop BB299_7 Depth=1
                                        ;     Parent Loop BB299_13 Depth=2
                                        ; =>    This Inner Loop Header: Depth=3
	;;#ASMSTART
	s_sleep 0
	;;#ASMEND
	ds_read_b32 v0, v69 offset:32788
	s_waitcnt lgkmcnt(0)
	v_cmp_eq_u32_e32 vcc, v0, v66
	s_or_b64 s[12:13], vcc, s[12:13]
	s_andn2_b64 exec, exec, s[12:13]
	s_cbranch_execnz .LBB299_30
.LBB299_31:                             ;   in Loop: Header=BB299_13 Depth=2
	s_or_b64 exec, exec, s[10:11]
	v_add_u32_e32 v4, 0x2400, v60
	ds_read2_b32 v[120:121], v4 offset1:32
	ds_read2_b32 v[122:123], v4 offset0:128 offset1:160
	v_add_u32_e32 v4, 0x2800, v60
	ds_read2_b32 v[124:125], v4 offset1:32
	ds_read2_b32 v[126:127], v4 offset0:128 offset1:160
	;; [unrolled: 3-line block ×3, first 2 shown]
	scratch_load_dwordx4 v[4:7], off, off   ; 16-byte Folded Reload
	v_add_u32_e32 v2, 0x2000, v60
	ds_read2_b32 v[0:1], v2 offset1:32
	ds_read2_b32 v[2:3], v2 offset0:128 offset1:160
	s_waitcnt lgkmcnt(1)
	v_mfma_f32_16x16x32_fp8_fp8 v[48:51], v[72:73], v[0:1], v[48:51]
	s_waitcnt lgkmcnt(0)
	v_mfma_f32_16x16x32_fp8_fp8 v[48:51], v[74:75], v[2:3], v[48:51]
	v_mfma_f32_16x16x32_fp8_fp8 v[48:51], v[76:77], v[120:121], v[48:51]
	;; [unrolled: 1-line block ×7, first 2 shown]
	s_waitcnt vmcnt(0)
	v_mfma_f32_16x16x32_fp8_fp8 v[28:31], v[88:89], v[0:1], v[4:7]
	v_mfma_f32_16x16x32_fp8_fp8 v[28:31], v[90:91], v[2:3], v[28:31]
	;; [unrolled: 1-line block ×8, first 2 shown]
	s_nop 7
	scratch_store_dwordx4 off, v[4:7], off  ; 16-byte Folded Spill
	scratch_load_dwordx4 v[4:7], off, off offset:32 ; 16-byte Folded Reload
	;;#ASMSTART
	s_waitcnt lgkmcnt(0)
	;;#ASMEND
	ds_write_b32 v69, v64 offset:32788
	s_waitcnt vmcnt(0)
	v_mfma_f32_16x16x32_fp8_fp8 v[4:7], v[106:107], v[0:1], v[4:7]
	ds_read_b32 v0, v69 offset:32792
	s_waitcnt lgkmcnt(0)
	v_cmp_ne_u32_e32 vcc, v0, v66
	v_mfma_f32_16x16x32_fp8_fp8 v[4:7], v[108:109], v[2:3], v[4:7]
	v_mfma_f32_16x16x32_fp8_fp8 v[4:7], v[112:113], v[120:121], v[4:7]
	;; [unrolled: 1-line block ×7, first 2 shown]
	s_nop 7
	scratch_store_dwordx4 off, v[0:3], off offset:32 ; 16-byte Folded Spill
	s_and_saveexec_b64 s[10:11], vcc
	s_cbranch_execz .LBB299_34
; %bb.32:                               ;   in Loop: Header=BB299_13 Depth=2
	s_mov_b64 s[12:13], 0
.LBB299_33:                             ;   Parent Loop BB299_7 Depth=1
                                        ;     Parent Loop BB299_13 Depth=2
                                        ; =>    This Inner Loop Header: Depth=3
	;;#ASMSTART
	s_sleep 0
	;;#ASMEND
	ds_read_b32 v0, v69 offset:32792
	s_waitcnt lgkmcnt(0)
	v_cmp_eq_u32_e32 vcc, v0, v66
	s_or_b64 s[12:13], vcc, s[12:13]
	s_andn2_b64 exec, exec, s[12:13]
	s_cbranch_execnz .LBB299_33
.LBB299_34:                             ;   in Loop: Header=BB299_13 Depth=2
	s_or_b64 exec, exec, s[10:11]
	v_mov_b64_e32 v[30:31], v[18:19]
	v_mov_b64_e32 v[28:29], v[16:17]
	scratch_load_dwordx4 v[16:19], off, off offset:48 ; 16-byte Folded Reload
	v_add_u32_e32 v2, 0x3000, v60
	ds_read2_b32 v[0:1], v2 offset1:32
	ds_read2_b32 v[4:5], v2 offset0:128 offset1:160
	v_add_u32_e32 v2, 0x3400, v60
	ds_read2_b32 v[6:7], v2 offset1:32
	ds_read2_b32 v[12:13], v2 offset0:128 offset1:160
	;; [unrolled: 3-line block ×3, first 2 shown]
	v_add_u32_e32 v2, 0x3c00, v60
	s_waitcnt lgkmcnt(5)
	v_mfma_f32_16x16x32_fp8_fp8 v[44:47], v[72:73], v[0:1], v[44:47]
	ds_read2_b32 v[122:123], v2 offset1:32
	ds_read2_b32 v[124:125], v2 offset0:128 offset1:160
	;;#ASMSTART
	s_waitcnt lgkmcnt(0)
	;;#ASMEND
	v_mfma_f32_16x16x32_fp8_fp8 v[24:27], v[88:89], v[0:1], v[24:27]
	ds_write_b32 v69, v64 offset:32792
	s_waitcnt lgkmcnt(7)
	v_mfma_f32_16x16x32_fp8_fp8 v[44:47], v[74:75], v[4:5], v[44:47]
	v_mfma_f32_16x16x32_fp8_fp8 v[24:27], v[90:91], v[4:5], v[24:27]
	s_waitcnt lgkmcnt(6)
	v_mfma_f32_16x16x32_fp8_fp8 v[44:47], v[76:77], v[6:7], v[44:47]
	v_mfma_f32_16x16x32_fp8_fp8 v[24:27], v[92:93], v[6:7], v[24:27]
	;; [unrolled: 3-line block ×7, first 2 shown]
	s_waitcnt vmcnt(0)
	v_mfma_f32_16x16x32_fp8_fp8 v[0:3], v[106:107], v[0:1], v[16:19]
	v_mfma_f32_16x16x32_fp8_fp8 v[0:3], v[108:109], v[4:5], v[0:3]
	ds_read_b32 v4, v69 offset:32796
	s_waitcnt lgkmcnt(0)
	v_cmp_ne_u32_e32 vcc, v4, v66
	v_mfma_f32_16x16x32_fp8_fp8 v[0:3], v[112:113], v[6:7], v[0:3]
	v_mfma_f32_16x16x32_fp8_fp8 v[0:3], v[114:115], v[12:13], v[0:3]
	;; [unrolled: 1-line block ×6, first 2 shown]
	s_and_saveexec_b64 s[10:11], vcc
	s_cbranch_execz .LBB299_12
; %bb.35:                               ;   in Loop: Header=BB299_13 Depth=2
	s_mov_b64 s[12:13], 0
.LBB299_36:                             ;   Parent Loop BB299_7 Depth=1
                                        ;     Parent Loop BB299_13 Depth=2
                                        ; =>    This Inner Loop Header: Depth=3
	;;#ASMSTART
	s_sleep 0
	;;#ASMEND
	s_nop 3
	ds_read_b32 v0, v69 offset:32796
	s_waitcnt lgkmcnt(0)
	v_cmp_eq_u32_e32 vcc, v0, v66
	s_or_b64 s[12:13], vcc, s[12:13]
	s_andn2_b64 exec, exec, s[12:13]
	s_cbranch_execnz .LBB299_36
	s_branch .LBB299_12
.LBB299_37:                             ;   in Loop: Header=BB299_7 Depth=1
	s_or_b64 exec, exec, s[8:9]
	scratch_load_dword v61, off, off offset:104 ; 4-byte Folded Reload
.LBB299_38:                             ;   in Loop: Header=BB299_7 Depth=1
	s_or_b64 exec, exec, s[6:7]
	scratch_load_dwordx2 v[0:1], off, off offset:76 ; 8-byte Folded Reload
	scratch_load_dword v7, off, off offset:64 ; 4-byte Folded Reload
	s_waitcnt vmcnt(2)
	v_cmp_eq_u32_e64 s[10:11], 1, v61
	v_cmp_eq_u32_e64 s[16:17], 3, v61
	v_mov_b32_e32 v77, v61
	v_mov_b64_e32 v[80:81], v[14:15]
	v_mov_b64_e32 v[78:79], v[12:13]
	s_waitcnt vmcnt(1)
	v_mov_b32_e32 v6, v0
	v_cmp_le_i32_e32 vcc, s47, v6
	s_waitcnt vmcnt(0)
	v_cmp_eq_u32_e64 s[12:13], 1, v7
	v_cmp_eq_u32_e64 s[6:7], 3, v7
	v_cndmask_b32_e32 v72, 0, v63, vcc
	v_pk_mul_f32 v[2:3], v[72:73], v[56:57] op_sel_hi:[0,1]
	v_pk_mul_f32 v[0:1], v[72:73], v[58:59] op_sel_hi:[0,1]
	v_cndmask_b32_e64 v4, v2, v3, s[12:13]
	v_cmp_eq_u32_e32 vcc, 2, v7
	v_cmp_eq_u32_e64 s[8:9], 0, v7
	s_nop 0
	v_cndmask_b32_e32 v4, v4, v0, vcc
	v_cndmask_b32_e64 v4, v4, v1, s[6:7]
	ds_bpermute_b32 v4, v71, v4
	s_waitcnt lgkmcnt(0)
	v_cndmask_b32_e32 v59, v0, v4, vcc
	v_or_b32_e32 v0, 16, v6
	v_cmp_le_i32_e64 s[14:15], s47, v0
	v_cndmask_b32_e64 v57, v3, v4, s[12:13]
	v_cndmask_b32_e64 v64, v2, v4, s[8:9]
	;; [unrolled: 1-line block ×3, first 2 shown]
	v_pk_mul_f32 v[2:3], v[56:57], v[52:53] op_sel_hi:[0,1]
	v_cndmask_b32_e64 v58, v1, v4, s[6:7]
	v_pk_mul_f32 v[0:1], v[56:57], v[54:55] op_sel_hi:[0,1]
	v_cndmask_b32_e64 v5, v2, v3, s[12:13]
	v_cndmask_b32_e32 v5, v5, v0, vcc
	v_cndmask_b32_e64 v5, v5, v1, s[6:7]
	ds_bpermute_b32 v5, v71, v5
	v_cndmask_b32_e64 v4, v64, v57, s[10:11]
	v_cmp_eq_u32_e64 s[14:15], 2, v61
	s_waitcnt lgkmcnt(0)
	v_cndmask_b32_e32 v60, v0, v5, vcc
	v_or_b32_e32 v0, 32, v6
	v_cmp_le_i32_e64 s[18:19], s47, v0
	v_cndmask_b32_e64 v4, v4, v59, s[14:15]
	v_cndmask_b32_e64 v53, v3, v5, s[12:13]
	;; [unrolled: 1-line block ×5, first 2 shown]
	v_pk_mul_f32 v[2:3], v[52:53], v[48:49] op_sel_hi:[0,1]
	ds_bpermute_b32 v54, v71, v4
	v_cndmask_b32_e64 v55, v1, v5, s[6:7]
	v_pk_mul_f32 v[0:1], v[52:53], v[50:51] op_sel_hi:[0,1]
	v_cndmask_b32_e64 v4, v2, v3, s[12:13]
	v_cndmask_b32_e32 v4, v4, v0, vcc
	v_cndmask_b32_e64 v4, v4, v1, s[6:7]
	ds_bpermute_b32 v4, v71, v4
	v_cndmask_b32_e64 v5, v68, v53, s[10:11]
	v_cndmask_b32_e64 v5, v5, v60, s[14:15]
	v_cndmask_b32_e64 v5, v5, v55, s[16:17]
	ds_bpermute_b32 v50, v71, v5
	s_waitcnt lgkmcnt(1)
	v_cndmask_b32_e32 v61, v0, v4, vcc
	v_or_b32_e32 v0, 48, v6
	v_cmp_le_i32_e64 s[18:19], s47, v0
	v_cndmask_b32_e64 v49, v3, v4, s[12:13]
	v_cndmask_b32_e64 v73, v2, v4, s[8:9]
	;; [unrolled: 1-line block ×3, first 2 shown]
	v_pk_mul_f32 v[2:3], v[48:49], v[44:45] op_sel_hi:[0,1]
	v_cndmask_b32_e64 v51, v1, v4, s[6:7]
	v_pk_mul_f32 v[0:1], v[48:49], v[46:47] op_sel_hi:[0,1]
	v_cndmask_b32_e64 v4, v2, v3, s[12:13]
	v_cndmask_b32_e32 v4, v4, v0, vcc
	v_cndmask_b32_e64 v4, v4, v1, s[6:7]
	ds_bpermute_b32 v4, v71, v4
	v_cndmask_b32_e64 v5, v73, v49, s[10:11]
	v_cndmask_b32_e64 v5, v5, v61, s[14:15]
	;; [unrolled: 1-line block ×3, first 2 shown]
	ds_bpermute_b32 v46, v71, v5
	s_waitcnt lgkmcnt(1)
	v_cndmask_b32_e32 v65, v0, v4, vcc
	v_or_b32_e32 v0, 64, v6
	v_cmp_le_i32_e64 s[18:19], s47, v0
	v_cndmask_b32_e64 v75, v3, v4, s[12:13]
	v_cndmask_b32_e64 v76, v2, v4, s[8:9]
	;; [unrolled: 1-line block ×3, first 2 shown]
	v_pk_mul_f32 v[2:3], v[44:45], v[40:41] op_sel_hi:[0,1]
	v_cndmask_b32_e64 v47, v1, v4, s[6:7]
	v_pk_mul_f32 v[0:1], v[44:45], v[42:43] op_sel_hi:[0,1]
	v_cndmask_b32_e64 v4, v2, v3, s[12:13]
	v_cndmask_b32_e32 v4, v4, v0, vcc
	v_cndmask_b32_e64 v4, v4, v1, s[6:7]
	ds_bpermute_b32 v4, v71, v4
	v_cndmask_b32_e64 v5, v76, v75, s[10:11]
	v_cndmask_b32_e64 v5, v5, v65, s[14:15]
	;; [unrolled: 1-line block ×3, first 2 shown]
	ds_bpermute_b32 v42, v71, v5
	s_waitcnt lgkmcnt(1)
	v_cndmask_b32_e32 v63, v0, v4, vcc
	v_cmp_ne_u32_e32 vcc, 0, v7
	v_cndmask_b32_e64 v41, v2, v4, s[8:9]
	v_cndmask_b32_e64 v43, v1, v4, s[6:7]
	v_cndmask_b32_e32 v40, v3, v4, vcc
	v_cndmask_b32_e64 v0, v41, v40, s[10:11]
	v_cndmask_b32_e64 v0, v0, v63, s[14:15]
	;; [unrolled: 1-line block ×3, first 2 shown]
	ds_bpermute_b32 v69, v71, v0
	scratch_load_dword v0, off, off offset:68 ; 4-byte Folded Reload
	s_waitcnt vmcnt(0)
	v_add_u32_e32 v45, s71, v0
	v_cmp_gt_u32_e32 vcc, 48, v45
	s_and_saveexec_b64 s[18:19], vcc
	s_cbranch_execz .LBB299_45
; %bb.39:                               ;   in Loop: Header=BB299_7 Depth=1
	scratch_load_dwordx2 v[14:15], off, off offset:108 ; 8-byte Folded Reload
	v_cmp_eq_u32_e64 s[8:9], 1, v77
	v_cmp_eq_u32_e64 s[10:11], 0, v77
	v_cmp_eq_u32_e32 vcc, 3, v77
	v_cndmask_b32_e64 v0, v57, v54, s[8:9]
	v_cndmask_b32_e64 v2, v53, v50, s[8:9]
	;; [unrolled: 1-line block ×3, first 2 shown]
	s_waitcnt lgkmcnt(1)
	v_cndmask_b32_e64 v6, v75, v42, s[8:9]
	s_waitcnt lgkmcnt(0)
	v_cndmask_b32_e64 v12, v40, v69, s[8:9]
	s_mul_i32 s8, s69, s21
	s_ashr_i32 s9, s8, 31
	s_lshl_b64 s[8:9], s[8:9], 1
	v_cndmask_b32_e64 v1, v64, v54, s[10:11]
	v_cndmask_b32_e64 v3, v68, v50, s[10:11]
	;; [unrolled: 1-line block ×5, first 2 shown]
	s_add_u32 s10, s40, s8
	s_addc_u32 s11, s41, s9
	s_ashr_i32 s47, s46, 31
	v_cvt_f16_f32_e32 v1, v1
	v_cvt_f16_f32_sdwa v0, v0 dst_sel:WORD_1 dst_unused:UNUSED_PAD src0_sel:DWORD
	v_cvt_f16_f32_e32 v3, v3
	v_cvt_f16_f32_sdwa v2, v2 dst_sel:WORD_1 dst_unused:UNUSED_PAD src0_sel:DWORD
	s_lshl_b64 s[8:9], s[46:47], 1
	v_cvt_f16_f32_e32 v5, v5
	v_cvt_f16_f32_sdwa v4, v4 dst_sel:WORD_1 dst_unused:UNUSED_PAD src0_sel:DWORD
	s_add_u32 s52, s10, s8
	s_addc_u32 s53, s11, s9
	v_or_b32_e32 v0, v0, v1
	v_or_b32_e32 v2, v2, v3
	v_cvt_f16_f32_sdwa v3, v6 dst_sel:WORD_1 dst_unused:UNUSED_PAD src0_sel:DWORD
	v_cmp_eq_u32_e64 s[6:7], 2, v77
	v_cmp_gt_u32_e64 s[8:9], 46, v45
	s_waitcnt vmcnt(0)
	v_lshl_add_u64 v[40:41], v[14:15], 1, s[52:53]
	;;#ASMSTART
	global_atomic_pk_add_f16 v[40:41], v0, off
	
	;;#ASMEND
	v_lshl_add_u64 v[0:1], v[40:41], 0, 32
	;;#ASMSTART
	global_atomic_pk_add_f16 v[0:1], v2, off
	
	;;#ASMEND
	v_or_b32_e32 v2, v4, v5
	v_lshl_add_u64 v[0:1], v[40:41], 0, 64
	;;#ASMSTART
	global_atomic_pk_add_f16 v[0:1], v2, off
	
	;;#ASMEND
	v_cvt_f16_f32_e32 v2, v7
	v_cvt_f16_f32_e32 v4, v13
	v_cvt_f16_f32_sdwa v5, v12 dst_sel:WORD_1 dst_unused:UNUSED_PAD src0_sel:DWORD
	v_lshl_add_u64 v[0:1], v[40:41], 0, s[30:31]
	v_or_b32_e32 v2, v3, v2
	;;#ASMSTART
	global_atomic_pk_add_f16 v[0:1], v2, off
	
	;;#ASMEND
	v_lshl_add_u64 v[0:1], v[40:41], 0, s[34:35]
	v_or_b32_e32 v2, v5, v4
	;;#ASMSTART
	global_atomic_pk_add_f16 v[0:1], v2, off
	
	;;#ASMEND
	s_and_b64 exec, exec, s[8:9]
	s_cbranch_execz .LBB299_45
; %bb.40:                               ;   in Loop: Header=BB299_7 Depth=1
	v_cndmask_b32_e32 v0, v58, v54, vcc
	v_cndmask_b32_e64 v1, v59, v54, s[6:7]
	v_cvt_f16_f32_e32 v14, v1
	v_cvt_f16_f32_sdwa v15, v0 dst_sel:WORD_1 dst_unused:UNUSED_PAD src0_sel:DWORD
	v_cndmask_b32_e32 v2, v55, v50, vcc
	v_cndmask_b32_e64 v3, v60, v50, s[6:7]
	v_cndmask_b32_e32 v4, v51, v46, vcc
	v_cndmask_b32_e64 v5, v61, v46, s[6:7]
	v_lshl_add_u64 v[0:1], s[28:29], 2, v[40:41]
	v_cvt_f16_f32_e32 v40, v3
	v_cvt_f16_f32_sdwa v41, v2 dst_sel:WORD_1 dst_unused:UNUSED_PAD src0_sel:DWORD
	v_cvt_f16_f32_e32 v5, v5
	v_cvt_f16_f32_sdwa v4, v4 dst_sel:WORD_1 dst_unused:UNUSED_PAD src0_sel:DWORD
	v_or_b32_e32 v2, v15, v14
	;;#ASMSTART
	global_atomic_pk_add_f16 v[0:1], v2, off
	
	;;#ASMEND
	v_lshl_add_u64 v[2:3], v[0:1], 0, 32
	v_cndmask_b32_e32 v12, v43, v69, vcc
	v_or_b32_e32 v14, v41, v40
	;;#ASMSTART
	global_atomic_pk_add_f16 v[2:3], v14, off
	
	;;#ASMEND
	v_lshl_add_u64 v[2:3], v[0:1], 0, 64
	v_or_b32_e32 v4, v4, v5
	;;#ASMSTART
	global_atomic_pk_add_f16 v[2:3], v4, off
	
	;;#ASMEND
	scratch_load_dword v43, off, off offset:64 ; 4-byte Folded Reload
	v_cndmask_b32_e32 v6, v47, v42, vcc
	v_cndmask_b32_e64 v7, v65, v42, s[6:7]
	v_cvt_f16_f32_e32 v7, v7
	v_cvt_f16_f32_sdwa v6, v6 dst_sel:WORD_1 dst_unused:UNUSED_PAD src0_sel:DWORD
	v_lshl_add_u64 v[2:3], v[0:1], 0, s[30:31]
	v_mov_b32_e32 v73, v72
	v_mov_b32_e32 v4, v72
	v_or_b32_e32 v14, v6, v7
	;;#ASMSTART
	global_atomic_pk_add_f16 v[2:3], v14, off
	
	;;#ASMEND
	scratch_load_dwordx4 v[28:31], off, off offset:16 ; 16-byte Folded Reload
	v_mov_b32_e32 v5, v72
	v_pk_mul_f32 v[6:7], v[72:73], v[36:37]
	v_pk_mul_f32 v[4:5], v[4:5], v[38:39]
	v_cndmask_b32_e64 v13, v63, v69, s[6:7]
	v_mov_b32_e32 v57, v56
	v_mov_b32_e32 v2, v56
	;; [unrolled: 1-line block ×3, first 2 shown]
	v_cmp_eq_u32_e64 s[12:13], 1, v77
	v_cmp_eq_u32_e64 s[14:15], 2, v77
	;; [unrolled: 1-line block ×3, first 2 shown]
	v_mov_b32_e32 v53, v52
	v_mov_b32_e32 v49, v48
	;; [unrolled: 1-line block ×3, first 2 shown]
	v_cvt_f16_f32_e32 v13, v13
	v_cvt_f16_f32_sdwa v12, v12 dst_sel:WORD_1 dst_unused:UNUSED_PAD src0_sel:DWORD
	v_lshl_add_u64 v[0:1], v[0:1], 0, s[34:35]
	s_waitcnt vmcnt(1)
	v_cmp_eq_u32_e64 s[8:9], 1, v43
	s_nop 1
	v_cndmask_b32_e64 v15, v6, v7, s[8:9]
	v_cmp_eq_u32_e32 vcc, 2, v43
	v_cmp_eq_u32_e64 s[6:7], 3, v43
	v_cmp_eq_u32_e64 s[10:11], 0, v43
	v_cndmask_b32_e32 v15, v15, v4, vcc
	v_cndmask_b32_e64 v15, v15, v5, s[6:7]
	ds_bpermute_b32 v15, v71, v15
	s_waitcnt vmcnt(0)
	v_pk_mul_f32 v[2:3], v[2:3], v[30:31]
	s_waitcnt lgkmcnt(0)
	v_cndmask_b32_e64 v36, v5, v15, s[6:7]
	v_cndmask_b32_e32 v37, v4, v15, vcc
	v_pk_mul_f32 v[4:5], v[56:57], v[28:29]
	v_cndmask_b32_e64 v38, v7, v15, s[8:9]
	v_cndmask_b32_e64 v7, v4, v5, s[8:9]
	v_cndmask_b32_e32 v7, v7, v2, vcc
	v_cndmask_b32_e64 v7, v7, v3, s[6:7]
	ds_bpermute_b32 v7, v71, v7
	v_cndmask_b32_e64 v39, v6, v15, s[10:11]
	v_cndmask_b32_e64 v6, v39, v38, s[12:13]
	;; [unrolled: 1-line block ×4, first 2 shown]
	ds_bpermute_b32 v32, v71, v6
	s_waitcnt lgkmcnt(1)
	v_cndmask_b32_e64 v33, v3, v7, s[6:7]
	v_cndmask_b32_e32 v34, v2, v7, vcc
	v_cndmask_b32_e64 v35, v5, v7, s[8:9]
	v_cndmask_b32_e64 v40, v4, v7, s[10:11]
	scratch_load_dwordx4 v[4:7], off, off   ; 16-byte Folded Reload
	v_mov_b32_e32 v2, v52
	v_mov_b32_e32 v3, v52
	s_waitcnt vmcnt(0)
	v_pk_mul_f32 v[4:5], v[52:53], v[4:5]
	v_pk_mul_f32 v[2:3], v[2:3], v[6:7]
	v_cndmask_b32_e64 v6, v4, v5, s[8:9]
	v_cndmask_b32_e32 v6, v6, v2, vcc
	v_cndmask_b32_e64 v6, v6, v3, s[6:7]
	ds_bpermute_b32 v6, v71, v6
	v_cndmask_b32_e64 v7, v40, v35, s[12:13]
	v_cndmask_b32_e64 v7, v7, v34, s[14:15]
	;; [unrolled: 1-line block ×3, first 2 shown]
	ds_bpermute_b32 v28, v71, v7
	s_waitcnt lgkmcnt(1)
	v_cndmask_b32_e64 v29, v3, v6, s[6:7]
	v_cndmask_b32_e32 v30, v2, v6, vcc
	v_cndmask_b32_e64 v41, v5, v6, s[8:9]
	v_cndmask_b32_e64 v42, v4, v6, s[10:11]
	v_mov_b32_e32 v2, v48
	v_mov_b32_e32 v3, v48
	v_pk_mul_f32 v[4:5], v[48:49], v[24:25]
	v_pk_mul_f32 v[2:3], v[2:3], v[26:27]
	v_cndmask_b32_e64 v6, v4, v5, s[8:9]
	v_cndmask_b32_e32 v6, v6, v2, vcc
	v_cndmask_b32_e64 v6, v6, v3, s[6:7]
	ds_bpermute_b32 v6, v71, v6
	v_cndmask_b32_e64 v7, v42, v41, s[12:13]
	v_cndmask_b32_e64 v7, v7, v30, s[14:15]
	;; [unrolled: 1-line block ×3, first 2 shown]
	ds_bpermute_b32 v24, v71, v7
	s_waitcnt lgkmcnt(1)
	v_cndmask_b32_e64 v25, v3, v6, s[6:7]
	v_cndmask_b32_e32 v26, v2, v6, vcc
	v_cndmask_b32_e64 v46, v5, v6, s[8:9]
	v_cndmask_b32_e64 v47, v4, v6, s[10:11]
	v_mov_b32_e32 v2, v44
	v_mov_b32_e32 v3, v44
	v_pk_mul_f32 v[4:5], v[44:45], v[20:21]
	v_pk_mul_f32 v[2:3], v[2:3], v[22:23]
	v_cndmask_b32_e64 v6, v4, v5, s[8:9]
	v_cndmask_b32_e32 v6, v6, v2, vcc
	v_cndmask_b32_e64 v6, v6, v3, s[6:7]
	ds_bpermute_b32 v6, v71, v6
	v_cndmask_b32_e64 v7, v47, v46, s[12:13]
	v_cndmask_b32_e64 v7, v7, v26, s[14:15]
	;; [unrolled: 1-line block ×3, first 2 shown]
	ds_bpermute_b32 v22, v71, v7
	s_waitcnt lgkmcnt(1)
	v_cndmask_b32_e32 v27, v2, v6, vcc
	v_cmp_ne_u32_e32 vcc, 0, v43
	v_cndmask_b32_e64 v21, v4, v6, s[10:11]
	v_cndmask_b32_e64 v23, v3, v6, s[6:7]
	v_cndmask_b32_e32 v20, v5, v6, vcc
	v_cndmask_b32_e64 v2, v21, v20, s[12:13]
	v_cndmask_b32_e64 v2, v2, v27, s[14:15]
	v_cndmask_b32_e64 v2, v2, v23, s[16:17]
	ds_bpermute_b32 v31, v71, v2
	v_or_b32_e32 v2, v12, v13
	;;#ASMSTART
	global_atomic_pk_add_f16 v[0:1], v2, off
	
	;;#ASMEND
	scratch_load_dword v0, off, off offset:68 ; 4-byte Folded Reload
	s_waitcnt vmcnt(0)
	v_or_b32_e32 v0, 16, v0
	v_add_u32_e32 v43, s71, v0
	v_cmp_gt_u32_e32 vcc, 48, v43
	s_and_b64 exec, exec, vcc
	s_cbranch_execz .LBB299_45
; %bb.41:                               ;   in Loop: Header=BB299_7 Depth=1
	scratch_load_dwordx2 v[14:15], off, off offset:116 ; 8-byte Folded Reload
	v_cmp_eq_u32_e64 s[8:9], 1, v77
	v_cmp_eq_u32_e64 s[10:11], 0, v77
	v_cmp_eq_u32_e32 vcc, 3, v77
	v_cndmask_b32_e64 v0, v38, v32, s[8:9]
	v_cndmask_b32_e64 v1, v39, v32, s[10:11]
	;; [unrolled: 1-line block ×6, first 2 shown]
	v_cvt_f16_f32_e32 v1, v1
	v_cvt_f16_f32_sdwa v0, v0 dst_sel:WORD_1 dst_unused:UNUSED_PAD src0_sel:DWORD
	v_cvt_f16_f32_e32 v3, v3
	v_cvt_f16_f32_sdwa v2, v2 dst_sel:WORD_1 dst_unused:UNUSED_PAD src0_sel:DWORD
	;; [unrolled: 2-line block ×3, first 2 shown]
	s_waitcnt lgkmcnt(0)
	v_cndmask_b32_e64 v12, v20, v31, s[8:9]
	v_cndmask_b32_e64 v13, v21, v31, s[10:11]
	v_or_b32_e32 v0, v0, v1
	v_or_b32_e32 v2, v2, v3
	v_cndmask_b32_e64 v6, v46, v22, s[8:9]
	v_cndmask_b32_e64 v7, v47, v22, s[10:11]
	v_cvt_f16_f32_sdwa v3, v6 dst_sel:WORD_1 dst_unused:UNUSED_PAD src0_sel:DWORD
	v_cmp_eq_u32_e64 s[6:7], 2, v77
	v_cmp_gt_u32_e64 s[8:9], 46, v43
	s_waitcnt vmcnt(0)
	v_lshl_add_u64 v[20:21], v[14:15], 1, s[52:53]
	;;#ASMSTART
	global_atomic_pk_add_f16 v[20:21], v0, off
	
	;;#ASMEND
	v_lshl_add_u64 v[0:1], v[20:21], 0, 32
	;;#ASMSTART
	global_atomic_pk_add_f16 v[0:1], v2, off
	
	;;#ASMEND
	v_or_b32_e32 v2, v4, v5
	v_lshl_add_u64 v[0:1], v[20:21], 0, 64
	;;#ASMSTART
	global_atomic_pk_add_f16 v[0:1], v2, off
	
	;;#ASMEND
	v_cvt_f16_f32_e32 v2, v7
	v_cvt_f16_f32_e32 v4, v13
	v_cvt_f16_f32_sdwa v5, v12 dst_sel:WORD_1 dst_unused:UNUSED_PAD src0_sel:DWORD
	v_lshl_add_u64 v[0:1], v[20:21], 0, s[30:31]
	v_or_b32_e32 v2, v3, v2
	;;#ASMSTART
	global_atomic_pk_add_f16 v[0:1], v2, off
	
	;;#ASMEND
	v_lshl_add_u64 v[0:1], v[20:21], 0, s[34:35]
	v_or_b32_e32 v2, v5, v4
	;;#ASMSTART
	global_atomic_pk_add_f16 v[0:1], v2, off
	
	;;#ASMEND
	s_and_b64 exec, exec, s[8:9]
	s_cbranch_execz .LBB299_45
; %bb.42:                               ;   in Loop: Header=BB299_7 Depth=1
	v_cndmask_b32_e32 v0, v36, v32, vcc
	v_cndmask_b32_e64 v1, v37, v32, s[6:7]
	v_cvt_f16_f32_e32 v14, v1
	v_cvt_f16_f32_sdwa v15, v0 dst_sel:WORD_1 dst_unused:UNUSED_PAD src0_sel:DWORD
	v_cndmask_b32_e32 v2, v33, v28, vcc
	v_cndmask_b32_e64 v3, v34, v28, s[6:7]
	v_cndmask_b32_e32 v4, v29, v24, vcc
	v_cndmask_b32_e64 v5, v30, v24, s[6:7]
	v_lshl_add_u64 v[0:1], s[28:29], 2, v[20:21]
	v_cvt_f16_f32_e32 v20, v3
	v_cvt_f16_f32_sdwa v21, v2 dst_sel:WORD_1 dst_unused:UNUSED_PAD src0_sel:DWORD
	v_cvt_f16_f32_e32 v5, v5
	v_cvt_f16_f32_sdwa v4, v4 dst_sel:WORD_1 dst_unused:UNUSED_PAD src0_sel:DWORD
	v_or_b32_e32 v2, v15, v14
	;;#ASMSTART
	global_atomic_pk_add_f16 v[0:1], v2, off
	
	;;#ASMEND
	v_lshl_add_u64 v[2:3], v[0:1], 0, 32
	v_cndmask_b32_e32 v12, v23, v31, vcc
	v_cndmask_b32_e64 v13, v27, v31, s[6:7]
	v_or_b32_e32 v14, v21, v20
	;;#ASMSTART
	global_atomic_pk_add_f16 v[2:3], v14, off
	
	;;#ASMEND
	v_lshl_add_u64 v[2:3], v[0:1], 0, 64
	v_or_b32_e32 v4, v4, v5
	;;#ASMSTART
	global_atomic_pk_add_f16 v[2:3], v4, off
	
	;;#ASMEND
	scratch_load_dword v31, off, off offset:64 ; 4-byte Folded Reload
	v_cndmask_b32_e32 v6, v25, v22, vcc
	v_cndmask_b32_e64 v7, v26, v22, s[6:7]
	v_cvt_f16_f32_e32 v7, v7
	v_cvt_f16_f32_sdwa v6, v6 dst_sel:WORD_1 dst_unused:UNUSED_PAD src0_sel:DWORD
	v_mov_b32_e32 v4, v72
	v_mov_b32_e32 v5, v72
	v_pk_mul_f32 v[4:5], v[4:5], v[18:19]
	v_or_b32_e32 v14, v6, v7
	v_pk_mul_f32 v[6:7], v[72:73], v[16:17]
	v_lshl_add_u64 v[2:3], v[0:1], 0, s[30:31]
	;;#ASMSTART
	global_atomic_pk_add_f16 v[2:3], v14, off
	
	;;#ASMEND
	v_lshl_add_u64 v[26:27], v[0:1], 0, s[34:35]
	v_mov_b32_e32 v0, v56
	v_mov_b32_e32 v1, v56
	v_pk_mul_f32 v[2:3], v[56:57], v[78:79]
	v_pk_mul_f32 v[0:1], v[0:1], v[80:81]
	v_cmp_eq_u32_e64 s[12:13], 1, v77
	v_cmp_eq_u32_e64 s[14:15], 2, v77
	;; [unrolled: 1-line block ×3, first 2 shown]
	v_cvt_f16_f32_e32 v23, v13
	v_cvt_f16_f32_sdwa v30, v12 dst_sel:WORD_1 dst_unused:UNUSED_PAD src0_sel:DWORD
	v_pk_mul_f32 v[24:25], v[48:49], v[120:121]
	v_or_b32_e32 v23, v30, v23
	s_waitcnt vmcnt(0)
	v_cmp_eq_u32_e64 s[8:9], 1, v31
	s_nop 1
	v_cndmask_b32_e64 v15, v6, v7, s[8:9]
	v_cmp_eq_u32_e32 vcc, 2, v31
	v_cmp_eq_u32_e64 s[6:7], 3, v31
	v_cmp_eq_u32_e64 s[10:11], 0, v31
	v_cndmask_b32_e32 v15, v15, v4, vcc
	v_cndmask_b32_e64 v15, v15, v5, s[6:7]
	ds_bpermute_b32 v15, v71, v15
	s_waitcnt lgkmcnt(0)
	v_cndmask_b32_e64 v16, v5, v15, s[6:7]
	v_cndmask_b32_e64 v5, v2, v3, s[8:9]
	v_cndmask_b32_e32 v5, v5, v0, vcc
	v_cndmask_b32_e64 v5, v5, v1, s[6:7]
	ds_bpermute_b32 v5, v71, v5
	v_cndmask_b32_e64 v18, v7, v15, s[8:9]
	v_cndmask_b32_e64 v19, v6, v15, s[10:11]
	v_cndmask_b32_e32 v17, v4, v15, vcc
	v_cndmask_b32_e64 v4, v19, v18, s[12:13]
	v_cndmask_b32_e64 v4, v4, v17, s[14:15]
	;; [unrolled: 1-line block ×3, first 2 shown]
	ds_bpermute_b32 v12, v71, v4
	s_waitcnt lgkmcnt(1)
	v_cndmask_b32_e64 v13, v1, v5, s[6:7]
	v_cndmask_b32_e32 v14, v0, v5, vcc
	v_cndmask_b32_e64 v15, v3, v5, s[8:9]
	v_cndmask_b32_e64 v20, v2, v5, s[10:11]
	scratch_load_dwordx4 v[2:5], off, off offset:32 ; 16-byte Folded Reload
	;;#ASMSTART
	global_atomic_pk_add_f16 v[26:27], v23, off
	
	;;#ASMEND
	scratch_load_dword v23, off, off offset:68 ; 4-byte Folded Reload
	v_mov_b32_e32 v0, v52
	v_mov_b32_e32 v1, v52
	s_waitcnt vmcnt(1)
	v_pk_mul_f32 v[2:3], v[52:53], v[2:3]
	v_pk_mul_f32 v[0:1], v[0:1], v[4:5]
	v_cndmask_b32_e64 v4, v2, v3, s[8:9]
	v_cndmask_b32_e32 v4, v4, v0, vcc
	v_cndmask_b32_e64 v4, v4, v1, s[6:7]
	ds_bpermute_b32 v7, v71, v4
	v_cndmask_b32_e64 v4, v20, v15, s[12:13]
	v_cndmask_b32_e64 v4, v4, v14, s[14:15]
	;; [unrolled: 1-line block ×3, first 2 shown]
	ds_bpermute_b32 v4, v71, v4
	s_waitcnt lgkmcnt(1)
	v_cndmask_b32_e64 v5, v1, v7, s[6:7]
	v_cndmask_b32_e32 v6, v0, v7, vcc
	v_mov_b32_e32 v0, v48
	v_mov_b32_e32 v1, v48
	v_cndmask_b32_e64 v22, v2, v7, s[10:11]
	v_pk_mul_f32 v[0:1], v[0:1], v[122:123]
	v_cndmask_b32_e64 v2, v24, v25, s[8:9]
	v_cndmask_b32_e32 v2, v2, v0, vcc
	v_cndmask_b32_e64 v2, v2, v1, s[6:7]
	ds_bpermute_b32 v28, v71, v2
	v_cndmask_b32_e64 v21, v3, v7, s[8:9]
	v_cndmask_b32_e64 v2, v22, v21, s[12:13]
	;; [unrolled: 1-line block ×4, first 2 shown]
	s_waitcnt lgkmcnt(0)
	v_cndmask_b32_e64 v3, v1, v28, s[6:7]
	v_cndmask_b32_e32 v7, v0, v28, vcc
	v_cndmask_b32_e64 v0, v25, v28, s[8:9]
	v_cndmask_b32_e64 v1, v24, v28, s[10:11]
	v_mov_b32_e32 v24, v44
	v_mov_b32_e32 v25, v44
	v_pk_mul_f32 v[28:29], v[44:45], v[8:9]
	v_pk_mul_f32 v[24:25], v[24:25], v[10:11]
	v_cndmask_b32_e64 v8, v28, v29, s[8:9]
	v_cndmask_b32_e32 v8, v8, v24, vcc
	v_cndmask_b32_e64 v8, v8, v25, s[6:7]
	ds_bpermute_b32 v11, v71, v8
	v_cndmask_b32_e64 v8, v1, v0, s[12:13]
	v_cndmask_b32_e64 v8, v8, v7, s[14:15]
	;; [unrolled: 1-line block ×3, first 2 shown]
	ds_bpermute_b32 v10, v71, v8
	s_waitcnt lgkmcnt(1)
	v_cndmask_b32_e32 v9, v24, v11, vcc
	v_cmp_ne_u32_e32 vcc, 0, v31
	v_cndmask_b32_e64 v8, v25, v11, s[6:7]
	v_cndmask_b32_e64 v25, v28, v11, s[10:11]
	v_cndmask_b32_e32 v24, v29, v11, vcc
	v_cndmask_b32_e64 v11, v25, v24, s[12:13]
	v_cndmask_b32_e64 v11, v11, v9, s[14:15]
	;; [unrolled: 1-line block ×3, first 2 shown]
	ds_bpermute_b32 v2, v71, v2
	ds_bpermute_b32 v11, v71, v11
	s_waitcnt vmcnt(0)
	v_or_b32_e32 v23, 32, v23
	v_add_u32_e32 v23, s71, v23
	v_cmp_gt_u32_e32 vcc, 48, v23
	s_and_b64 exec, exec, vcc
	s_cbranch_execz .LBB299_45
; %bb.43:                               ;   in Loop: Header=BB299_7 Depth=1
	v_cmp_eq_u32_e64 s[8:9], 1, v77
	v_cmp_eq_u32_e64 s[10:11], 0, v77
	v_cmp_eq_u32_e32 vcc, 3, v77
	s_waitcnt lgkmcnt(2)
	v_cndmask_b32_e64 v26, v0, v10, s[8:9]
	v_cndmask_b32_e64 v27, v1, v10, s[10:11]
	scratch_load_dwordx2 v[0:1], off, off offset:124 ; 8-byte Folded Reload
	v_cndmask_b32_e64 v18, v18, v12, s[8:9]
	v_cndmask_b32_e64 v19, v19, v12, s[10:11]
	;; [unrolled: 1-line block ×4, first 2 shown]
	s_waitcnt lgkmcnt(1)
	v_cndmask_b32_e64 v21, v21, v2, s[8:9]
	v_cndmask_b32_e64 v22, v22, v2, s[10:11]
	v_cvt_f16_f32_e32 v19, v19
	v_cvt_f16_f32_sdwa v18, v18 dst_sel:WORD_1 dst_unused:UNUSED_PAD src0_sel:DWORD
	v_cvt_f16_f32_e32 v20, v20
	v_cvt_f16_f32_sdwa v15, v15 dst_sel:WORD_1 dst_unused:UNUSED_PAD src0_sel:DWORD
	;; [unrolled: 2-line block ×3, first 2 shown]
	v_or_b32_e32 v18, v18, v19
	v_or_b32_e32 v15, v15, v20
	s_waitcnt lgkmcnt(0)
	v_cndmask_b32_e64 v24, v24, v11, s[8:9]
	v_cndmask_b32_e64 v25, v25, v11, s[10:11]
	v_cvt_f16_f32_sdwa v20, v26 dst_sel:WORD_1 dst_unused:UNUSED_PAD src0_sel:DWORD
	v_cmp_eq_u32_e64 s[6:7], 2, v77
	v_cmp_gt_u32_e64 s[8:9], 46, v23
	s_waitcnt vmcnt(0)
	v_lshl_add_u64 v[0:1], v[0:1], 1, s[52:53]
	;;#ASMSTART
	global_atomic_pk_add_f16 v[0:1], v18, off
	
	;;#ASMEND
	v_lshl_add_u64 v[18:19], v[0:1], 0, 32
	;;#ASMSTART
	global_atomic_pk_add_f16 v[18:19], v15, off
	
	;;#ASMEND
	v_or_b32_e32 v15, v21, v22
	v_lshl_add_u64 v[18:19], v[0:1], 0, 64
	;;#ASMSTART
	global_atomic_pk_add_f16 v[18:19], v15, off
	
	;;#ASMEND
	v_cvt_f16_f32_e32 v15, v27
	v_cvt_f16_f32_e32 v21, v25
	v_cvt_f16_f32_sdwa v22, v24 dst_sel:WORD_1 dst_unused:UNUSED_PAD src0_sel:DWORD
	v_lshl_add_u64 v[18:19], v[0:1], 0, s[30:31]
	v_or_b32_e32 v15, v20, v15
	;;#ASMSTART
	global_atomic_pk_add_f16 v[18:19], v15, off
	
	;;#ASMEND
	v_lshl_add_u64 v[18:19], v[0:1], 0, s[34:35]
	v_or_b32_e32 v15, v22, v21
	;;#ASMSTART
	global_atomic_pk_add_f16 v[18:19], v15, off
	
	;;#ASMEND
	s_and_b64 exec, exec, s[8:9]
	s_cbranch_execz .LBB299_45
; %bb.44:                               ;   in Loop: Header=BB299_7 Depth=1
	v_cndmask_b32_e32 v15, v16, v12, vcc
	v_cndmask_b32_e64 v12, v17, v12, s[6:7]
	v_cndmask_b32_e32 v13, v13, v4, vcc
	v_cndmask_b32_e64 v4, v14, v4, s[6:7]
	v_cndmask_b32_e32 v5, v5, v2, vcc
	v_cndmask_b32_e64 v6, v6, v2, s[6:7]
	v_cndmask_b32_e32 v14, v3, v10, vcc
	v_cndmask_b32_e64 v7, v7, v10, s[6:7]
	v_cvt_f16_f32_e32 v2, v12
	v_cvt_f16_f32_sdwa v3, v15 dst_sel:WORD_1 dst_unused:UNUSED_PAD src0_sel:DWORD
	v_cvt_f16_f32_e32 v4, v4
	v_cvt_f16_f32_sdwa v10, v13 dst_sel:WORD_1 dst_unused:UNUSED_PAD src0_sel:DWORD
	;; [unrolled: 2-line block ×3, first 2 shown]
	v_lshl_add_u64 v[0:1], s[28:29], 2, v[0:1]
	v_or_b32_e32 v2, v3, v2
	v_or_b32_e32 v4, v10, v4
	v_cndmask_b32_e32 v8, v8, v11, vcc
	v_cndmask_b32_e64 v9, v9, v11, s[6:7]
	;;#ASMSTART
	global_atomic_pk_add_f16 v[0:1], v2, off
	
	;;#ASMEND
	v_lshl_add_u64 v[2:3], v[0:1], 0, 32
	;;#ASMSTART
	global_atomic_pk_add_f16 v[2:3], v4, off
	
	;;#ASMEND
	v_or_b32_e32 v4, v5, v6
	v_lshl_add_u64 v[2:3], v[0:1], 0, 64
	;;#ASMSTART
	global_atomic_pk_add_f16 v[2:3], v4, off
	
	;;#ASMEND
	v_cvt_f16_f32_e32 v4, v7
	v_cvt_f16_f32_sdwa v5, v14 dst_sel:WORD_1 dst_unused:UNUSED_PAD src0_sel:DWORD
	v_cvt_f16_f32_e32 v6, v9
	v_cvt_f16_f32_sdwa v7, v8 dst_sel:WORD_1 dst_unused:UNUSED_PAD src0_sel:DWORD
	v_lshl_add_u64 v[2:3], v[0:1], 0, s[30:31]
	v_or_b32_e32 v4, v5, v4
	;;#ASMSTART
	global_atomic_pk_add_f16 v[2:3], v4, off
	
	;;#ASMEND
	v_lshl_add_u64 v[0:1], v[0:1], 0, s[34:35]
	v_or_b32_e32 v2, v7, v6
	;;#ASMSTART
	global_atomic_pk_add_f16 v[0:1], v2, off
	
	;;#ASMEND
.LBB299_45:                             ;   in Loop: Header=BB299_7 Depth=1
	s_or_b64 exec, exec, s[18:19]
	s_waitcnt lgkmcnt(1)
	scratch_load_dword v22, off, off offset:72 ; 4-byte Folded Reload
	scratch_load_dwordx2 v[24:25], off, off offset:84 ; 8-byte Folded Reload
	scratch_load_dword v23, off, off offset:92 ; 4-byte Folded Reload
	v_subrev_u32_e32 v62, s72, v62
	v_mov_b32_e32 v61, v77
.LBB299_46:                             ;   in Loop: Header=BB299_7 Depth=1
	s_or_b64 exec, exec, s[50:51]
.LBB299_47:                             ;   in Loop: Header=BB299_7 Depth=1
	s_andn2_saveexec_b64 s[6:7], s[48:49]
	s_cbranch_execz .LBB299_56
; %bb.48:                               ;   in Loop: Header=BB299_7 Depth=1
	s_mul_i32 s16, s72, 5
	v_cmp_gt_i32_e32 vcc, s16, v62
	s_and_saveexec_b64 s[8:9], vcc
	s_cbranch_execz .LBB299_55
; %bb.49:                               ;   in Loop: Header=BB299_7 Depth=1
	scratch_load_dwordx2 v[0:1], off, off offset:96 ; 8-byte Folded Reload
	s_mul_i32 s10, s46, s23
	s_ashr_i32 s11, s10, 31
	s_waitcnt lgkmcnt(0)
	s_add_u32 s10, s38, s10
	s_addc_u32 s11, s39, s11
	s_ashr_i32 s12, s70, 31
	s_add_u32 s10, s10, s70
	s_addc_u32 s11, s11, s12
	s_waitcnt vmcnt(0)
	v_lshl_add_u64 v[0:1], s[10:11], 0, v[0:1]
	v_lshl_add_u64 v[16:17], v[0:1], 0, v[24:25]
	s_mov_b64 s[10:11], 0
	s_branch .LBB299_51
.LBB299_50:                             ;   in Loop: Header=BB299_51 Depth=2
	s_or_b64 exec, exec, s[12:13]
	v_lshl_or_b32 v20, v18, 12, v70
	;;#ASMSTART
	s_waitcnt vmcnt(3)
	;;#ASMEND
	ds_write2_b32 v20, v12, v13 offset1:32
	ds_write2_b32 v20, v14, v15 offset0:64 offset1:96
	v_add_u32_e32 v12, 0x400, v20
	;;#ASMSTART
	s_waitcnt vmcnt(2)
	;;#ASMEND
	ds_write2_b32 v12, v8, v9 offset1:32
	ds_write2_b32 v12, v10, v11 offset0:64 offset1:96
	v_add_u32_e32 v8, 0x800, v20
	;;#ASMSTART
	s_waitcnt vmcnt(1)
	;;#ASMEND
	ds_write2_b32 v8, v4, v5 offset1:32
	ds_write2_b32 v8, v6, v7 offset0:64 offset1:96
	v_add_u32_e32 v4, 0xc00, v20
	v_add_u32_e32 v62, s26, v62
	;;#ASMSTART
	s_waitcnt vmcnt(0)
	;;#ASMEND
	ds_write2_b32 v4, v0, v1 offset1:32
	ds_write2_b32 v4, v2, v3 offset0:64 offset1:96
	v_add_u32_e32 v0, 1, v66
	v_add_u32_e32 v74, s26, v18
	v_cmp_le_i32_e32 vcc, s16, v62
	ds_write_b32 v19, v0 offset:12
	v_add_u32_e32 v0, 2, v66
	s_or_b64 s[10:11], vcc, s[10:11]
	v_cmp_lt_i32_e32 vcc, 4, v74
	s_nop 1
	v_cndmask_b32_e32 v66, v66, v0, vcc
	s_andn2_b64 exec, exec, s[10:11]
	s_cbranch_execz .LBB299_54
.LBB299_51:                             ;   Parent Loop BB299_7 Depth=1
                                        ; =>  This Loop Header: Depth=2
                                        ;       Child Loop BB299_53 Depth 3
	v_cmp_gt_i32_e32 vcc, 5, v74
	s_nop 1
	v_cndmask_b32_e64 v0, -5, 0, vcc
	v_add_u32_e32 v18, v0, v74
	v_mul_hi_i32 v0, v62, s56
	v_lshrrev_b32_e32 v1, 31, v0
	v_ashrrev_i32_e32 v0, 1, v0
	v_add_u32_e32 v0, v0, v1
	v_lshl_add_u32 v1, v0, 2, v0
	v_sub_u32_e32 v2, v62, v1
	v_lshlrev_b32_e32 v0, 8, v0
	v_ashrrev_i32_e32 v1, 31, v0
	v_mul_lo_u32 v2, s61, v2
	v_lshl_add_u64 v[0:1], v[16:17], 0, v[0:1]
	v_ashrrev_i32_e32 v3, 31, v2
	v_lshl_add_u64 v[0:1], v[0:1], 0, v[2:3]
	v_lshlrev_b32_e32 v19, 2, v18
	;;#ASMSTART
	global_load_dwordx4 v[12:15], v[0:1], off offset:0    sc0 sc1 nt  
	global_load_dwordx4 v[8:11], v[0:1], off offset:64   sc0 sc1 nt  
	global_load_dwordx4 v[4:7], v[0:1], off offset:128  sc0 sc1 nt  
	global_load_dwordx4 v[0:3], v[0:1], off offset:192  sc0 sc1 nt  
	
	;;#ASMEND
	ds_read_b32 v20, v19 offset:32780
	v_add_u32_e32 v19, 0x8000, v19
	s_waitcnt lgkmcnt(0)
	v_cmp_ne_u32_e32 vcc, v20, v66
	s_and_saveexec_b64 s[12:13], vcc
	s_cbranch_execz .LBB299_50
; %bb.52:                               ;   in Loop: Header=BB299_51 Depth=2
	s_mov_b64 s[14:15], 0
.LBB299_53:                             ;   Parent Loop BB299_7 Depth=1
                                        ;     Parent Loop BB299_51 Depth=2
                                        ; =>    This Inner Loop Header: Depth=3
	;;#ASMSTART
	s_sleep 0
	;;#ASMEND
	ds_read_b32 v20, v19 offset:12
	s_waitcnt lgkmcnt(0)
	v_cmp_eq_u32_e32 vcc, v20, v66
	s_or_b64 s[14:15], vcc, s[14:15]
	s_andn2_b64 exec, exec, s[14:15]
	s_cbranch_execnz .LBB299_53
	s_branch .LBB299_50
.LBB299_54:                             ;   in Loop: Header=BB299_7 Depth=1
	s_or_b64 exec, exec, s[10:11]
.LBB299_55:                             ;   in Loop: Header=BB299_7 Depth=1
	s_or_b64 exec, exec, s[8:9]
	v_subrev_u32_e32 v62, s16, v62
.LBB299_56:                             ;   in Loop: Header=BB299_7 Depth=1
	s_or_b64 exec, exec, s[6:7]
.LBB299_57:                             ;   in Loop: Header=BB299_7 Depth=1
	s_andn2_saveexec_b64 s[6:7], s[44:45]
	s_cbranch_execz .LBB299_6
; %bb.58:                               ;   in Loop: Header=BB299_7 Depth=1
	s_mul_i32 s72, s72, 3
	v_cmp_gt_i32_e32 vcc, s72, v62
	s_and_saveexec_b64 s[8:9], vcc
	s_cbranch_execz .LBB299_5
; %bb.59:                               ;   in Loop: Header=BB299_7 Depth=1
	s_mul_i32 s69, s69, s22
	s_ashr_i32 s10, s69, 31
	s_waitcnt lgkmcnt(0)
	s_add_u32 s11, s36, s69
	s_waitcnt vmcnt(0)
	v_add_u32_e32 v2, s71, v23
	s_addc_u32 s12, s37, s10
	s_ashr_i32 s13, s70, 31
	v_mul_lo_u32 v0, s22, v23
	v_cmp_gt_u32_e32 vcc, 48, v2
	s_add_u32 s10, s11, s70
	s_addc_u32 s11, s12, s13
	v_cndmask_b32_e32 v0, 0, v0, vcc
	v_ashrrev_i32_e32 v1, 31, v0
	v_lshl_add_u64 v[0:1], s[10:11], 0, v[0:1]
	v_lshl_add_u64 v[16:17], v[0:1], 0, v[24:25]
	v_sub_u32_e32 v18, 47, v2
	s_mov_b64 s[10:11], 0
	s_branch .LBB299_61
.LBB299_60:                             ;   in Loop: Header=BB299_61 Depth=2
	s_or_b64 exec, exec, s[12:13]
	v_or_b32_e32 v21, 0x5000, v70
	v_lshl_add_u32 v21, v19, 12, v21
	;;#ASMSTART
	s_waitcnt vmcnt(3)
	;;#ASMEND
	ds_write2_b32 v21, v12, v13 offset1:32
	ds_write2_b32 v21, v14, v15 offset0:64 offset1:96
	v_add_u32_e32 v12, 0x400, v21
	;;#ASMSTART
	s_waitcnt vmcnt(2)
	;;#ASMEND
	ds_write2_b32 v12, v8, v9 offset1:32
	ds_write2_b32 v12, v10, v11 offset0:64 offset1:96
	v_add_u32_e32 v8, 0x800, v21
	;; [unrolled: 6-line block ×3, first 2 shown]
	v_add_u32_e32 v62, s25, v62
	;;#ASMSTART
	s_waitcnt vmcnt(0)
	;;#ASMEND
	ds_write2_b32 v4, v0, v1 offset1:32
	ds_write2_b32 v4, v2, v3 offset0:64 offset1:96
	v_add_u32_e32 v0, 1, v66
	v_add_u32_e32 v74, s25, v19
	v_cmp_le_i32_e32 vcc, s72, v62
	ds_write_b32 v20, v0
	v_add_u32_e32 v0, 2, v66
	s_or_b64 s[10:11], vcc, s[10:11]
	v_cmp_lt_i32_e32 vcc, 2, v74
	s_nop 1
	v_cndmask_b32_e32 v66, v66, v0, vcc
	s_andn2_b64 exec, exec, s[10:11]
	s_cbranch_execz .LBB299_4
.LBB299_61:                             ;   Parent Loop BB299_7 Depth=1
                                        ; =>  This Loop Header: Depth=2
                                        ;       Child Loop BB299_63 Depth 3
	v_cmp_gt_i32_e32 vcc, 3, v74
	s_nop 1
	v_cndmask_b32_e64 v0, -3, 0, vcc
	v_add_u32_e32 v19, v0, v74
	v_mul_hi_i32 v0, v62, s68
	v_lshrrev_b32_e32 v1, 31, v0
	v_add_u32_e32 v0, v0, v1
	v_lshl_add_u32 v1, v0, 1, v0
	v_sub_u32_e32 v1, v62, v1
	v_lshlrev_b32_e32 v1, 4, v1
	v_cmp_le_i32_e32 vcc, v1, v18
	v_lshlrev_b32_e32 v0, 8, v0
	v_lshlrev_b32_e32 v20, 2, v19
	v_cndmask_b32_e32 v2, 0, v1, vcc
	v_ashrrev_i32_e32 v1, 31, v0
	v_mul_lo_u32 v2, v2, s22
	v_lshl_add_u64 v[0:1], v[16:17], 0, v[0:1]
	v_ashrrev_i32_e32 v3, 31, v2
	v_lshl_add_u64 v[0:1], v[0:1], 0, v[2:3]
	;;#ASMSTART
	global_load_dwordx4 v[12:15], v[0:1], off offset:0    
	global_load_dwordx4 v[8:11], v[0:1], off offset:64   
	;; [unrolled: 1-line block ×4, first 2 shown]
	
	;;#ASMEND
	ds_read_b32 v21, v20 offset:32768
	v_add_u32_e32 v20, 0x8000, v20
	s_waitcnt lgkmcnt(0)
	v_cmp_ne_u32_e32 vcc, v21, v66
	s_and_saveexec_b64 s[12:13], vcc
	s_cbranch_execz .LBB299_60
; %bb.62:                               ;   in Loop: Header=BB299_61 Depth=2
	s_mov_b64 s[14:15], 0
.LBB299_63:                             ;   Parent Loop BB299_7 Depth=1
                                        ;     Parent Loop BB299_61 Depth=2
                                        ; =>    This Inner Loop Header: Depth=3
	;;#ASMSTART
	s_sleep 0
	;;#ASMEND
	ds_read_b32 v21, v20
	s_waitcnt lgkmcnt(0)
	v_cmp_eq_u32_e32 vcc, v21, v66
	s_or_b64 s[14:15], vcc, s[14:15]
	s_andn2_b64 exec, exec, s[14:15]
	s_cbranch_execnz .LBB299_63
	s_branch .LBB299_60
.LBB299_64:
	s_endpgm
	.section	.rodata,"a",@progbits
	.p2align	6, 0x0
	.amdhsa_kernel _Z19_skinny_gemm_kernelILi3ELi5ELi1ELi16ELi8EEvPKhS1_P6__halfPKfiiiiiiii
		.amdhsa_group_segment_fixed_size 32800
		.amdhsa_private_segment_fixed_size 136
		.amdhsa_kernarg_size 64
		.amdhsa_user_sgpr_count 2
		.amdhsa_user_sgpr_dispatch_ptr 0
		.amdhsa_user_sgpr_queue_ptr 0
		.amdhsa_user_sgpr_kernarg_segment_ptr 1
		.amdhsa_user_sgpr_dispatch_id 0
		.amdhsa_user_sgpr_kernarg_preload_length 0
		.amdhsa_user_sgpr_kernarg_preload_offset 0
		.amdhsa_user_sgpr_private_segment_size 0
		.amdhsa_uses_dynamic_stack 0
		.amdhsa_enable_private_segment 1
		.amdhsa_system_sgpr_workgroup_id_x 1
		.amdhsa_system_sgpr_workgroup_id_y 0
		.amdhsa_system_sgpr_workgroup_id_z 0
		.amdhsa_system_sgpr_workgroup_info 0
		.amdhsa_system_vgpr_workitem_id 0
		.amdhsa_next_free_vgpr 128
		.amdhsa_next_free_sgpr 73
		.amdhsa_accum_offset 128
		.amdhsa_reserve_vcc 1
		.amdhsa_float_round_mode_32 0
		.amdhsa_float_round_mode_16_64 0
		.amdhsa_float_denorm_mode_32 3
		.amdhsa_float_denorm_mode_16_64 3
		.amdhsa_dx10_clamp 1
		.amdhsa_ieee_mode 1
		.amdhsa_fp16_overflow 0
		.amdhsa_tg_split 0
		.amdhsa_exception_fp_ieee_invalid_op 0
		.amdhsa_exception_fp_denorm_src 0
		.amdhsa_exception_fp_ieee_div_zero 0
		.amdhsa_exception_fp_ieee_overflow 0
		.amdhsa_exception_fp_ieee_underflow 0
		.amdhsa_exception_fp_ieee_inexact 0
		.amdhsa_exception_int_div_zero 0
	.end_amdhsa_kernel
	.section	.text._Z19_skinny_gemm_kernelILi3ELi5ELi1ELi16ELi8EEvPKhS1_P6__halfPKfiiiiiiii,"axG",@progbits,_Z19_skinny_gemm_kernelILi3ELi5ELi1ELi16ELi8EEvPKhS1_P6__halfPKfiiiiiiii,comdat
.Lfunc_end299:
	.size	_Z19_skinny_gemm_kernelILi3ELi5ELi1ELi16ELi8EEvPKhS1_P6__halfPKfiiiiiiii, .Lfunc_end299-_Z19_skinny_gemm_kernelILi3ELi5ELi1ELi16ELi8EEvPKhS1_P6__halfPKfiiiiiiii
                                        ; -- End function
	.set _Z19_skinny_gemm_kernelILi3ELi5ELi1ELi16ELi8EEvPKhS1_P6__halfPKfiiiiiiii.num_vgpr, 128
	.set _Z19_skinny_gemm_kernelILi3ELi5ELi1ELi16ELi8EEvPKhS1_P6__halfPKfiiiiiiii.num_agpr, 0
	.set _Z19_skinny_gemm_kernelILi3ELi5ELi1ELi16ELi8EEvPKhS1_P6__halfPKfiiiiiiii.numbered_sgpr, 73
	.set _Z19_skinny_gemm_kernelILi3ELi5ELi1ELi16ELi8EEvPKhS1_P6__halfPKfiiiiiiii.num_named_barrier, 0
	.set _Z19_skinny_gemm_kernelILi3ELi5ELi1ELi16ELi8EEvPKhS1_P6__halfPKfiiiiiiii.private_seg_size, 136
	.set _Z19_skinny_gemm_kernelILi3ELi5ELi1ELi16ELi8EEvPKhS1_P6__halfPKfiiiiiiii.uses_vcc, 1
	.set _Z19_skinny_gemm_kernelILi3ELi5ELi1ELi16ELi8EEvPKhS1_P6__halfPKfiiiiiiii.uses_flat_scratch, 0
	.set _Z19_skinny_gemm_kernelILi3ELi5ELi1ELi16ELi8EEvPKhS1_P6__halfPKfiiiiiiii.has_dyn_sized_stack, 0
	.set _Z19_skinny_gemm_kernelILi3ELi5ELi1ELi16ELi8EEvPKhS1_P6__halfPKfiiiiiiii.has_recursion, 0
	.set _Z19_skinny_gemm_kernelILi3ELi5ELi1ELi16ELi8EEvPKhS1_P6__halfPKfiiiiiiii.has_indirect_call, 0
	.section	.AMDGPU.csdata,"",@progbits
; Kernel info:
; codeLenInByte = 9664
; TotalNumSgprs: 79
; NumVgprs: 128
; NumAgprs: 0
; TotalNumVgprs: 128
; ScratchSize: 136
; MemoryBound: 0
; FloatMode: 240
; IeeeMode: 1
; LDSByteSize: 32800 bytes/workgroup (compile time only)
; SGPRBlocks: 9
; VGPRBlocks: 15
; NumSGPRsForWavesPerEU: 79
; NumVGPRsForWavesPerEU: 128
; AccumOffset: 128
; Occupancy: 4
; WaveLimiterHint : 0
; COMPUTE_PGM_RSRC2:SCRATCH_EN: 1
; COMPUTE_PGM_RSRC2:USER_SGPR: 2
; COMPUTE_PGM_RSRC2:TRAP_HANDLER: 0
; COMPUTE_PGM_RSRC2:TGID_X_EN: 1
; COMPUTE_PGM_RSRC2:TGID_Y_EN: 0
; COMPUTE_PGM_RSRC2:TGID_Z_EN: 0
; COMPUTE_PGM_RSRC2:TIDIG_COMP_CNT: 0
; COMPUTE_PGM_RSRC3_GFX90A:ACCUM_OFFSET: 31
; COMPUTE_PGM_RSRC3_GFX90A:TG_SPLIT: 0
	.section	.text._Z19_skinny_gemm_kernelILi3ELi5ELi1ELi32ELi4EEvPKhS1_P6__halfPKfiiiiiiii,"axG",@progbits,_Z19_skinny_gemm_kernelILi3ELi5ELi1ELi32ELi4EEvPKhS1_P6__halfPKfiiiiiiii,comdat
	.protected	_Z19_skinny_gemm_kernelILi3ELi5ELi1ELi32ELi4EEvPKhS1_P6__halfPKfiiiiiiii ; -- Begin function _Z19_skinny_gemm_kernelILi3ELi5ELi1ELi32ELi4EEvPKhS1_P6__halfPKfiiiiiiii
	.globl	_Z19_skinny_gemm_kernelILi3ELi5ELi1ELi32ELi4EEvPKhS1_P6__halfPKfiiiiiiii
	.p2align	8
	.type	_Z19_skinny_gemm_kernelILi3ELi5ELi1ELi32ELi4EEvPKhS1_P6__halfPKfiiiiiiii,@function
_Z19_skinny_gemm_kernelILi3ELi5ELi1ELi32ELi4EEvPKhS1_P6__halfPKfiiiiiiii: ; @_Z19_skinny_gemm_kernelILi3ELi5ELi1ELi32ELi4EEvPKhS1_P6__halfPKfiiiiiiii
; %bb.0:
	v_cmp_gt_u32_e32 vcc, 8, v0
	s_and_saveexec_b64 s[4:5], vcc
; %bb.1:
	v_lshlrev_b32_e32 v1, 2, v0
	v_mov_b32_e32 v2, 0
	ds_write_b32 v1, v2 offset:16384
; %bb.2:
	s_or_b64 exec, exec, s[4:5]
	s_load_dwordx8 s[24:31], s[0:1], 0x20
	s_waitcnt lgkmcnt(0)
	s_barrier
	s_add_i32 s3, s24, 0x5f
	s_mul_hi_i32 s3, s3, 0x2aaaaaab
	s_add_i32 s4, s25, 0x9f
	s_lshr_b32 s5, s3, 31
	s_ashr_i32 s3, s3, 4
	s_add_i32 s14, s3, s5
	s_mul_hi_i32 s3, s4, 0x66666667
	s_lshr_b32 s4, s3, 31
	s_ashr_i32 s3, s3, 6
	s_add_i32 s15, s3, s4
	s_mul_i32 s3, s15, s14
	s_mul_i32 s3, s3, s28
	s_add_i32 s4, s3, 0x12f
	s_mul_hi_i32 s4, s4, 0x6bca1af3
	s_lshr_b32 s5, s4, 31
	s_ashr_i32 s4, s4, 7
	s_add_i32 s4, s4, s5
	s_add_i32 s5, s2, 1
	s_mul_i32 s5, s4, s5
	v_cvt_f64_i32_e32 v[2:3], s3
	v_cvt_f64_u32_e32 v[4:5], s5
	v_min_f64 v[2:3], v[2:3], v[4:5]
	v_cvt_i32_f64_e32 v1, v[2:3]
	s_mul_i32 s2, s4, s2
	v_cmp_ge_i32_e32 vcc, s2, v1
	scratch_store_dword off, v1, off offset:4 ; 4-byte Folded Spill
	s_cbranch_vccnz .LBB300_55
; %bb.3:
	s_load_dwordx8 s[16:23], s[0:1], 0x0
	v_lshrrev_b32_e32 v1, 6, v0
	s_add_i32 s0, s30, s29
	v_cmp_le_i32_e64 s[34:35], s0, v1
	v_mov_b32_e32 v2, s29
	v_cmp_le_i32_e64 s[36:37], s29, v1
	v_mov_b32_e32 v3, s30
	v_cndmask_b32_e64 v3, 0, v3, s[34:35]
	v_cndmask_b32_e64 v2, 0, v2, s[36:37]
	s_abs_i32 s1, s28
	v_add_u32_e32 v2, v2, v3
	v_cvt_f32_u32_e32 v3, s1
	v_sub_u32_e32 v88, v1, v2
	s_ashr_i32 s3, s26, 31
	s_lshr_b32 s3, s3, 26
	v_rcp_iflag_f32_e32 v2, v3
	s_sub_i32 s6, 0, s1
	s_add_i32 s3, s26, s3
	s_ashr_i32 s3, s3, 6
	v_mul_f32_e32 v2, 0x4f7ffffe, v2
	v_cvt_u32_f32_e32 v2, v2
	s_abs_i32 s5, s3
	s_xor_b32 s4, s3, s28
	s_ashr_i32 s4, s4, 31
	v_readfirstlane_b32 s7, v2
	s_mul_i32 s6, s6, s7
	s_mul_hi_u32 s6, s7, s6
	s_add_i32 s7, s7, s6
	s_mul_hi_u32 s6, s5, s7
	s_mul_i32 s7, s6, s1
	s_sub_i32 s5, s5, s7
	s_add_i32 s7, s6, 1
	s_sub_i32 s8, s5, s1
	s_cmp_ge_u32 s5, s1
	s_cselect_b32 s6, s7, s6
	s_cselect_b32 s5, s8, s5
	s_add_i32 s7, s6, 1
	s_cmp_ge_u32 s5, s1
	s_cselect_b32 s1, s7, s6
	s_add_i32 s0, s0, s31
	v_and_b32_e32 v85, 31, v0
	v_lshrrev_b32_e32 v2, 3, v0
	v_cmp_gt_i32_e64 s[42:43], s0, v1
	v_lshlrev_b32_e32 v1, 2, v85
	v_and_b32_e32 v3, 4, v2
	v_lshlrev_b32_e32 v2, 6, v3
	v_or_b32_e32 v4, 0x2800, v1
	v_or_b32_e32 v5, v4, v2
	scratch_store_dword off, v5, off        ; 4-byte Folded Spill
	v_and_b32_e32 v5, 1, v0
	v_or_b32_e32 v98, v1, v2
	v_lshlrev_b32_e32 v2, 1, v5
	v_sub_u32_e32 v2, v0, v2
	v_add_u32_e32 v2, 1, v2
	v_and_b32_e32 v6, 63, v2
	v_bitop3_b32 v2, v0, 1, v0 bitop3:0xc
	scratch_store_dword off, v2, off offset:32 ; 4-byte Folded Spill
	v_bitop3_b32 v2, v0, 3, 1 bitop3:0x6c
	scratch_store_dword off, v2, off offset:36 ; 4-byte Folded Spill
	;; [unrolled: 2-line block ×8, first 2 shown]
	v_or_b32_e32 v2, 32, v85
	s_add_i32 s39, s28, -1
	scratch_store_dword off, v2, off offset:64 ; 4-byte Folded Spill
	v_or_b32_e32 v2, 64, v85
	v_lshrrev_b32_e32 v7, 1, v0
	s_abs_i32 s28, s14
	scratch_store_dword off, v2, off offset:68 ; 4-byte Folded Spill
	v_or_b32_e32 v2, 0x60, v85
	v_and_b32_e32 v8, 16, v7
	v_cvt_f32_u32_e32 v7, s28
	scratch_store_dword off, v2, off offset:72 ; 4-byte Folded Spill
	v_or_b32_e32 v2, 0x80, v85
	scratch_store_dword off, v2, off offset:76 ; 4-byte Folded Spill
	v_and_b32_e32 v2, 30, v0
	v_lshlrev_b32_e32 v0, 4, v0
                                        ; implicit-def: $vgpr127 : SGPR spill to VGPR lane
	v_and_b32_e32 v0, 0x200, v0
	v_writelane_b32 v127, s14, 0
	s_xor_b32 s1, s1, s4
	v_or_b32_e32 v111, v1, v0
	v_rcp_iflag_f32_e32 v1, v7
	v_writelane_b32 v127, s15, 1
	s_sub_i32 s38, s1, s4
	s_waitcnt lgkmcnt(0)
	v_writelane_b32 v127, s16, 2
	s_mul_i32 s1, s38, s39
	s_sub_i32 s40, s3, s1
	v_writelane_b32 v127, s17, 3
	s_abs_i32 s3, s15
	v_writelane_b32 v127, s18, 4
	v_or_b32_e32 v113, v4, v0
	v_mul_f32_e32 v0, 0x4f7ffffe, v1
	v_cvt_f32_u32_e32 v1, s3
	v_writelane_b32 v127, s19, 5
	v_writelane_b32 v127, s20, 6
	;; [unrolled: 1-line block ×4, first 2 shown]
	v_cvt_u32_f32_e32 v0, v0
	v_rcp_iflag_f32_e32 v1, v1
	v_writelane_b32 v127, s23, 9
	v_cndmask_b32_e64 v95, 0, 1, s[34:35]
	v_writelane_b32 v127, s34, 10
	v_readfirstlane_b32 s1, v0
	v_mul_f32_e32 v0, 0x4f7ffffe, v1
	v_writelane_b32 v127, s35, 11
	v_writelane_b32 v127, s36, 12
	v_cvt_u32_f32_e32 v0, v0
	s_sub_i32 s0, 0, s28
	v_writelane_b32 v127, s37, 13
	v_writelane_b32 v127, s38, 14
	v_writelane_b32 v127, s39, 15
	s_mul_i32 s0, s0, s1
	v_writelane_b32 v127, s40, 16
	s_mul_hi_u32 s0, s1, s0
	v_writelane_b32 v127, s42, 17
	s_ashr_i32 s41, s14, 31
	s_add_i32 s44, s1, s0
	s_sub_i32 s0, 0, s3
	v_readfirstlane_b32 s1, v0
	v_writelane_b32 v127, s43, 18
	s_mul_i32 s0, s0, s1
	v_mbcnt_lo_u32_b32 v0, -1, 0
	v_writelane_b32 v127, s41, 19
	s_ashr_i32 s45, s15, 31
	s_mul_hi_u32 s0, s1, s0
	v_mbcnt_hi_u32_b32 v0, -1, v0
	v_writelane_b32 v127, s44, 20
	v_mov_b32_e32 v97, 0
	v_mul_lo_u32 v10, s27, v85
	s_add_i32 s46, s1, s0
	v_and_or_b32 v0, v0, 64, v6
	v_writelane_b32 v127, s45, 21
	v_ashrrev_i32_e32 v11, 31, v10
	v_mov_b32_e32 v9, v97
	s_lshl_b32 s33, s27, 5
	v_mul_lo_u32 v7, s26, v85
	v_or_b32_e32 v114, v5, v3
	v_lshlrev_b32_e32 v96, 1, v2
	v_lshlrev_b32_e32 v115, 2, v0
	v_mov_b32_e32 v116, v88
	v_writelane_b32 v127, s46, 22
	scratch_store_dwordx2 off, v[10:11], off offset:80 ; 8-byte Folded Spill
	scratch_store_dwordx2 off, v[8:9], off offset:8 ; 8-byte Folded Spill
	scratch_store_dword off, v7, off offset:16 ; 4-byte Folded Spill
	scratch_store_dword off, v85, off offset:28 ; 4-byte Folded Spill
	s_branch .LBB300_7
.LBB300_4:                              ;   in Loop: Header=BB300_7 Depth=1
	s_or_b64 exec, exec, s[6:7]
.LBB300_5:                              ;   in Loop: Header=BB300_7 Depth=1
	s_or_b64 exec, exec, s[4:5]
	v_subrev_u32_e32 v116, s98, v116
.LBB300_6:                              ;   in Loop: Header=BB300_7 Depth=1
	s_or_b64 exec, exec, s[0:1]
	scratch_load_dword v0, off, off offset:4 ; 4-byte Folded Reload
	s_add_i32 s2, s2, 1
	s_waitcnt vmcnt(0)
	v_cmp_ge_i32_e32 vcc, s2, v0
	s_cbranch_vccnz .LBB300_55
.LBB300_7:                              ; =>This Loop Header: Depth=1
                                        ;     Child Loop BB300_13 Depth 2
                                        ;       Child Loop BB300_15 Depth 3
                                        ;       Child Loop BB300_18 Depth 3
	;; [unrolled: 1-line block ×6, first 2 shown]
                                        ;     Child Loop BB300_34 Depth 2
                                        ;     Child Loop BB300_42 Depth 2
                                        ;       Child Loop BB300_44 Depth 3
                                        ;     Child Loop BB300_52 Depth 2
                                        ;       Child Loop BB300_54 Depth 3
	s_abs_i32 s1, s2
	s_mul_hi_u32 s4, s1, s44
	s_mul_i32 s5, s4, s28
	s_ashr_i32 s0, s2, 31
	s_sub_i32 s1, s1, s5
	s_xor_b32 s0, s0, s41
	s_add_i32 s5, s4, 1
	s_sub_i32 s6, s1, s28
	s_cmp_ge_u32 s1, s28
	s_cselect_b32 s4, s5, s4
	s_cselect_b32 s1, s6, s1
	s_add_i32 s5, s4, 1
	s_cmp_ge_u32 s1, s28
	s_cselect_b32 s1, s5, s4
	s_xor_b32 s1, s1, s0
	s_sub_i32 s0, s1, s0
	s_abs_i32 s4, s0
	s_mul_i32 s1, s0, s14
	s_mul_hi_u32 s5, s4, s46
	s_sub_i32 s1, s2, s1
	s_mul_i32 s6, s5, s3
	s_mul_i32 s47, s1, 0x60
	s_ashr_i32 s1, s0, 31
	s_sub_i32 s4, s4, s6
	s_xor_b32 s1, s1, s45
	s_add_i32 s6, s5, 1
	s_sub_i32 s7, s4, s3
	s_cmp_ge_u32 s4, s3
	s_cselect_b32 s5, s6, s5
	s_cselect_b32 s4, s7, s4
	s_add_i32 s6, s5, 1
	s_cmp_ge_u32 s4, s3
	s_cselect_b32 s4, s6, s5
	s_xor_b32 s4, s4, s1
	s_sub_i32 s1, s4, s1
	s_mul_i32 s4, s1, s38
	s_lshl_b32 s13, s4, 6
	s_cmp_eq_u32 s1, s39
	s_cselect_b32 s98, s40, s38
	s_sub_i32 s4, s47, s24
	s_addk_i32 s4, 0x60
	s_max_i32 s99, s4, 0
	s_and_saveexec_b64 s[4:5], s[36:37]
	s_xor_b64 s[48:49], exec, s[4:5]
	s_cbranch_execz .LBB300_48
; %bb.8:                                ;   in Loop: Header=BB300_7 Depth=1
	s_mul_i32 s1, s1, s15
	s_sub_i32 s0, s0, s1
	s_mulk_i32 s0, 0xa0
	s_sub_i32 s70, s0, s25
	s_addk_i32 s70, 0xa0
	v_writelane_b32 v127, s48, 23
	s_max_i32 s1, s70, 0
	s_mov_b32 s4, s13
	v_writelane_b32 v127, s49, 24
	s_sub_i32 s68, s0, s1
	s_and_saveexec_b64 s[0:1], s[34:35]
	s_xor_b64 s[0:1], exec, s[0:1]
	s_cbranch_execz .LBB300_38
; %bb.9:                                ;   in Loop: Header=BB300_7 Depth=1
	s_mov_b64 s[6:7], exec
	v_writelane_b32 v127, s6, 25
	s_nop 1
	v_writelane_b32 v127, s7, 26
	s_and_b64 s[6:7], s[6:7], s[42:43]
	s_mov_b64 exec, s[6:7]
	s_cbranch_execz .LBB300_37
; %bb.10:                               ;   in Loop: Header=BB300_7 Depth=1
	global_load_dword v117, v97, s[22:23]
	v_mov_b32_e32 v79, 0
	v_cmp_gt_i32_e32 vcc, s98, v116
	v_mov_b32_e32 v78, v79
	v_mov_b32_e32 v77, v79
	;; [unrolled: 1-line block ×79, first 2 shown]
	s_and_saveexec_b64 s[6:7], vcc
	s_cbranch_execz .LBB300_32
; %bb.11:                               ;   in Loop: Header=BB300_7 Depth=1
	v_mov_b32_e32 v0, 0
	s_mov_b64 s[8:9], 0
	v_mov_b32_e32 v1, v0
	v_mov_b32_e32 v2, v0
	;; [unrolled: 1-line block ×79, first 2 shown]
	s_branch .LBB300_13
.LBB300_12:                             ;   in Loop: Header=BB300_13 Depth=2
	s_or_b64 exec, exec, s[10:11]
	v_add_u32_e32 v81, 0x2000, v80
	ds_read2_b32 v[82:83], v81 offset1:32
	v_add_u32_e32 v116, s31, v116
	s_waitcnt lgkmcnt(0)
	v_mfma_f32_32x32x16_fp8_fp8 v[0:15], v[92:93], v[82:83], v[0:15]
	ds_read2_b32 v[82:83], v81 offset0:128 offset1:160
	s_waitcnt lgkmcnt(0)
	v_mfma_f32_32x32x16_fp8_fp8 v[0:15], v[90:91], v[82:83], v[0:15]
	v_add_u32_e32 v82, 0x2400, v80
	ds_read2_b32 v[80:81], v82 offset1:32
	ds_read2_b32 v[82:83], v82 offset0:128 offset1:160
	ds_write_b32 v119, v120 offset:16420
	s_waitcnt lgkmcnt(2)
	v_mfma_f32_32x32x16_fp8_fp8 v[0:15], v[88:89], v[80:81], v[0:15]
	v_add_u32_e32 v88, s31, v118
	v_add_u32_e32 v80, 2, v95
	v_cmp_lt_i32_e32 vcc, 0, v88
	s_nop 1
	v_cndmask_b32_e32 v95, v95, v80, vcc
	v_cmp_le_i32_e32 vcc, s98, v116
	s_waitcnt lgkmcnt(1)
	v_mfma_f32_32x32x16_fp8_fp8 v[0:15], v[86:87], v[82:83], v[0:15]
	s_or_b64 s[8:9], vcc, s[8:9]
	s_andn2_b64 exec, exec, s[8:9]
	s_cbranch_execz .LBB300_31
.LBB300_13:                             ;   Parent Loop BB300_7 Depth=1
                                        ; =>  This Loop Header: Depth=2
                                        ;       Child Loop BB300_15 Depth 3
                                        ;       Child Loop BB300_18 Depth 3
                                        ;       Child Loop BB300_21 Depth 3
                                        ;       Child Loop BB300_24 Depth 3
                                        ;       Child Loop BB300_27 Depth 3
                                        ;       Child Loop BB300_30 Depth 3
	v_cmp_lt_i32_e32 vcc, 0, v88
	s_nop 1
	v_subbrev_co_u32_e32 v118, vcc, 0, v88, vcc
	v_mul_lo_u32 v119, v118, 40
	ds_read_b32 v80, v119 offset:16384
	s_waitcnt lgkmcnt(0)
	v_cmp_ne_u32_e32 vcc, v80, v95
	s_and_saveexec_b64 s[10:11], vcc
	s_cbranch_execz .LBB300_16
; %bb.14:                               ;   in Loop: Header=BB300_13 Depth=2
	s_mov_b64 s[12:13], 0
.LBB300_15:                             ;   Parent Loop BB300_7 Depth=1
                                        ;     Parent Loop BB300_13 Depth=2
                                        ; =>    This Inner Loop Header: Depth=3
	;;#ASMSTART
	s_sleep 0
	;;#ASMEND
	ds_read_b32 v80, v119 offset:16384
	s_waitcnt lgkmcnt(0)
	v_cmp_eq_u32_e32 vcc, v80, v95
	s_or_b64 s[12:13], vcc, s[12:13]
	s_andn2_b64 exec, exec, s[12:13]
	s_cbranch_execnz .LBB300_15
.LBB300_16:                             ;   in Loop: Header=BB300_13 Depth=2
	s_or_b64 exec, exec, s[10:11]
	scratch_load_dword v80, off, off        ; 4-byte Folded Reload
	v_add_u32_e32 v120, 1, v95
	s_waitcnt vmcnt(0)
	v_lshl_add_u32 v80, v118, 11, v80
	ds_read2_b32 v[92:93], v80 offset1:32
	ds_read2_b32 v[90:91], v80 offset0:128 offset1:160
	v_add_u32_e32 v80, 0x400, v80
	ds_read2_b32 v[88:89], v80 offset1:32
	ds_read_b32 v81, v119 offset:16388
	ds_read2_b32 v[86:87], v80 offset0:128 offset1:160
	ds_write_b32 v119, v120 offset:16384
	s_waitcnt lgkmcnt(2)
	v_cmp_ne_u32_e32 vcc, v81, v95
	s_and_saveexec_b64 s[10:11], vcc
	s_cbranch_execz .LBB300_19
; %bb.17:                               ;   in Loop: Header=BB300_13 Depth=2
	s_mov_b64 s[12:13], 0
.LBB300_18:                             ;   Parent Loop BB300_7 Depth=1
                                        ;     Parent Loop BB300_13 Depth=2
                                        ; =>    This Inner Loop Header: Depth=3
	;;#ASMSTART
	s_sleep 0
	;;#ASMEND
	ds_read_b32 v80, v119 offset:16388
	s_waitcnt lgkmcnt(0)
	v_cmp_eq_u32_e32 vcc, v80, v95
	s_or_b64 s[12:13], vcc, s[12:13]
	s_andn2_b64 exec, exec, s[12:13]
	s_cbranch_execnz .LBB300_18
.LBB300_19:                             ;   in Loop: Header=BB300_13 Depth=2
	s_or_b64 exec, exec, s[10:11]
	s_movk_i32 s5, 0x2800
	v_mul_lo_u32 v80, v118, s5
	v_or_b32_e32 v81, v98, v80
	ds_read2_b32 v[82:83], v81 offset1:32
	ds_write_b32 v119, v120 offset:16388
	s_waitcnt lgkmcnt(1)
	v_mfma_f32_32x32x16_fp8_fp8 v[64:79], v[92:93], v[82:83], v[64:79]
	ds_read2_b32 v[82:83], v81 offset0:128 offset1:160
	v_add_u32_e32 v81, 0x400, v81
	s_waitcnt lgkmcnt(0)
	v_mfma_f32_32x32x16_fp8_fp8 v[64:79], v[90:91], v[82:83], v[64:79]
	ds_read2_b32 v[82:83], v81 offset1:32
	s_waitcnt lgkmcnt(0)
	v_mfma_f32_32x32x16_fp8_fp8 v[64:79], v[88:89], v[82:83], v[64:79]
	ds_read2_b32 v[82:83], v81 offset0:128 offset1:160
	ds_read_b32 v81, v119 offset:16396
	s_waitcnt lgkmcnt(0)
	v_cmp_ne_u32_e32 vcc, v81, v95
	v_mfma_f32_32x32x16_fp8_fp8 v[64:79], v[86:87], v[82:83], v[64:79]
	s_and_saveexec_b64 s[10:11], vcc
	s_cbranch_execz .LBB300_22
; %bb.20:                               ;   in Loop: Header=BB300_13 Depth=2
	s_mov_b64 s[12:13], 0
.LBB300_21:                             ;   Parent Loop BB300_7 Depth=1
                                        ;     Parent Loop BB300_13 Depth=2
                                        ; =>    This Inner Loop Header: Depth=3
	;;#ASMSTART
	s_sleep 0
	;;#ASMEND
	ds_read_b32 v81, v119 offset:16396
	s_waitcnt lgkmcnt(0)
	v_cmp_eq_u32_e32 vcc, v81, v95
	s_or_b64 s[12:13], vcc, s[12:13]
	s_andn2_b64 exec, exec, s[12:13]
	s_cbranch_execnz .LBB300_21
.LBB300_22:                             ;   in Loop: Header=BB300_13 Depth=2
	s_or_b64 exec, exec, s[10:11]
	v_add_u32_e32 v80, v98, v80
	v_add_u32_e32 v81, 0x800, v80
	ds_read2_b32 v[82:83], v81 offset1:32
	ds_write_b32 v119, v120 offset:16396
	s_waitcnt lgkmcnt(1)
	v_mfma_f32_32x32x16_fp8_fp8 v[48:63], v[92:93], v[82:83], v[48:63]
	ds_read2_b32 v[82:83], v81 offset0:128 offset1:160
	v_add_u32_e32 v81, 0xc00, v80
	s_waitcnt lgkmcnt(0)
	v_mfma_f32_32x32x16_fp8_fp8 v[48:63], v[90:91], v[82:83], v[48:63]
	ds_read2_b32 v[82:83], v81 offset1:32
	s_waitcnt lgkmcnt(0)
	v_mfma_f32_32x32x16_fp8_fp8 v[48:63], v[88:89], v[82:83], v[48:63]
	ds_read2_b32 v[82:83], v81 offset0:128 offset1:160
	ds_read_b32 v81, v119 offset:16404
	s_waitcnt lgkmcnt(0)
	v_cmp_ne_u32_e32 vcc, v81, v95
	v_mfma_f32_32x32x16_fp8_fp8 v[48:63], v[86:87], v[82:83], v[48:63]
	s_and_saveexec_b64 s[10:11], vcc
	s_cbranch_execz .LBB300_25
; %bb.23:                               ;   in Loop: Header=BB300_13 Depth=2
	s_mov_b64 s[12:13], 0
.LBB300_24:                             ;   Parent Loop BB300_7 Depth=1
                                        ;     Parent Loop BB300_13 Depth=2
                                        ; =>    This Inner Loop Header: Depth=3
	;;#ASMSTART
	s_sleep 0
	;;#ASMEND
	ds_read_b32 v81, v119 offset:16404
	s_waitcnt lgkmcnt(0)
	v_cmp_eq_u32_e32 vcc, v81, v95
	s_or_b64 s[12:13], vcc, s[12:13]
	s_andn2_b64 exec, exec, s[12:13]
	s_cbranch_execnz .LBB300_24
.LBB300_25:                             ;   in Loop: Header=BB300_13 Depth=2
	s_or_b64 exec, exec, s[10:11]
	v_add_u32_e32 v81, 0x1000, v80
	ds_read2_b32 v[82:83], v81 offset1:32
	s_waitcnt lgkmcnt(0)
	v_mfma_f32_32x32x16_fp8_fp8 v[32:47], v[92:93], v[82:83], v[32:47]
	ds_read2_b32 v[82:83], v81 offset0:128 offset1:160
	v_add_u32_e32 v81, 0x1400, v80
	s_waitcnt lgkmcnt(0)
	v_mfma_f32_32x32x16_fp8_fp8 v[32:47], v[90:91], v[82:83], v[32:47]
	ds_read2_b32 v[82:83], v81 offset1:32
	s_waitcnt lgkmcnt(0)
	v_mfma_f32_32x32x16_fp8_fp8 v[32:47], v[88:89], v[82:83], v[32:47]
	ds_read_b32 v84, v119 offset:16412
	ds_read2_b32 v[82:83], v81 offset0:128 offset1:160
	ds_write_b32 v119, v120 offset:16404
	s_waitcnt lgkmcnt(2)
	v_cmp_ne_u32_e32 vcc, v84, v95
	s_waitcnt lgkmcnt(1)
	v_mfma_f32_32x32x16_fp8_fp8 v[32:47], v[86:87], v[82:83], v[32:47]
	s_and_saveexec_b64 s[10:11], vcc
	s_cbranch_execz .LBB300_28
; %bb.26:                               ;   in Loop: Header=BB300_13 Depth=2
	s_mov_b64 s[12:13], 0
.LBB300_27:                             ;   Parent Loop BB300_7 Depth=1
                                        ;     Parent Loop BB300_13 Depth=2
                                        ; =>    This Inner Loop Header: Depth=3
	;;#ASMSTART
	s_sleep 0
	;;#ASMEND
	ds_read_b32 v81, v119 offset:16412
	s_waitcnt lgkmcnt(0)
	v_cmp_eq_u32_e32 vcc, v81, v95
	s_or_b64 s[12:13], vcc, s[12:13]
	s_andn2_b64 exec, exec, s[12:13]
	s_cbranch_execnz .LBB300_27
.LBB300_28:                             ;   in Loop: Header=BB300_13 Depth=2
	s_or_b64 exec, exec, s[10:11]
	v_add_u32_e32 v81, 0x1800, v80
	ds_read2_b32 v[82:83], v81 offset1:32
	s_waitcnt lgkmcnt(0)
	v_mfma_f32_32x32x16_fp8_fp8 v[16:31], v[92:93], v[82:83], v[16:31]
	ds_read2_b32 v[82:83], v81 offset0:128 offset1:160
	v_add_u32_e32 v81, 0x1c00, v80
	s_waitcnt lgkmcnt(0)
	v_mfma_f32_32x32x16_fp8_fp8 v[16:31], v[90:91], v[82:83], v[16:31]
	ds_read2_b32 v[82:83], v81 offset1:32
	s_waitcnt lgkmcnt(0)
	v_mfma_f32_32x32x16_fp8_fp8 v[16:31], v[88:89], v[82:83], v[16:31]
	ds_read_b32 v84, v119 offset:16420
	ds_read2_b32 v[82:83], v81 offset0:128 offset1:160
	ds_write_b32 v119, v120 offset:16412
	s_waitcnt lgkmcnt(2)
	v_cmp_ne_u32_e32 vcc, v84, v95
	s_waitcnt lgkmcnt(1)
	v_mfma_f32_32x32x16_fp8_fp8 v[16:31], v[86:87], v[82:83], v[16:31]
	s_and_saveexec_b64 s[10:11], vcc
	s_cbranch_execz .LBB300_12
; %bb.29:                               ;   in Loop: Header=BB300_13 Depth=2
	s_mov_b64 s[12:13], 0
.LBB300_30:                             ;   Parent Loop BB300_7 Depth=1
                                        ;     Parent Loop BB300_13 Depth=2
                                        ; =>    This Inner Loop Header: Depth=3
	;;#ASMSTART
	s_sleep 0
	;;#ASMEND
	ds_read_b32 v81, v119 offset:16420
	s_waitcnt lgkmcnt(0)
	v_cmp_eq_u32_e32 vcc, v81, v95
	s_or_b64 s[12:13], vcc, s[12:13]
	s_andn2_b64 exec, exec, s[12:13]
	s_cbranch_execnz .LBB300_30
	s_branch .LBB300_12
.LBB300_31:                             ;   in Loop: Header=BB300_7 Depth=1
	s_or_b64 exec, exec, s[8:9]
.LBB300_32:                             ;   in Loop: Header=BB300_7 Depth=1
	s_or_b64 exec, exec, s[6:7]
	scratch_load_dword v99, off, off offset:32 ; 4-byte Folded Reload
	scratch_load_dword v106, off, off offset:40 ; 4-byte Folded Reload
	v_cmp_le_i32_e32 vcc, s70, v85
	v_writelane_b32 v127, s47, 27
	s_mul_i32 s6, s47, s25
	s_waitcnt vmcnt(2)
	v_cndmask_b32_e32 v80, 0, v117, vcc
	v_pk_mul_f32 v[64:65], v[80:81], v[64:65] op_sel_hi:[0,1]
	v_pk_mul_f32 v[78:79], v[80:81], v[78:79] op_sel_hi:[0,1]
	;; [unrolled: 1-line block ×8, first 2 shown]
	s_ashr_i32 s7, s6, 31
	s_lshl_b64 s[6:7], s[6:7], 1
	s_add_u32 s71, s20, s6
	s_addc_u32 s72, s21, s7
	s_ashr_i32 s69, s68, 31
	s_mov_b32 s82, s68
	s_lshl_b64 s[68:69], s[68:69], 1
	v_writelane_b32 v127, s82, 28
	s_add_u32 s68, s71, s68
	s_addc_u32 s69, s72, s69
	v_writelane_b32 v127, s83, 29
	v_writelane_b32 v127, s68, 30
	scratch_store_dwordx2 off, v[96:97], off offset:20 ; 8-byte Folded Spill
	v_subrev_u32_e32 v116, s98, v116
	v_writelane_b32 v127, s69, 31
	s_mov_b32 s5, 0
	s_waitcnt vmcnt(2)
	v_cmp_eq_u32_e64 s[64:65], 1, v99
	s_nop 1
	v_cndmask_b32_e64 v80, v64, v65, s[64:65]
	v_cmp_eq_u32_e64 s[38:39], 2, v99
	v_cmp_eq_u32_e64 s[40:41], 3, v99
	v_cmp_eq_u32_e64 s[42:43], 4, v99
	v_cndmask_b32_e64 v80, v80, v66, s[38:39]
	v_cndmask_b32_e64 v80, v80, v67, s[40:41]
	v_cndmask_b32_e64 v80, v80, v68, s[42:43]
	v_cmp_eq_u32_e64 s[44:45], 5, v99
	v_cmp_eq_u32_e64 s[46:47], 6, v99
	v_cmp_eq_u32_e64 s[48:49], 7, v99
	v_cndmask_b32_e64 v80, v80, v69, s[44:45]
	v_cndmask_b32_e64 v80, v80, v70, s[46:47]
	;; [unrolled: 6-line block ×5, first 2 shown]
	ds_bpermute_b32 v80, v115, v80
	s_waitcnt vmcnt(1)
	v_cmp_eq_u32_e64 s[72:73], 8, v106
	s_waitcnt lgkmcnt(0)
	v_cndmask_b32_e64 v79, v79, v80, s[66:67]
	v_cndmask_b32_e64 v78, v78, v80, s[62:63]
	;; [unrolled: 1-line block ×16, first 2 shown]
	scratch_load_dword v80, off, off offset:36 ; 4-byte Folded Reload
	s_waitcnt vmcnt(0)
	v_cmp_eq_u32_e32 vcc, 1, v80
	s_nop 1
	v_cndmask_b32_e32 v64, v87, v90, vcc
	v_cmp_eq_u32_e64 s[6:7], 2, v80
	v_cmp_eq_u32_e64 s[8:9], 3, v80
	v_cmp_eq_u32_e64 s[10:11], 4, v80
	v_cndmask_b32_e64 v64, v64, v66, s[6:7]
	v_cndmask_b32_e64 v64, v64, v86, s[8:9]
	v_cndmask_b32_e64 v64, v64, v85, s[10:11]
	v_cmp_eq_u32_e64 s[12:13], 5, v80
	v_cmp_eq_u32_e64 s[14:15], 6, v80
	v_cmp_eq_u32_e64 s[16:17], 7, v80
	v_cndmask_b32_e64 v64, v64, v84, s[12:13]
	v_cndmask_b32_e64 v64, v64, v83, s[14:15]
	v_cndmask_b32_e64 v64, v64, v82, s[16:17]
	;; [unrolled: 6-line block ×4, first 2 shown]
	v_cmp_eq_u32_e64 s[80:81], 14, v80
	v_cmp_eq_u32_e64 s[34:35], 15, v80
	s_nop 0
	v_cndmask_b32_e64 v64, v64, v78, s[80:81]
	v_cndmask_b32_e64 v64, v64, v79, s[34:35]
	ds_bpermute_b32 v89, v115, v64
	scratch_load_dword v64, off, off offset:64 ; 4-byte Folded Reload
	s_waitcnt lgkmcnt(0)
	v_cndmask_b32_e64 v65, v79, v89, s[34:35]
	v_cndmask_b32_e64 v79, v66, v89, s[6:7]
	scratch_load_dword v66, off, off offset:72 ; 4-byte Folded Reload
	v_cndmask_b32_e64 v67, v78, v89, s[80:81]
	v_cndmask_b32_e64 v70, v75, v89, s[74:75]
	;; [unrolled: 1-line block ×8, first 2 shown]
	v_cndmask_b32_e32 v86, v90, v89, vcc
	v_cndmask_b32_e64 v68, v77, v89, s[78:79]
	v_cndmask_b32_e64 v77, v85, v89, s[10:11]
	;; [unrolled: 1-line block ×4, first 2 shown]
	s_waitcnt vmcnt(1)
	v_cmp_le_i32_e64 s[68:69], s70, v64
	s_nop 1
	v_cndmask_b32_e64 v64, 0, v117, s[68:69]
	v_pk_mul_f32 v[62:63], v[64:65], v[62:63] op_sel_hi:[0,1]
	v_pk_mul_f32 v[60:61], v[64:65], v[60:61] op_sel_hi:[0,1]
	;; [unrolled: 1-line block ×8, first 2 shown]
	scratch_load_dword v64, off, off offset:68 ; 4-byte Folded Reload
	v_cndmask_b32_e64 v81, v48, v49, s[64:65]
	v_cndmask_b32_e64 v81, v81, v50, s[38:39]
	;; [unrolled: 1-line block ×15, first 2 shown]
	ds_bpermute_b32 v122, v115, v81
	s_waitcnt vmcnt(0)
	v_cmp_le_i32_e64 s[68:69], s70, v64
	s_nop 1
	v_cndmask_b32_e64 v64, 0, v117, s[68:69]
	v_cmp_le_i32_e64 s[68:69], s70, v66
	v_pk_mul_f32 v[32:33], v[64:65], v[32:33] op_sel_hi:[0,1]
	v_pk_mul_f32 v[34:35], v[64:65], v[34:35] op_sel_hi:[0,1]
	v_cndmask_b32_e64 v66, 0, v117, s[68:69]
	v_cmp_eq_u32_e64 s[68:69], 0, v80
	scratch_load_dword v80, off, off offset:76 ; 4-byte Folded Reload
	v_pk_mul_f32 v[82:83], v[66:67], v[28:29] op_sel_hi:[0,1]
	v_cndmask_b32_e64 v28, v32, v33, s[64:65]
	v_cndmask_b32_e64 v28, v28, v34, s[38:39]
	v_pk_mul_f32 v[36:37], v[64:65], v[36:37] op_sel_hi:[0,1]
	v_cndmask_b32_e64 v28, v28, v35, s[40:41]
	v_cndmask_b32_e64 v28, v28, v36, s[42:43]
	;; [unrolled: 3-line block ×7, first 2 shown]
	v_pk_mul_f32 v[16:17], v[66:67], v[16:17] op_sel_hi:[0,1]
	v_cndmask_b32_e64 v28, v28, v47, s[66:67]
	v_pk_mul_f32 v[18:19], v[66:67], v[18:19] op_sel_hi:[0,1]
	ds_bpermute_b32 v123, v115, v28
	v_cndmask_b32_e64 v28, v16, v17, s[64:65]
	v_cndmask_b32_e64 v28, v28, v18, s[38:39]
	v_pk_mul_f32 v[20:21], v[66:67], v[20:21] op_sel_hi:[0,1]
	v_cndmask_b32_e64 v28, v28, v19, s[40:41]
	v_cndmask_b32_e64 v28, v28, v20, s[42:43]
	v_pk_mul_f32 v[22:23], v[66:67], v[22:23] op_sel_hi:[0,1]
	;; [unrolled: 3-line block ×4, first 2 shown]
	v_cndmask_b32_e64 v28, v28, v25, s[52:53]
	v_cndmask_b32_e64 v28, v28, v26, s[54:55]
	;; [unrolled: 1-line block ×4, first 2 shown]
	v_pk_mul_f32 v[30:31], v[66:67], v[30:31] op_sel_hi:[0,1]
	v_cndmask_b32_e64 v28, v28, v83, s[60:61]
	v_cndmask_b32_e64 v28, v28, v30, s[62:63]
	;; [unrolled: 1-line block ×3, first 2 shown]
	ds_bpermute_b32 v124, v115, v28
	v_cndmask_b32_e64 v87, v87, v89, s[68:69]
	s_waitcnt lgkmcnt(2)
	v_cndmask_b32_e64 v28, v63, v122, s[66:67]
	s_waitcnt lgkmcnt(1)
	v_cndmask_b32_e64 v63, v47, v123, s[66:67]
	v_cndmask_b32_e64 v29, v62, v122, s[62:63]
	s_waitcnt lgkmcnt(0)
	v_cndmask_b32_e64 v85, v31, v124, s[66:67]
	v_cndmask_b32_e64 v62, v46, v123, s[62:63]
	;; [unrolled: 1-line block ×27, first 2 shown]
	s_waitcnt vmcnt(0)
	v_cmp_le_i32_e64 s[70:71], s70, v80
	s_nop 1
	v_cndmask_b32_e64 v80, 0, v117, s[70:71]
	v_pk_mul_f32 v[0:1], v[80:81], v[0:1] op_sel_hi:[0,1]
	v_pk_mul_f32 v[96:97], v[80:81], v[8:9] op_sel_hi:[0,1]
	;; [unrolled: 1-line block ×3, first 2 shown]
	v_cndmask_b32_e64 v9, v0, v1, s[64:65]
	v_cndmask_b32_e64 v9, v9, v2, s[38:39]
	v_pk_mul_f32 v[4:5], v[80:81], v[4:5] op_sel_hi:[0,1]
	v_cndmask_b32_e64 v9, v9, v3, s[40:41]
	v_cndmask_b32_e64 v9, v9, v4, s[42:43]
	v_pk_mul_f32 v[118:119], v[80:81], v[6:7] op_sel_hi:[0,1]
	v_cndmask_b32_e64 v9, v9, v5, s[44:45]
	v_cndmask_b32_e64 v9, v9, v118, s[46:47]
	;; [unrolled: 1-line block ×4, first 2 shown]
	v_pk_mul_f32 v[10:11], v[80:81], v[10:11] op_sel_hi:[0,1]
	v_cndmask_b32_e64 v9, v9, v97, s[52:53]
	v_cndmask_b32_e64 v9, v9, v10, s[54:55]
	v_pk_mul_f32 v[12:13], v[80:81], v[12:13] op_sel_hi:[0,1]
	v_cndmask_b32_e64 v9, v9, v11, s[56:57]
	v_cndmask_b32_e64 v9, v9, v12, s[58:59]
	;; [unrolled: 3-line block ×3, first 2 shown]
	v_cndmask_b32_e64 v9, v9, v15, s[66:67]
	ds_bpermute_b32 v125, v115, v9
	v_cmp_eq_u32_e64 s[70:71], 1, v106
	v_cndmask_b32_e64 v6, v49, v122, s[64:65]
	v_cndmask_b32_e64 v7, v33, v123, s[64:65]
	;; [unrolled: 1-line block ×4, first 2 shown]
	v_cmp_eq_u32_e64 s[64:65], 2, v106
	s_waitcnt lgkmcnt(0)
	v_cndmask_b32_e64 v101, v15, v125, s[66:67]
	v_cmp_eq_u32_e64 s[66:67], 3, v106
	v_cndmask_b32_e64 v9, v64, v79, s[64:65]
	v_cndmask_b32_e64 v102, v14, v125, s[62:63]
	;; [unrolled: 1-line block ×3, first 2 shown]
	v_cmp_eq_u32_e64 s[62:63], 4, v106
	v_cndmask_b32_e64 v103, v13, v125, s[60:61]
	v_cmp_eq_u32_e64 s[60:61], 5, v106
	v_cndmask_b32_e64 v9, v9, v77, s[62:63]
	v_cndmask_b32_e64 v104, v12, v125, s[58:59]
	v_cndmask_b32_e64 v9, v9, v76, s[60:61]
	v_cmp_eq_u32_e64 s[58:59], 6, v106
	v_cndmask_b32_e64 v33, v59, v122, s[56:57]
	v_cndmask_b32_e64 v59, v27, v124, s[56:57]
	v_cndmask_b32_e64 v9, v9, v75, s[58:59]
	v_cndmask_b32_e64 v105, v11, v125, s[56:57]
	v_cmp_eq_u32_e64 s[56:57], 7, v106
	v_cndmask_b32_e64 v80, v41, v123, s[52:53]
	;; [unrolled: 5-line block ×3, first 2 shown]
	v_cndmask_b32_e64 v109, v96, v125, s[50:51]
	v_cndmask_b32_e64 v9, v9, v72, s[52:53]
	v_cmp_eq_u32_e64 s[50:51], 10, v106
	v_cndmask_b32_e64 v64, v42, v123, s[54:55]
	v_cndmask_b32_e64 v107, v10, v125, s[54:55]
	v_cndmask_b32_e64 v9, v9, v71, s[50:51]
	v_cmp_eq_u32_e64 s[54:55], 11, v106
	v_cndmask_b32_e64 v96, v23, v124, s[48:49]
	;; [unrolled: 4-line block ×3, first 2 shown]
	v_cndmask_b32_e64 v118, v53, v122, s[44:45]
	v_cndmask_b32_e64 v9, v9, v69, s[48:49]
	;; [unrolled: 1-line block ×4, first 2 shown]
	v_cmp_eq_u32_e64 s[44:45], 13, v106
	v_cndmask_b32_e64 v117, v4, v125, s[42:43]
	v_cmp_eq_u32_e64 s[42:43], 14, v106
	v_cndmask_b32_e64 v5, v9, v68, s[44:45]
	v_cndmask_b32_e64 v37, v35, v123, s[40:41]
	;; [unrolled: 1-line block ×4, first 2 shown]
	v_cmp_eq_u32_e64 s[40:41], 15, v106
	v_cndmask_b32_e64 v2, v2, v125, s[38:39]
	v_cndmask_b32_e64 v97, v22, v124, s[46:47]
	;; [unrolled: 1-line block ×3, first 2 shown]
	ds_bpermute_b32 v23, v115, v3
	v_cndmask_b32_e64 v49, v54, v122, s[46:47]
	v_cndmask_b32_e64 v54, v16, v124, s[36:37]
	s_waitcnt lgkmcnt(0)
	v_cndmask_b32_e64 v5, v68, v23, s[44:45]
	v_cndmask_b32_e64 v9, v69, v23, s[48:49]
	v_cndmask_b32_e64 v68, v50, v122, s[38:39]
	v_cndmask_b32_e64 v69, v34, v123, s[38:39]
	v_cmp_ne_u32_e64 s[38:39], 0, v99
	scratch_load_dword v99, off, off offset:44 ; 4-byte Folded Reload
	v_cndmask_b32_e64 v10, v70, v23, s[54:55]
	v_cndmask_b32_e64 v70, v1, v125, s[38:39]
	v_cmp_eq_u32_e64 s[38:39], 0, v106
	v_cndmask_b32_e64 v3, v65, v23, s[40:41]
	v_cndmask_b32_e64 v4, v67, v23, s[42:43]
	;; [unrolled: 1-line block ×15, first 2 shown]
	v_cndmask_b32_e32 v0, v23, v6, vcc
	v_cndmask_b32_e64 v0, v0, v68, s[6:7]
	v_cndmask_b32_e64 v0, v0, v36, s[8:9]
	v_cndmask_b32_e64 v0, v0, v66, s[10:11]
	v_cndmask_b32_e64 v0, v0, v118, s[12:13]
	v_cndmask_b32_e64 v0, v0, v49, s[14:15]
	v_cndmask_b32_e64 v0, v0, v47, s[16:17]
	v_cndmask_b32_e64 v0, v0, v46, s[18:19]
	v_cndmask_b32_e64 v0, v0, v45, s[20:21]
	v_cndmask_b32_e64 v0, v0, v44, s[22:23]
	v_cndmask_b32_e64 v0, v0, v33, s[74:75]
	v_cndmask_b32_e64 v0, v0, v31, s[76:77]
	v_cndmask_b32_e64 v0, v0, v30, s[78:79]
	v_cndmask_b32_e64 v0, v0, v29, s[80:81]
	v_cndmask_b32_e64 v0, v0, v28, s[34:35]
	ds_bpermute_b32 v122, v115, v0
	v_cndmask_b32_e32 v0, v38, v7, vcc
	v_cndmask_b32_e64 v0, v0, v69, s[6:7]
	v_cndmask_b32_e64 v0, v0, v37, s[8:9]
	v_cndmask_b32_e64 v0, v0, v84, s[10:11]
	v_cndmask_b32_e64 v0, v0, v119, s[12:13]
	v_cndmask_b32_e64 v0, v0, v83, s[14:15]
	v_cndmask_b32_e64 v0, v0, v82, s[16:17]
	v_cndmask_b32_e64 v0, v0, v81, s[18:19]
	v_cndmask_b32_e64 v0, v0, v80, s[20:21]
	v_cndmask_b32_e64 v0, v0, v64, s[22:23]
	v_cndmask_b32_e64 v0, v0, v43, s[74:75]
	v_cndmask_b32_e64 v0, v0, v60, s[76:77]
	v_cndmask_b32_e64 v0, v0, v61, s[78:79]
	v_cndmask_b32_e64 v0, v0, v62, s[80:81]
	v_cndmask_b32_e64 v0, v0, v63, s[34:35]
	ds_bpermute_b32 v123, v115, v0
	;; [unrolled: 16-line block ×4, first 2 shown]
	s_waitcnt lgkmcnt(2)
	v_cndmask_b32_e64 v48, v83, v123, s[14:15]
	scratch_load_dword v83, off, off offset:48 ; 4-byte Folded Reload
	s_waitcnt vmcnt(1)
	v_cmp_eq_u32_e64 s[36:37], 1, v99
	v_cndmask_b32_e64 v24, v28, v122, s[34:35]
	v_cndmask_b32_e64 v39, v63, v123, s[34:35]
	;; [unrolled: 1-line block ×3, first 2 shown]
	s_waitcnt lgkmcnt(1)
	v_cndmask_b32_e64 v55, v85, v124, s[34:35]
	s_waitcnt lgkmcnt(0)
	v_cndmask_b32_e64 v72, v101, v125, s[34:35]
	v_cmp_eq_u32_e64 s[34:35], 2, v99
	v_cmp_eq_u32_e64 s[88:89], 3, v99
	;; [unrolled: 1-line block ×3, first 2 shown]
	v_cndmask_b32_e64 v0, v0, v21, s[34:35]
	v_cndmask_b32_e64 v0, v0, v20, s[88:89]
	;; [unrolled: 1-line block ×3, first 2 shown]
	v_cmp_eq_u32_e64 s[94:95], 5, v99
	v_cmp_eq_u32_e64 s[96:97], 6, v99
	v_cndmask_b32_e64 v25, v29, v122, s[80:81]
	v_cndmask_b32_e64 v0, v0, v17, s[94:95]
	;; [unrolled: 1-line block ×8, first 2 shown]
	v_cmp_eq_u32_e64 s[22:23], 7, v99
	v_cndmask_b32_e64 v28, v33, v122, s[74:75]
	v_cndmask_b32_e64 v43, v43, v123, s[74:75]
	;; [unrolled: 1-line block ×5, first 2 shown]
	v_cmp_eq_u32_e64 s[74:75], 8, v99
	v_cndmask_b32_e64 v40, v62, v123, s[80:81]
	v_cndmask_b32_e64 v27, v31, v122, s[76:77]
	;; [unrolled: 1-line block ×7, first 2 shown]
	v_cmp_eq_u32_e64 s[18:19], 9, v99
	v_cndmask_b32_e64 v32, v47, v122, s[16:17]
	v_cndmask_b32_e64 v47, v82, v123, s[16:17]
	;; [unrolled: 1-line block ×5, first 2 shown]
	v_cmp_eq_u32_e64 s[16:17], 10, v99
	v_cndmask_b32_e64 v33, v49, v122, s[14:15]
	v_cndmask_b32_e64 v64, v97, v124, s[14:15]
	v_cndmask_b32_e64 v0, v0, v11, s[16:17]
	v_cndmask_b32_e64 v87, v112, v125, s[14:15]
	v_cmp_eq_u32_e64 s[14:15], 11, v99
	v_cndmask_b32_e64 v56, v89, v124, s[80:81]
	v_cndmask_b32_e64 v34, v118, v122, s[12:13]
	v_cndmask_b32_e64 v0, v0, v10, s[14:15]
	v_cndmask_b32_e64 v49, v119, v123, s[12:13]
	v_cndmask_b32_e64 v65, v120, v124, s[12:13]
	v_cndmask_b32_e64 v89, v121, v125, s[12:13]
	v_cmp_eq_u32_e64 s[12:13], 12, v99
	v_cmp_eq_u32_e64 s[84:85], 13, v99
	v_cndmask_b32_e64 v57, v90, v124, s[78:79]
	v_cndmask_b32_e64 v0, v0, v9, s[12:13]
	;; [unrolled: 1-line block ×7, first 2 shown]
	v_cmp_eq_u32_e64 s[10:11], 14, v99
	v_cndmask_b32_e64 v58, v91, v124, s[76:77]
	v_cndmask_b32_e64 v36, v36, v122, s[8:9]
	;; [unrolled: 1-line block ×6, first 2 shown]
	v_cmp_eq_u32_e64 s[8:9], 15, v99
	v_cndmask_b32_e64 v26, v30, v122, s[78:79]
	v_cndmask_b32_e64 v30, v45, v122, s[20:21]
	;; [unrolled: 1-line block ×4, first 2 shown]
	ds_bpermute_b32 v80, v115, v0
	v_cndmask_b32_e64 v92, v2, v125, s[6:7]
	v_cndmask_b32_e64 v37, v68, v122, s[6:7]
	v_cndmask_b32_e32 v53, v7, v123, vcc
	v_cndmask_b32_e64 v38, v38, v123, s[68:69]
	s_waitcnt lgkmcnt(0)
	v_cndmask_b32_e64 v2, v4, v80, s[10:11]
	v_cndmask_b32_e64 v4, v9, v80, s[12:13]
	;; [unrolled: 1-line block ×7, first 2 shown]
	v_cndmask_b32_e32 v19, v6, v122, vcc
	v_cndmask_b32_e64 v20, v23, v122, s[68:69]
	v_cndmask_b32_e64 v6, v20, v19, s[70:71]
	;; [unrolled: 1-line block ×19, first 2 shown]
	v_cndmask_b32_e32 v93, v70, v125, vcc
	v_cndmask_b32_e64 v70, v54, v124, s[68:69]
	ds_bpermute_b32 v54, v115, v6
	v_cndmask_b32_e64 v6, v38, v53, s[70:71]
	v_cndmask_b32_e64 v6, v6, v52, s[64:65]
	;; [unrolled: 1-line block ×15, first 2 shown]
	v_cndmask_b32_e32 v69, v8, v124, vcc
	v_cmp_eq_u32_e64 s[6:7], 0, v99
	v_cndmask_b32_e64 v6, v6, v39, s[40:41]
	v_cndmask_b32_e64 v0, v3, v80, s[8:9]
	;; [unrolled: 1-line block ×10, first 2 shown]
	ds_bpermute_b32 v80, v115, v6
	v_cndmask_b32_e64 v6, v70, v69, s[70:71]
	v_cndmask_b32_e64 v6, v6, v68, s[64:65]
	;; [unrolled: 1-line block ×16, first 2 shown]
	ds_bpermute_b32 v81, v115, v6
	v_cndmask_b32_e64 v6, v107, v93, s[70:71]
	v_cndmask_b32_e64 v6, v6, v92, s[64:65]
	;; [unrolled: 1-line block ×19, first 2 shown]
	ds_bpermute_b32 v82, v115, v6
	s_waitcnt vmcnt(0)
	v_cmp_eq_u32_e64 s[20:21], 1, v83
	v_cmp_eq_u32_e64 s[46:47], 2, v83
	s_waitcnt lgkmcnt(3)
	v_cndmask_b32_e64 v22, v25, v54, s[42:43]
	v_cndmask_b32_e64 v6, v1, v18, s[20:21]
	s_waitcnt lgkmcnt(0)
	v_cndmask_b32_e64 v108, v72, v82, s[40:41]
	v_cndmask_b32_e64 v6, v6, v17, s[46:47]
	v_cndmask_b32_e64 v40, v40, v80, s[42:43]
	v_cndmask_b32_e64 v72, v56, v81, s[42:43]
	v_cndmask_b32_e64 v109, v73, v82, s[42:43]
	v_cmp_eq_u32_e64 s[42:43], 3, v83
	v_cndmask_b32_e64 v21, v24, v54, s[40:41]
	v_cndmask_b32_e64 v39, v39, v80, s[40:41]
	;; [unrolled: 1-line block ×4, first 2 shown]
	v_cmp_eq_u32_e64 s[40:41], 4, v83
	v_cndmask_b32_e64 v117, v74, v82, s[44:45]
	v_cndmask_b32_e64 v24, v27, v54, s[48:49]
	;; [unrolled: 1-line block ×6, first 2 shown]
	v_cmp_eq_u32_e64 s[48:49], 5, v83
	v_cndmask_b32_e64 v25, v28, v54, s[54:55]
	v_cndmask_b32_e64 v43, v43, v80, s[54:55]
	;; [unrolled: 1-line block ×5, first 2 shown]
	v_cmp_eq_u32_e64 s[54:55], 6, v83
	scratch_load_dword v99, off, off offset:52 ; 4-byte Folded Reload
	v_cmp_eq_u32_e64 s[68:69], 7, v83
	v_cndmask_b32_e64 v6, v6, v13, s[54:55]
	v_cmp_eq_u32_e64 s[76:77], 8, v83
	v_cndmask_b32_e64 v6, v6, v12, s[68:69]
	v_cndmask_b32_e64 v121, v78, v82, s[52:53]
	;; [unrolled: 1-line block ×7, first 2 shown]
	v_cmp_eq_u32_e64 s[72:73], 9, v83
	v_cmp_eq_u32_e64 s[78:79], 10, v83
	;; [unrolled: 1-line block ×3, first 2 shown]
	v_cndmask_b32_e64 v6, v6, v10, s[72:73]
	v_cndmask_b32_e64 v6, v6, v9, s[78:79]
	;; [unrolled: 1-line block ×3, first 2 shown]
	v_cmp_eq_u32_e64 s[82:83], 12, v83
	v_cndmask_b32_e64 v23, v26, v54, s[44:45]
	v_cndmask_b32_e64 v26, v29, v54, s[50:51]
	;; [unrolled: 1-line block ×8, first 2 shown]
	v_cmp_eq_u32_e64 s[62:63], 13, v83
	v_cmp_eq_u32_e64 s[86:87], 14, v83
	;; [unrolled: 1-line block ×3, first 2 shown]
	v_cndmask_b32_e64 v6, v6, v3, s[62:63]
	v_cndmask_b32_e64 v6, v6, v2, s[86:87]
	;; [unrolled: 1-line block ×6, first 2 shown]
	ds_bpermute_b32 v36, v115, v6
	v_cndmask_b32_e64 v35, v19, v54, s[70:71]
	v_cndmask_b32_e64 v20, v20, v54, s[38:39]
	;; [unrolled: 1-line block ×4, first 2 shown]
	s_waitcnt lgkmcnt(0)
	v_cndmask_b32_e64 v7, v10, v36, s[72:73]
	v_cndmask_b32_e64 v10, v13, v36, s[54:55]
	;; [unrolled: 1-line block ×21, first 2 shown]
	ds_bpermute_b32 v102, v115, v16
	v_cndmask_b32_e64 v16, v54, v53, s[36:37]
	v_cndmask_b32_e64 v51, v51, v80, s[66:67]
	;; [unrolled: 1-line block ×25, first 2 shown]
	ds_bpermute_b32 v103, v115, v16
	v_cndmask_b32_e64 v16, v70, v69, s[36:37]
	v_cndmask_b32_e64 v67, v67, v81, s[66:67]
	;; [unrolled: 1-line block ×26, first 2 shown]
	ds_bpermute_b32 v104, v115, v16
	v_cndmask_b32_e64 v16, v107, v110, s[36:37]
	v_cndmask_b32_e64 v125, v91, v82, s[66:67]
	;; [unrolled: 1-line block ×19, first 2 shown]
	ds_bpermute_b32 v105, v115, v16
	v_cmp_eq_u32_e64 s[50:51], 0, v83
	v_cndmask_b32_e64 v6, v9, v36, s[78:79]
	v_cndmask_b32_e64 v9, v12, v36, s[68:69]
	;; [unrolled: 1-line block ×5, first 2 shown]
	s_waitcnt vmcnt(0)
	v_cmp_eq_u32_e32 vcc, 1, v99
	v_cndmask_b32_e64 v8, v11, v36, s[76:77]
	v_cndmask_b32_e64 v11, v14, v36, s[48:49]
	;; [unrolled: 1-line block ×3, first 2 shown]
	v_cndmask_b32_e32 v16, v1, v15, vcc
	s_waitcnt lgkmcnt(3)
	v_cndmask_b32_e64 v21, v21, v102, s[8:9]
	s_waitcnt lgkmcnt(2)
	v_cndmask_b32_e64 v55, v39, v103, s[8:9]
	;; [unrolled: 2-line block ×4, first 2 shown]
	v_cmp_eq_u32_e64 s[8:9], 2, v99
	v_cndmask_b32_e64 v0, v0, v36, s[90:91]
	v_cndmask_b32_e64 v2, v2, v36, s[86:87]
	;; [unrolled: 1-line block ×10, first 2 shown]
	v_cmp_eq_u32_e64 s[10:11], 3, v99
	v_cmp_eq_u32_e64 s[44:45], 4, v99
	;; [unrolled: 1-line block ×3, first 2 shown]
	v_cndmask_b32_e64 v16, v16, v13, s[10:11]
	v_cndmask_b32_e64 v16, v16, v12, s[44:45]
	;; [unrolled: 1-line block ×3, first 2 shown]
	v_cmp_eq_u32_e64 s[56:57], 6, v99
	v_cmp_eq_u32_e64 s[58:59], 7, v99
	;; [unrolled: 1-line block ×3, first 2 shown]
	v_cndmask_b32_e64 v16, v16, v10, s[56:57]
	v_cndmask_b32_e64 v16, v16, v9, s[58:59]
	;; [unrolled: 1-line block ×3, first 2 shown]
	v_cmp_eq_u32_e64 s[64:65], 9, v99
	v_cmp_eq_u32_e64 s[70:71], 10, v99
	v_cndmask_b32_e64 v28, v28, v102, s[74:75]
	v_cndmask_b32_e64 v16, v16, v7, s[64:65]
	;; [unrolled: 1-line block ×6, first 2 shown]
	v_cmp_eq_u32_e64 s[74:75], 11, v99
	v_cmp_eq_u32_e64 s[66:67], 12, v99
	v_cndmask_b32_e64 v37, v23, v102, s[84:85]
	v_cndmask_b32_e64 v16, v16, v5, s[74:75]
	;; [unrolled: 1-line block ×6, first 2 shown]
	v_cmp_eq_u32_e64 s[84:85], 13, v99
	v_cndmask_b32_e64 v33, v33, v102, s[88:89]
	v_cndmask_b32_e64 v51, v51, v103, s[88:89]
	;; [unrolled: 1-line block ×5, first 2 shown]
	v_cmp_eq_u32_e64 s[88:89], 14, v99
	v_cndmask_b32_e64 v32, v32, v102, s[92:93]
	v_cndmask_b32_e64 v50, v50, v103, s[92:93]
	;; [unrolled: 1-line block ×5, first 2 shown]
	v_cmp_eq_u32_e64 s[92:93], 15, v99
	v_cndmask_b32_e64 v41, v27, v102, s[18:19]
	v_cndmask_b32_e64 v58, v42, v103, s[12:13]
	;; [unrolled: 1-line block ×3, first 2 shown]
	ds_bpermute_b32 v27, v115, v16
	v_cndmask_b32_e64 v31, v31, v102, s[94:95]
	v_cndmask_b32_e64 v49, v49, v103, s[94:95]
	;; [unrolled: 1-line block ×4, first 2 shown]
	s_waitcnt lgkmcnt(0)
	v_cndmask_b32_e64 v18, v5, v27, s[74:75]
	scratch_load_dword v5, off, off offset:56 ; 4-byte Folded Reload
	v_cndmask_b32_e64 v35, v35, v102, s[36:37]
	v_cmp_eq_u32_e64 s[94:95], 0, v99
	v_cndmask_b32_e64 v42, v20, v102, s[6:7]
	v_cndmask_b32_e64 v38, v24, v102, s[12:13]
	v_cndmask_b32_e64 v39, v25, v102, s[14:15]
	v_cndmask_b32_e64 v40, v26, v102, s[16:17]
	v_cndmask_b32_e64 v34, v34, v102, s[34:35]
	v_cndmask_b32_e64 v0, v0, v27, s[92:93]
	v_cndmask_b32_e64 v2, v2, v27, s[88:89]
	v_cndmask_b32_e64 v16, v3, v27, s[84:85]
	v_cndmask_b32_e64 v17, v4, v27, s[66:67]
	v_cndmask_b32_e64 v19, v6, v27, s[70:71]
	v_cndmask_b32_e64 v22, v7, v27, s[64:65]
	v_cndmask_b32_e64 v23, v8, v27, s[60:61]
	v_cndmask_b32_e64 v24, v9, v27, s[58:59]
	v_cndmask_b32_e64 v25, v10, v27, s[56:57]
	v_cndmask_b32_e64 v26, v11, v27, s[52:53]
	v_cndmask_b32_e64 v12, v12, v27, s[44:45]
	v_cndmask_b32_e64 v13, v13, v27, s[10:11]
	v_cndmask_b32_e64 v14, v14, v27, s[8:9]
	v_cndmask_b32_e32 v15, v15, v27, vcc
	v_cndmask_b32_e64 v27, v1, v27, s[94:95]
	v_cndmask_b32_e64 v1, v42, v35, s[20:21]
	;; [unrolled: 1-line block ×22, first 2 shown]
	ds_bpermute_b32 v106, v115, v1
	v_cndmask_b32_e64 v1, v65, v64, s[20:21]
	v_cndmask_b32_e64 v1, v1, v52, s[46:47]
	;; [unrolled: 1-line block ×28, first 2 shown]
	ds_bpermute_b32 v99, v115, v1
	v_cndmask_b32_e64 v1, v119, v118, s[20:21]
	v_cndmask_b32_e64 v3, v102, v110, s[20:21]
	;; [unrolled: 1-line block ×37, first 2 shown]
	s_waitcnt vmcnt(0)
	v_cmp_eq_u32_e64 s[6:7], 1, v5
	v_cndmask_b32_e64 v1, v1, v71, s[90:91]
	v_cndmask_b32_e64 v3, v3, v108, s[90:91]
	ds_bpermute_b32 v1, v115, v1
	ds_bpermute_b32 v3, v115, v3
	v_cndmask_b32_e64 v4, v27, v15, s[6:7]
	v_cmp_eq_u32_e64 s[12:13], 2, v5
	v_cmp_eq_u32_e64 s[14:15], 3, v5
	;; [unrolled: 1-line block ×3, first 2 shown]
	v_cndmask_b32_e64 v4, v4, v14, s[12:13]
	v_cndmask_b32_e64 v4, v4, v13, s[14:15]
	;; [unrolled: 1-line block ×3, first 2 shown]
	v_cmp_eq_u32_e64 s[18:19], 5, v5
	v_cmp_eq_u32_e64 s[22:23], 6, v5
	s_waitcnt lgkmcnt(3)
	v_cndmask_b32_e64 v53, v40, v106, s[78:79]
	v_cndmask_b32_e64 v4, v4, v26, s[18:19]
	;; [unrolled: 1-line block ×3, first 2 shown]
	s_waitcnt lgkmcnt(2)
	v_cndmask_b32_e64 v78, v60, v99, s[78:79]
	s_waitcnt lgkmcnt(1)
	v_cndmask_b32_e64 v125, v76, v1, s[78:79]
	;; [unrolled: 2-line block ×3, first 2 shown]
	v_cmp_eq_u32_e64 s[78:79], 7, v5
	v_cndmask_b32_e64 v54, v41, v106, s[72:73]
	v_cndmask_b32_e64 v61, v61, v99, s[72:73]
	v_cndmask_b32_e64 v4, v4, v24, s[78:79]
	v_cndmask_b32_e64 v126, v77, v1, s[72:73]
	v_cndmask_b32_e64 v81, v81, v3, s[72:73]
	v_cmp_eq_u32_e64 s[72:73], 8, v5
	v_cndmask_b32_e64 v66, v55, v99, s[90:91]
	v_cndmask_b32_e64 v55, v28, v106, s[76:77]
	;; [unrolled: 1-line block ×6, first 2 shown]
	v_cmp_eq_u32_e64 s[76:77], 9, v5
	v_cmp_eq_u32_e64 s[34:35], 10, v5
	;; [unrolled: 1-line block ×3, first 2 shown]
	v_cndmask_b32_e64 v4, v4, v22, s[76:77]
	v_cndmask_b32_e64 v4, v4, v19, s[34:35]
	v_cndmask_b32_e64 v4, v4, v18, s[36:37]
	v_cmp_eq_u32_e64 s[38:39], 12, v5
	v_cndmask_b32_e64 v120, v71, v1, s[90:91]
	v_cndmask_b32_e64 v121, v72, v1, s[86:87]
	v_cndmask_b32_e64 v87, v63, v99, s[68:69]
	v_cndmask_b32_e64 v4, v4, v17, s[38:39]
	v_cndmask_b32_e64 v105, v32, v106, s[40:41]
	v_cndmask_b32_e64 v63, v50, v99, s[40:41]
	v_cndmask_b32_e64 v71, v92, v1, s[40:41]
	v_cndmask_b32_e64 v72, v97, v3, s[40:41]
	v_cmp_eq_u32_e64 s[40:41], 13, v5
	v_cndmask_b32_e64 v68, v57, v99, s[62:63]
	v_cndmask_b32_e64 v123, v74, v1, s[82:83]
	v_cndmask_b32_e64 v57, v30, v106, s[54:55]
	v_cndmask_b32_e64 v4, v4, v16, s[40:41]
	v_cndmask_b32_e64 v74, v33, v106, s[42:43]
	;; [unrolled: 9-line block ×3, first 2 shown]
	v_cmp_eq_u32_e64 s[46:47], 15, v5
	v_cndmask_b32_e64 v67, v56, v99, s[86:87]
	v_cndmask_b32_e64 v104, v109, v3, s[86:87]
	;; [unrolled: 1-line block ×3, first 2 shown]
	ds_bpermute_b32 v28, v115, v8
	v_cndmask_b32_e64 v69, v58, v99, s[82:83]
	v_cndmask_b32_e64 v70, v59, v99, s[80:81]
	;; [unrolled: 1-line block ×5, first 2 shown]
	s_waitcnt lgkmcnt(0)
	v_cndmask_b32_e64 v9, v2, v28, s[42:43]
	v_cndmask_b32_e64 v10, v16, v28, s[40:41]
	;; [unrolled: 1-line block ×5, first 2 shown]
	scratch_load_dword v99, off, off offset:60 ; 4-byte Folded Reload
	v_cndmask_b32_e64 v11, v17, v28, s[38:39]
	v_cndmask_b32_e64 v20, v18, v28, s[36:37]
	;; [unrolled: 1-line block ×8, first 2 shown]
	v_cmp_eq_u32_e64 s[20:21], 0, v5
	v_cndmask_b32_e64 v43, v21, v106, s[90:91]
	v_cndmask_b32_e64 v8, v0, v28, s[46:47]
	;; [unrolled: 1-line block ×16, first 2 shown]
	v_cndmask_b32_e32 v1, v28, v12, vcc
	v_cndmask_b32_e64 v1, v1, v93, s[8:9]
	v_cndmask_b32_e64 v1, v1, v74, s[10:11]
	;; [unrolled: 1-line block ×20, first 2 shown]
	ds_bpermute_b32 v42, v115, v1
	v_cndmask_b32_e32 v1, v16, v13, vcc
	v_cndmask_b32_e64 v1, v1, v4, s[8:9]
	v_cndmask_b32_e64 v1, v1, v60, s[10:11]
	v_cndmask_b32_e64 v1, v1, v63, s[44:45]
	v_cndmask_b32_e64 v1, v1, v90, s[52:53]
	v_cndmask_b32_e64 v1, v1, v89, s[56:57]
	v_cndmask_b32_e64 v1, v1, v87, s[58:59]
	v_cndmask_b32_e64 v1, v1, v86, s[60:61]
	v_cndmask_b32_e64 v1, v1, v61, s[64:65]
	v_cndmask_b32_e64 v1, v1, v78, s[70:71]
	v_cndmask_b32_e64 v1, v1, v70, s[74:75]
	v_cndmask_b32_e64 v1, v1, v69, s[66:67]
	v_cndmask_b32_e64 v1, v1, v68, s[84:85]
	v_cndmask_b32_e64 v1, v1, v67, s[88:89]
	v_cndmask_b32_e64 v1, v1, v66, s[92:93]
	ds_bpermute_b32 v29, v115, v1
	v_cndmask_b32_e32 v1, v19, v14, vcc
	v_cndmask_b32_e64 v1, v1, v97, s[8:9]
	v_cndmask_b32_e64 v1, v1, v30, s[10:11]
	;; [unrolled: 1-line block ×15, first 2 shown]
	ds_bpermute_b32 v31, v115, v1
	v_cndmask_b32_e32 v1, v27, v15, vcc
	v_cndmask_b32_e64 v1, v1, v7, s[8:9]
	v_cndmask_b32_e64 v1, v1, v6, s[10:11]
	;; [unrolled: 1-line block ×20, first 2 shown]
	ds_bpermute_b32 v40, v115, v1
	s_waitcnt vmcnt(0)
	v_cmp_eq_u32_e64 s[48:49], 1, v99
	v_cmp_eq_u32_e64 s[50:51], 2, v99
	;; [unrolled: 1-line block ×3, first 2 shown]
	v_cndmask_b32_e64 v1, v0, v18, s[48:49]
	v_cndmask_b32_e64 v1, v1, v17, s[50:51]
	;; [unrolled: 1-line block ×3, first 2 shown]
	v_cmp_eq_u32_e64 s[62:63], 4, v99
	s_waitcnt lgkmcnt(3)
	v_cndmask_b32_e64 v75, v46, v42, s[66:67]
	s_waitcnt lgkmcnt(2)
	v_cndmask_b32_e64 v39, v69, v29, s[66:67]
	v_cndmask_b32_e64 v1, v1, v92, s[62:63]
	s_waitcnt lgkmcnt(1)
	v_cndmask_b32_e64 v35, v123, v31, s[66:67]
	s_waitcnt lgkmcnt(0)
	v_cndmask_b32_e64 v51, v85, v40, s[66:67]
	v_cmp_eq_u32_e64 s[66:67], 5, v99
	v_cmp_eq_u32_e64 s[68:69], 6, v99
	v_cndmask_b32_e64 v59, v43, v42, s[92:93]
	v_cndmask_b32_e64 v1, v1, v26, s[66:67]
	v_cndmask_b32_e64 v1, v1, v25, s[68:69]
	v_cndmask_b32_e64 v77, v53, v42, s[70:71]
	v_cndmask_b32_e64 v43, v78, v29, s[70:71]
	v_cndmask_b32_e64 v53, v125, v31, s[70:71]
	v_cndmask_b32_e64 v65, v80, v40, s[70:71]
	v_cmp_eq_u32_e64 s[70:71], 7, v99
	v_cndmask_b32_e64 v36, v66, v29, s[92:93]
	v_cndmask_b32_e64 v62, v44, v42, s[88:89]
	v_cndmask_b32_e64 v1, v1, v24, s[70:71]
	v_cndmask_b32_e64 v78, v54, v42, s[64:65]
	v_cndmask_b32_e64 v44, v61, v29, s[64:65]
	v_cndmask_b32_e64 v54, v126, v31, s[64:65]
	v_cndmask_b32_e64 v66, v81, v40, s[64:65]
	;; [unrolled: 8-line block ×3, first 2 shown]
	v_cmp_eq_u32_e64 s[60:61], 9, v99
	v_cndmask_b32_e64 v38, v68, v29, s[84:85]
	v_cndmask_b32_e64 v86, v56, v42, s[58:59]
	v_cndmask_b32_e64 v1, v1, v22, s[60:61]
	v_cndmask_b32_e64 v46, v87, v29, s[58:59]
	v_cndmask_b32_e64 v56, v108, v31, s[58:59]
	v_cndmask_b32_e64 v68, v83, v40, s[58:59]
	v_cmp_eq_u32_e64 s[58:59], 10, v99
	v_cndmask_b32_e64 v76, v47, v42, s[74:75]
	v_cndmask_b32_e64 v87, v57, v42, s[56:57]
	v_cndmask_b32_e64 v1, v1, v21, s[58:59]
	v_cndmask_b32_e64 v47, v89, v29, s[56:57]
	v_cndmask_b32_e64 v57, v109, v31, s[56:57]
	v_cndmask_b32_e64 v69, v96, v40, s[56:57]
	;; [unrolled: 7-line block ×3, first 2 shown]
	v_cmp_eq_u32_e64 s[52:53], 12, v99
	v_cndmask_b32_e64 v82, v105, v42, s[44:45]
	v_cndmask_b32_e64 v81, v63, v29, s[44:45]
	v_cndmask_b32_e64 v1, v1, v11, s[52:53]
	v_cndmask_b32_e64 v63, v71, v31, s[44:45]
	v_cndmask_b32_e64 v71, v72, v40, s[44:45]
	v_cmp_eq_u32_e64 s[44:45], 13, v99
	v_cndmask_b32_e64 v74, v74, v42, s[10:11]
	v_cndmask_b32_e64 v60, v60, v29, s[10:11]
	v_cndmask_b32_e64 v1, v1, v10, s[44:45]
	v_cndmask_b32_e64 v72, v30, v31, s[10:11]
	v_cndmask_b32_e64 v83, v6, v40, s[10:11]
	;; [unrolled: 6-line block ×3, first 2 shown]
	v_cndmask_b32_e64 v89, v7, v40, s[8:9]
	v_cmp_eq_u32_e64 s[8:9], 15, v99
	v_cndmask_b32_e32 v91, v12, v42, vcc
	v_cndmask_b32_e32 v93, v13, v29, vcc
	v_cndmask_b32_e64 v1, v1, v8, s[8:9]
	ds_bpermute_b32 v90, v115, v1
	v_cndmask_b32_e32 v96, v15, v40, vcc
	v_cndmask_b32_e32 v94, v14, v31, vcc
	v_cndmask_b32_e64 v16, v16, v29, s[94:95]
	v_cndmask_b32_e64 v32, v120, v31, s[92:93]
	s_waitcnt lgkmcnt(0)
	v_cndmask_b32_e64 v12, v11, v90, s[52:53]
	v_cndmask_b32_e64 v11, v20, v90, s[56:57]
	;; [unrolled: 1-line block ×20, first 2 shown]
	ds_bpermute_b32 v21, v115, v1
	v_cndmask_b32_e64 v3, v2, v90, s[54:55]
	v_cndmask_b32_e64 v2, v17, v90, s[50:51]
	;; [unrolled: 1-line block ×4, first 2 shown]
	s_waitcnt lgkmcnt(0)
	v_cndmask_b32_e64 v17, v59, v21, s[46:47]
	v_cndmask_b32_e64 v42, v78, v21, s[76:77]
	v_cndmask_b32_e64 v59, v79, v21, s[72:73]
	v_cndmask_b32_e64 v78, v91, v21, s[6:7]
	v_cndmask_b32_e64 v79, v20, v21, s[20:21]
	v_cndmask_b32_e64 v25, v77, v21, s[34:35]
	v_cndmask_b32_e64 v77, v30, v21, s[12:13]
	v_cndmask_b32_e64 v20, v79, v78, s[48:49]
	v_cndmask_b32_e64 v74, v74, v21, s[14:15]
	v_cndmask_b32_e64 v20, v20, v77, s[50:51]
	v_cndmask_b32_e64 v24, v76, v21, s[36:37]
	v_cndmask_b32_e64 v76, v82, v21, s[16:17]
	v_cndmask_b32_e64 v20, v20, v74, s[54:55]
	v_cndmask_b32_e64 v15, v8, v90, s[8:9]
	v_cndmask_b32_e64 v8, v23, v90, s[64:65]
	v_cndmask_b32_e64 v23, v75, v21, s[38:39]
	v_cndmask_b32_e64 v75, v80, v21, s[18:19]
	v_cndmask_b32_e64 v20, v20, v76, s[62:63]
	v_cndmask_b32_e64 v14, v9, v90, s[10:11]
	v_cndmask_b32_e64 v9, v22, v90, s[60:61]
	v_cndmask_b32_e64 v22, v73, v21, s[40:41]
	v_cndmask_b32_e64 v73, v87, v21, s[22:23]
	v_cndmask_b32_e64 v20, v20, v75, s[66:67]
	v_cndmask_b32_e64 v1, v18, v90, s[48:49]
	v_cndmask_b32_e64 v18, v62, v21, s[42:43]
	v_cndmask_b32_e64 v62, v86, v21, s[78:79]
	v_cndmask_b32_e64 v20, v20, v73, s[68:69]
	v_cndmask_b32_e64 v20, v20, v62, s[70:71]
	v_cndmask_b32_e64 v20, v20, v59, s[64:65]
	v_cndmask_b32_e64 v20, v20, v42, s[60:61]
	v_cndmask_b32_e64 v20, v20, v25, s[58:59]
	v_cndmask_b32_e64 v20, v20, v24, s[56:57]
	v_cndmask_b32_e64 v20, v20, v23, s[52:53]
	v_cndmask_b32_e64 v20, v20, v22, s[44:45]
	v_cndmask_b32_e64 v20, v20, v18, s[10:11]
	v_cndmask_b32_e64 v20, v20, v17, s[8:9]
	ds_bpermute_b32 v80, v115, v20
	v_cndmask_b32_e64 v33, v121, v31, s[88:89]
	v_cndmask_b32_e64 v34, v122, v31, s[84:85]
	;; [unrolled: 1-line block ×4, first 2 shown]
	s_waitcnt lgkmcnt(0)
	v_cndmask_b32_e64 v31, v17, v80, s[8:9]
	v_cndmask_b32_e64 v17, v16, v93, s[6:7]
	;; [unrolled: 1-line block ×16, first 2 shown]
	ds_bpermute_b32 v17, v115, v17
	v_cndmask_b32_e64 v20, v76, v80, s[62:63]
	v_cndmask_b32_e64 v21, v75, v80, s[66:67]
	;; [unrolled: 1-line block ×4, first 2 shown]
	s_waitcnt lgkmcnt(0)
	v_cndmask_b32_e64 v76, v81, v17, s[16:17]
	v_cndmask_b32_e64 v81, v84, v17, s[12:13]
	;; [unrolled: 1-line block ×38, first 2 shown]
	v_cmp_eq_u32_e32 vcc, 0, v99
	v_cndmask_b32_e64 v16, v16, v36, s[8:9]
	v_cndmask_b32_e64 v5, v26, v90, s[66:67]
	;; [unrolled: 1-line block ×3, first 2 shown]
	v_cndmask_b32_e32 v0, v0, v90, vcc
	ds_bpermute_b32 v90, v115, v16
	v_cndmask_b32_e64 v26, v25, v80, s[58:59]
	v_cndmask_b32_e64 v25, v42, v80, s[60:61]
	;; [unrolled: 1-line block ×4, first 2 shown]
	s_waitcnt lgkmcnt(0)
	v_cndmask_b32_e64 v47, v36, v90, s[8:9]
	v_cndmask_b32_e64 v36, v82, v94, s[6:7]
	;; [unrolled: 1-line block ×18, first 2 shown]
	ds_bpermute_b32 v59, v115, v36
	v_cndmask_b32_e64 v18, v77, v80, s[50:51]
	v_cndmask_b32_e64 v17, v78, v80, s[48:49]
	v_cndmask_b32_e32 v16, v79, v80, vcc
	v_cndmask_b32_e64 v46, v37, v90, s[10:11]
	s_waitcnt lgkmcnt(0)
	v_cndmask_b32_e64 v80, v94, v59, s[6:7]
	v_cndmask_b32_e64 v82, v82, v59, s[20:21]
	;; [unrolled: 1-line block ×39, first 2 shown]
	ds_bpermute_b32 v85, v115, v32
	v_cndmask_b32_e64 v35, v60, v90, s[54:55]
	v_cndmask_b32_e64 v34, v81, v90, s[50:51]
	v_cndmask_b32_e64 v33, v84, v90, s[48:49]
	v_cndmask_b32_e32 v32, v87, v90, vcc
	s_waitcnt lgkmcnt(0)
	v_cndmask_b32_e64 v59, v52, v85, s[56:57]
	v_cndmask_b32_e64 v52, v86, v96, s[6:7]
	;; [unrolled: 1-line block ×18, first 2 shown]
	ds_bpermute_b32 v73, v115, v52
	v_cndmask_b32_e64 v60, v74, v85, s[52:53]
	v_cndmask_b32_e64 v57, v54, v85, s[60:61]
	;; [unrolled: 1-line block ×4, first 2 shown]
	s_waitcnt lgkmcnt(0)
	v_cndmask_b32_e64 v90, v96, v73, s[6:7]
	scratch_load_dwordx2 v[96:97], off, off offset:20 ; 8-byte Folded Reload
	v_cndmask_b32_e64 v86, v86, v73, s[20:21]
	v_cndmask_b32_e64 v74, v48, v73, s[46:47]
	;; [unrolled: 1-line block ×31, first 2 shown]
	ds_bpermute_b32 v91, v115, v48
	v_readlane_b32 s6, v127, 30
	v_readlane_b32 s7, v127, 31
	;; [unrolled: 1-line block ×5, first 2 shown]
	v_cndmask_b32_e64 v62, v62, v85, s[10:11]
	v_cndmask_b32_e64 v58, v53, v85, s[58:59]
	;; [unrolled: 1-line block ×7, first 2 shown]
	v_cndmask_b32_e32 v48, v82, v85, vcc
	s_waitcnt lgkmcnt(0)
	v_cndmask_b32_e64 v79, v74, v91, s[8:9]
	v_cndmask_b32_e64 v78, v75, v91, s[10:11]
	;; [unrolled: 1-line block ×15, first 2 shown]
	v_cndmask_b32_e32 v64, v86, v91, vcc
	s_mov_b32 s12, 0
	v_readlane_b32 s35, v127, 11
	v_readlane_b32 s37, v127, 13
	;; [unrolled: 1-line block ×10, first 2 shown]
                                        ; implicit-def: $sgpr8_sgpr9
	s_waitcnt vmcnt(0)
	v_lshl_add_u64 v[86:87], s[6:7], 0, v[96:97]
	s_mov_b64 s[6:7], 0
	s_branch .LBB300_34
.LBB300_33:                             ;   in Loop: Header=BB300_34 Depth=2
	s_or_b64 exec, exec, s[10:11]
	s_and_b64 s[10:11], exec, s[8:9]
	s_or_b64 s[6:7], s[10:11], s[6:7]
	s_andn2_b64 exec, exec, s[6:7]
	s_cbranch_execz .LBB300_36
.LBB300_34:                             ;   Parent Loop BB300_7 Depth=1
                                        ; =>  This Inner Loop Header: Depth=2
	s_and_b32 s10, s12, 2
	s_and_b32 s11, s5, 24
	s_or_b32 s10, s11, s10
	v_or_b32_e32 v80, s10, v114
	v_add_u32_e32 v81, s99, v80
	v_cmp_gt_u32_e32 vcc, 32, v81
	s_or_b64 s[8:9], s[8:9], exec
	s_and_saveexec_b64 s[10:11], vcc
	s_cbranch_execz .LBB300_33
; %bb.35:                               ;   in Loop: Header=BB300_34 Depth=2
	s_add_i32 s13, s12, 1
	s_set_gpr_idx_on s12, gpr_idx(SRC0)
	v_mov_b32_e32 v81, v0
	s_set_gpr_idx_off
	v_cvt_f16_f32_e32 v82, v81
	s_set_gpr_idx_on s13, gpr_idx(SRC0)
	v_mov_b32_e32 v81, v0
	s_set_gpr_idx_off
	v_cvt_f16_f32_sdwa v83, v81 dst_sel:WORD_1 dst_unused:UNUSED_PAD src0_sel:DWORD
	v_mul_lo_u32 v80, v80, s25
	v_ashrrev_i32_e32 v81, 31, v80
	v_lshl_add_u64 v[80:81], v[80:81], 1, v[86:87]
	v_or_b32_e32 v82, v83, v82
	;;#ASMSTART
	global_atomic_pk_add_f16 v[80:81], v82, off
	
	;;#ASMEND
	s_set_gpr_idx_on s12, gpr_idx(SRC0)
	v_mov_b32_e32 v82, v16
	s_set_gpr_idx_off
	v_cvt_f16_f32_e32 v84, v82
	s_set_gpr_idx_on s13, gpr_idx(SRC0)
	v_mov_b32_e32 v82, v16
	s_set_gpr_idx_off
	v_cvt_f16_f32_sdwa v85, v82 dst_sel:WORD_1 dst_unused:UNUSED_PAD src0_sel:DWORD
	v_lshl_add_u64 v[82:83], v[80:81], 0, 64
	s_mov_b64 s[14:15], 0x80
	s_add_i32 s5, s5, 4
	v_or_b32_e32 v84, v85, v84
	;;#ASMSTART
	global_atomic_pk_add_f16 v[82:83], v84, off
	
	;;#ASMEND
	s_set_gpr_idx_on s12, gpr_idx(SRC0)
	v_mov_b32_e32 v82, v32
	s_set_gpr_idx_off
	v_cvt_f16_f32_e32 v84, v82
	s_set_gpr_idx_on s13, gpr_idx(SRC0)
	v_mov_b32_e32 v82, v32
	s_set_gpr_idx_off
	v_cvt_f16_f32_sdwa v85, v82 dst_sel:WORD_1 dst_unused:UNUSED_PAD src0_sel:DWORD
	v_lshl_add_u64 v[82:83], v[80:81], 0, s[14:15]
	s_mov_b64 s[14:15], 0xc0
	v_or_b32_e32 v84, v85, v84
	;;#ASMSTART
	global_atomic_pk_add_f16 v[82:83], v84, off
	
	;;#ASMEND
	s_set_gpr_idx_on s12, gpr_idx(SRC0)
	v_mov_b32_e32 v82, v48
	s_set_gpr_idx_off
	v_cvt_f16_f32_e32 v84, v82
	s_set_gpr_idx_on s13, gpr_idx(SRC0)
	v_mov_b32_e32 v82, v48
	s_set_gpr_idx_off
	v_cvt_f16_f32_sdwa v85, v82 dst_sel:WORD_1 dst_unused:UNUSED_PAD src0_sel:DWORD
	v_lshl_add_u64 v[82:83], v[80:81], 0, s[14:15]
	s_mov_b64 s[14:15], 0x100
	v_lshl_add_u64 v[80:81], v[80:81], 0, s[14:15]
	v_or_b32_e32 v84, v85, v84
	;;#ASMSTART
	global_atomic_pk_add_f16 v[82:83], v84, off
	
	;;#ASMEND
	s_set_gpr_idx_on s12, gpr_idx(SRC0)
	v_mov_b32_e32 v82, v64
	s_set_gpr_idx_off
	v_cvt_f16_f32_e32 v82, v82
	s_set_gpr_idx_on s13, gpr_idx(SRC0)
	v_mov_b32_e32 v83, v64
	s_set_gpr_idx_off
	s_add_i32 s12, s12, 2
	v_cvt_f16_f32_sdwa v83, v83 dst_sel:WORD_1 dst_unused:UNUSED_PAD src0_sel:DWORD
	s_cmp_eq_u32 s12, 16
	s_cselect_b64 s[14:15], -1, 0
	s_andn2_b64 s[8:9], s[8:9], exec
	s_and_b64 s[14:15], s[14:15], exec
	s_or_b64 s[8:9], s[8:9], s[14:15]
	v_or_b32_e32 v82, v83, v82
	;;#ASMSTART
	global_atomic_pk_add_f16 v[80:81], v82, off
	
	;;#ASMEND
	s_branch .LBB300_33
.LBB300_36:                             ;   in Loop: Header=BB300_7 Depth=1
	s_or_b64 exec, exec, s[6:7]
	scratch_load_dword v85, off, off offset:28 ; 4-byte Folded Reload
	v_readlane_b32 s16, v127, 2
	v_readlane_b32 s14, v127, 0
	v_readlane_b32 s15, v127, 1
	v_readlane_b32 s17, v127, 3
	v_readlane_b32 s18, v127, 4
	v_readlane_b32 s19, v127, 5
	v_readlane_b32 s20, v127, 6
	v_readlane_b32 s21, v127, 7
	v_readlane_b32 s22, v127, 8
	v_readlane_b32 s23, v127, 9
	v_readlane_b32 s47, v127, 27
	v_readlane_b32 s68, v127, 28
	v_readlane_b32 s69, v127, 29
.LBB300_37:                             ;   in Loop: Header=BB300_7 Depth=1
	v_readlane_b32 s6, v127, 25
	v_readlane_b32 s7, v127, 26
	s_or_b64 exec, exec, s[6:7]
.LBB300_38:                             ;   in Loop: Header=BB300_7 Depth=1
	s_or_saveexec_b64 s[0:1], s[0:1]
	v_readlane_b32 s48, v127, 23
	s_mov_b32 s13, s4
	v_readlane_b32 s49, v127, 24
	s_xor_b64 exec, exec, s[0:1]
	s_cbranch_execz .LBB300_47
; %bb.39:                               ;   in Loop: Header=BB300_7 Depth=1
	s_mul_i32 s12, s98, 5
	v_cmp_gt_i32_e32 vcc, s12, v116
	s_and_saveexec_b64 s[6:7], vcc
	s_cbranch_execz .LBB300_46
; %bb.40:                               ;   in Loop: Header=BB300_7 Depth=1
	scratch_load_dwordx2 v[0:1], off, off offset:80 ; 8-byte Folded Reload
	scratch_load_dwordx2 v[2:3], off, off offset:8 ; 8-byte Folded Reload
	s_mul_i32 s4, s68, s27
	s_ashr_i32 s5, s4, 31
	s_add_u32 s4, s18, s4
	s_addc_u32 s5, s19, s5
	s_ashr_i32 s8, s13, 31
	s_add_u32 s4, s4, s13
	s_addc_u32 s5, s5, s8
	s_waitcnt vmcnt(1)
	v_lshl_add_u64 v[0:1], s[4:5], 0, v[0:1]
	s_waitcnt vmcnt(0)
	v_lshl_add_u64 v[8:9], v[0:1], 0, v[2:3]
	s_mov_b64 s[4:5], 0
	s_branch .LBB300_42
.LBB300_41:                             ;   in Loop: Header=BB300_42 Depth=2
	s_or_b64 exec, exec, s[8:9]
	v_lshl_or_b32 v12, v10, 11, v111
	;;#ASMSTART
	s_waitcnt vmcnt(1)
	;;#ASMEND
	ds_write2_b32 v12, v4, v5 offset1:32
	ds_write2_b32 v12, v6, v7 offset0:64 offset1:96
	v_add_u32_e32 v4, 0x400, v12
	v_add_u32_e32 v116, s30, v116
	;;#ASMSTART
	s_waitcnt vmcnt(0)
	;;#ASMEND
	ds_write2_b32 v4, v0, v1 offset1:32
	ds_write2_b32 v4, v2, v3 offset0:64 offset1:96
	v_add_u32_e32 v0, 1, v95
	v_add_u32_e32 v88, s30, v10
	v_cmp_le_i32_e32 vcc, s12, v116
	ds_write_b32 v11, v0 offset:12
	v_add_u32_e32 v0, 2, v95
	s_or_b64 s[4:5], vcc, s[4:5]
	v_cmp_lt_i32_e32 vcc, 4, v88
	s_nop 1
	v_cndmask_b32_e32 v95, v95, v0, vcc
	s_andn2_b64 exec, exec, s[4:5]
	s_cbranch_execz .LBB300_45
.LBB300_42:                             ;   Parent Loop BB300_7 Depth=1
                                        ; =>  This Loop Header: Depth=2
                                        ;       Child Loop BB300_44 Depth 3
	v_cmp_gt_i32_e32 vcc, 5, v88
	s_mov_b32 s8, 0x66666667
	s_nop 0
	v_cndmask_b32_e64 v0, -5, 0, vcc
	v_add_u32_e32 v10, v0, v88
	v_mul_hi_i32 v0, v116, s8
	v_lshrrev_b32_e32 v1, 31, v0
	v_ashrrev_i32_e32 v0, 1, v0
	v_add_u32_e32 v0, v0, v1
	v_lshl_add_u32 v1, v0, 2, v0
	v_sub_u32_e32 v2, v116, v1
	v_lshlrev_b32_e32 v0, 6, v0
	v_ashrrev_i32_e32 v1, 31, v0
	v_mul_lo_u32 v2, s33, v2
	v_lshl_add_u64 v[0:1], v[8:9], 0, v[0:1]
	v_ashrrev_i32_e32 v3, 31, v2
	v_lshl_add_u64 v[0:1], v[0:1], 0, v[2:3]
	v_lshlrev_b32_e32 v11, 2, v10
	;;#ASMSTART
	global_load_dwordx4 v[4:7], v[0:1], off offset:0   sc0 sc1 nt  
	global_load_dwordx4 v[0:3], v[0:1], off offset:32  sc0 sc1 nt  
	
	;;#ASMEND
	ds_read_b32 v12, v11 offset:16396
	v_add_u32_e32 v11, 0x4000, v11
	s_waitcnt lgkmcnt(0)
	v_cmp_ne_u32_e32 vcc, v12, v95
	s_and_saveexec_b64 s[8:9], vcc
	s_cbranch_execz .LBB300_41
; %bb.43:                               ;   in Loop: Header=BB300_42 Depth=2
	s_mov_b64 s[10:11], 0
.LBB300_44:                             ;   Parent Loop BB300_7 Depth=1
                                        ;     Parent Loop BB300_42 Depth=2
                                        ; =>    This Inner Loop Header: Depth=3
	;;#ASMSTART
	s_sleep 0
	;;#ASMEND
	ds_read_b32 v12, v11 offset:12
	s_waitcnt lgkmcnt(0)
	v_cmp_eq_u32_e32 vcc, v12, v95
	s_or_b64 s[10:11], vcc, s[10:11]
	s_andn2_b64 exec, exec, s[10:11]
	s_cbranch_execnz .LBB300_44
	s_branch .LBB300_41
.LBB300_45:                             ;   in Loop: Header=BB300_7 Depth=1
	s_or_b64 exec, exec, s[4:5]
.LBB300_46:                             ;   in Loop: Header=BB300_7 Depth=1
	s_or_b64 exec, exec, s[6:7]
	v_subrev_u32_e32 v116, s12, v116
.LBB300_47:                             ;   in Loop: Header=BB300_7 Depth=1
	s_or_b64 exec, exec, s[0:1]
.LBB300_48:                             ;   in Loop: Header=BB300_7 Depth=1
	s_andn2_saveexec_b64 s[0:1], s[48:49]
	s_cbranch_execz .LBB300_6
; %bb.49:                               ;   in Loop: Header=BB300_7 Depth=1
	s_mul_i32 s98, s98, 3
	v_cmp_gt_i32_e32 vcc, s98, v116
	s_and_saveexec_b64 s[4:5], vcc
	s_cbranch_execz .LBB300_5
; %bb.50:                               ;   in Loop: Header=BB300_7 Depth=1
	scratch_load_dword v0, off, off offset:16 ; 4-byte Folded Reload
	scratch_load_dwordx2 v[4:5], off, off offset:8 ; 8-byte Folded Reload
	s_mul_i32 s6, s47, s26
	s_ashr_i32 s7, s6, 31
	s_add_u32 s6, s16, s6
	s_addc_u32 s7, s17, s7
	s_ashr_i32 s8, s13, 31
	s_add_u32 s6, s6, s13
	s_addc_u32 s7, s7, s8
	s_waitcnt vmcnt(2)
	v_add_u32_e32 v2, s99, v85
	s_movk_i32 s8, 0x60
	v_cmp_gt_u32_e32 vcc, s8, v2
	v_sub_u32_e32 v10, 0x5f, v2
	s_waitcnt vmcnt(1)
	v_cndmask_b32_e32 v0, 0, v0, vcc
	v_ashrrev_i32_e32 v1, 31, v0
	v_lshl_add_u64 v[0:1], s[6:7], 0, v[0:1]
	s_waitcnt vmcnt(0)
	v_lshl_add_u64 v[8:9], v[0:1], 0, v[4:5]
	s_mov_b64 s[6:7], 0
	s_branch .LBB300_52
.LBB300_51:                             ;   in Loop: Header=BB300_52 Depth=2
	s_or_b64 exec, exec, s[8:9]
	v_lshl_add_u32 v13, v11, 11, v113
	;;#ASMSTART
	s_waitcnt vmcnt(1)
	;;#ASMEND
	ds_write2_b32 v13, v4, v5 offset1:32
	ds_write2_b32 v13, v6, v7 offset0:64 offset1:96
	v_add_u32_e32 v4, 0x400, v13
	v_add_u32_e32 v116, s29, v116
	;;#ASMSTART
	s_waitcnt vmcnt(0)
	;;#ASMEND
	ds_write2_b32 v4, v0, v1 offset1:32
	ds_write2_b32 v4, v2, v3 offset0:64 offset1:96
	v_add_u32_e32 v0, 1, v95
	v_add_u32_e32 v88, s29, v11
	v_cmp_le_i32_e32 vcc, s98, v116
	ds_write_b32 v12, v0
	v_add_u32_e32 v0, 2, v95
	s_or_b64 s[6:7], vcc, s[6:7]
	v_cmp_lt_i32_e32 vcc, 2, v88
	s_nop 1
	v_cndmask_b32_e32 v95, v95, v0, vcc
	s_andn2_b64 exec, exec, s[6:7]
	s_cbranch_execz .LBB300_4
.LBB300_52:                             ;   Parent Loop BB300_7 Depth=1
                                        ; =>  This Loop Header: Depth=2
                                        ;       Child Loop BB300_54 Depth 3
	v_cmp_gt_i32_e32 vcc, 3, v88
	s_mov_b32 s8, 0x55555556
	s_nop 0
	v_cndmask_b32_e64 v0, -3, 0, vcc
	v_add_u32_e32 v11, v0, v88
	v_mul_hi_i32 v0, v116, s8
	v_lshrrev_b32_e32 v1, 31, v0
	v_add_u32_e32 v0, v0, v1
	v_lshl_add_u32 v1, v0, 1, v0
	v_sub_u32_e32 v1, v116, v1
	v_lshlrev_b32_e32 v1, 5, v1
	v_cmp_le_i32_e32 vcc, v1, v10
	v_lshlrev_b32_e32 v0, 6, v0
	v_lshlrev_b32_e32 v12, 2, v11
	v_cndmask_b32_e32 v2, 0, v1, vcc
	v_ashrrev_i32_e32 v1, 31, v0
	v_mul_lo_u32 v2, v2, s26
	v_lshl_add_u64 v[0:1], v[8:9], 0, v[0:1]
	v_ashrrev_i32_e32 v3, 31, v2
	v_lshl_add_u64 v[0:1], v[0:1], 0, v[2:3]
	;;#ASMSTART
	global_load_dwordx4 v[4:7], v[0:1], off offset:0   
	global_load_dwordx4 v[0:3], v[0:1], off offset:32  
	
	;;#ASMEND
	ds_read_b32 v13, v12 offset:16384
	v_add_u32_e32 v12, 0x4000, v12
	s_waitcnt lgkmcnt(0)
	v_cmp_ne_u32_e32 vcc, v13, v95
	s_and_saveexec_b64 s[8:9], vcc
	s_cbranch_execz .LBB300_51
; %bb.53:                               ;   in Loop: Header=BB300_52 Depth=2
	s_mov_b64 s[10:11], 0
.LBB300_54:                             ;   Parent Loop BB300_7 Depth=1
                                        ;     Parent Loop BB300_52 Depth=2
                                        ; =>    This Inner Loop Header: Depth=3
	;;#ASMSTART
	s_sleep 0
	;;#ASMEND
	ds_read_b32 v13, v12
	s_waitcnt lgkmcnt(0)
	v_cmp_eq_u32_e32 vcc, v13, v95
	s_or_b64 s[10:11], vcc, s[10:11]
	s_andn2_b64 exec, exec, s[10:11]
	s_cbranch_execnz .LBB300_54
	s_branch .LBB300_51
.LBB300_55:
	s_endpgm
	.section	.rodata,"a",@progbits
	.p2align	6, 0x0
	.amdhsa_kernel _Z19_skinny_gemm_kernelILi3ELi5ELi1ELi32ELi4EEvPKhS1_P6__halfPKfiiiiiiii
		.amdhsa_group_segment_fixed_size 16416
		.amdhsa_private_segment_fixed_size 92
		.amdhsa_kernarg_size 64
		.amdhsa_user_sgpr_count 2
		.amdhsa_user_sgpr_dispatch_ptr 0
		.amdhsa_user_sgpr_queue_ptr 0
		.amdhsa_user_sgpr_kernarg_segment_ptr 1
		.amdhsa_user_sgpr_dispatch_id 0
		.amdhsa_user_sgpr_kernarg_preload_length 0
		.amdhsa_user_sgpr_kernarg_preload_offset 0
		.amdhsa_user_sgpr_private_segment_size 0
		.amdhsa_uses_dynamic_stack 0
		.amdhsa_enable_private_segment 1
		.amdhsa_system_sgpr_workgroup_id_x 1
		.amdhsa_system_sgpr_workgroup_id_y 0
		.amdhsa_system_sgpr_workgroup_id_z 0
		.amdhsa_system_sgpr_workgroup_info 0
		.amdhsa_system_vgpr_workitem_id 0
		.amdhsa_next_free_vgpr 128
		.amdhsa_next_free_sgpr 100
		.amdhsa_accum_offset 128
		.amdhsa_reserve_vcc 1
		.amdhsa_float_round_mode_32 0
		.amdhsa_float_round_mode_16_64 0
		.amdhsa_float_denorm_mode_32 3
		.amdhsa_float_denorm_mode_16_64 3
		.amdhsa_dx10_clamp 1
		.amdhsa_ieee_mode 1
		.amdhsa_fp16_overflow 0
		.amdhsa_tg_split 0
		.amdhsa_exception_fp_ieee_invalid_op 0
		.amdhsa_exception_fp_denorm_src 0
		.amdhsa_exception_fp_ieee_div_zero 0
		.amdhsa_exception_fp_ieee_overflow 0
		.amdhsa_exception_fp_ieee_underflow 0
		.amdhsa_exception_fp_ieee_inexact 0
		.amdhsa_exception_int_div_zero 0
	.end_amdhsa_kernel
	.section	.text._Z19_skinny_gemm_kernelILi3ELi5ELi1ELi32ELi4EEvPKhS1_P6__halfPKfiiiiiiii,"axG",@progbits,_Z19_skinny_gemm_kernelILi3ELi5ELi1ELi32ELi4EEvPKhS1_P6__halfPKfiiiiiiii,comdat
.Lfunc_end300:
	.size	_Z19_skinny_gemm_kernelILi3ELi5ELi1ELi32ELi4EEvPKhS1_P6__halfPKfiiiiiiii, .Lfunc_end300-_Z19_skinny_gemm_kernelILi3ELi5ELi1ELi32ELi4EEvPKhS1_P6__halfPKfiiiiiiii
                                        ; -- End function
	.set _Z19_skinny_gemm_kernelILi3ELi5ELi1ELi32ELi4EEvPKhS1_P6__halfPKfiiiiiiii.num_vgpr, 128
	.set _Z19_skinny_gemm_kernelILi3ELi5ELi1ELi32ELi4EEvPKhS1_P6__halfPKfiiiiiiii.num_agpr, 0
	.set _Z19_skinny_gemm_kernelILi3ELi5ELi1ELi32ELi4EEvPKhS1_P6__halfPKfiiiiiiii.numbered_sgpr, 100
	.set _Z19_skinny_gemm_kernelILi3ELi5ELi1ELi32ELi4EEvPKhS1_P6__halfPKfiiiiiiii.num_named_barrier, 0
	.set _Z19_skinny_gemm_kernelILi3ELi5ELi1ELi32ELi4EEvPKhS1_P6__halfPKfiiiiiiii.private_seg_size, 92
	.set _Z19_skinny_gemm_kernelILi3ELi5ELi1ELi32ELi4EEvPKhS1_P6__halfPKfiiiiiiii.uses_vcc, 1
	.set _Z19_skinny_gemm_kernelILi3ELi5ELi1ELi32ELi4EEvPKhS1_P6__halfPKfiiiiiiii.uses_flat_scratch, 0
	.set _Z19_skinny_gemm_kernelILi3ELi5ELi1ELi32ELi4EEvPKhS1_P6__halfPKfiiiiiiii.has_dyn_sized_stack, 0
	.set _Z19_skinny_gemm_kernelILi3ELi5ELi1ELi32ELi4EEvPKhS1_P6__halfPKfiiiiiiii.has_recursion, 0
	.set _Z19_skinny_gemm_kernelILi3ELi5ELi1ELi32ELi4EEvPKhS1_P6__halfPKfiiiiiiii.has_indirect_call, 0
	.section	.AMDGPU.csdata,"",@progbits
; Kernel info:
; codeLenInByte = 16876
; TotalNumSgprs: 106
; NumVgprs: 128
; NumAgprs: 0
; TotalNumVgprs: 128
; ScratchSize: 92
; MemoryBound: 0
; FloatMode: 240
; IeeeMode: 1
; LDSByteSize: 16416 bytes/workgroup (compile time only)
; SGPRBlocks: 13
; VGPRBlocks: 15
; NumSGPRsForWavesPerEU: 106
; NumVGPRsForWavesPerEU: 128
; AccumOffset: 128
; Occupancy: 4
; WaveLimiterHint : 0
; COMPUTE_PGM_RSRC2:SCRATCH_EN: 1
; COMPUTE_PGM_RSRC2:USER_SGPR: 2
; COMPUTE_PGM_RSRC2:TRAP_HANDLER: 0
; COMPUTE_PGM_RSRC2:TGID_X_EN: 1
; COMPUTE_PGM_RSRC2:TGID_Y_EN: 0
; COMPUTE_PGM_RSRC2:TGID_Z_EN: 0
; COMPUTE_PGM_RSRC2:TIDIG_COMP_CNT: 0
; COMPUTE_PGM_RSRC3_GFX90A:ACCUM_OFFSET: 31
; COMPUTE_PGM_RSRC3_GFX90A:TG_SPLIT: 0
	.section	.text._Z19_skinny_gemm_kernelILi3ELi5ELi1ELi32ELi8EEvPKhS1_P6__halfPKfiiiiiiii,"axG",@progbits,_Z19_skinny_gemm_kernelILi3ELi5ELi1ELi32ELi8EEvPKhS1_P6__halfPKfiiiiiiii,comdat
	.protected	_Z19_skinny_gemm_kernelILi3ELi5ELi1ELi32ELi8EEvPKhS1_P6__halfPKfiiiiiiii ; -- Begin function _Z19_skinny_gemm_kernelILi3ELi5ELi1ELi32ELi8EEvPKhS1_P6__halfPKfiiiiiiii
	.globl	_Z19_skinny_gemm_kernelILi3ELi5ELi1ELi32ELi8EEvPKhS1_P6__halfPKfiiiiiiii
	.p2align	8
	.type	_Z19_skinny_gemm_kernelILi3ELi5ELi1ELi32ELi8EEvPKhS1_P6__halfPKfiiiiiiii,@function
_Z19_skinny_gemm_kernelILi3ELi5ELi1ELi32ELi8EEvPKhS1_P6__halfPKfiiiiiiii: ; @_Z19_skinny_gemm_kernelILi3ELi5ELi1ELi32ELi8EEvPKhS1_P6__halfPKfiiiiiiii
; %bb.0:
	v_cmp_gt_u32_e32 vcc, 8, v0
	s_and_saveexec_b64 s[4:5], vcc
; %bb.1:
	v_lshlrev_b32_e32 v1, 2, v0
	v_mov_b32_e32 v2, 0
	ds_write_b32 v1, v2 offset:32768
; %bb.2:
	s_or_b64 exec, exec, s[4:5]
	s_load_dwordx8 s[24:31], s[0:1], 0x20
	s_waitcnt lgkmcnt(0)
	s_barrier
	s_add_i32 s3, s24, 0x5f
	s_mul_hi_i32 s3, s3, 0x2aaaaaab
	s_add_i32 s4, s25, 0x9f
	s_lshr_b32 s5, s3, 31
	s_ashr_i32 s3, s3, 4
	s_add_i32 s14, s3, s5
	s_mul_hi_i32 s3, s4, 0x66666667
	s_lshr_b32 s4, s3, 31
	s_ashr_i32 s3, s3, 6
	s_add_i32 s15, s3, s4
	s_mul_i32 s3, s15, s14
	s_mul_i32 s3, s3, s28
	s_add_i32 s4, s3, 0x12f
	s_mul_hi_i32 s4, s4, 0x6bca1af3
	s_lshr_b32 s5, s4, 31
	s_ashr_i32 s4, s4, 7
	s_add_i32 s4, s4, s5
	s_add_i32 s5, s2, 1
	s_mul_i32 s5, s4, s5
	v_cvt_f64_i32_e32 v[2:3], s3
	v_cvt_f64_u32_e32 v[4:5], s5
	v_min_f64 v[2:3], v[2:3], v[4:5]
	v_cvt_i32_f64_e32 v1, v[2:3]
	s_mul_i32 s2, s4, s2
	v_cmp_ge_i32_e32 vcc, s2, v1
	scratch_store_dword off, v1, off offset:16 ; 4-byte Folded Spill
	s_cbranch_vccnz .LBB301_55
; %bb.3:
	s_load_dwordx8 s[16:23], s[0:1], 0x0
	v_lshrrev_b32_e32 v1, 6, v0
	s_add_i32 s0, s30, s29
	v_cmp_le_i32_e64 s[34:35], s0, v1
	v_mov_b32_e32 v2, s29
	v_cmp_le_i32_e64 s[36:37], s29, v1
	v_mov_b32_e32 v3, s30
	v_cndmask_b32_e64 v3, 0, v3, s[34:35]
	v_cndmask_b32_e64 v2, 0, v2, s[36:37]
	s_abs_i32 s1, s28
	v_add_u32_e32 v2, v2, v3
	v_cvt_f32_u32_e32 v3, s1
	v_sub_u32_e32 v88, v1, v2
	s_ashr_i32 s3, s26, 31
	s_lshr_b32 s3, s3, 25
	v_rcp_iflag_f32_e32 v2, v3
	s_sub_i32 s6, 0, s1
	s_add_i32 s3, s26, s3
	s_ashr_i32 s3, s3, 7
	v_mul_f32_e32 v2, 0x4f7ffffe, v2
	v_cvt_u32_f32_e32 v2, v2
	s_abs_i32 s5, s3
	s_xor_b32 s4, s3, s28
	s_ashr_i32 s4, s4, 31
	v_readfirstlane_b32 s7, v2
	s_mul_i32 s6, s6, s7
	s_mul_hi_u32 s6, s7, s6
	s_add_i32 s7, s7, s6
	s_mul_hi_u32 s6, s5, s7
	s_mul_i32 s7, s6, s1
	s_sub_i32 s5, s5, s7
	s_add_i32 s7, s6, 1
	s_sub_i32 s8, s5, s1
	s_cmp_ge_u32 s5, s1
	s_cselect_b32 s6, s7, s6
	s_cselect_b32 s5, s8, s5
	s_add_i32 s7, s6, 1
	s_cmp_ge_u32 s5, s1
	s_cselect_b32 s1, s7, s6
	s_add_i32 s0, s0, s31
	v_and_b32_e32 v102, 31, v0
	v_lshrrev_b32_e32 v2, 3, v0
	v_cmp_gt_i32_e64 s[42:43], s0, v1
	v_lshlrev_b32_e32 v1, 2, v102
	v_and_b32_e32 v3, 4, v2
	v_lshlrev_b32_e32 v2, 6, v3
	v_or_b32_e32 v4, 0x5000, v1
	v_or_b32_e32 v5, v4, v2
	scratch_store_dword off, v5, off offset:8 ; 4-byte Folded Spill
	v_or_b32_e32 v2, v1, v2
	v_and_b32_e32 v5, 1, v0
	scratch_store_dword off, v2, off offset:12 ; 4-byte Folded Spill
	v_lshlrev_b32_e32 v2, 1, v5
	v_sub_u32_e32 v2, v0, v2
	v_add_u32_e32 v2, 1, v2
	v_and_b32_e32 v6, 63, v2
	v_bitop3_b32 v2, v0, 1, v0 bitop3:0xc
	scratch_store_dword off, v2, off offset:40 ; 4-byte Folded Spill
	v_bitop3_b32 v2, v0, 3, 1 bitop3:0x6c
	scratch_store_dword off, v2, off offset:44 ; 4-byte Folded Spill
	;; [unrolled: 2-line block ×5, first 2 shown]
	v_bitop3_b32 v2, v0, 11, 1 bitop3:0x6c
	s_add_i32 s39, s28, -1
	scratch_store_dword off, v2, off offset:60 ; 4-byte Folded Spill
	v_bitop3_b32 v2, v0, 13, 1 bitop3:0x6c
	v_lshrrev_b32_e32 v7, 1, v0
	s_abs_i32 s28, s14
	scratch_store_dword off, v2, off offset:64 ; 4-byte Folded Spill
	v_bitop3_b32 v2, v0, 15, 1 bitop3:0x6c
	v_and_b32_e32 v8, 16, v7
	v_cvt_f32_u32_e32 v7, s28
	scratch_store_dword off, v2, off offset:68 ; 4-byte Folded Spill
	v_and_b32_e32 v2, 30, v0
	v_lshlrev_b32_e32 v0, 4, v0
	v_and_b32_e32 v0, 0x200, v0
                                        ; implicit-def: $vgpr127 : SGPR spill to VGPR lane
	v_or_b32_e32 v1, v1, v0
	v_writelane_b32 v127, s14, 0
	s_xor_b32 s1, s1, s4
	scratch_store_dword off, v1, off        ; 4-byte Folded Spill
	v_rcp_iflag_f32_e32 v1, v7
	v_writelane_b32 v127, s15, 1
	s_sub_i32 s38, s1, s4
	s_waitcnt lgkmcnt(0)
	v_writelane_b32 v127, s16, 2
	s_mul_i32 s1, s38, s39
	s_sub_i32 s40, s3, s1
	v_writelane_b32 v127, s17, 3
	v_or_b32_e32 v116, v4, v0
	v_or_b32_e32 v0, v5, v3
	s_abs_i32 s3, s15
	v_writelane_b32 v127, s18, 4
	scratch_store_dword off, v0, off offset:4 ; 4-byte Folded Spill
	v_mul_f32_e32 v0, 0x4f7ffffe, v1
	v_cvt_f32_u32_e32 v1, s3
	v_writelane_b32 v127, s19, 5
	v_writelane_b32 v127, s20, 6
	;; [unrolled: 1-line block ×4, first 2 shown]
	v_cvt_u32_f32_e32 v0, v0
	v_rcp_iflag_f32_e32 v1, v1
	v_writelane_b32 v127, s23, 9
	v_cndmask_b32_e64 v103, 0, 1, s[34:35]
	v_writelane_b32 v127, s34, 10
	v_readfirstlane_b32 s1, v0
	v_mul_f32_e32 v0, 0x4f7ffffe, v1
	v_writelane_b32 v127, s35, 11
	v_writelane_b32 v127, s36, 12
	v_cvt_u32_f32_e32 v0, v0
	s_sub_i32 s0, 0, s28
	v_writelane_b32 v127, s37, 13
	v_writelane_b32 v127, s38, 14
	;; [unrolled: 1-line block ×3, first 2 shown]
	s_mul_i32 s0, s0, s1
	v_writelane_b32 v127, s40, 16
	s_mul_hi_u32 s0, s1, s0
	v_writelane_b32 v127, s42, 17
	s_ashr_i32 s41, s14, 31
	s_add_i32 s44, s1, s0
	s_sub_i32 s0, 0, s3
	v_readfirstlane_b32 s1, v0
	v_writelane_b32 v127, s43, 18
	s_mul_i32 s0, s0, s1
	v_mbcnt_lo_u32_b32 v0, -1, 0
	v_writelane_b32 v127, s41, 19
	s_ashr_i32 s45, s15, 31
	s_mul_hi_u32 s0, s1, s0
	v_mbcnt_hi_u32_b32 v0, -1, v0
	v_writelane_b32 v127, s44, 20
	v_mov_b32_e32 v105, 0
	v_mul_lo_u32 v10, s27, v102
	s_add_i32 s46, s1, s0
	v_and_or_b32 v0, v0, 64, v6
	v_writelane_b32 v127, s45, 21
	v_ashrrev_i32_e32 v11, 31, v10
	v_mov_b32_e32 v9, v105
	s_lshl_b32 s33, s27, 5
	v_lshlrev_b32_e32 v104, 1, v2
	v_lshlrev_b32_e32 v118, 2, v0
	v_mov_b32_e32 v119, v88
	v_writelane_b32 v127, s46, 22
	scratch_store_dwordx2 off, v[10:11], off offset:72 ; 8-byte Folded Spill
	scratch_store_dwordx2 off, v[8:9], off offset:20 ; 8-byte Folded Spill
	scratch_store_dword off, v102, off offset:36 ; 4-byte Folded Spill
	s_branch .LBB301_7
.LBB301_4:                              ;   in Loop: Header=BB301_7 Depth=1
	s_or_b64 exec, exec, s[6:7]
.LBB301_5:                              ;   in Loop: Header=BB301_7 Depth=1
	s_or_b64 exec, exec, s[4:5]
	v_subrev_u32_e32 v119, s98, v119
.LBB301_6:                              ;   in Loop: Header=BB301_7 Depth=1
	s_or_b64 exec, exec, s[0:1]
	scratch_load_dword v0, off, off offset:16 ; 4-byte Folded Reload
	s_add_i32 s2, s2, 1
	s_waitcnt vmcnt(0)
	v_cmp_ge_i32_e32 vcc, s2, v0
	s_cbranch_vccnz .LBB301_55
.LBB301_7:                              ; =>This Loop Header: Depth=1
                                        ;     Child Loop BB301_13 Depth 2
                                        ;       Child Loop BB301_15 Depth 3
                                        ;       Child Loop BB301_18 Depth 3
	;; [unrolled: 1-line block ×6, first 2 shown]
                                        ;     Child Loop BB301_34 Depth 2
                                        ;     Child Loop BB301_42 Depth 2
                                        ;       Child Loop BB301_44 Depth 3
                                        ;     Child Loop BB301_52 Depth 2
                                        ;       Child Loop BB301_54 Depth 3
	s_abs_i32 s1, s2
	s_mul_hi_u32 s4, s1, s44
	s_mul_i32 s5, s4, s28
	s_ashr_i32 s0, s2, 31
	s_sub_i32 s1, s1, s5
	s_xor_b32 s0, s0, s41
	s_add_i32 s5, s4, 1
	s_sub_i32 s6, s1, s28
	s_cmp_ge_u32 s1, s28
	s_cselect_b32 s4, s5, s4
	s_cselect_b32 s1, s6, s1
	s_add_i32 s5, s4, 1
	s_cmp_ge_u32 s1, s28
	s_cselect_b32 s1, s5, s4
	s_xor_b32 s1, s1, s0
	s_sub_i32 s0, s1, s0
	s_abs_i32 s4, s0
	s_mul_i32 s1, s0, s14
	s_mul_hi_u32 s5, s4, s46
	s_sub_i32 s1, s2, s1
	s_mul_i32 s6, s5, s3
	s_mul_i32 s47, s1, 0x60
	s_ashr_i32 s1, s0, 31
	s_sub_i32 s4, s4, s6
	s_xor_b32 s1, s1, s45
	s_add_i32 s6, s5, 1
	s_sub_i32 s7, s4, s3
	s_cmp_ge_u32 s4, s3
	s_cselect_b32 s5, s6, s5
	s_cselect_b32 s4, s7, s4
	s_add_i32 s6, s5, 1
	s_cmp_ge_u32 s4, s3
	s_cselect_b32 s4, s6, s5
	s_xor_b32 s4, s4, s1
	s_sub_i32 s1, s4, s1
	s_mul_i32 s4, s1, s38
	s_lshl_b32 s13, s4, 7
	s_cmp_eq_u32 s1, s39
	s_cselect_b32 s98, s40, s38
	s_sub_i32 s4, s47, s24
	s_addk_i32 s4, 0x60
	s_max_i32 s99, s4, 0
	s_and_saveexec_b64 s[4:5], s[36:37]
	s_xor_b64 s[48:49], exec, s[4:5]
	s_cbranch_execz .LBB301_48
; %bb.8:                                ;   in Loop: Header=BB301_7 Depth=1
	s_mul_i32 s1, s1, s15
	s_sub_i32 s0, s0, s1
	s_mulk_i32 s0, 0xa0
	s_sub_i32 s70, s0, s25
	s_addk_i32 s70, 0xa0
	v_writelane_b32 v127, s48, 23
	s_max_i32 s1, s70, 0
	s_mov_b32 s4, s13
	v_writelane_b32 v127, s49, 24
	s_sub_i32 s68, s0, s1
	s_and_saveexec_b64 s[0:1], s[34:35]
	s_xor_b64 s[0:1], exec, s[0:1]
	s_cbranch_execz .LBB301_38
; %bb.9:                                ;   in Loop: Header=BB301_7 Depth=1
	s_mov_b64 s[6:7], exec
	v_writelane_b32 v127, s6, 25
	s_nop 1
	v_writelane_b32 v127, s7, 26
	s_and_b64 s[6:7], s[6:7], s[42:43]
	s_mov_b64 exec, s[6:7]
	s_cbranch_execz .LBB301_37
; %bb.10:                               ;   in Loop: Header=BB301_7 Depth=1
	global_load_dword v120, v105, s[22:23]
	v_mov_b32_e32 v79, 0
	v_cmp_gt_i32_e32 vcc, s98, v119
	v_mov_b32_e32 v78, v79
	v_mov_b32_e32 v77, v79
	;; [unrolled: 1-line block ×79, first 2 shown]
	s_and_saveexec_b64 s[6:7], vcc
	s_cbranch_execz .LBB301_32
; %bb.11:                               ;   in Loop: Header=BB301_7 Depth=1
	v_mov_b32_e32 v0, 0
	s_mov_b64 s[8:9], 0
	v_mov_b32_e32 v1, v0
	v_mov_b32_e32 v2, v0
	;; [unrolled: 1-line block ×79, first 2 shown]
	s_branch .LBB301_13
.LBB301_12:                             ;   in Loop: Header=BB301_13 Depth=2
	s_or_b64 exec, exec, s[10:11]
	v_add_u32_e32 v82, 0x4000, v124
	ds_read2_b32 v[80:81], v82 offset1:32
	v_add_u32_e32 v119, s31, v119
	s_waitcnt lgkmcnt(0)
	v_mfma_f32_32x32x16_fp8_fp8 v[0:15], v[100:101], v[80:81], v[0:15]
	ds_read2_b32 v[80:81], v82 offset0:128 offset1:160
	v_add_u32_e32 v82, 0x4400, v124
	s_waitcnt lgkmcnt(0)
	v_mfma_f32_32x32x16_fp8_fp8 v[0:15], v[98:99], v[80:81], v[0:15]
	ds_read2_b32 v[80:81], v82 offset1:32
	s_waitcnt lgkmcnt(0)
	v_mfma_f32_32x32x16_fp8_fp8 v[0:15], v[96:97], v[80:81], v[0:15]
	ds_read2_b32 v[80:81], v82 offset0:128 offset1:160
	v_add_u32_e32 v82, 0x4800, v124
	s_waitcnt lgkmcnt(0)
	v_mfma_f32_32x32x16_fp8_fp8 v[0:15], v[94:95], v[80:81], v[0:15]
	ds_read2_b32 v[80:81], v82 offset1:32
	;; [unrolled: 7-line block ×3, first 2 shown]
	ds_read2_b32 v[82:83], v82 offset0:128 offset1:160
	ds_write_b32 v122, v123 offset:32804
	s_waitcnt lgkmcnt(2)
	v_mfma_f32_32x32x16_fp8_fp8 v[0:15], v[88:89], v[80:81], v[0:15]
	v_add_u32_e32 v88, s31, v121
	v_add_u32_e32 v80, 2, v103
	v_cmp_lt_i32_e32 vcc, 0, v88
	s_nop 1
	v_cndmask_b32_e32 v103, v103, v80, vcc
	v_cmp_le_i32_e32 vcc, s98, v119
	s_waitcnt lgkmcnt(1)
	v_mfma_f32_32x32x16_fp8_fp8 v[0:15], v[86:87], v[82:83], v[0:15]
	s_or_b64 s[8:9], vcc, s[8:9]
	s_andn2_b64 exec, exec, s[8:9]
	s_cbranch_execz .LBB301_31
.LBB301_13:                             ;   Parent Loop BB301_7 Depth=1
                                        ; =>  This Loop Header: Depth=2
                                        ;       Child Loop BB301_15 Depth 3
                                        ;       Child Loop BB301_18 Depth 3
	;; [unrolled: 1-line block ×6, first 2 shown]
	v_cmp_lt_i32_e32 vcc, 0, v88
	s_nop 1
	v_subbrev_co_u32_e32 v121, vcc, 0, v88, vcc
	v_mul_lo_u32 v122, v121, 40
	ds_read_b32 v80, v122 offset:32768
	s_waitcnt lgkmcnt(0)
	v_cmp_ne_u32_e32 vcc, v80, v103
	s_and_saveexec_b64 s[10:11], vcc
	s_cbranch_execz .LBB301_16
; %bb.14:                               ;   in Loop: Header=BB301_13 Depth=2
	s_mov_b64 s[12:13], 0
.LBB301_15:                             ;   Parent Loop BB301_7 Depth=1
                                        ;     Parent Loop BB301_13 Depth=2
                                        ; =>    This Inner Loop Header: Depth=3
	;;#ASMSTART
	s_sleep 0
	;;#ASMEND
	ds_read_b32 v80, v122 offset:32768
	s_waitcnt lgkmcnt(0)
	v_cmp_eq_u32_e32 vcc, v80, v103
	s_or_b64 s[12:13], vcc, s[12:13]
	s_andn2_b64 exec, exec, s[12:13]
	s_cbranch_execnz .LBB301_15
.LBB301_16:                             ;   in Loop: Header=BB301_13 Depth=2
	s_or_b64 exec, exec, s[10:11]
	scratch_load_dword v80, off, off offset:8 ; 4-byte Folded Reload
	v_add_u32_e32 v123, 1, v103
	s_waitcnt vmcnt(0)
	v_lshl_add_u32 v80, v121, 12, v80
	v_add_u32_e32 v81, 0x400, v80
	ds_read2_b32 v[100:101], v80 offset1:32
	ds_read2_b32 v[98:99], v80 offset0:128 offset1:160
	ds_read2_b32 v[96:97], v81 offset1:32
	ds_read2_b32 v[94:95], v81 offset0:128 offset1:160
	v_add_u32_e32 v81, 0x800, v80
	v_add_u32_e32 v80, 0xc00, v80
	ds_read2_b32 v[92:93], v81 offset1:32
	ds_read2_b32 v[90:91], v81 offset0:128 offset1:160
	ds_read2_b32 v[88:89], v80 offset1:32
	ds_read_b32 v81, v122 offset:32772
	ds_read2_b32 v[86:87], v80 offset0:128 offset1:160
	ds_write_b32 v122, v123 offset:32768
	s_waitcnt lgkmcnt(2)
	v_cmp_ne_u32_e32 vcc, v81, v103
	s_and_saveexec_b64 s[10:11], vcc
	s_cbranch_execz .LBB301_19
; %bb.17:                               ;   in Loop: Header=BB301_13 Depth=2
	s_mov_b64 s[12:13], 0
.LBB301_18:                             ;   Parent Loop BB301_7 Depth=1
                                        ;     Parent Loop BB301_13 Depth=2
                                        ; =>    This Inner Loop Header: Depth=3
	;;#ASMSTART
	s_sleep 0
	;;#ASMEND
	ds_read_b32 v80, v122 offset:32772
	s_waitcnt lgkmcnt(0)
	v_cmp_eq_u32_e32 vcc, v80, v103
	s_or_b64 s[12:13], vcc, s[12:13]
	s_andn2_b64 exec, exec, s[12:13]
	s_cbranch_execnz .LBB301_18
.LBB301_19:                             ;   in Loop: Header=BB301_13 Depth=2
	s_or_b64 exec, exec, s[10:11]
	scratch_load_dword v81, off, off offset:12 ; 4-byte Folded Reload
	s_movk_i32 s5, 0x5000
	v_mul_lo_u32 v80, v121, s5
	ds_write_b32 v122, v123 offset:32772
	s_waitcnt vmcnt(0)
	v_or_b32_e32 v124, v81, v80
	ds_read2_b32 v[80:81], v124 offset1:32
	v_add_u32_e32 v82, 0x400, v124
	s_waitcnt lgkmcnt(0)
	v_mfma_f32_32x32x16_fp8_fp8 v[64:79], v[100:101], v[80:81], v[64:79]
	ds_read2_b32 v[80:81], v124 offset0:128 offset1:160
	s_waitcnt lgkmcnt(0)
	v_mfma_f32_32x32x16_fp8_fp8 v[64:79], v[98:99], v[80:81], v[64:79]
	ds_read2_b32 v[80:81], v82 offset1:32
	s_waitcnt lgkmcnt(0)
	v_mfma_f32_32x32x16_fp8_fp8 v[64:79], v[96:97], v[80:81], v[64:79]
	ds_read2_b32 v[80:81], v82 offset0:128 offset1:160
	v_add_u32_e32 v82, 0x800, v124
	s_waitcnt lgkmcnt(0)
	v_mfma_f32_32x32x16_fp8_fp8 v[64:79], v[94:95], v[80:81], v[64:79]
	ds_read2_b32 v[80:81], v82 offset1:32
	s_waitcnt lgkmcnt(0)
	v_mfma_f32_32x32x16_fp8_fp8 v[64:79], v[92:93], v[80:81], v[64:79]
	ds_read2_b32 v[80:81], v82 offset0:128 offset1:160
	v_add_u32_e32 v82, 0xc00, v124
	s_waitcnt lgkmcnt(0)
	v_mfma_f32_32x32x16_fp8_fp8 v[64:79], v[90:91], v[80:81], v[64:79]
	ds_read2_b32 v[80:81], v82 offset1:32
	s_waitcnt lgkmcnt(0)
	v_mfma_f32_32x32x16_fp8_fp8 v[64:79], v[88:89], v[80:81], v[64:79]
	ds_read2_b32 v[80:81], v82 offset0:128 offset1:160
	ds_read_b32 v82, v122 offset:32780
	s_waitcnt lgkmcnt(0)
	v_cmp_ne_u32_e32 vcc, v82, v103
	v_mfma_f32_32x32x16_fp8_fp8 v[64:79], v[86:87], v[80:81], v[64:79]
	s_and_saveexec_b64 s[10:11], vcc
	s_cbranch_execz .LBB301_22
; %bb.20:                               ;   in Loop: Header=BB301_13 Depth=2
	s_mov_b64 s[12:13], 0
.LBB301_21:                             ;   Parent Loop BB301_7 Depth=1
                                        ;     Parent Loop BB301_13 Depth=2
                                        ; =>    This Inner Loop Header: Depth=3
	;;#ASMSTART
	s_sleep 0
	;;#ASMEND
	ds_read_b32 v80, v122 offset:32780
	s_waitcnt lgkmcnt(0)
	v_cmp_eq_u32_e32 vcc, v80, v103
	s_or_b64 s[12:13], vcc, s[12:13]
	s_andn2_b64 exec, exec, s[12:13]
	s_cbranch_execnz .LBB301_21
.LBB301_22:                             ;   in Loop: Header=BB301_13 Depth=2
	s_or_b64 exec, exec, s[10:11]
	v_add_u32_e32 v82, 0x1000, v124
	ds_read2_b32 v[80:81], v82 offset1:32
	s_waitcnt lgkmcnt(0)
	v_mfma_f32_32x32x16_fp8_fp8 v[48:63], v[100:101], v[80:81], v[48:63]
	ds_read2_b32 v[80:81], v82 offset0:128 offset1:160
	v_add_u32_e32 v82, 0x1400, v124
	s_waitcnt lgkmcnt(0)
	v_mfma_f32_32x32x16_fp8_fp8 v[48:63], v[98:99], v[80:81], v[48:63]
	ds_read2_b32 v[80:81], v82 offset1:32
	s_waitcnt lgkmcnt(0)
	v_mfma_f32_32x32x16_fp8_fp8 v[48:63], v[96:97], v[80:81], v[48:63]
	ds_read2_b32 v[80:81], v82 offset0:128 offset1:160
	v_add_u32_e32 v82, 0x1800, v124
	s_waitcnt lgkmcnt(0)
	v_mfma_f32_32x32x16_fp8_fp8 v[48:63], v[94:95], v[80:81], v[48:63]
	ds_read2_b32 v[80:81], v82 offset1:32
	s_waitcnt lgkmcnt(0)
	v_mfma_f32_32x32x16_fp8_fp8 v[48:63], v[92:93], v[80:81], v[48:63]
	ds_read2_b32 v[80:81], v82 offset0:128 offset1:160
	v_add_u32_e32 v82, 0x1c00, v124
	s_waitcnt lgkmcnt(0)
	v_mfma_f32_32x32x16_fp8_fp8 v[48:63], v[90:91], v[80:81], v[48:63]
	ds_read2_b32 v[80:81], v82 offset1:32
	s_waitcnt lgkmcnt(0)
	v_mfma_f32_32x32x16_fp8_fp8 v[48:63], v[88:89], v[80:81], v[48:63]
	ds_read_b32 v83, v122 offset:32788
	ds_read2_b32 v[80:81], v82 offset0:128 offset1:160
	ds_write_b32 v122, v123 offset:32780
	s_waitcnt lgkmcnt(2)
	v_cmp_ne_u32_e32 vcc, v83, v103
	s_waitcnt lgkmcnt(1)
	v_mfma_f32_32x32x16_fp8_fp8 v[48:63], v[86:87], v[80:81], v[48:63]
	s_and_saveexec_b64 s[10:11], vcc
	s_cbranch_execz .LBB301_25
; %bb.23:                               ;   in Loop: Header=BB301_13 Depth=2
	s_mov_b64 s[12:13], 0
.LBB301_24:                             ;   Parent Loop BB301_7 Depth=1
                                        ;     Parent Loop BB301_13 Depth=2
                                        ; =>    This Inner Loop Header: Depth=3
	;;#ASMSTART
	s_sleep 0
	;;#ASMEND
	ds_read_b32 v80, v122 offset:32788
	s_waitcnt lgkmcnt(0)
	v_cmp_eq_u32_e32 vcc, v80, v103
	s_or_b64 s[12:13], vcc, s[12:13]
	s_andn2_b64 exec, exec, s[12:13]
	s_cbranch_execnz .LBB301_24
.LBB301_25:                             ;   in Loop: Header=BB301_13 Depth=2
	s_or_b64 exec, exec, s[10:11]
	v_add_u32_e32 v82, 0x2000, v124
	ds_read2_b32 v[80:81], v82 offset1:32
	s_waitcnt lgkmcnt(0)
	v_mfma_f32_32x32x16_fp8_fp8 v[32:47], v[100:101], v[80:81], v[32:47]
	ds_read2_b32 v[80:81], v82 offset0:128 offset1:160
	v_add_u32_e32 v82, 0x2400, v124
	s_waitcnt lgkmcnt(0)
	v_mfma_f32_32x32x16_fp8_fp8 v[32:47], v[98:99], v[80:81], v[32:47]
	ds_read2_b32 v[80:81], v82 offset1:32
	s_waitcnt lgkmcnt(0)
	v_mfma_f32_32x32x16_fp8_fp8 v[32:47], v[96:97], v[80:81], v[32:47]
	ds_read2_b32 v[80:81], v82 offset0:128 offset1:160
	v_add_u32_e32 v82, 0x2800, v124
	s_waitcnt lgkmcnt(0)
	v_mfma_f32_32x32x16_fp8_fp8 v[32:47], v[94:95], v[80:81], v[32:47]
	ds_read2_b32 v[80:81], v82 offset1:32
	s_waitcnt lgkmcnt(0)
	v_mfma_f32_32x32x16_fp8_fp8 v[32:47], v[92:93], v[80:81], v[32:47]
	ds_read2_b32 v[80:81], v82 offset0:128 offset1:160
	v_add_u32_e32 v82, 0x2c00, v124
	s_waitcnt lgkmcnt(0)
	v_mfma_f32_32x32x16_fp8_fp8 v[32:47], v[90:91], v[80:81], v[32:47]
	ds_read2_b32 v[80:81], v82 offset1:32
	s_waitcnt lgkmcnt(0)
	v_mfma_f32_32x32x16_fp8_fp8 v[32:47], v[88:89], v[80:81], v[32:47]
	ds_read_b32 v83, v122 offset:32796
	ds_read2_b32 v[80:81], v82 offset0:128 offset1:160
	ds_write_b32 v122, v123 offset:32788
	s_waitcnt lgkmcnt(2)
	v_cmp_ne_u32_e32 vcc, v83, v103
	s_waitcnt lgkmcnt(1)
	;; [unrolled: 50-line block ×3, first 2 shown]
	v_mfma_f32_32x32x16_fp8_fp8 v[16:31], v[86:87], v[80:81], v[16:31]
	s_and_saveexec_b64 s[10:11], vcc
	s_cbranch_execz .LBB301_12
; %bb.29:                               ;   in Loop: Header=BB301_13 Depth=2
	s_mov_b64 s[12:13], 0
.LBB301_30:                             ;   Parent Loop BB301_7 Depth=1
                                        ;     Parent Loop BB301_13 Depth=2
                                        ; =>    This Inner Loop Header: Depth=3
	;;#ASMSTART
	s_sleep 0
	;;#ASMEND
	ds_read_b32 v80, v122 offset:32804
	s_waitcnt lgkmcnt(0)
	v_cmp_eq_u32_e32 vcc, v80, v103
	s_or_b64 s[12:13], vcc, s[12:13]
	s_andn2_b64 exec, exec, s[12:13]
	s_cbranch_execnz .LBB301_30
	s_branch .LBB301_12
.LBB301_31:                             ;   in Loop: Header=BB301_7 Depth=1
	s_or_b64 exec, exec, s[8:9]
.LBB301_32:                             ;   in Loop: Header=BB301_7 Depth=1
	s_or_b64 exec, exec, s[6:7]
	scratch_load_dword v107, off, off offset:40 ; 4-byte Folded Reload
	scratch_load_dword v113, off, off offset:48 ; 4-byte Folded Reload
	;; [unrolled: 1-line block ×3, first 2 shown]
	v_cmp_le_i32_e32 vcc, s70, v102
	v_writelane_b32 v127, s47, 27
	s_mul_i32 s6, s47, s25
	s_waitcnt vmcnt(3)
	v_cndmask_b32_e32 v80, 0, v120, vcc
	v_pk_mul_f32 v[64:65], v[80:81], v[64:65] op_sel_hi:[0,1]
	v_pk_mul_f32 v[78:79], v[80:81], v[78:79] op_sel_hi:[0,1]
	;; [unrolled: 1-line block ×8, first 2 shown]
	s_ashr_i32 s7, s6, 31
	s_lshl_b64 s[6:7], s[6:7], 1
	s_add_u32 s71, s20, s6
	s_addc_u32 s72, s21, s7
	s_ashr_i32 s69, s68, 31
	s_mov_b32 s82, s68
	s_lshl_b64 s[68:69], s[68:69], 1
	v_writelane_b32 v127, s82, 28
	s_add_u32 s68, s71, s68
	s_addc_u32 s69, s72, s69
	v_writelane_b32 v127, s83, 29
	v_writelane_b32 v127, s68, 30
	scratch_store_dwordx2 off, v[104:105], off offset:28 ; 8-byte Folded Spill
	v_subrev_u32_e32 v119, s98, v119
	v_writelane_b32 v127, s69, 31
	s_mov_b32 s5, 0
	scratch_load_dword v115, off, off offset:60 ; 4-byte Folded Reload
	s_waitcnt vmcnt(4)
	v_cmp_eq_u32_e64 s[64:65], 1, v107
	s_nop 1
	v_cndmask_b32_e64 v80, v64, v65, s[64:65]
	v_cmp_eq_u32_e64 s[38:39], 2, v107
	v_cmp_eq_u32_e64 s[40:41], 3, v107
	v_cmp_eq_u32_e64 s[42:43], 4, v107
	v_cndmask_b32_e64 v80, v80, v66, s[38:39]
	v_cndmask_b32_e64 v80, v80, v67, s[40:41]
	v_cndmask_b32_e64 v80, v80, v68, s[42:43]
	v_cmp_eq_u32_e64 s[44:45], 5, v107
	v_cmp_eq_u32_e64 s[46:47], 6, v107
	v_cmp_eq_u32_e64 s[48:49], 7, v107
	v_cndmask_b32_e64 v80, v80, v69, s[44:45]
	v_cndmask_b32_e64 v80, v80, v70, s[46:47]
	;; [unrolled: 6-line block ×5, first 2 shown]
	ds_bpermute_b32 v80, v118, v80
	s_waitcnt vmcnt(3)
	v_cmp_eq_u32_e64 s[72:73], 8, v113
	s_waitcnt lgkmcnt(0)
	v_cndmask_b32_e64 v79, v79, v80, s[66:67]
	v_cndmask_b32_e64 v78, v78, v80, s[62:63]
	;; [unrolled: 1-line block ×16, first 2 shown]
	scratch_load_dword v80, off, off offset:44 ; 4-byte Folded Reload
	s_waitcnt vmcnt(0)
	v_cmp_eq_u32_e32 vcc, 1, v80
	s_nop 1
	v_cndmask_b32_e32 v64, v87, v90, vcc
	v_cmp_eq_u32_e64 s[6:7], 2, v80
	v_cmp_eq_u32_e64 s[8:9], 3, v80
	v_cmp_eq_u32_e64 s[10:11], 4, v80
	v_cndmask_b32_e64 v64, v64, v66, s[6:7]
	v_cndmask_b32_e64 v64, v64, v86, s[8:9]
	v_cndmask_b32_e64 v64, v64, v85, s[10:11]
	v_cmp_eq_u32_e64 s[12:13], 5, v80
	v_cmp_eq_u32_e64 s[14:15], 6, v80
	v_cmp_eq_u32_e64 s[16:17], 7, v80
	v_cndmask_b32_e64 v64, v64, v84, s[12:13]
	v_cndmask_b32_e64 v64, v64, v83, s[14:15]
	v_cndmask_b32_e64 v64, v64, v82, s[16:17]
	v_cmp_eq_u32_e64 s[18:19], 8, v80
	v_cmp_eq_u32_e64 s[20:21], 9, v80
	v_cmp_eq_u32_e64 s[22:23], 10, v80
	v_cndmask_b32_e64 v64, v64, v81, s[18:19]
	v_cndmask_b32_e64 v64, v64, v73, s[20:21]
	v_cndmask_b32_e64 v64, v64, v74, s[22:23]
	v_cmp_eq_u32_e64 s[74:75], 11, v80
	v_cmp_eq_u32_e64 s[76:77], 12, v80
	v_cmp_eq_u32_e64 s[78:79], 13, v80
	v_cndmask_b32_e64 v64, v64, v75, s[74:75]
	v_cndmask_b32_e64 v64, v64, v76, s[76:77]
	v_cndmask_b32_e64 v64, v64, v77, s[78:79]
	v_cmp_eq_u32_e64 s[80:81], 14, v80
	v_cmp_eq_u32_e64 s[34:35], 15, v80
	s_nop 0
	v_cndmask_b32_e64 v64, v64, v78, s[80:81]
	v_cndmask_b32_e64 v64, v64, v79, s[34:35]
	ds_bpermute_b32 v89, v118, v64
	v_or_b32_e32 v64, 32, v102
	v_cmp_le_i32_e64 s[68:69], s70, v64
	s_waitcnt lgkmcnt(0)
	v_cndmask_b32_e64 v65, v79, v89, s[34:35]
	v_cndmask_b32_e64 v64, 0, v120, s[68:69]
	v_pk_mul_f32 v[62:63], v[64:65], v[62:63] op_sel_hi:[0,1]
	v_pk_mul_f32 v[60:61], v[64:65], v[60:61] op_sel_hi:[0,1]
	;; [unrolled: 1-line block ×8, first 2 shown]
	v_or_b32_e32 v64, 64, v102
	v_cndmask_b32_e64 v79, v66, v89, s[6:7]
	v_cmp_le_i32_e64 s[68:69], s70, v64
	v_or_b32_e32 v66, 0x60, v102
	v_cndmask_b32_e64 v67, v78, v89, s[80:81]
	v_cndmask_b32_e64 v64, 0, v120, s[68:69]
	v_cmp_le_i32_e64 s[68:69], s70, v66
	v_pk_mul_f32 v[32:33], v[64:65], v[32:33] op_sel_hi:[0,1]
	v_cndmask_b32_e64 v70, v75, v89, s[74:75]
	v_cndmask_b32_e64 v66, 0, v120, s[68:69]
	;; [unrolled: 1-line block ×7, first 2 shown]
	v_pk_mul_f32 v[34:35], v[64:65], v[34:35] op_sel_hi:[0,1]
	v_cndmask_b32_e64 v81, v48, v49, s[64:65]
	v_pk_mul_f32 v[82:83], v[66:67], v[28:29] op_sel_hi:[0,1]
	v_cndmask_b32_e64 v28, v32, v33, s[64:65]
	v_cndmask_b32_e64 v81, v81, v50, s[38:39]
	v_cndmask_b32_e64 v28, v28, v34, s[38:39]
	v_pk_mul_f32 v[36:37], v[64:65], v[36:37] op_sel_hi:[0,1]
	v_cndmask_b32_e64 v81, v81, v51, s[40:41]
	v_cndmask_b32_e64 v28, v28, v35, s[40:41]
	v_cndmask_b32_e64 v81, v81, v52, s[42:43]
	v_cndmask_b32_e64 v28, v28, v36, s[42:43]
	v_pk_mul_f32 v[38:39], v[64:65], v[38:39] op_sel_hi:[0,1]
	v_cndmask_b32_e64 v81, v81, v53, s[44:45]
	;; [unrolled: 5-line block ×5, first 2 shown]
	v_cndmask_b32_e64 v28, v28, v43, s[56:57]
	v_cmp_eq_u32_e64 s[68:69], 0, v80
	v_cndmask_b32_e64 v81, v81, v60, s[58:59]
	v_cndmask_b32_e64 v28, v28, v44, s[58:59]
	v_cndmask_b32_e64 v68, v77, v89, s[78:79]
	v_cndmask_b32_e64 v69, v76, v89, s[76:77]
	v_cndmask_b32_e64 v76, v84, v89, s[12:13]
	v_cndmask_b32_e64 v77, v85, v89, s[10:11]
	v_cndmask_b32_e64 v78, v86, v89, s[8:9]
	v_cndmask_b32_e32 v86, v90, v89, vcc
	v_cndmask_b32_e64 v87, v87, v89, s[68:69]
	v_or_b32_e32 v89, 0x80, v102
	v_pk_mul_f32 v[46:47], v[64:65], v[46:47] op_sel_hi:[0,1]
	v_cndmask_b32_e64 v81, v81, v61, s[60:61]
	v_cndmask_b32_e64 v28, v28, v45, s[60:61]
	v_cmp_le_i32_e64 s[70:71], s70, v89
	v_cndmask_b32_e64 v81, v81, v62, s[62:63]
	v_cndmask_b32_e64 v28, v28, v46, s[62:63]
	;; [unrolled: 1-line block ×4, first 2 shown]
	v_pk_mul_f32 v[16:17], v[66:67], v[16:17] op_sel_hi:[0,1]
	v_cndmask_b32_e64 v28, v28, v47, s[66:67]
	v_pk_mul_f32 v[18:19], v[66:67], v[18:19] op_sel_hi:[0,1]
	ds_bpermute_b32 v123, v118, v28
	v_cndmask_b32_e64 v28, v16, v17, s[64:65]
	v_pk_mul_f32 v[0:1], v[80:81], v[0:1] op_sel_hi:[0,1]
	v_cndmask_b32_e64 v28, v28, v18, s[38:39]
	v_pk_mul_f32 v[96:97], v[80:81], v[8:9] op_sel_hi:[0,1]
	v_pk_mul_f32 v[2:3], v[80:81], v[2:3] op_sel_hi:[0,1]
	v_cndmask_b32_e64 v9, v0, v1, s[64:65]
	v_pk_mul_f32 v[20:21], v[66:67], v[20:21] op_sel_hi:[0,1]
	v_cndmask_b32_e64 v28, v28, v19, s[40:41]
	v_cndmask_b32_e64 v9, v9, v2, s[38:39]
	v_cndmask_b32_e64 v28, v28, v20, s[42:43]
	v_pk_mul_f32 v[4:5], v[80:81], v[4:5] op_sel_hi:[0,1]
	v_cndmask_b32_e64 v9, v9, v3, s[40:41]
	v_pk_mul_f32 v[22:23], v[66:67], v[22:23] op_sel_hi:[0,1]
	v_cndmask_b32_e64 v28, v28, v21, s[44:45]
	v_cndmask_b32_e64 v9, v9, v4, s[42:43]
	v_cndmask_b32_e64 v28, v28, v22, s[46:47]
	;; [unrolled: 6-line block ×3, first 2 shown]
	v_cndmask_b32_e64 v9, v9, v111, s[48:49]
	v_pk_mul_f32 v[26:27], v[66:67], v[26:27] op_sel_hi:[0,1]
	v_cndmask_b32_e64 v28, v28, v25, s[52:53]
	v_cndmask_b32_e64 v9, v9, v96, s[50:51]
	;; [unrolled: 1-line block ×3, first 2 shown]
	v_pk_mul_f32 v[10:11], v[80:81], v[10:11] op_sel_hi:[0,1]
	v_cndmask_b32_e64 v9, v9, v97, s[52:53]
	v_cndmask_b32_e64 v28, v28, v27, s[56:57]
	;; [unrolled: 1-line block ×4, first 2 shown]
	v_pk_mul_f32 v[12:13], v[80:81], v[12:13] op_sel_hi:[0,1]
	v_cndmask_b32_e64 v9, v9, v11, s[56:57]
	v_pk_mul_f32 v[30:31], v[66:67], v[30:31] op_sel_hi:[0,1]
	v_cndmask_b32_e64 v28, v28, v83, s[60:61]
	v_cndmask_b32_e64 v9, v9, v12, s[58:59]
	;; [unrolled: 1-line block ×3, first 2 shown]
	v_pk_mul_f32 v[14:15], v[80:81], v[14:15] op_sel_hi:[0,1]
	v_cndmask_b32_e64 v9, v9, v13, s[60:61]
	v_cndmask_b32_e64 v28, v28, v31, s[66:67]
	;; [unrolled: 1-line block ×3, first 2 shown]
	ds_bpermute_b32 v122, v118, v81
	ds_bpermute_b32 v124, v118, v28
	v_cndmask_b32_e64 v9, v9, v15, s[66:67]
	ds_bpermute_b32 v125, v118, v9
	v_cmp_eq_u32_e64 s[70:71], 1, v113
	s_waitcnt lgkmcnt(2)
	v_cndmask_b32_e64 v6, v49, v122, s[64:65]
	v_cndmask_b32_e64 v7, v33, v123, s[64:65]
	;; [unrolled: 1-line block ×3, first 2 shown]
	s_waitcnt lgkmcnt(1)
	v_cndmask_b32_e64 v8, v17, v124, s[64:65]
	v_cmp_eq_u32_e64 s[64:65], 2, v113
	v_cndmask_b32_e64 v28, v63, v122, s[66:67]
	v_cndmask_b32_e64 v63, v47, v123, s[66:67]
	;; [unrolled: 1-line block ×4, first 2 shown]
	s_waitcnt lgkmcnt(0)
	v_cndmask_b32_e64 v98, v15, v125, s[66:67]
	v_cmp_eq_u32_e64 s[66:67], 3, v113
	v_cndmask_b32_e64 v29, v62, v122, s[62:63]
	v_cndmask_b32_e64 v62, v46, v123, s[62:63]
	v_cndmask_b32_e64 v9, v9, v78, s[66:67]
	v_cndmask_b32_e64 v89, v30, v124, s[62:63]
	v_cndmask_b32_e64 v99, v14, v125, s[62:63]
	v_cmp_eq_u32_e64 s[62:63], 4, v113
	v_cndmask_b32_e64 v30, v61, v122, s[60:61]
	v_cndmask_b32_e64 v61, v45, v123, s[60:61]
	v_cndmask_b32_e64 v9, v9, v77, s[62:63]
	v_cndmask_b32_e64 v90, v83, v124, s[60:61]
	;; [unrolled: 6-line block ×5, first 2 shown]
	v_cndmask_b32_e64 v93, v25, v124, s[52:53]
	v_cndmask_b32_e64 v105, v97, v125, s[52:53]
	v_cmp_eq_u32_e64 s[52:53], 9, v113
	v_cndmask_b32_e64 v46, v56, v122, s[50:51]
	v_cndmask_b32_e64 v81, v40, v123, s[50:51]
	v_cndmask_b32_e64 v9, v9, v72, s[52:53]
	v_cndmask_b32_e64 v94, v24, v124, s[50:51]
	v_cndmask_b32_e64 v106, v96, v125, s[50:51]
	v_cmp_eq_u32_e64 s[50:51], 10, v113
	v_cndmask_b32_e64 v44, v58, v122, s[54:55]
	v_cndmask_b32_e64 v64, v42, v123, s[54:55]
	v_cndmask_b32_e64 v92, v26, v124, s[54:55]
	;; [unrolled: 6-line block ×5, first 2 shown]
	v_cndmask_b32_e64 v84, v36, v123, s[42:43]
	v_cndmask_b32_e64 v97, v20, v124, s[42:43]
	;; [unrolled: 1-line block ×3, first 2 shown]
	v_cmp_eq_u32_e64 s[42:43], 14, v113
	v_cndmask_b32_e64 v36, v51, v122, s[40:41]
	v_cndmask_b32_e64 v37, v35, v123, s[40:41]
	;; [unrolled: 1-line block ×5, first 2 shown]
	v_cmp_eq_u32_e64 s[40:41], 15, v113
	v_cndmask_b32_e64 v18, v18, v124, s[38:39]
	v_cndmask_b32_e64 v2, v2, v125, s[38:39]
	;; [unrolled: 1-line block ×3, first 2 shown]
	ds_bpermute_b32 v23, v118, v3
	v_cndmask_b32_e64 v96, v22, v124, s[46:47]
	v_cndmask_b32_e64 v49, v54, v122, s[46:47]
	;; [unrolled: 1-line block ×4, first 2 shown]
	s_waitcnt lgkmcnt(0)
	v_cndmask_b32_e64 v5, v68, v23, s[44:45]
	v_cndmask_b32_e64 v9, v69, v23, s[48:49]
	;; [unrolled: 1-line block ×4, first 2 shown]
	v_cmp_ne_u32_e64 s[38:39], 0, v107
	scratch_load_dword v107, off, off offset:52 ; 4-byte Folded Reload
	v_cndmask_b32_e64 v10, v70, v23, s[54:55]
	v_cndmask_b32_e64 v70, v1, v125, s[38:39]
	v_cmp_eq_u32_e64 s[38:39], 0, v113
	v_cndmask_b32_e64 v3, v65, v23, s[40:41]
	v_cndmask_b32_e64 v4, v67, v23, s[42:43]
	;; [unrolled: 1-line block ×15, first 2 shown]
	v_cndmask_b32_e32 v0, v23, v6, vcc
	v_cndmask_b32_e64 v0, v0, v68, s[6:7]
	v_cndmask_b32_e64 v0, v0, v36, s[8:9]
	;; [unrolled: 1-line block ×14, first 2 shown]
	ds_bpermute_b32 v122, v118, v0
	v_cndmask_b32_e32 v0, v38, v7, vcc
	v_cndmask_b32_e64 v0, v0, v69, s[6:7]
	v_cndmask_b32_e64 v0, v0, v37, s[8:9]
	;; [unrolled: 1-line block ×15, first 2 shown]
	ds_bpermute_b32 v123, v118, v0
	v_cndmask_b32_e32 v0, v54, v8, vcc
	v_cndmask_b32_e64 v0, v0, v18, s[6:7]
	v_cndmask_b32_e64 v0, v0, v52, s[8:9]
	;; [unrolled: 1-line block ×14, first 2 shown]
	ds_bpermute_b32 v124, v118, v0
	v_cndmask_b32_e32 v0, v71, v70, vcc
	v_cndmask_b32_e64 v0, v0, v2, s[6:7]
	v_cndmask_b32_e64 v0, v0, v53, s[8:9]
	;; [unrolled: 1-line block ×14, first 2 shown]
	ds_bpermute_b32 v125, v118, v0
	s_waitcnt lgkmcnt(2)
	v_cndmask_b32_e64 v48, v83, v123, s[14:15]
	scratch_load_dword v83, off, off offset:56 ; 4-byte Folded Reload
	s_waitcnt vmcnt(1)
	v_cmp_eq_u32_e64 s[36:37], 1, v107
	v_cndmask_b32_e64 v24, v28, v122, s[34:35]
	v_cndmask_b32_e64 v39, v63, v123, s[34:35]
	;; [unrolled: 1-line block ×3, first 2 shown]
	s_waitcnt lgkmcnt(1)
	v_cndmask_b32_e64 v55, v85, v124, s[34:35]
	s_waitcnt lgkmcnt(0)
	v_cndmask_b32_e64 v72, v98, v125, s[34:35]
	v_cmp_eq_u32_e64 s[34:35], 2, v107
	v_cmp_eq_u32_e64 s[88:89], 3, v107
	;; [unrolled: 1-line block ×3, first 2 shown]
	v_cndmask_b32_e64 v0, v0, v21, s[34:35]
	v_cndmask_b32_e64 v0, v0, v20, s[88:89]
	;; [unrolled: 1-line block ×3, first 2 shown]
	v_cmp_eq_u32_e64 s[94:95], 5, v107
	v_cmp_eq_u32_e64 s[96:97], 6, v107
	v_cndmask_b32_e64 v25, v29, v122, s[80:81]
	v_cndmask_b32_e64 v0, v0, v17, s[94:95]
	v_cndmask_b32_e64 v42, v60, v123, s[76:77]
	v_cndmask_b32_e64 v0, v0, v15, s[96:97]
	v_cndmask_b32_e64 v29, v44, v122, s[22:23]
	v_cndmask_b32_e64 v44, v64, v123, s[22:23]
	v_cndmask_b32_e64 v60, v92, v124, s[22:23]
	v_cndmask_b32_e64 v77, v104, v125, s[22:23]
	v_cmp_eq_u32_e64 s[22:23], 7, v107
	v_cndmask_b32_e64 v28, v33, v122, s[74:75]
	v_cndmask_b32_e64 v43, v43, v123, s[74:75]
	;; [unrolled: 1-line block ×5, first 2 shown]
	v_cmp_eq_u32_e64 s[74:75], 8, v107
	v_cndmask_b32_e64 v40, v62, v123, s[80:81]
	v_cndmask_b32_e64 v27, v31, v122, s[76:77]
	;; [unrolled: 1-line block ×7, first 2 shown]
	v_cmp_eq_u32_e64 s[18:19], 9, v107
	v_cndmask_b32_e64 v32, v47, v122, s[16:17]
	v_cndmask_b32_e64 v47, v82, v123, s[16:17]
	;; [unrolled: 1-line block ×5, first 2 shown]
	v_cmp_eq_u32_e64 s[16:17], 10, v107
	v_cndmask_b32_e64 v33, v49, v122, s[14:15]
	v_cndmask_b32_e64 v64, v96, v124, s[14:15]
	v_cndmask_b32_e64 v0, v0, v11, s[16:17]
	v_cndmask_b32_e64 v87, v109, v125, s[14:15]
	v_cmp_eq_u32_e64 s[14:15], 11, v107
	v_cndmask_b32_e64 v56, v89, v124, s[80:81]
	v_cndmask_b32_e64 v34, v111, v122, s[12:13]
	;; [unrolled: 1-line block ×6, first 2 shown]
	v_cmp_eq_u32_e64 s[12:13], 12, v107
	v_cmp_eq_u32_e64 s[84:85], 13, v107
	v_cndmask_b32_e64 v57, v90, v124, s[78:79]
	v_cndmask_b32_e64 v0, v0, v9, s[12:13]
	;; [unrolled: 1-line block ×7, first 2 shown]
	v_cmp_eq_u32_e64 s[10:11], 14, v107
	v_cndmask_b32_e64 v58, v91, v124, s[76:77]
	v_cndmask_b32_e64 v36, v36, v122, s[8:9]
	;; [unrolled: 1-line block ×6, first 2 shown]
	v_cmp_eq_u32_e64 s[8:9], 15, v107
	v_cndmask_b32_e64 v26, v30, v122, s[78:79]
	v_cndmask_b32_e64 v30, v45, v122, s[20:21]
	;; [unrolled: 1-line block ×4, first 2 shown]
	ds_bpermute_b32 v80, v118, v0
	v_cndmask_b32_e64 v92, v2, v125, s[6:7]
	v_cndmask_b32_e64 v37, v68, v122, s[6:7]
	v_cndmask_b32_e32 v53, v7, v123, vcc
	v_cndmask_b32_e64 v38, v38, v123, s[68:69]
	s_waitcnt lgkmcnt(0)
	v_cndmask_b32_e64 v2, v4, v80, s[10:11]
	v_cndmask_b32_e64 v4, v9, v80, s[12:13]
	;; [unrolled: 1-line block ×7, first 2 shown]
	v_cndmask_b32_e32 v19, v6, v122, vcc
	v_cndmask_b32_e64 v20, v23, v122, s[68:69]
	v_cndmask_b32_e64 v6, v20, v19, s[70:71]
	;; [unrolled: 1-line block ×19, first 2 shown]
	v_cndmask_b32_e32 v93, v70, v125, vcc
	v_cndmask_b32_e64 v70, v54, v124, s[68:69]
	ds_bpermute_b32 v54, v118, v6
	v_cndmask_b32_e64 v6, v38, v53, s[70:71]
	v_cndmask_b32_e64 v6, v6, v52, s[64:65]
	;; [unrolled: 1-line block ×15, first 2 shown]
	v_cndmask_b32_e32 v69, v8, v124, vcc
	v_cmp_eq_u32_e64 s[6:7], 0, v107
	v_cndmask_b32_e64 v6, v6, v39, s[40:41]
	v_cndmask_b32_e64 v0, v3, v80, s[8:9]
	;; [unrolled: 1-line block ×10, first 2 shown]
	ds_bpermute_b32 v80, v118, v6
	v_cndmask_b32_e64 v6, v70, v69, s[70:71]
	v_cndmask_b32_e64 v6, v6, v68, s[64:65]
	;; [unrolled: 1-line block ×16, first 2 shown]
	ds_bpermute_b32 v81, v118, v6
	v_cndmask_b32_e64 v6, v94, v93, s[70:71]
	v_cndmask_b32_e64 v6, v6, v92, s[64:65]
	;; [unrolled: 1-line block ×19, first 2 shown]
	ds_bpermute_b32 v82, v118, v6
	s_waitcnt vmcnt(0)
	v_cmp_eq_u32_e64 s[20:21], 1, v83
	v_cmp_eq_u32_e64 s[46:47], 2, v83
	s_waitcnt lgkmcnt(3)
	v_cndmask_b32_e64 v22, v25, v54, s[42:43]
	v_cndmask_b32_e64 v6, v1, v18, s[20:21]
	s_waitcnt lgkmcnt(0)
	v_cndmask_b32_e64 v95, v72, v82, s[40:41]
	v_cndmask_b32_e64 v6, v6, v17, s[46:47]
	;; [unrolled: 1-line block ×5, first 2 shown]
	v_cmp_eq_u32_e64 s[42:43], 3, v83
	v_cndmask_b32_e64 v21, v24, v54, s[40:41]
	v_cndmask_b32_e64 v39, v39, v80, s[40:41]
	;; [unrolled: 1-line block ×4, first 2 shown]
	v_cmp_eq_u32_e64 s[40:41], 4, v83
	v_cndmask_b32_e64 v97, v74, v82, s[44:45]
	v_cndmask_b32_e64 v24, v27, v54, s[48:49]
	;; [unrolled: 1-line block ×6, first 2 shown]
	v_cmp_eq_u32_e64 s[48:49], 5, v83
	v_cndmask_b32_e64 v25, v28, v54, s[54:55]
	v_cndmask_b32_e64 v43, v43, v80, s[54:55]
	;; [unrolled: 1-line block ×5, first 2 shown]
	v_cmp_eq_u32_e64 s[54:55], 6, v83
	v_cmp_eq_u32_e64 s[68:69], 7, v83
	v_cmp_eq_u32_e64 s[76:77], 8, v83
	v_cndmask_b32_e64 v6, v6, v13, s[54:55]
	v_cndmask_b32_e64 v6, v6, v12, s[68:69]
	;; [unrolled: 1-line block ×8, first 2 shown]
	v_cmp_eq_u32_e64 s[72:73], 9, v83
	v_cmp_eq_u32_e64 s[78:79], 10, v83
	;; [unrolled: 1-line block ×3, first 2 shown]
	v_cndmask_b32_e64 v6, v6, v10, s[72:73]
	v_cndmask_b32_e64 v6, v6, v9, s[78:79]
	;; [unrolled: 1-line block ×3, first 2 shown]
	v_cmp_eq_u32_e64 s[82:83], 12, v83
	v_cndmask_b32_e64 v23, v26, v54, s[44:45]
	v_cndmask_b32_e64 v26, v29, v54, s[50:51]
	;; [unrolled: 1-line block ×8, first 2 shown]
	v_cmp_eq_u32_e64 s[62:63], 13, v83
	v_cmp_eq_u32_e64 s[86:87], 14, v83
	;; [unrolled: 1-line block ×3, first 2 shown]
	v_cndmask_b32_e64 v6, v6, v3, s[62:63]
	v_cndmask_b32_e64 v6, v6, v2, s[86:87]
	;; [unrolled: 1-line block ×6, first 2 shown]
	ds_bpermute_b32 v36, v118, v6
	v_cndmask_b32_e64 v35, v19, v54, s[70:71]
	v_cndmask_b32_e64 v20, v20, v54, s[38:39]
	;; [unrolled: 1-line block ×4, first 2 shown]
	s_waitcnt lgkmcnt(0)
	v_cndmask_b32_e64 v7, v10, v36, s[72:73]
	v_cndmask_b32_e64 v10, v13, v36, s[54:55]
	;; [unrolled: 1-line block ×21, first 2 shown]
	ds_bpermute_b32 v112, v118, v16
	v_cndmask_b32_e64 v16, v54, v53, s[36:37]
	v_cndmask_b32_e64 v51, v51, v80, s[66:67]
	;; [unrolled: 1-line block ×25, first 2 shown]
	ds_bpermute_b32 v113, v118, v16
	v_cndmask_b32_e64 v16, v70, v69, s[36:37]
	v_cndmask_b32_e64 v67, v67, v81, s[66:67]
	;; [unrolled: 1-line block ×26, first 2 shown]
	ds_bpermute_b32 v114, v118, v16
	v_cndmask_b32_e64 v16, v126, v125, s[36:37]
	v_cndmask_b32_e64 v123, v91, v82, s[66:67]
	v_cndmask_b32_e64 v16, v16, v124, s[34:35]
	v_cndmask_b32_e64 v16, v16, v123, s[88:89]
	v_cndmask_b32_e64 v89, v89, v82, s[60:61]
	v_cndmask_b32_e64 v16, v16, v122, s[92:93]
	v_cndmask_b32_e64 v121, v87, v82, s[58:59]
	v_cndmask_b32_e64 v16, v16, v89, s[94:95]
	v_cndmask_b32_e64 v86, v86, v82, s[56:57]
	v_cndmask_b32_e64 v16, v16, v121, s[96:97]
	v_cndmask_b32_e64 v16, v16, v86, s[22:23]
	v_cndmask_b32_e64 v16, v16, v120, s[74:75]
	v_cndmask_b32_e64 v16, v16, v101, s[18:19]
	v_cndmask_b32_e64 v16, v16, v100, s[16:17]
	v_cndmask_b32_e64 v16, v16, v99, s[14:15]
	v_cndmask_b32_e64 v16, v16, v98, s[12:13]
	v_cndmask_b32_e64 v16, v16, v97, s[84:85]
	v_cndmask_b32_e64 v16, v16, v96, s[10:11]
	v_cndmask_b32_e64 v16, v16, v95, s[8:9]
	ds_bpermute_b32 v107, v118, v16
	v_cmp_eq_u32_e64 s[50:51], 0, v83
	v_cndmask_b32_e64 v6, v9, v36, s[78:79]
	v_cndmask_b32_e64 v9, v12, v36, s[68:69]
	;; [unrolled: 1-line block ×5, first 2 shown]
	v_cmp_eq_u32_e32 vcc, 1, v115
	v_cndmask_b32_e64 v8, v11, v36, s[76:77]
	v_cndmask_b32_e64 v11, v14, v36, s[48:49]
	;; [unrolled: 1-line block ×3, first 2 shown]
	v_cndmask_b32_e32 v16, v1, v15, vcc
	s_waitcnt lgkmcnt(3)
	v_cndmask_b32_e64 v21, v21, v112, s[8:9]
	s_waitcnt lgkmcnt(2)
	v_cndmask_b32_e64 v55, v39, v113, s[8:9]
	;; [unrolled: 2-line block ×4, first 2 shown]
	v_cmp_eq_u32_e64 s[8:9], 2, v115
	v_cndmask_b32_e64 v0, v0, v36, s[90:91]
	v_cndmask_b32_e64 v2, v2, v36, s[86:87]
	;; [unrolled: 1-line block ×10, first 2 shown]
	v_cmp_eq_u32_e64 s[10:11], 3, v115
	v_cmp_eq_u32_e64 s[44:45], 4, v115
	;; [unrolled: 1-line block ×3, first 2 shown]
	v_cndmask_b32_e64 v16, v16, v13, s[10:11]
	v_cndmask_b32_e64 v16, v16, v12, s[44:45]
	;; [unrolled: 1-line block ×3, first 2 shown]
	v_cmp_eq_u32_e64 s[56:57], 6, v115
	v_cmp_eq_u32_e64 s[58:59], 7, v115
	;; [unrolled: 1-line block ×3, first 2 shown]
	v_cndmask_b32_e64 v16, v16, v10, s[56:57]
	v_cndmask_b32_e64 v16, v16, v9, s[58:59]
	v_cndmask_b32_e64 v16, v16, v8, s[60:61]
	v_cmp_eq_u32_e64 s[64:65], 9, v115
	v_cmp_eq_u32_e64 s[70:71], 10, v115
	v_cndmask_b32_e64 v28, v28, v112, s[74:75]
	v_cndmask_b32_e64 v16, v16, v7, s[64:65]
	;; [unrolled: 1-line block ×6, first 2 shown]
	v_cmp_eq_u32_e64 s[74:75], 11, v115
	v_cmp_eq_u32_e64 s[66:67], 12, v115
	v_cndmask_b32_e64 v37, v23, v112, s[84:85]
	v_cndmask_b32_e64 v16, v16, v5, s[74:75]
	;; [unrolled: 1-line block ×6, first 2 shown]
	v_cmp_eq_u32_e64 s[84:85], 13, v115
	v_cndmask_b32_e64 v33, v33, v112, s[88:89]
	v_cndmask_b32_e64 v51, v51, v113, s[88:89]
	;; [unrolled: 1-line block ×5, first 2 shown]
	v_cmp_eq_u32_e64 s[88:89], 14, v115
	v_cndmask_b32_e64 v32, v32, v112, s[92:93]
	v_cndmask_b32_e64 v50, v50, v113, s[92:93]
	;; [unrolled: 1-line block ×5, first 2 shown]
	v_cmp_eq_u32_e64 s[92:93], 15, v115
	v_cndmask_b32_e64 v41, v27, v112, s[18:19]
	v_cndmask_b32_e64 v58, v42, v113, s[12:13]
	;; [unrolled: 1-line block ×3, first 2 shown]
	ds_bpermute_b32 v27, v118, v16
	v_cndmask_b32_e64 v31, v31, v112, s[94:95]
	v_cndmask_b32_e64 v49, v49, v113, s[94:95]
	v_cndmask_b32_e64 v91, v65, v114, s[94:95]
	v_cndmask_b32_e64 v108, v89, v107, s[94:95]
	v_cndmask_b32_e64 v35, v35, v112, s[36:37]
	v_cmp_eq_u32_e64 s[94:95], 0, v115
	v_cndmask_b32_e64 v42, v20, v112, s[6:7]
	v_cndmask_b32_e64 v38, v24, v112, s[12:13]
	;; [unrolled: 1-line block ×5, first 2 shown]
	s_waitcnt lgkmcnt(0)
	v_cndmask_b32_e64 v0, v0, v27, s[92:93]
	v_cndmask_b32_e64 v2, v2, v27, s[88:89]
	;; [unrolled: 1-line block ×14, first 2 shown]
	v_cndmask_b32_e32 v15, v15, v27, vcc
	v_cndmask_b32_e64 v27, v1, v27, s[94:95]
	v_cndmask_b32_e64 v1, v42, v35, s[20:21]
	;; [unrolled: 1-line block ×31, first 2 shown]
	ds_bpermute_b32 v107, v118, v1
	v_cndmask_b32_e64 v1, v65, v64, s[20:21]
	v_cndmask_b32_e64 v1, v1, v52, s[46:47]
	;; [unrolled: 1-line block ×23, first 2 shown]
	ds_bpermute_b32 v113, v118, v1
	v_cndmask_b32_e64 v1, v96, v95, s[20:21]
	v_cndmask_b32_e64 v1, v1, v94, s[46:47]
	v_cndmask_b32_e64 v1, v1, v93, s[42:43]
	v_cndmask_b32_e64 v1, v1, v92, s[40:41]
	v_cndmask_b32_e64 v1, v1, v91, s[48:49]
	v_cndmask_b32_e64 v79, v79, v114, s[22:23]
	v_cndmask_b32_e64 v1, v1, v90, s[54:55]
	v_cndmask_b32_e64 v1, v1, v79, s[68:69]
	v_cndmask_b32_e64 v77, v77, v114, s[18:19]
	v_cndmask_b32_e64 v1, v1, v87, s[76:77]
	v_cndmask_b32_e64 v76, v76, v114, s[16:17]
	v_cndmask_b32_e64 v1, v1, v77, s[72:73]
	v_cndmask_b32_e64 v75, v75, v114, s[14:15]
	v_cndmask_b32_e64 v1, v1, v76, s[78:79]
	v_cndmask_b32_e64 v74, v74, v114, s[12:13]
	v_cndmask_b32_e64 v1, v1, v75, s[80:81]
	v_cndmask_b32_e64 v1, v1, v74, s[82:83]
	v_cndmask_b32_e64 v1, v1, v73, s[62:63]
	v_cndmask_b32_e64 v1, v1, v72, s[86:87]
	v_cndmask_b32_e64 v1, v1, v71, s[90:91]
	ds_bpermute_b32 v114, v118, v1
	v_cndmask_b32_e64 v1, v126, v125, s[20:21]
	v_cndmask_b32_e64 v1, v1, v111, s[46:47]
	;; [unrolled: 1-line block ×14, first 2 shown]
	v_cmp_eq_u32_e64 s[6:7], 1, v117
	v_cndmask_b32_e64 v1, v1, v84, s[90:91]
	ds_bpermute_b32 v115, v118, v1
	v_cndmask_b32_e64 v1, v27, v15, s[6:7]
	v_cmp_eq_u32_e64 s[12:13], 2, v117
	v_cmp_eq_u32_e64 s[14:15], 3, v117
	;; [unrolled: 1-line block ×3, first 2 shown]
	v_cndmask_b32_e64 v1, v1, v14, s[12:13]
	v_cndmask_b32_e64 v1, v1, v13, s[14:15]
	;; [unrolled: 1-line block ×3, first 2 shown]
	v_cmp_eq_u32_e64 s[18:19], 5, v117
	v_cmp_eq_u32_e64 s[22:23], 6, v117
	s_waitcnt lgkmcnt(3)
	v_cndmask_b32_e64 v53, v40, v107, s[78:79]
	v_cndmask_b32_e64 v1, v1, v26, s[18:19]
	;; [unrolled: 1-line block ×3, first 2 shown]
	s_waitcnt lgkmcnt(2)
	v_cndmask_b32_e64 v78, v60, v113, s[78:79]
	s_waitcnt lgkmcnt(1)
	v_cndmask_b32_e64 v120, v76, v114, s[78:79]
	;; [unrolled: 2-line block ×3, first 2 shown]
	v_cmp_eq_u32_e64 s[78:79], 7, v117
	v_cndmask_b32_e64 v54, v41, v107, s[72:73]
	v_cndmask_b32_e64 v61, v61, v113, s[72:73]
	;; [unrolled: 1-line block ×5, first 2 shown]
	v_cmp_eq_u32_e64 s[72:73], 8, v117
	v_cndmask_b32_e64 v66, v55, v113, s[90:91]
	v_cndmask_b32_e64 v55, v28, v107, s[76:77]
	;; [unrolled: 1-line block ×6, first 2 shown]
	v_cmp_eq_u32_e64 s[76:77], 9, v117
	v_cmp_eq_u32_e64 s[34:35], 10, v117
	;; [unrolled: 1-line block ×3, first 2 shown]
	v_cndmask_b32_e64 v1, v1, v22, s[76:77]
	v_cndmask_b32_e64 v1, v1, v19, s[34:35]
	v_cndmask_b32_e64 v1, v1, v18, s[36:37]
	v_cmp_eq_u32_e64 s[38:39], 12, v117
	v_cndmask_b32_e64 v97, v71, v114, s[90:91]
	v_cndmask_b32_e64 v98, v72, v114, s[86:87]
	v_cndmask_b32_e64 v87, v63, v113, s[68:69]
	v_cndmask_b32_e64 v1, v1, v17, s[38:39]
	v_cndmask_b32_e64 v112, v32, v107, s[40:41]
	v_cndmask_b32_e64 v63, v50, v113, s[40:41]
	v_cndmask_b32_e64 v71, v92, v114, s[40:41]
	v_cndmask_b32_e64 v72, v109, v115, s[40:41]
	v_cmp_eq_u32_e64 s[40:41], 13, v117
	v_cndmask_b32_e64 v68, v57, v113, s[62:63]
	v_cndmask_b32_e64 v100, v74, v114, s[82:83]
	v_cndmask_b32_e64 v57, v30, v107, s[54:55]
	v_cndmask_b32_e64 v1, v1, v16, s[40:41]
	v_cndmask_b32_e64 v74, v33, v107, s[42:43]
	v_cndmask_b32_e64 v60, v51, v113, s[42:43]
	v_cndmask_b32_e64 v30, v93, v114, s[42:43]
	v_cndmask_b32_e64 v6, v110, v115, s[42:43]
	v_cmp_eq_u32_e64 s[42:43], 14, v117
	v_cndmask_b32_e64 v3, v34, v107, s[46:47]
	v_cndmask_b32_e64 v4, v52, v113, s[46:47]
	v_cndmask_b32_e64 v1, v1, v2, s[42:43]
	v_cndmask_b32_e64 v5, v94, v114, s[46:47]
	v_cndmask_b32_e64 v7, v111, v115, s[46:47]
	v_cmp_eq_u32_e64 s[46:47], 15, v117
	v_cndmask_b32_e64 v43, v21, v107, s[90:91]
	v_cndmask_b32_e64 v67, v56, v113, s[86:87]
	;; [unrolled: 1-line block ×3, first 2 shown]
	ds_bpermute_b32 v28, v118, v1
	v_cndmask_b32_e64 v56, v29, v107, s[68:69]
	v_cndmask_b32_e64 v69, v58, v113, s[82:83]
	;; [unrolled: 1-line block ×4, first 2 shown]
	s_waitcnt lgkmcnt(0)
	v_cndmask_b32_e64 v11, v17, v28, s[38:39]
	v_cndmask_b32_e64 v17, v14, v28, s[12:13]
	;; [unrolled: 1-line block ×3, first 2 shown]
	scratch_load_dword v95, off, off offset:68 ; 4-byte Folded Reload
	v_cndmask_b32_e64 v9, v2, v28, s[42:43]
	v_cndmask_b32_e64 v20, v18, v28, s[36:37]
	;; [unrolled: 1-line block ×8, first 2 shown]
	v_cmp_eq_u32_e64 s[20:21], 0, v117
	v_cndmask_b32_e64 v8, v0, v28, s[46:47]
	v_cndmask_b32_e64 v10, v16, v28, s[40:41]
	;; [unrolled: 1-line block ×10, first 2 shown]
	v_cndmask_b32_e32 v29, v28, v12, vcc
	v_cndmask_b32_e64 v29, v29, v3, s[8:9]
	v_cndmask_b32_e64 v29, v29, v74, s[10:11]
	;; [unrolled: 1-line block ×19, first 2 shown]
	ds_bpermute_b32 v42, v118, v29
	v_cndmask_b32_e32 v29, v16, v13, vcc
	v_cndmask_b32_e32 v32, v27, v15, vcc
	v_cndmask_b32_e64 v29, v29, v4, s[8:9]
	v_cndmask_b32_e64 v32, v32, v7, s[8:9]
	;; [unrolled: 1-line block ×13, first 2 shown]
	v_cndmask_b32_e32 v31, v19, v14, vcc
	v_cndmask_b32_e64 v32, v32, v108, s[52:53]
	v_cndmask_b32_e64 v105, v105, v115, s[68:69]
	;; [unrolled: 1-line block ×42, first 2 shown]
	ds_bpermute_b32 v29, v118, v29
	v_cndmask_b32_e64 v31, v31, v100, s[66:67]
	ds_bpermute_b32 v40, v118, v32
	v_cndmask_b32_e64 v31, v31, v99, s[84:85]
	v_cndmask_b32_e64 v31, v31, v98, s[88:89]
	;; [unrolled: 1-line block ×3, first 2 shown]
	ds_bpermute_b32 v31, v118, v31
	s_waitcnt lgkmcnt(2)
	v_cndmask_b32_e64 v37, v67, v29, s[88:89]
	v_cndmask_b32_e64 v38, v68, v29, s[84:85]
	s_waitcnt lgkmcnt(1)
	v_cndmask_b32_e64 v67, v104, v40, s[60:61]
	v_cndmask_b32_e64 v68, v105, v40, s[58:59]
	scratch_load_dwordx2 v[104:105], off, off offset:28 ; 8-byte Folded Reload
	s_waitcnt vmcnt(1)
	v_cmp_eq_u32_e64 s[48:49], 1, v95
	v_cmp_eq_u32_e64 s[50:51], 2, v95
	;; [unrolled: 1-line block ×3, first 2 shown]
	v_cndmask_b32_e64 v33, v0, v18, s[48:49]
	v_cndmask_b32_e64 v34, v33, v17, s[50:51]
	;; [unrolled: 1-line block ×3, first 2 shown]
	v_cmp_eq_u32_e64 s[62:63], 4, v95
	v_cndmask_b32_e64 v75, v46, v42, s[66:67]
	v_cndmask_b32_e64 v39, v69, v29, s[66:67]
	;; [unrolled: 1-line block ×3, first 2 shown]
	s_waitcnt lgkmcnt(0)
	v_cndmask_b32_e64 v35, v100, v31, s[66:67]
	v_cndmask_b32_e64 v51, v81, v40, s[66:67]
	v_cmp_eq_u32_e64 s[66:67], 5, v95
	v_cndmask_b32_e64 v59, v43, v42, s[92:93]
	v_cmp_eq_u32_e64 s[68:69], 6, v95
	v_cndmask_b32_e64 v43, v41, v26, s[66:67]
	v_cndmask_b32_e64 v62, v44, v42, s[88:89]
	;; [unrolled: 1-line block ×7, first 2 shown]
	v_cmp_eq_u32_e64 s[70:71], 7, v95
	v_cndmask_b32_e64 v36, v66, v29, s[92:93]
	v_cndmask_b32_e64 v73, v45, v42, s[84:85]
	;; [unrolled: 1-line block ×7, first 2 shown]
	v_cmp_eq_u32_e64 s[64:65], 8, v95
	v_cndmask_b32_e64 v79, v55, v42, s[60:61]
	v_cndmask_b32_e64 v55, v122, v31, s[60:61]
	v_cndmask_b32_e64 v46, v45, v23, s[64:65]
	v_cndmask_b32_e64 v45, v86, v29, s[60:61]
	v_cmp_eq_u32_e64 s[60:61], 9, v95
	v_cndmask_b32_e64 v76, v47, v42, s[74:75]
	v_cndmask_b32_e64 v86, v56, v42, s[58:59]
	v_cndmask_b32_e64 v47, v46, v22, s[60:61]
	v_cndmask_b32_e64 v46, v87, v29, s[58:59]
	v_cndmask_b32_e64 v56, v123, v31, s[58:59]
	v_cmp_eq_u32_e64 s[58:59], 10, v95
	v_cndmask_b32_e64 v87, v57, v42, s[56:57]
	;; [unrolled: 6-line block ×3, first 2 shown]
	v_cndmask_b32_e64 v41, v70, v29, s[74:75]
	v_cndmask_b32_e64 v81, v61, v20, s[56:57]
	v_cndmask_b32_e64 v80, v58, v42, s[52:53]
	v_cndmask_b32_e64 v61, v90, v29, s[52:53]
	v_cndmask_b32_e64 v58, v91, v31, s[52:53]
	v_cndmask_b32_e64 v70, v108, v40, s[52:53]
	v_cmp_eq_u32_e64 s[52:53], 12, v95
	v_cndmask_b32_e64 v64, v82, v40, s[74:75]
	v_cndmask_b32_e64 v82, v112, v42, s[44:45]
	v_cndmask_b32_e64 v83, v81, v11, s[52:53]
	v_cndmask_b32_e64 v81, v63, v29, s[44:45]
	v_cndmask_b32_e64 v63, v71, v31, s[44:45]
	v_cndmask_b32_e64 v71, v72, v40, s[44:45]
	v_cmp_eq_u32_e64 s[44:45], 13, v95
	;; [unrolled: 7-line block ×4, first 2 shown]
	v_cndmask_b32_e32 v91, v12, v42, vcc
	v_cndmask_b32_e32 v92, v13, v29, vcc
	v_cndmask_b32_e64 v3, v6, v8, s[8:9]
	ds_bpermute_b32 v90, v118, v3
	v_cndmask_b32_e32 v94, v15, v40, vcc
	v_cndmask_b32_e32 v93, v14, v31, vcc
	v_cndmask_b32_e64 v16, v16, v29, s[94:95]
	v_cndmask_b32_e64 v32, v97, v31, s[92:93]
	s_waitcnt lgkmcnt(0)
	v_cndmask_b32_e64 v12, v11, v90, s[52:53]
	v_cndmask_b32_e64 v11, v20, v90, s[56:57]
	;; [unrolled: 1-line block ×20, first 2 shown]
	ds_bpermute_b32 v21, v118, v3
	v_cndmask_b32_e64 v3, v2, v90, s[54:55]
	v_cndmask_b32_e64 v2, v17, v90, s[50:51]
	;; [unrolled: 1-line block ×4, first 2 shown]
	s_waitcnt lgkmcnt(0)
	v_cndmask_b32_e64 v17, v59, v21, s[46:47]
	v_cndmask_b32_e64 v42, v78, v21, s[76:77]
	;; [unrolled: 1-line block ×37, first 2 shown]
	ds_bpermute_b32 v80, v118, v20
	v_cndmask_b32_e64 v33, v98, v31, s[88:89]
	v_cndmask_b32_e64 v34, v99, v31, s[84:85]
	v_cndmask_b32_e64 v52, v101, v31, s[74:75]
	v_cndmask_b32_e64 v82, v19, v31, s[94:95]
	s_waitcnt lgkmcnt(0)
	v_cndmask_b32_e64 v31, v17, v80, s[8:9]
	v_cndmask_b32_e64 v17, v16, v92, s[6:7]
	;; [unrolled: 1-line block ×16, first 2 shown]
	ds_bpermute_b32 v17, v118, v17
	v_cndmask_b32_e64 v20, v76, v80, s[62:63]
	v_cndmask_b32_e64 v21, v75, v80, s[66:67]
	;; [unrolled: 1-line block ×4, first 2 shown]
	s_waitcnt lgkmcnt(0)
	v_cndmask_b32_e64 v76, v81, v17, s[16:17]
	v_cndmask_b32_e64 v81, v83, v17, s[12:13]
	;; [unrolled: 1-line block ×35, first 2 shown]
	v_cmp_eq_u32_e32 vcc, 0, v95
	v_cndmask_b32_e64 v16, v16, v36, s[8:9]
	v_cndmask_b32_e64 v5, v26, v90, s[66:67]
	v_cndmask_b32_e32 v0, v0, v90, vcc
	ds_bpermute_b32 v90, v118, v16
	v_cndmask_b32_e64 v26, v25, v80, s[58:59]
	v_cndmask_b32_e64 v25, v42, v80, s[60:61]
	;; [unrolled: 1-line block ×4, first 2 shown]
	s_waitcnt lgkmcnt(0)
	v_cndmask_b32_e64 v47, v36, v90, s[8:9]
	v_cndmask_b32_e64 v36, v82, v93, s[6:7]
	v_cndmask_b32_e64 v36, v36, v85, s[12:13]
	v_cndmask_b32_e64 v36, v36, v72, s[14:15]
	v_cndmask_b32_e64 v36, v36, v63, s[16:17]
	v_cndmask_b32_e64 v36, v36, v58, s[18:19]
	v_cndmask_b32_e64 v36, v36, v57, s[22:23]
	v_cndmask_b32_e64 v36, v36, v56, s[78:79]
	v_cndmask_b32_e64 v36, v36, v55, s[72:73]
	v_cndmask_b32_e64 v36, v36, v54, s[76:77]
	v_cndmask_b32_e64 v36, v36, v53, s[34:35]
	v_cndmask_b32_e64 v36, v36, v52, s[36:37]
	v_cndmask_b32_e64 v36, v36, v35, s[38:39]
	v_cndmask_b32_e64 v36, v36, v34, s[40:41]
	v_cndmask_b32_e64 v36, v36, v33, s[42:43]
	v_cndmask_b32_e64 v36, v36, v32, s[46:47]
	v_cndmask_b32_e64 v42, v41, v90, s[58:59]
	v_cndmask_b32_e64 v41, v59, v90, s[60:61]
	ds_bpermute_b32 v59, v118, v36
	v_cndmask_b32_e64 v18, v77, v80, s[50:51]
	v_cndmask_b32_e64 v17, v78, v80, s[48:49]
	v_cndmask_b32_e32 v16, v79, v80, vcc
	v_cndmask_b32_e64 v46, v37, v90, s[10:11]
	s_waitcnt lgkmcnt(0)
	v_cndmask_b32_e64 v80, v93, v59, s[6:7]
	v_cndmask_b32_e64 v82, v82, v59, s[20:21]
	;; [unrolled: 1-line block ×39, first 2 shown]
	ds_bpermute_b32 v85, v118, v32
	v_cndmask_b32_e64 v35, v60, v90, s[54:55]
	v_cndmask_b32_e64 v34, v81, v90, s[50:51]
	;; [unrolled: 1-line block ×3, first 2 shown]
	v_cndmask_b32_e32 v32, v87, v90, vcc
	s_waitcnt lgkmcnt(0)
	v_cndmask_b32_e64 v59, v52, v85, s[56:57]
	v_cndmask_b32_e64 v52, v86, v94, s[6:7]
	;; [unrolled: 1-line block ×18, first 2 shown]
	ds_bpermute_b32 v73, v118, v52
	v_cndmask_b32_e64 v60, v74, v85, s[52:53]
	v_cndmask_b32_e64 v57, v54, v85, s[60:61]
	;; [unrolled: 1-line block ×4, first 2 shown]
	s_waitcnt lgkmcnt(0)
	v_cndmask_b32_e64 v90, v94, v73, s[6:7]
	v_cndmask_b32_e64 v86, v86, v73, s[20:21]
	;; [unrolled: 1-line block ×32, first 2 shown]
	ds_bpermute_b32 v91, v118, v48
	v_readlane_b32 s6, v127, 30
	v_readlane_b32 s7, v127, 31
	;; [unrolled: 1-line block ×5, first 2 shown]
	v_cndmask_b32_e64 v62, v62, v85, s[10:11]
	v_cndmask_b32_e64 v58, v53, v85, s[58:59]
	;; [unrolled: 1-line block ×7, first 2 shown]
	v_cndmask_b32_e32 v48, v82, v85, vcc
	s_waitcnt lgkmcnt(0)
	v_cndmask_b32_e64 v79, v74, v91, s[8:9]
	v_cndmask_b32_e64 v78, v75, v91, s[10:11]
	;; [unrolled: 1-line block ×15, first 2 shown]
	v_cndmask_b32_e32 v64, v86, v91, vcc
	s_waitcnt vmcnt(0)
	v_lshl_add_u64 v[86:87], s[6:7], 0, v[104:105]
	s_mov_b64 s[6:7], 0
	s_mov_b32 s12, 0
	v_readlane_b32 s35, v127, 11
	v_readlane_b32 s37, v127, 13
	;; [unrolled: 1-line block ×10, first 2 shown]
                                        ; implicit-def: $sgpr8_sgpr9
	s_branch .LBB301_34
.LBB301_33:                             ;   in Loop: Header=BB301_34 Depth=2
	s_or_b64 exec, exec, s[10:11]
	s_and_b64 s[10:11], exec, s[8:9]
	s_or_b64 s[6:7], s[10:11], s[6:7]
	s_andn2_b64 exec, exec, s[6:7]
	s_cbranch_execz .LBB301_36
.LBB301_34:                             ;   Parent Loop BB301_7 Depth=1
                                        ; =>  This Inner Loop Header: Depth=2
	scratch_load_dword v80, off, off offset:4 ; 4-byte Folded Reload
	s_and_b32 s10, s12, 2
	s_and_b32 s11, s5, 24
	s_or_b32 s10, s11, s10
	s_or_b64 s[8:9], s[8:9], exec
	s_waitcnt vmcnt(0)
	v_or_b32_e32 v80, s10, v80
	v_add_u32_e32 v81, s99, v80
	v_cmp_gt_u32_e32 vcc, 32, v81
	s_and_saveexec_b64 s[10:11], vcc
	s_cbranch_execz .LBB301_33
; %bb.35:                               ;   in Loop: Header=BB301_34 Depth=2
	s_add_i32 s13, s12, 1
	s_set_gpr_idx_on s12, gpr_idx(SRC0)
	v_mov_b32_e32 v81, v0
	s_set_gpr_idx_off
	v_cvt_f16_f32_e32 v82, v81
	s_set_gpr_idx_on s13, gpr_idx(SRC0)
	v_mov_b32_e32 v81, v0
	s_set_gpr_idx_off
	v_cvt_f16_f32_sdwa v83, v81 dst_sel:WORD_1 dst_unused:UNUSED_PAD src0_sel:DWORD
	v_mul_lo_u32 v80, v80, s25
	v_ashrrev_i32_e32 v81, 31, v80
	v_lshl_add_u64 v[80:81], v[80:81], 1, v[86:87]
	v_or_b32_e32 v82, v83, v82
	;;#ASMSTART
	global_atomic_pk_add_f16 v[80:81], v82, off
	
	;;#ASMEND
	s_set_gpr_idx_on s12, gpr_idx(SRC0)
	v_mov_b32_e32 v82, v16
	s_set_gpr_idx_off
	v_cvt_f16_f32_e32 v84, v82
	s_set_gpr_idx_on s13, gpr_idx(SRC0)
	v_mov_b32_e32 v82, v16
	s_set_gpr_idx_off
	v_cvt_f16_f32_sdwa v85, v82 dst_sel:WORD_1 dst_unused:UNUSED_PAD src0_sel:DWORD
	v_lshl_add_u64 v[82:83], v[80:81], 0, 64
	s_mov_b64 s[14:15], 0x80
	s_add_i32 s5, s5, 4
	v_or_b32_e32 v84, v85, v84
	;;#ASMSTART
	global_atomic_pk_add_f16 v[82:83], v84, off
	
	;;#ASMEND
	s_set_gpr_idx_on s12, gpr_idx(SRC0)
	v_mov_b32_e32 v82, v32
	s_set_gpr_idx_off
	v_cvt_f16_f32_e32 v84, v82
	s_set_gpr_idx_on s13, gpr_idx(SRC0)
	v_mov_b32_e32 v82, v32
	s_set_gpr_idx_off
	v_cvt_f16_f32_sdwa v85, v82 dst_sel:WORD_1 dst_unused:UNUSED_PAD src0_sel:DWORD
	v_lshl_add_u64 v[82:83], v[80:81], 0, s[14:15]
	s_mov_b64 s[14:15], 0xc0
	v_or_b32_e32 v84, v85, v84
	;;#ASMSTART
	global_atomic_pk_add_f16 v[82:83], v84, off
	
	;;#ASMEND
	s_set_gpr_idx_on s12, gpr_idx(SRC0)
	v_mov_b32_e32 v82, v48
	s_set_gpr_idx_off
	v_cvt_f16_f32_e32 v84, v82
	s_set_gpr_idx_on s13, gpr_idx(SRC0)
	v_mov_b32_e32 v82, v48
	s_set_gpr_idx_off
	v_cvt_f16_f32_sdwa v85, v82 dst_sel:WORD_1 dst_unused:UNUSED_PAD src0_sel:DWORD
	v_lshl_add_u64 v[82:83], v[80:81], 0, s[14:15]
	s_mov_b64 s[14:15], 0x100
	v_lshl_add_u64 v[80:81], v[80:81], 0, s[14:15]
	v_or_b32_e32 v84, v85, v84
	;;#ASMSTART
	global_atomic_pk_add_f16 v[82:83], v84, off
	
	;;#ASMEND
	s_set_gpr_idx_on s12, gpr_idx(SRC0)
	v_mov_b32_e32 v82, v64
	s_set_gpr_idx_off
	v_cvt_f16_f32_e32 v82, v82
	s_set_gpr_idx_on s13, gpr_idx(SRC0)
	v_mov_b32_e32 v83, v64
	s_set_gpr_idx_off
	s_add_i32 s12, s12, 2
	v_cvt_f16_f32_sdwa v83, v83 dst_sel:WORD_1 dst_unused:UNUSED_PAD src0_sel:DWORD
	s_cmp_eq_u32 s12, 16
	s_cselect_b64 s[14:15], -1, 0
	s_andn2_b64 s[8:9], s[8:9], exec
	s_and_b64 s[14:15], s[14:15], exec
	s_or_b64 s[8:9], s[8:9], s[14:15]
	v_or_b32_e32 v82, v83, v82
	;;#ASMSTART
	global_atomic_pk_add_f16 v[80:81], v82, off
	
	;;#ASMEND
	s_branch .LBB301_33
.LBB301_36:                             ;   in Loop: Header=BB301_7 Depth=1
	s_or_b64 exec, exec, s[6:7]
	scratch_load_dword v102, off, off offset:36 ; 4-byte Folded Reload
	v_readlane_b32 s16, v127, 2
	v_readlane_b32 s14, v127, 0
	;; [unrolled: 1-line block ×13, first 2 shown]
.LBB301_37:                             ;   in Loop: Header=BB301_7 Depth=1
	v_readlane_b32 s6, v127, 25
	v_readlane_b32 s7, v127, 26
	s_or_b64 exec, exec, s[6:7]
.LBB301_38:                             ;   in Loop: Header=BB301_7 Depth=1
	s_or_saveexec_b64 s[0:1], s[0:1]
	v_readlane_b32 s48, v127, 23
	s_mov_b32 s13, s4
	v_readlane_b32 s49, v127, 24
	s_xor_b64 exec, exec, s[0:1]
	s_cbranch_execz .LBB301_47
; %bb.39:                               ;   in Loop: Header=BB301_7 Depth=1
	s_mul_i32 s12, s98, 5
	v_cmp_gt_i32_e32 vcc, s12, v119
	s_and_saveexec_b64 s[6:7], vcc
	s_cbranch_execz .LBB301_46
; %bb.40:                               ;   in Loop: Header=BB301_7 Depth=1
	scratch_load_dwordx2 v[0:1], off, off offset:72 ; 8-byte Folded Reload
	scratch_load_dwordx2 v[2:3], off, off offset:20 ; 8-byte Folded Reload
	s_mul_i32 s4, s68, s27
	s_ashr_i32 s5, s4, 31
	s_add_u32 s4, s18, s4
	s_addc_u32 s5, s19, s5
	s_ashr_i32 s8, s13, 31
	s_add_u32 s4, s4, s13
	s_addc_u32 s5, s5, s8
	s_waitcnt vmcnt(1)
	v_lshl_add_u64 v[0:1], s[4:5], 0, v[0:1]
	s_waitcnt vmcnt(0)
	v_lshl_add_u64 v[16:17], v[0:1], 0, v[2:3]
	s_mov_b64 s[4:5], 0
	s_branch .LBB301_42
.LBB301_41:                             ;   in Loop: Header=BB301_42 Depth=2
	s_or_b64 exec, exec, s[8:9]
	;;#ASMSTART
	s_waitcnt vmcnt(3)
	;;#ASMEND
	scratch_load_dword v20, off, off        ; 4-byte Folded Reload
	v_add_u32_e32 v119, s30, v119
	v_add_u32_e32 v88, s30, v18
	v_cmp_le_i32_e32 vcc, s12, v119
	s_or_b64 s[4:5], vcc, s[4:5]
	v_cmp_lt_i32_e32 vcc, 4, v88
	s_waitcnt vmcnt(0)
	v_lshl_or_b32 v20, v18, 12, v20
	ds_write2_b32 v20, v12, v13 offset1:32
	ds_write2_b32 v20, v14, v15 offset0:64 offset1:96
	v_add_u32_e32 v12, 0x400, v20
	;;#ASMSTART
	s_waitcnt vmcnt(2)
	;;#ASMEND
	ds_write2_b32 v12, v8, v9 offset1:32
	ds_write2_b32 v12, v10, v11 offset0:64 offset1:96
	v_add_u32_e32 v8, 0x800, v20
	;;#ASMSTART
	s_waitcnt vmcnt(1)
	;;#ASMEND
	;; [unrolled: 6-line block ×3, first 2 shown]
	ds_write2_b32 v4, v0, v1 offset1:32
	ds_write2_b32 v4, v2, v3 offset0:64 offset1:96
	v_add_u32_e32 v0, 1, v103
	ds_write_b32 v19, v0 offset:12
	v_add_u32_e32 v0, 2, v103
	v_cndmask_b32_e32 v103, v103, v0, vcc
	s_andn2_b64 exec, exec, s[4:5]
	s_cbranch_execz .LBB301_45
.LBB301_42:                             ;   Parent Loop BB301_7 Depth=1
                                        ; =>  This Loop Header: Depth=2
                                        ;       Child Loop BB301_44 Depth 3
	v_cmp_gt_i32_e32 vcc, 5, v88
	s_mov_b32 s8, 0x66666667
	s_nop 0
	v_cndmask_b32_e64 v0, -5, 0, vcc
	v_add_u32_e32 v18, v0, v88
	v_mul_hi_i32 v0, v119, s8
	v_lshrrev_b32_e32 v1, 31, v0
	v_ashrrev_i32_e32 v0, 1, v0
	v_add_u32_e32 v0, v0, v1
	v_lshl_add_u32 v1, v0, 2, v0
	v_sub_u32_e32 v2, v119, v1
	v_lshlrev_b32_e32 v0, 7, v0
	v_ashrrev_i32_e32 v1, 31, v0
	v_mul_lo_u32 v2, s33, v2
	v_lshl_add_u64 v[0:1], v[16:17], 0, v[0:1]
	v_ashrrev_i32_e32 v3, 31, v2
	v_lshl_add_u64 v[0:1], v[0:1], 0, v[2:3]
	v_lshlrev_b32_e32 v19, 2, v18
	;;#ASMSTART
	global_load_dwordx4 v[12:15], v[0:1], off offset:0   sc0 sc1 nt  
	global_load_dwordx4 v[8:11], v[0:1], off offset:32  sc0 sc1 nt  
	global_load_dwordx4 v[4:7], v[0:1], off offset:64  sc0 sc1 nt  
	;; [unrolled: 1-line block ×3, first 2 shown]
	
	;;#ASMEND
	ds_read_b32 v20, v19 offset:32780
	v_add_u32_e32 v19, 0x8000, v19
	s_waitcnt lgkmcnt(0)
	v_cmp_ne_u32_e32 vcc, v20, v103
	s_and_saveexec_b64 s[8:9], vcc
	s_cbranch_execz .LBB301_41
; %bb.43:                               ;   in Loop: Header=BB301_42 Depth=2
	s_mov_b64 s[10:11], 0
.LBB301_44:                             ;   Parent Loop BB301_7 Depth=1
                                        ;     Parent Loop BB301_42 Depth=2
                                        ; =>    This Inner Loop Header: Depth=3
	;;#ASMSTART
	s_sleep 0
	;;#ASMEND
	ds_read_b32 v20, v19 offset:12
	s_waitcnt lgkmcnt(0)
	v_cmp_eq_u32_e32 vcc, v20, v103
	s_or_b64 s[10:11], vcc, s[10:11]
	s_andn2_b64 exec, exec, s[10:11]
	s_cbranch_execnz .LBB301_44
	s_branch .LBB301_41
.LBB301_45:                             ;   in Loop: Header=BB301_7 Depth=1
	s_or_b64 exec, exec, s[4:5]
.LBB301_46:                             ;   in Loop: Header=BB301_7 Depth=1
	s_or_b64 exec, exec, s[6:7]
	v_subrev_u32_e32 v119, s12, v119
.LBB301_47:                             ;   in Loop: Header=BB301_7 Depth=1
	s_or_b64 exec, exec, s[0:1]
.LBB301_48:                             ;   in Loop: Header=BB301_7 Depth=1
	s_andn2_saveexec_b64 s[0:1], s[48:49]
	s_cbranch_execz .LBB301_6
; %bb.49:                               ;   in Loop: Header=BB301_7 Depth=1
	s_mul_i32 s98, s98, 3
	v_cmp_gt_i32_e32 vcc, s98, v119
	s_and_saveexec_b64 s[4:5], vcc
	s_cbranch_execz .LBB301_5
; %bb.50:                               ;   in Loop: Header=BB301_7 Depth=1
	scratch_load_dwordx2 v[4:5], off, off offset:20 ; 8-byte Folded Reload
	s_mul_i32 s6, s47, s26
	s_ashr_i32 s7, s6, 31
	s_add_u32 s6, s16, s6
	s_addc_u32 s7, s17, s7
	s_ashr_i32 s8, s13, 31
	s_add_u32 s6, s6, s13
	s_addc_u32 s7, s7, s8
	s_waitcnt vmcnt(1)
	v_add_u32_e32 v2, s99, v102
	s_movk_i32 s8, 0x60
	v_mul_lo_u32 v0, s26, v102
	v_cmp_gt_u32_e32 vcc, s8, v2
	v_sub_u32_e32 v18, 0x5f, v2
	s_nop 0
	v_cndmask_b32_e32 v0, 0, v0, vcc
	v_ashrrev_i32_e32 v1, 31, v0
	v_lshl_add_u64 v[0:1], s[6:7], 0, v[0:1]
	s_mov_b64 s[6:7], 0
	s_waitcnt vmcnt(0)
	v_lshl_add_u64 v[16:17], v[0:1], 0, v[4:5]
	s_branch .LBB301_52
.LBB301_51:                             ;   in Loop: Header=BB301_52 Depth=2
	s_or_b64 exec, exec, s[8:9]
	v_lshl_add_u32 v21, v19, 12, v116
	;;#ASMSTART
	s_waitcnt vmcnt(3)
	;;#ASMEND
	ds_write2_b32 v21, v12, v13 offset1:32
	ds_write2_b32 v21, v14, v15 offset0:64 offset1:96
	v_add_u32_e32 v12, 0x400, v21
	;;#ASMSTART
	s_waitcnt vmcnt(2)
	;;#ASMEND
	ds_write2_b32 v12, v8, v9 offset1:32
	ds_write2_b32 v12, v10, v11 offset0:64 offset1:96
	v_add_u32_e32 v8, 0x800, v21
	;; [unrolled: 6-line block ×3, first 2 shown]
	v_add_u32_e32 v119, s29, v119
	;;#ASMSTART
	s_waitcnt vmcnt(0)
	;;#ASMEND
	ds_write2_b32 v4, v0, v1 offset1:32
	ds_write2_b32 v4, v2, v3 offset0:64 offset1:96
	v_add_u32_e32 v0, 1, v103
	v_add_u32_e32 v88, s29, v19
	v_cmp_le_i32_e32 vcc, s98, v119
	ds_write_b32 v20, v0
	v_add_u32_e32 v0, 2, v103
	s_or_b64 s[6:7], vcc, s[6:7]
	v_cmp_lt_i32_e32 vcc, 2, v88
	s_nop 1
	v_cndmask_b32_e32 v103, v103, v0, vcc
	s_andn2_b64 exec, exec, s[6:7]
	s_cbranch_execz .LBB301_4
.LBB301_52:                             ;   Parent Loop BB301_7 Depth=1
                                        ; =>  This Loop Header: Depth=2
                                        ;       Child Loop BB301_54 Depth 3
	v_cmp_gt_i32_e32 vcc, 3, v88
	s_mov_b32 s8, 0x55555556
	s_nop 0
	v_cndmask_b32_e64 v0, -3, 0, vcc
	v_add_u32_e32 v19, v0, v88
	v_mul_hi_i32 v0, v119, s8
	v_lshrrev_b32_e32 v1, 31, v0
	v_add_u32_e32 v0, v0, v1
	v_lshl_add_u32 v1, v0, 1, v0
	v_sub_u32_e32 v1, v119, v1
	v_lshlrev_b32_e32 v1, 5, v1
	v_cmp_le_i32_e32 vcc, v1, v18
	v_lshlrev_b32_e32 v0, 7, v0
	v_lshlrev_b32_e32 v20, 2, v19
	v_cndmask_b32_e32 v2, 0, v1, vcc
	v_ashrrev_i32_e32 v1, 31, v0
	v_mul_lo_u32 v2, v2, s26
	v_lshl_add_u64 v[0:1], v[16:17], 0, v[0:1]
	v_ashrrev_i32_e32 v3, 31, v2
	v_lshl_add_u64 v[0:1], v[0:1], 0, v[2:3]
	;;#ASMSTART
	global_load_dwordx4 v[12:15], v[0:1], off offset:0   
	global_load_dwordx4 v[8:11], v[0:1], off offset:32  
	;; [unrolled: 1-line block ×4, first 2 shown]
	
	;;#ASMEND
	ds_read_b32 v21, v20 offset:32768
	v_add_u32_e32 v20, 0x8000, v20
	s_waitcnt lgkmcnt(0)
	v_cmp_ne_u32_e32 vcc, v21, v103
	s_and_saveexec_b64 s[8:9], vcc
	s_cbranch_execz .LBB301_51
; %bb.53:                               ;   in Loop: Header=BB301_52 Depth=2
	s_mov_b64 s[10:11], 0
.LBB301_54:                             ;   Parent Loop BB301_7 Depth=1
                                        ;     Parent Loop BB301_52 Depth=2
                                        ; =>    This Inner Loop Header: Depth=3
	;;#ASMSTART
	s_sleep 0
	;;#ASMEND
	ds_read_b32 v21, v20
	s_waitcnt lgkmcnt(0)
	v_cmp_eq_u32_e32 vcc, v21, v103
	s_or_b64 s[10:11], vcc, s[10:11]
	s_andn2_b64 exec, exec, s[10:11]
	s_cbranch_execnz .LBB301_54
	s_branch .LBB301_51
.LBB301_55:
	s_endpgm
	.section	.rodata,"a",@progbits
	.p2align	6, 0x0
	.amdhsa_kernel _Z19_skinny_gemm_kernelILi3ELi5ELi1ELi32ELi8EEvPKhS1_P6__halfPKfiiiiiiii
		.amdhsa_group_segment_fixed_size 32800
		.amdhsa_private_segment_fixed_size 84
		.amdhsa_kernarg_size 64
		.amdhsa_user_sgpr_count 2
		.amdhsa_user_sgpr_dispatch_ptr 0
		.amdhsa_user_sgpr_queue_ptr 0
		.amdhsa_user_sgpr_kernarg_segment_ptr 1
		.amdhsa_user_sgpr_dispatch_id 0
		.amdhsa_user_sgpr_kernarg_preload_length 0
		.amdhsa_user_sgpr_kernarg_preload_offset 0
		.amdhsa_user_sgpr_private_segment_size 0
		.amdhsa_uses_dynamic_stack 0
		.amdhsa_enable_private_segment 1
		.amdhsa_system_sgpr_workgroup_id_x 1
		.amdhsa_system_sgpr_workgroup_id_y 0
		.amdhsa_system_sgpr_workgroup_id_z 0
		.amdhsa_system_sgpr_workgroup_info 0
		.amdhsa_system_vgpr_workitem_id 0
		.amdhsa_next_free_vgpr 128
		.amdhsa_next_free_sgpr 100
		.amdhsa_accum_offset 128
		.amdhsa_reserve_vcc 1
		.amdhsa_float_round_mode_32 0
		.amdhsa_float_round_mode_16_64 0
		.amdhsa_float_denorm_mode_32 3
		.amdhsa_float_denorm_mode_16_64 3
		.amdhsa_dx10_clamp 1
		.amdhsa_ieee_mode 1
		.amdhsa_fp16_overflow 0
		.amdhsa_tg_split 0
		.amdhsa_exception_fp_ieee_invalid_op 0
		.amdhsa_exception_fp_denorm_src 0
		.amdhsa_exception_fp_ieee_div_zero 0
		.amdhsa_exception_fp_ieee_overflow 0
		.amdhsa_exception_fp_ieee_underflow 0
		.amdhsa_exception_fp_ieee_inexact 0
		.amdhsa_exception_int_div_zero 0
	.end_amdhsa_kernel
	.section	.text._Z19_skinny_gemm_kernelILi3ELi5ELi1ELi32ELi8EEvPKhS1_P6__halfPKfiiiiiiii,"axG",@progbits,_Z19_skinny_gemm_kernelILi3ELi5ELi1ELi32ELi8EEvPKhS1_P6__halfPKfiiiiiiii,comdat
.Lfunc_end301:
	.size	_Z19_skinny_gemm_kernelILi3ELi5ELi1ELi32ELi8EEvPKhS1_P6__halfPKfiiiiiiii, .Lfunc_end301-_Z19_skinny_gemm_kernelILi3ELi5ELi1ELi32ELi8EEvPKhS1_P6__halfPKfiiiiiiii
                                        ; -- End function
	.set _Z19_skinny_gemm_kernelILi3ELi5ELi1ELi32ELi8EEvPKhS1_P6__halfPKfiiiiiiii.num_vgpr, 128
	.set _Z19_skinny_gemm_kernelILi3ELi5ELi1ELi32ELi8EEvPKhS1_P6__halfPKfiiiiiiii.num_agpr, 0
	.set _Z19_skinny_gemm_kernelILi3ELi5ELi1ELi32ELi8EEvPKhS1_P6__halfPKfiiiiiiii.numbered_sgpr, 100
	.set _Z19_skinny_gemm_kernelILi3ELi5ELi1ELi32ELi8EEvPKhS1_P6__halfPKfiiiiiiii.num_named_barrier, 0
	.set _Z19_skinny_gemm_kernelILi3ELi5ELi1ELi32ELi8EEvPKhS1_P6__halfPKfiiiiiiii.private_seg_size, 84
	.set _Z19_skinny_gemm_kernelILi3ELi5ELi1ELi32ELi8EEvPKhS1_P6__halfPKfiiiiiiii.uses_vcc, 1
	.set _Z19_skinny_gemm_kernelILi3ELi5ELi1ELi32ELi8EEvPKhS1_P6__halfPKfiiiiiiii.uses_flat_scratch, 0
	.set _Z19_skinny_gemm_kernelILi3ELi5ELi1ELi32ELi8EEvPKhS1_P6__halfPKfiiiiiiii.has_dyn_sized_stack, 0
	.set _Z19_skinny_gemm_kernelILi3ELi5ELi1ELi32ELi8EEvPKhS1_P6__halfPKfiiiiiiii.has_recursion, 0
	.set _Z19_skinny_gemm_kernelILi3ELi5ELi1ELi32ELi8EEvPKhS1_P6__halfPKfiiiiiiii.has_indirect_call, 0
	.section	.AMDGPU.csdata,"",@progbits
; Kernel info:
; codeLenInByte = 17564
; TotalNumSgprs: 106
; NumVgprs: 128
; NumAgprs: 0
; TotalNumVgprs: 128
; ScratchSize: 84
; MemoryBound: 0
; FloatMode: 240
; IeeeMode: 1
; LDSByteSize: 32800 bytes/workgroup (compile time only)
; SGPRBlocks: 13
; VGPRBlocks: 15
; NumSGPRsForWavesPerEU: 106
; NumVGPRsForWavesPerEU: 128
; AccumOffset: 128
; Occupancy: 4
; WaveLimiterHint : 0
; COMPUTE_PGM_RSRC2:SCRATCH_EN: 1
; COMPUTE_PGM_RSRC2:USER_SGPR: 2
; COMPUTE_PGM_RSRC2:TRAP_HANDLER: 0
; COMPUTE_PGM_RSRC2:TGID_X_EN: 1
; COMPUTE_PGM_RSRC2:TGID_Y_EN: 0
; COMPUTE_PGM_RSRC2:TGID_Z_EN: 0
; COMPUTE_PGM_RSRC2:TIDIG_COMP_CNT: 0
; COMPUTE_PGM_RSRC3_GFX90A:ACCUM_OFFSET: 31
; COMPUTE_PGM_RSRC3_GFX90A:TG_SPLIT: 0
	.section	.text._Z19_skinny_gemm_kernelILi3ELi5ELi2ELi16ELi4EEvPKhS1_P6__halfPKfiiiiiiii,"axG",@progbits,_Z19_skinny_gemm_kernelILi3ELi5ELi2ELi16ELi4EEvPKhS1_P6__halfPKfiiiiiiii,comdat
	.protected	_Z19_skinny_gemm_kernelILi3ELi5ELi2ELi16ELi4EEvPKhS1_P6__halfPKfiiiiiiii ; -- Begin function _Z19_skinny_gemm_kernelILi3ELi5ELi2ELi16ELi4EEvPKhS1_P6__halfPKfiiiiiiii
	.globl	_Z19_skinny_gemm_kernelILi3ELi5ELi2ELi16ELi4EEvPKhS1_P6__halfPKfiiiiiiii
	.p2align	8
	.type	_Z19_skinny_gemm_kernelILi3ELi5ELi2ELi16ELi4EEvPKhS1_P6__halfPKfiiiiiiii,@function
_Z19_skinny_gemm_kernelILi3ELi5ELi2ELi16ELi4EEvPKhS1_P6__halfPKfiiiiiiii: ; @_Z19_skinny_gemm_kernelILi3ELi5ELi2ELi16ELi4EEvPKhS1_P6__halfPKfiiiiiiii
; %bb.0:
	v_cmp_gt_u32_e32 vcc, 16, v0
	v_lshlrev_b32_e32 v1, 2, v0
	s_and_saveexec_b64 s[4:5], vcc
; %bb.1:
	v_mov_b32_e32 v2, 0
	ds_write_b32 v1, v2 offset:32768
; %bb.2:
	s_or_b64 exec, exec, s[4:5]
	s_load_dwordx8 s[20:27], s[0:1], 0x20
	s_mov_b32 s56, 0x66666667
	s_waitcnt lgkmcnt(0)
	s_barrier
	s_add_i32 s3, s20, 47
	s_mul_hi_i32 s3, s3, 0x2aaaaaab
	s_lshr_b32 s4, s3, 31
	s_ashr_i32 s33, s3, 3
	s_add_i32 s3, s21, 0x4f
	s_mul_hi_i32 s3, s3, 0x66666667
	s_add_i32 s33, s33, s4
	s_lshr_b32 s4, s3, 31
	s_ashr_i32 s54, s3, 5
	s_add_i32 s54, s54, s4
	s_mul_i32 s3, s54, s33
	s_mul_i32 s3, s3, s24
	s_add_i32 s4, s3, 0x12f
	s_mul_hi_i32 s4, s4, 0x6bca1af3
	s_lshr_b32 s5, s4, 31
	s_ashr_i32 s4, s4, 7
	s_add_i32 s4, s4, s5
	s_add_i32 s5, s2, 1
	s_mul_i32 s5, s4, s5
	v_cvt_f64_i32_e32 v[2:3], s3
	v_cvt_f64_u32_e32 v[4:5], s5
	v_min_f64 v[2:3], v[2:3], v[4:5]
	v_cvt_i32_f64_e32 v61, v[2:3]
	s_mul_i32 s55, s4, s2
	v_cmp_ge_i32_e32 vcc, s55, v61
	s_cbranch_vccnz .LBB302_64
; %bb.3:
	v_lshrrev_b32_e32 v2, 6, v0
	s_add_i32 s4, s26, s25
	s_load_dwordx8 s[36:43], s[0:1], 0x0
	v_cmp_le_i32_e64 s[0:1], s4, v2
	v_mov_b32_e32 v3, s25
	v_cmp_le_i32_e64 s[2:3], s25, v2
	v_mov_b32_e32 v4, s26
	v_cndmask_b32_e64 v4, 0, v4, s[0:1]
	v_cndmask_b32_e64 v3, 0, v3, s[2:3]
	s_abs_i32 s5, s24
	v_add_u32_e32 v3, v3, v4
	v_cvt_f32_u32_e32 v4, s5
	v_sub_u32_e32 v74, v2, v3
	s_ashr_i32 s6, s22, 31
	s_lshr_b32 s6, s6, 25
	v_rcp_iflag_f32_e32 v3, v4
	s_sub_i32 s9, 0, s5
	s_add_i32 s6, s22, s6
	s_ashr_i32 s6, s6, 7
	v_mul_f32_e32 v3, 0x4f7ffffe, v3
	v_cvt_u32_f32_e32 v3, v3
	s_abs_i32 s8, s6
	s_xor_b32 s7, s6, s24
	s_ashr_i32 s7, s7, 31
	v_readfirstlane_b32 s10, v3
	s_mul_i32 s9, s9, s10
	s_mul_hi_u32 s9, s10, s9
	s_add_i32 s10, s10, s9
	s_mul_hi_u32 s9, s8, s10
	s_mul_i32 s10, s9, s5
	s_sub_i32 s8, s8, s10
	s_add_i32 s10, s9, 1
	s_sub_i32 s11, s8, s5
	s_cmp_ge_u32 s8, s5
	s_cselect_b32 s9, s10, s9
	s_cselect_b32 s8, s11, s8
	s_add_i32 s10, s9, 1
	s_cmp_ge_u32 s8, s5
	s_cselect_b32 s5, s10, s9
	s_xor_b32 s5, s5, s7
	s_sub_i32 s57, s5, s7
	s_add_i32 s24, s24, -1
	s_mul_i32 s5, s57, s24
	s_add_i32 s4, s4, s27
	s_sub_i32 s58, s6, s5
	v_cmp_gt_i32_e64 s[4:5], s4, v2
	v_lshlrev_b32_e32 v2, 1, v0
	v_lshlrev_b32_e32 v3, 4, v0
	v_and_b32_e32 v1, 60, v1
	v_and_b32_e32 v2, 64, v2
	;; [unrolled: 1-line block ×3, first 2 shown]
	v_or3_b32 v101, v1, v2, v4
	v_and_b32_e32 v1, 1, v0
	v_lshrrev_b32_e32 v4, 2, v0
	s_abs_i32 s59, s33
	v_and_or_b32 v106, v4, 12, v1
	v_cvt_f32_u32_e32 v4, s59
	v_lshlrev_b32_e32 v2, 1, v1
	v_and_b32_e32 v60, 14, v0
	v_sub_u32_e32 v2, v0, v2
	v_bitop3_b32 v102, v0, 1, v0 bitop3:0xc
	v_bitop3_b32 v103, v0, 3, 1 bitop3:0x6c
	v_and_b32_e32 v68, 48, v3
	v_bfe_u32 v109, v0, 2, 4
	v_and_b32_e32 v1, 60, v0
	v_lshlrev_b32_e32 v3, 8, v0
	v_lshlrev_b32_e32 v0, 6, v0
	v_and_b32_e32 v3, 0x200, v3
	v_and_b32_e32 v0, 64, v0
	v_or3_b32 v110, v1, v3, v0
	v_rcp_iflag_f32_e32 v0, v4
	s_abs_i32 s61, s54
	v_cvt_f32_u32_e32 v1, s61
	v_mad_u64_u32 v[62:63], s[6:7], s21, v106, v[60:61]
	v_mul_f32_e32 v0, 0x4f7ffffe, v0
	v_cvt_u32_f32_e32 v0, v0
	v_rcp_iflag_f32_e32 v1, v1
	s_lshl_b32 s6, s21, 4
	v_add_u32_e32 v64, s6, v62
	v_readfirstlane_b32 s7, v0
	v_mul_f32_e32 v0, 0x4f7ffffe, v1
	v_cvt_u32_f32_e32 v0, v0
	v_add_u32_e32 v66, s6, v64
	s_sub_i32 s6, 0, s59
	s_mul_i32 s6, s6, s7
	s_mul_hi_u32 s6, s7, s6
	v_add_u32_e32 v2, 1, v2
	s_add_i32 s63, s7, s6
	s_sub_i32 s6, 0, s61
	v_readfirstlane_b32 s7, v0
	v_mbcnt_lo_u32_b32 v0, -1, 0
	v_and_b32_e32 v2, 63, v2
	s_mul_i32 s6, s6, s7
	v_mbcnt_hi_u32_b32 v0, -1, v0
	v_mul_lo_u32 v70, s23, v109
	s_mul_hi_u32 s6, s7, s6
	v_and_or_b32 v0, v0, 64, v2
	v_cndmask_b32_e64 v100, 0, 1, s[0:1]
	s_ashr_i32 s29, s21, 31
	s_mov_b32 s28, s21
	v_or_b32_e32 v104, 48, v60
	v_or_b32_e32 v105, 64, v60
	v_ashrrev_i32_e32 v63, 31, v62
	v_or_b32_e32 v107, 16, v106
	v_ashrrev_i32_e32 v65, 31, v64
	;; [unrolled: 2-line block ×3, first 2 shown]
	v_ashrrev_i32_e32 v71, 31, v70
	v_mov_b32_e32 v69, 0
	s_lshl_b32 s60, s23, 4
	v_mul_lo_u32 v111, s22, v109
	v_or_b32_e32 v112, 0x5000, v110
	s_ashr_i32 s62, s33, 31
	s_ashr_i32 s64, s54, 31
	s_add_i32 s65, s7, s6
	s_movk_i32 s66, 0x2800
	s_movk_i32 s67, 0x1800
	s_mov_b64 s[30:31], 0x60
	s_mov_b64 s[34:35], 0x80
	s_mov_b32 s68, 0x55555556
	v_lshlrev_b32_e32 v113, 2, v0
	v_mov_b32_e32 v114, v74
	s_branch .LBB302_7
.LBB302_4:                              ;   in Loop: Header=BB302_7 Depth=1
	s_or_b64 exec, exec, s[10:11]
.LBB302_5:                              ;   in Loop: Header=BB302_7 Depth=1
	s_or_b64 exec, exec, s[8:9]
	v_subrev_u32_e32 v114, s72, v114
.LBB302_6:                              ;   in Loop: Header=BB302_7 Depth=1
	s_or_b64 exec, exec, s[6:7]
	s_add_i32 s55, s55, 1
	v_cmp_ge_i32_e32 vcc, s55, v61
	s_cbranch_vccnz .LBB302_64
.LBB302_7:                              ; =>This Loop Header: Depth=1
                                        ;     Child Loop BB302_13 Depth 2
                                        ;       Child Loop BB302_15 Depth 3
                                        ;       Child Loop BB302_18 Depth 3
	;; [unrolled: 1-line block ×8, first 2 shown]
                                        ;     Child Loop BB302_51 Depth 2
                                        ;       Child Loop BB302_53 Depth 3
                                        ;     Child Loop BB302_61 Depth 2
                                        ;       Child Loop BB302_63 Depth 3
	s_abs_i32 s7, s55
	s_mul_hi_u32 s8, s7, s63
	s_mul_i32 s9, s8, s59
	s_ashr_i32 s6, s55, 31
	s_sub_i32 s7, s7, s9
	s_xor_b32 s6, s6, s62
	s_add_i32 s9, s8, 1
	s_sub_i32 s10, s7, s59
	s_cmp_ge_u32 s7, s59
	s_cselect_b32 s8, s9, s8
	s_cselect_b32 s7, s10, s7
	s_add_i32 s9, s8, 1
	s_cmp_ge_u32 s7, s59
	s_cselect_b32 s7, s9, s8
	s_xor_b32 s7, s7, s6
	s_sub_i32 s6, s7, s6
	s_abs_i32 s8, s6
	s_mul_hi_u32 s9, s8, s65
	s_mul_i32 s7, s6, s33
	s_mul_i32 s10, s9, s61
	s_sub_i32 s69, s55, s7
	s_ashr_i32 s7, s6, 31
	s_sub_i32 s8, s8, s10
	s_xor_b32 s7, s7, s64
	s_add_i32 s10, s9, 1
	s_sub_i32 s11, s8, s61
	s_cmp_ge_u32 s8, s61
	s_cselect_b32 s9, s10, s9
	s_cselect_b32 s8, s11, s8
	s_add_i32 s10, s9, 1
	s_cmp_ge_u32 s8, s61
	s_cselect_b32 s8, s10, s9
	s_xor_b32 s8, s8, s7
	s_sub_i32 s7, s8, s7
	s_mul_i32 s8, s7, s57
	s_lshl_b32 s70, s8, 7
	s_mul_i32 s69, s69, 48
	s_cmp_eq_u32 s7, s24
	s_cselect_b32 s72, s58, s57
	s_sub_i32 s8, s69, s20
	s_add_i32 s8, s8, 48
	s_max_i32 s71, s8, 0
	s_and_saveexec_b64 s[8:9], s[2:3]
	s_xor_b64 s[44:45], exec, s[8:9]
	s_cbranch_execz .LBB302_57
; %bb.8:                                ;   in Loop: Header=BB302_7 Depth=1
	s_mul_i32 s7, s7, s54
	s_sub_i32 s6, s6, s7
	s_mulk_i32 s6, 0x50
	s_sub_i32 s47, s6, s21
	s_addk_i32 s47, 0x50
	s_max_i32 s7, s47, 0
	s_sub_i32 s46, s6, s7
	s_and_saveexec_b64 s[6:7], s[0:1]
	s_xor_b64 s[48:49], exec, s[6:7]
	s_cbranch_execz .LBB302_47
; %bb.9:                                ;   in Loop: Header=BB302_7 Depth=1
	s_and_saveexec_b64 s[50:51], s[4:5]
	s_cbranch_execz .LBB302_46
; %bb.10:                               ;   in Loop: Header=BB302_7 Depth=1
	s_waitcnt lgkmcnt(0)
	global_load_dword v115, v69, s[42:43]
	v_mov_b32_e32 v59, 0
	v_cmp_gt_i32_e32 vcc, s72, v114
	v_mov_b32_e32 v58, v59
	v_mov_b32_e32 v57, v59
	;; [unrolled: 1-line block ×59, first 2 shown]
	s_and_saveexec_b64 s[6:7], vcc
	s_cbranch_execz .LBB302_38
; %bb.11:                               ;   in Loop: Header=BB302_7 Depth=1
	v_mov_b32_e32 v8, 0
	s_mov_b64 s[8:9], 0
	v_mov_b32_e32 v9, v8
	v_mov_b32_e32 v10, v8
	;; [unrolled: 1-line block ×59, first 2 shown]
	s_branch .LBB302_13
.LBB302_12:                             ;   in Loop: Header=BB302_13 Depth=2
	s_or_b64 exec, exec, s[10:11]
	v_add_u32_e32 v97, 0x2000, v96
	ds_read2_b32 v[98:99], v97 offset1:32
	v_add_u32_e32 v119, 0x2400, v96
	v_add_u32_e32 v114, s27, v114
	s_waitcnt lgkmcnt(0)
	v_mfma_f32_16x16x32_fp8_fp8 v[40:43], v[72:73], v[98:99], v[40:43]
	ds_read2_b32 v[72:73], v97 offset0:128 offset1:160
	ds_read2_b32 v[96:97], v119 offset1:32
	v_mfma_f32_16x16x32_fp8_fp8 v[20:23], v[80:81], v[98:99], v[20:23]
	v_mfma_f32_16x16x32_fp8_fp8 v[8:11], v[90:91], v[98:99], v[8:11]
	s_waitcnt lgkmcnt(1)
	v_mfma_f32_16x16x32_fp8_fp8 v[40:43], v[74:75], v[72:73], v[40:43]
	v_add_u32_e32 v74, s27, v116
	v_cmp_lt_i32_e32 vcc, 1, v74
	v_mfma_f32_16x16x32_fp8_fp8 v[20:23], v[84:85], v[72:73], v[20:23]
	v_mfma_f32_16x16x32_fp8_fp8 v[8:11], v[94:95], v[72:73], v[8:11]
	v_add_u32_e32 v72, 2, v100
	v_cndmask_b32_e32 v100, v100, v72, vcc
	v_cmp_le_i32_e32 vcc, s72, v114
	s_waitcnt lgkmcnt(0)
	v_mfma_f32_16x16x32_fp8_fp8 v[40:43], v[76:77], v[96:97], v[40:43]
	ds_read2_b32 v[76:77], v119 offset0:128 offset1:160
	s_or_b64 s[8:9], vcc, s[8:9]
	;;#ASMSTART
	s_waitcnt lgkmcnt(0)
	;;#ASMEND
	v_mfma_f32_16x16x32_fp8_fp8 v[20:23], v[86:87], v[96:97], v[20:23]
	ds_write_b32 v117, v118 offset:32808
	v_mfma_f32_16x16x32_fp8_fp8 v[8:11], v[92:93], v[96:97], v[8:11]
	s_waitcnt lgkmcnt(1)
	v_mfma_f32_16x16x32_fp8_fp8 v[40:43], v[78:79], v[76:77], v[40:43]
	v_mfma_f32_16x16x32_fp8_fp8 v[20:23], v[88:89], v[76:77], v[20:23]
	;; [unrolled: 1-line block ×3, first 2 shown]
	s_andn2_b64 exec, exec, s[8:9]
	s_cbranch_execz .LBB302_37
.LBB302_13:                             ;   Parent Loop BB302_7 Depth=1
                                        ; =>  This Loop Header: Depth=2
                                        ;       Child Loop BB302_15 Depth 3
                                        ;       Child Loop BB302_18 Depth 3
	;; [unrolled: 1-line block ×8, first 2 shown]
	v_cmp_gt_i32_e32 vcc, 2, v74
	s_nop 1
	v_cndmask_b32_e64 v72, -2, 0, vcc
	v_add_u32_e32 v116, v72, v74
	v_mul_lo_u32 v117, v116, 20
	ds_read_b32 v72, v117 offset:32792
	s_waitcnt lgkmcnt(0)
	v_cmp_ne_u32_e32 vcc, v72, v100
	s_and_saveexec_b64 s[10:11], vcc
	s_cbranch_execz .LBB302_16
; %bb.14:                               ;   in Loop: Header=BB302_13 Depth=2
	s_mov_b64 s[12:13], 0
.LBB302_15:                             ;   Parent Loop BB302_7 Depth=1
                                        ;     Parent Loop BB302_13 Depth=2
                                        ; =>    This Inner Loop Header: Depth=3
	;;#ASMSTART
	s_sleep 0
	;;#ASMEND
	ds_read_b32 v72, v117 offset:32792
	s_waitcnt lgkmcnt(0)
	v_cmp_eq_u32_e32 vcc, v72, v100
	s_or_b64 s[12:13], vcc, s[12:13]
	s_andn2_b64 exec, exec, s[12:13]
	s_cbranch_execnz .LBB302_15
.LBB302_16:                             ;   in Loop: Header=BB302_13 Depth=2
	s_or_b64 exec, exec, s[10:11]
	v_mul_lo_u32 v119, v116, s66
	v_or_b32_e32 v72, v101, v119
	ds_read2_b32 v[92:93], v72 offset1:32
	ds_read2_b32 v[82:83], v72 offset0:128 offset1:160
	v_add_u32_e32 v72, 0x400, v72
	v_add_u32_e32 v118, 1, v100
	ds_read2_b32 v[98:99], v72 offset1:32
	ds_read2_b32 v[96:97], v72 offset0:128 offset1:160
	;;#ASMSTART
	s_waitcnt lgkmcnt(0)
	;;#ASMEND
	ds_write_b32 v117, v118 offset:32792
	v_mul_lo_u32 v120, v116, 12
	ds_read_b32 v72, v120 offset:32768
	s_waitcnt lgkmcnt(0)
	v_cmp_ne_u32_e32 vcc, v72, v100
	s_and_saveexec_b64 s[10:11], vcc
	s_cbranch_execz .LBB302_19
; %bb.17:                               ;   in Loop: Header=BB302_13 Depth=2
	s_mov_b64 s[12:13], 0
.LBB302_18:                             ;   Parent Loop BB302_7 Depth=1
                                        ;     Parent Loop BB302_13 Depth=2
                                        ; =>    This Inner Loop Header: Depth=3
	;;#ASMSTART
	s_sleep 0
	;;#ASMEND
	ds_read_b32 v72, v120 offset:32768
	s_waitcnt lgkmcnt(0)
	v_cmp_eq_u32_e32 vcc, v72, v100
	s_or_b64 s[12:13], vcc, s[12:13]
	s_andn2_b64 exec, exec, s[12:13]
	s_cbranch_execnz .LBB302_18
.LBB302_19:                             ;   in Loop: Header=BB302_13 Depth=2
	s_or_b64 exec, exec, s[10:11]
	v_mul_lo_u32 v72, v116, s67
	v_or_b32_e32 v73, 0x5000, v101
	v_add_u32_e32 v121, v73, v72
	ds_read2_b32 v[72:73], v121 offset1:32
	ds_read2_b32 v[74:75], v121 offset0:128 offset1:160
	v_add_u32_e32 v78, 0x400, v121
	ds_read2_b32 v[76:77], v78 offset1:32
	ds_read2_b32 v[78:79], v78 offset0:128 offset1:160
	ds_read_b32 v80, v120 offset:32772
	ds_write_b32 v120, v118 offset:32768
	s_waitcnt lgkmcnt(5)
	v_mfma_f32_16x16x32_fp8_fp8 v[56:59], v[72:73], v[92:93], v[56:59]
	s_waitcnt lgkmcnt(1)
	v_cmp_ne_u32_e32 vcc, v80, v100
	v_mfma_f32_16x16x32_fp8_fp8 v[56:59], v[74:75], v[82:83], v[56:59]
	v_mfma_f32_16x16x32_fp8_fp8 v[56:59], v[76:77], v[98:99], v[56:59]
	;; [unrolled: 1-line block ×3, first 2 shown]
	s_and_saveexec_b64 s[10:11], vcc
	s_cbranch_execz .LBB302_22
; %bb.20:                               ;   in Loop: Header=BB302_13 Depth=2
	s_mov_b64 s[12:13], 0
.LBB302_21:                             ;   Parent Loop BB302_7 Depth=1
                                        ;     Parent Loop BB302_13 Depth=2
                                        ; =>    This Inner Loop Header: Depth=3
	;;#ASMSTART
	s_sleep 0
	;;#ASMEND
	ds_read_b32 v80, v120 offset:32772
	s_waitcnt lgkmcnt(0)
	v_cmp_eq_u32_e32 vcc, v80, v100
	s_or_b64 s[12:13], vcc, s[12:13]
	s_andn2_b64 exec, exec, s[12:13]
	s_cbranch_execnz .LBB302_21
.LBB302_22:                             ;   in Loop: Header=BB302_13 Depth=2
	s_or_b64 exec, exec, s[10:11]
	v_add_u32_e32 v84, 0x800, v121
	ds_read2_b32 v[80:81], v84 offset1:32
	ds_read2_b32 v[84:85], v84 offset0:128 offset1:160
	v_add_u32_e32 v88, 0xc00, v121
	ds_read2_b32 v[86:87], v88 offset1:32
	ds_read2_b32 v[88:89], v88 offset0:128 offset1:160
	ds_read_b32 v90, v120 offset:32776
	ds_write_b32 v120, v118 offset:32772
	s_waitcnt lgkmcnt(5)
	v_mfma_f32_16x16x32_fp8_fp8 v[36:39], v[80:81], v[92:93], v[36:39]
	s_waitcnt lgkmcnt(1)
	v_cmp_ne_u32_e32 vcc, v90, v100
	v_mfma_f32_16x16x32_fp8_fp8 v[36:39], v[84:85], v[82:83], v[36:39]
	v_mfma_f32_16x16x32_fp8_fp8 v[36:39], v[86:87], v[98:99], v[36:39]
	;; [unrolled: 1-line block ×3, first 2 shown]
	s_and_saveexec_b64 s[10:11], vcc
	s_cbranch_execz .LBB302_25
; %bb.23:                               ;   in Loop: Header=BB302_13 Depth=2
	s_mov_b64 s[12:13], 0
.LBB302_24:                             ;   Parent Loop BB302_7 Depth=1
                                        ;     Parent Loop BB302_13 Depth=2
                                        ; =>    This Inner Loop Header: Depth=3
	;;#ASMSTART
	s_sleep 0
	;;#ASMEND
	ds_read_b32 v90, v120 offset:32776
	s_waitcnt lgkmcnt(0)
	v_cmp_eq_u32_e32 vcc, v90, v100
	s_or_b64 s[12:13], vcc, s[12:13]
	s_andn2_b64 exec, exec, s[12:13]
	s_cbranch_execnz .LBB302_24
.LBB302_25:                             ;   in Loop: Header=BB302_13 Depth=2
	s_or_b64 exec, exec, s[10:11]
	v_add_u32_e32 v94, 0x1000, v121
	ds_read2_b32 v[90:91], v94 offset1:32
	ds_read2_b32 v[94:95], v94 offset0:128 offset1:160
	v_add_u32_e32 v121, 0x1400, v121
	s_waitcnt lgkmcnt(1)
	v_mfma_f32_16x16x32_fp8_fp8 v[16:19], v[90:91], v[92:93], v[16:19]
	ds_read2_b32 v[92:93], v121 offset1:32
	s_waitcnt lgkmcnt(1)
	v_mfma_f32_16x16x32_fp8_fp8 v[16:19], v[94:95], v[82:83], v[16:19]
	s_waitcnt lgkmcnt(0)
	v_mfma_f32_16x16x32_fp8_fp8 v[16:19], v[92:93], v[98:99], v[16:19]
	ds_read2_b32 v[82:83], v121 offset0:128 offset1:160
	ds_read_b32 v98, v117 offset:32796
	ds_write_b32 v120, v118 offset:32776
	s_waitcnt lgkmcnt(1)
	v_cmp_ne_u32_e32 vcc, v98, v100
	v_mfma_f32_16x16x32_fp8_fp8 v[16:19], v[82:83], v[96:97], v[16:19]
	s_and_saveexec_b64 s[10:11], vcc
	s_cbranch_execz .LBB302_28
; %bb.26:                               ;   in Loop: Header=BB302_13 Depth=2
	s_mov_b64 s[12:13], 0
.LBB302_27:                             ;   Parent Loop BB302_7 Depth=1
                                        ;     Parent Loop BB302_13 Depth=2
                                        ; =>    This Inner Loop Header: Depth=3
	;;#ASMSTART
	s_sleep 0
	;;#ASMEND
	ds_read_b32 v96, v117 offset:32796
	s_waitcnt lgkmcnt(0)
	v_cmp_eq_u32_e32 vcc, v96, v100
	s_or_b64 s[12:13], vcc, s[12:13]
	s_andn2_b64 exec, exec, s[12:13]
	s_cbranch_execnz .LBB302_27
.LBB302_28:                             ;   in Loop: Header=BB302_13 Depth=2
	s_or_b64 exec, exec, s[10:11]
	v_add_u32_e32 v96, v101, v119
	v_add_u32_e32 v97, 0x800, v96
	ds_read2_b32 v[98:99], v97 offset1:32
	ds_read2_b32 v[120:121], v97 offset0:128 offset1:160
	v_add_u32_e32 v97, 0xc00, v96
	ds_read2_b32 v[122:123], v97 offset1:32
	ds_read2_b32 v[124:125], v97 offset0:128 offset1:160
	s_waitcnt lgkmcnt(3)
	v_mfma_f32_16x16x32_fp8_fp8 v[52:55], v[72:73], v[98:99], v[52:55]
	;;#ASMSTART
	s_waitcnt lgkmcnt(0)
	;;#ASMEND
	ds_read_b32 v97, v117 offset:32800
	ds_write_b32 v117, v118 offset:32796
	v_mfma_f32_16x16x32_fp8_fp8 v[32:35], v[80:81], v[98:99], v[32:35]
	s_waitcnt lgkmcnt(1)
	v_cmp_ne_u32_e32 vcc, v97, v100
	v_mfma_f32_16x16x32_fp8_fp8 v[12:15], v[90:91], v[98:99], v[12:15]
	v_mfma_f32_16x16x32_fp8_fp8 v[52:55], v[74:75], v[120:121], v[52:55]
	;; [unrolled: 1-line block ×10, first 2 shown]
	s_and_saveexec_b64 s[10:11], vcc
	s_cbranch_execz .LBB302_31
; %bb.29:                               ;   in Loop: Header=BB302_13 Depth=2
	s_mov_b64 s[12:13], 0
.LBB302_30:                             ;   Parent Loop BB302_7 Depth=1
                                        ;     Parent Loop BB302_13 Depth=2
                                        ; =>    This Inner Loop Header: Depth=3
	;;#ASMSTART
	s_sleep 0
	;;#ASMEND
	ds_read_b32 v97, v117 offset:32800
	s_waitcnt lgkmcnt(0)
	v_cmp_eq_u32_e32 vcc, v97, v100
	s_or_b64 s[12:13], vcc, s[12:13]
	s_andn2_b64 exec, exec, s[12:13]
	s_cbranch_execnz .LBB302_30
.LBB302_31:                             ;   in Loop: Header=BB302_13 Depth=2
	s_or_b64 exec, exec, s[10:11]
	v_add_u32_e32 v97, 0x1000, v96
	ds_read2_b32 v[98:99], v97 offset1:32
	ds_read2_b32 v[120:121], v97 offset0:128 offset1:160
	v_add_u32_e32 v97, 0x1400, v96
	ds_read2_b32 v[122:123], v97 offset1:32
	ds_read2_b32 v[124:125], v97 offset0:128 offset1:160
	s_waitcnt lgkmcnt(3)
	v_mfma_f32_16x16x32_fp8_fp8 v[48:51], v[72:73], v[98:99], v[48:51]
	;;#ASMSTART
	s_waitcnt lgkmcnt(0)
	;;#ASMEND
	ds_read_b32 v97, v117 offset:32804
	ds_write_b32 v117, v118 offset:32800
	v_mfma_f32_16x16x32_fp8_fp8 v[28:31], v[80:81], v[98:99], v[28:31]
	s_waitcnt lgkmcnt(1)
	v_cmp_ne_u32_e32 vcc, v97, v100
	v_mfma_f32_16x16x32_fp8_fp8 v[4:7], v[90:91], v[98:99], v[4:7]
	v_mfma_f32_16x16x32_fp8_fp8 v[48:51], v[74:75], v[120:121], v[48:51]
	;; [unrolled: 1-line block ×10, first 2 shown]
	s_and_saveexec_b64 s[10:11], vcc
	s_cbranch_execz .LBB302_34
; %bb.32:                               ;   in Loop: Header=BB302_13 Depth=2
	s_mov_b64 s[12:13], 0
.LBB302_33:                             ;   Parent Loop BB302_7 Depth=1
                                        ;     Parent Loop BB302_13 Depth=2
                                        ; =>    This Inner Loop Header: Depth=3
	;;#ASMSTART
	s_sleep 0
	;;#ASMEND
	ds_read_b32 v97, v117 offset:32804
	s_waitcnt lgkmcnt(0)
	v_cmp_eq_u32_e32 vcc, v97, v100
	s_or_b64 s[12:13], vcc, s[12:13]
	s_andn2_b64 exec, exec, s[12:13]
	s_cbranch_execnz .LBB302_33
.LBB302_34:                             ;   in Loop: Header=BB302_13 Depth=2
	s_or_b64 exec, exec, s[10:11]
	v_add_u32_e32 v97, 0x1800, v96
	ds_read2_b32 v[98:99], v97 offset1:32
	ds_read2_b32 v[120:121], v97 offset0:128 offset1:160
	v_add_u32_e32 v97, 0x1c00, v96
	ds_read2_b32 v[122:123], v97 offset1:32
	ds_read2_b32 v[124:125], v97 offset0:128 offset1:160
	s_waitcnt lgkmcnt(3)
	v_mfma_f32_16x16x32_fp8_fp8 v[44:47], v[72:73], v[98:99], v[44:47]
	;;#ASMSTART
	s_waitcnt lgkmcnt(0)
	;;#ASMEND
	ds_read_b32 v97, v117 offset:32808
	ds_write_b32 v117, v118 offset:32804
	v_mfma_f32_16x16x32_fp8_fp8 v[24:27], v[80:81], v[98:99], v[24:27]
	s_waitcnt lgkmcnt(1)
	v_cmp_ne_u32_e32 vcc, v97, v100
	v_mfma_f32_16x16x32_fp8_fp8 v[0:3], v[90:91], v[98:99], v[0:3]
	v_mfma_f32_16x16x32_fp8_fp8 v[44:47], v[74:75], v[120:121], v[44:47]
	;; [unrolled: 1-line block ×10, first 2 shown]
	s_and_saveexec_b64 s[10:11], vcc
	s_cbranch_execz .LBB302_12
; %bb.35:                               ;   in Loop: Header=BB302_13 Depth=2
	s_mov_b64 s[12:13], 0
.LBB302_36:                             ;   Parent Loop BB302_7 Depth=1
                                        ;     Parent Loop BB302_13 Depth=2
                                        ; =>    This Inner Loop Header: Depth=3
	;;#ASMSTART
	s_sleep 0
	;;#ASMEND
	ds_read_b32 v97, v117 offset:32808
	s_waitcnt lgkmcnt(0)
	v_cmp_eq_u32_e32 vcc, v97, v100
	s_or_b64 s[12:13], vcc, s[12:13]
	s_andn2_b64 exec, exec, s[12:13]
	s_cbranch_execnz .LBB302_36
	s_branch .LBB302_12
.LBB302_37:                             ;   in Loop: Header=BB302_7 Depth=1
	s_or_b64 exec, exec, s[8:9]
.LBB302_38:                             ;   in Loop: Header=BB302_7 Depth=1
	s_or_b64 exec, exec, s[6:7]
	v_cmp_le_i32_e32 vcc, s47, v60
	v_cmp_eq_u32_e64 s[12:13], 1, v102
	v_cmp_eq_u32_e64 s[6:7], 3, v102
	s_waitcnt vmcnt(0)
	v_cndmask_b32_e32 v72, 0, v115, vcc
	v_pk_mul_f32 v[56:57], v[72:73], v[56:57] op_sel_hi:[0,1]
	v_pk_mul_f32 v[76:77], v[72:73], v[58:59] op_sel_hi:[0,1]
	v_cndmask_b32_e64 v58, v56, v57, s[12:13]
	v_cmp_eq_u32_e32 vcc, 2, v102
	v_cmp_eq_u32_e64 s[8:9], 0, v102
	v_cmp_eq_u32_e64 s[10:11], 1, v103
	v_cndmask_b32_e32 v58, v58, v76, vcc
	v_cndmask_b32_e64 v58, v58, v77, s[6:7]
	ds_bpermute_b32 v73, v113, v58
	v_cmp_eq_u32_e64 s[16:17], 3, v103
	s_waitcnt lgkmcnt(0)
	v_cndmask_b32_e64 v58, v77, v73, s[6:7]
	v_cndmask_b32_e32 v59, v76, v73, vcc
	v_cndmask_b32_e64 v57, v57, v73, s[12:13]
	v_cndmask_b32_e64 v73, v56, v73, s[8:9]
	v_or_b32_e32 v56, 16, v60
	v_cmp_le_i32_e64 s[14:15], s47, v56
	v_cndmask_b32_e64 v75, v73, v57, s[10:11]
	s_nop 0
	v_cndmask_b32_e64 v56, 0, v115, s[14:15]
	v_pk_mul_f32 v[52:53], v[56:57], v[52:53] op_sel_hi:[0,1]
	v_pk_mul_f32 v[76:77], v[56:57], v[54:55] op_sel_hi:[0,1]
	v_cndmask_b32_e64 v54, v52, v53, s[12:13]
	v_cndmask_b32_e32 v54, v54, v76, vcc
	v_cndmask_b32_e64 v54, v54, v77, s[6:7]
	ds_bpermute_b32 v78, v113, v54
	v_cmp_eq_u32_e64 s[14:15], 2, v103
	s_waitcnt lgkmcnt(0)
	v_cndmask_b32_e64 v79, v52, v78, s[8:9]
	v_or_b32_e32 v52, 32, v60
	v_cmp_le_i32_e64 s[18:19], s47, v52
	v_cndmask_b32_e64 v53, v53, v78, s[12:13]
	v_cndmask_b32_e64 v54, v75, v59, s[14:15]
	;; [unrolled: 1-line block ×3, first 2 shown]
	v_pk_mul_f32 v[48:49], v[52:53], v[48:49] op_sel_hi:[0,1]
	v_cndmask_b32_e64 v55, v77, v78, s[6:7]
	v_cndmask_b32_e32 v75, v76, v78, vcc
	v_pk_mul_f32 v[76:77], v[52:53], v[50:51] op_sel_hi:[0,1]
	v_cndmask_b32_e64 v50, v48, v49, s[12:13]
	v_cndmask_b32_e32 v50, v50, v76, vcc
	v_cndmask_b32_e64 v50, v50, v77, s[6:7]
	ds_bpermute_b32 v78, v113, v50
	v_cmp_le_i32_e64 s[18:19], s47, v104
	v_cndmask_b32_e64 v50, v79, v53, s[10:11]
	v_cndmask_b32_e64 v50, v50, v75, s[14:15]
	;; [unrolled: 1-line block ×3, first 2 shown]
	s_waitcnt lgkmcnt(0)
	v_cndmask_b32_e64 v49, v49, v78, s[12:13]
	v_cndmask_b32_e64 v81, v48, v78, s[8:9]
	;; [unrolled: 1-line block ×3, first 2 shown]
	v_pk_mul_f32 v[44:45], v[48:49], v[44:45] op_sel_hi:[0,1]
	v_pk_mul_f32 v[82:83], v[48:49], v[46:47] op_sel_hi:[0,1]
	v_cndmask_b32_e64 v46, v44, v45, s[12:13]
	v_cndmask_b32_e32 v46, v46, v82, vcc
	v_cndmask_b32_e64 v46, v46, v83, s[6:7]
	v_cndmask_b32_e64 v51, v77, v78, s[6:7]
	v_cndmask_b32_e32 v76, v76, v78, vcc
	ds_bpermute_b32 v78, v113, v46
	v_cmp_le_i32_e64 s[18:19], s47, v105
	v_cndmask_b32_e64 v46, v81, v49, s[10:11]
	v_cndmask_b32_e64 v46, v46, v76, s[14:15]
	;; [unrolled: 1-line block ×3, first 2 shown]
	s_waitcnt lgkmcnt(0)
	v_cndmask_b32_e64 v47, v83, v78, s[6:7]
	v_cndmask_b32_e64 v83, v44, v78, s[8:9]
	;; [unrolled: 1-line block ×3, first 2 shown]
	v_pk_mul_f32 v[86:87], v[44:45], v[40:41] op_sel_hi:[0,1]
	v_pk_mul_f32 v[84:85], v[44:45], v[42:43] op_sel_hi:[0,1]
	v_cndmask_b32_e64 v40, v86, v87, s[12:13]
	v_cndmask_b32_e32 v40, v40, v84, vcc
	v_cndmask_b32_e64 v40, v40, v85, s[6:7]
	ds_bpermute_b32 v41, v113, v40
	v_cndmask_b32_e32 v77, v82, v78, vcc
	v_cndmask_b32_e64 v82, v45, v78, s[12:13]
	v_cndmask_b32_e64 v40, v83, v82, s[10:11]
	;; [unrolled: 1-line block ×4, first 2 shown]
	s_waitcnt lgkmcnt(0)
	v_cndmask_b32_e32 v78, v84, v41, vcc
	v_cmp_ne_u32_e32 vcc, 0, v102
	ds_bpermute_b32 v42, v113, v40
	v_cndmask_b32_e64 v43, v85, v41, s[6:7]
	v_cndmask_b32_e32 v40, v87, v41, vcc
	v_cndmask_b32_e64 v41, v86, v41, s[8:9]
	v_cndmask_b32_e64 v45, v41, v40, s[10:11]
	;; [unrolled: 1-line block ×5, first 2 shown]
	ds_bpermute_b32 v54, v113, v54
	ds_bpermute_b32 v50, v113, v50
	;; [unrolled: 1-line block ×4, first 2 shown]
	v_add_u32_e32 v45, s71, v106
	v_cmp_gt_u32_e32 vcc, 48, v45
	s_and_saveexec_b64 s[18:19], vcc
	s_cbranch_execz .LBB302_45
; %bb.39:                               ;   in Loop: Header=BB302_7 Depth=1
	v_cmp_eq_u32_e64 s[8:9], 1, v103
	v_cmp_eq_u32_e64 s[10:11], 0, v103
	v_cmp_eq_u32_e32 vcc, 3, v103
	s_waitcnt lgkmcnt(3)
	v_cndmask_b32_e64 v57, v57, v54, s[8:9]
	s_waitcnt lgkmcnt(2)
	v_cndmask_b32_e64 v53, v53, v50, s[8:9]
	;; [unrolled: 2-line block ×3, first 2 shown]
	v_cndmask_b32_e64 v84, v82, v42, s[8:9]
	s_waitcnt lgkmcnt(0)
	v_cndmask_b32_e64 v86, v40, v80, s[8:9]
	s_mul_i32 s8, s69, s21
	s_ashr_i32 s9, s8, 31
	v_cndmask_b32_e64 v73, v73, v54, s[10:11]
	s_lshl_b64 s[8:9], s[8:9], 1
	v_cndmask_b32_e64 v79, v79, v50, s[10:11]
	v_cndmask_b32_e64 v81, v81, v46, s[10:11]
	;; [unrolled: 1-line block ×4, first 2 shown]
	s_add_u32 s10, s40, s8
	v_cvt_f16_f32_e32 v73, v73
	v_cvt_f16_f32_sdwa v57, v57 dst_sel:WORD_1 dst_unused:UNUSED_PAD src0_sel:DWORD
	s_addc_u32 s11, s41, s9
	s_ashr_i32 s47, s46, 31
	s_lshl_b64 s[8:9], s[46:47], 1
	s_add_u32 s52, s10, s8
	s_addc_u32 s53, s11, s9
	v_or_b32_e32 v57, v57, v73
	v_lshl_add_u64 v[40:41], v[62:63], 1, s[52:53]
	;;#ASMSTART
	global_atomic_pk_add_f16 v[40:41], v57, off
	
	;;#ASMEND
	v_cvt_f16_f32_e32 v57, v79
	v_cvt_f16_f32_sdwa v53, v53 dst_sel:WORD_1 dst_unused:UNUSED_PAD src0_sel:DWORD
	v_cvt_f16_f32_e32 v73, v81
	v_cvt_f16_f32_sdwa v49, v49 dst_sel:WORD_1 dst_unused:UNUSED_PAD src0_sel:DWORD
	v_lshl_add_u64 v[82:83], v[40:41], 0, 32
	v_or_b32_e32 v53, v53, v57
	;;#ASMSTART
	global_atomic_pk_add_f16 v[82:83], v53, off
	
	;;#ASMEND
	v_or_b32_e32 v49, v49, v73
	v_lshl_add_u64 v[82:83], v[40:41], 0, 64
	;;#ASMSTART
	global_atomic_pk_add_f16 v[82:83], v49, off
	
	;;#ASMEND
	v_cvt_f16_f32_e32 v49, v85
	v_cvt_f16_f32_sdwa v53, v84 dst_sel:WORD_1 dst_unused:UNUSED_PAD src0_sel:DWORD
	v_cvt_f16_f32_e32 v57, v87
	v_cvt_f16_f32_sdwa v73, v86 dst_sel:WORD_1 dst_unused:UNUSED_PAD src0_sel:DWORD
	v_cmp_eq_u32_e64 s[6:7], 2, v103
	v_lshl_add_u64 v[82:83], v[40:41], 0, s[30:31]
	v_or_b32_e32 v49, v53, v49
	v_cmp_gt_u32_e64 s[8:9], 46, v45
	;;#ASMSTART
	global_atomic_pk_add_f16 v[82:83], v49, off
	
	;;#ASMEND
	v_lshl_add_u64 v[82:83], v[40:41], 0, s[34:35]
	v_or_b32_e32 v49, v73, v57
	;;#ASMSTART
	global_atomic_pk_add_f16 v[82:83], v49, off
	
	;;#ASMEND
	s_and_b64 exec, exec, s[8:9]
	s_cbranch_execz .LBB302_45
; %bb.40:                               ;   in Loop: Header=BB302_7 Depth=1
	v_cndmask_b32_e32 v58, v58, v54, vcc
	v_cndmask_b32_e64 v54, v59, v54, s[6:7]
	v_cndmask_b32_e32 v55, v55, v50, vcc
	v_cndmask_b32_e64 v50, v75, v50, s[6:7]
	;; [unrolled: 2-line block ×3, first 2 shown]
	v_cndmask_b32_e32 v75, v43, v80, vcc
	v_cvt_f16_f32_e32 v42, v54
	v_cvt_f16_f32_sdwa v43, v58 dst_sel:WORD_1 dst_unused:UNUSED_PAD src0_sel:DWORD
	v_cvt_f16_f32_e32 v50, v50
	v_cvt_f16_f32_sdwa v54, v55 dst_sel:WORD_1 dst_unused:UNUSED_PAD src0_sel:DWORD
	v_cndmask_b32_e32 v51, v51, v46, vcc
	v_cndmask_b32_e64 v46, v76, v46, s[6:7]
	v_lshl_add_u64 v[40:41], s[28:29], 2, v[40:41]
	v_or_b32_e32 v42, v43, v42
	v_or_b32_e32 v50, v54, v50
	;;#ASMSTART
	global_atomic_pk_add_f16 v[40:41], v42, off
	
	;;#ASMEND
	v_lshl_add_u64 v[42:43], v[40:41], 0, 32
	;;#ASMSTART
	global_atomic_pk_add_f16 v[42:43], v50, off
	
	;;#ASMEND
	v_cvt_f16_f32_e32 v46, v46
	v_cvt_f16_f32_sdwa v50, v51 dst_sel:WORD_1 dst_unused:UNUSED_PAD src0_sel:DWORD
	v_cvt_f16_f32_e32 v51, v59
	v_cvt_f16_f32_sdwa v47, v47 dst_sel:WORD_1 dst_unused:UNUSED_PAD src0_sel:DWORD
	v_mov_b32_e32 v73, v72
	v_or_b32_e32 v46, v50, v46
	v_lshl_add_u64 v[42:43], v[40:41], 0, 64
	;;#ASMSTART
	global_atomic_pk_add_f16 v[42:43], v46, off
	
	;;#ASMEND
	v_or_b32_e32 v50, v47, v51
	v_mov_b32_e32 v46, v72
	v_mov_b32_e32 v47, v72
	v_pk_mul_f32 v[38:39], v[46:47], v[38:39]
	v_pk_mul_f32 v[46:47], v[72:73], v[36:37]
	v_cmp_eq_u32_e64 s[8:9], 1, v102
	v_mov_b32_e32 v57, v56
	v_lshl_add_u64 v[42:43], v[40:41], 0, s[30:31]
	v_cndmask_b32_e64 v36, v46, v47, s[8:9]
	v_cmp_eq_u32_e32 vcc, 2, v102
	;;#ASMSTART
	global_atomic_pk_add_f16 v[42:43], v50, off
	
	;;#ASMEND
	v_lshl_add_u64 v[50:51], v[40:41], 0, s[34:35]
	v_mov_b32_e32 v40, v56
	v_mov_b32_e32 v41, v56
	v_cndmask_b32_e64 v76, v78, v80, s[6:7]
	v_cndmask_b32_e32 v36, v36, v38, vcc
	v_cmp_eq_u32_e64 s[6:7], 3, v102
	v_pk_mul_f32 v[34:35], v[40:41], v[34:35]
	v_pk_mul_f32 v[40:41], v[56:57], v[32:33]
	v_cndmask_b32_e64 v36, v36, v39, s[6:7]
	v_cndmask_b32_e64 v32, v40, v41, s[8:9]
	ds_bpermute_b32 v54, v113, v36
	v_cndmask_b32_e32 v32, v32, v34, vcc
	v_cndmask_b32_e64 v32, v32, v35, s[6:7]
	ds_bpermute_b32 v43, v113, v32
	v_cmp_eq_u32_e64 s[10:11], 0, v102
	s_waitcnt lgkmcnt(1)
	v_cndmask_b32_e64 v36, v39, v54, s[6:7]
	v_cndmask_b32_e32 v37, v38, v54, vcc
	v_cndmask_b32_e64 v38, v47, v54, s[8:9]
	v_cndmask_b32_e64 v39, v46, v54, s[10:11]
	v_cmp_eq_u32_e64 s[12:13], 1, v103
	v_cmp_eq_u32_e64 s[14:15], 2, v103
	v_mov_b32_e32 v53, v52
	v_cndmask_b32_e64 v42, v39, v38, s[12:13]
	v_cndmask_b32_e64 v32, v42, v37, s[14:15]
	s_waitcnt lgkmcnt(0)
	v_cndmask_b32_e64 v33, v35, v43, s[6:7]
	v_cndmask_b32_e32 v34, v34, v43, vcc
	v_cndmask_b32_e64 v35, v41, v43, s[8:9]
	v_cndmask_b32_e64 v40, v40, v43, s[10:11]
	v_mov_b32_e32 v42, v52
	v_mov_b32_e32 v43, v52
	v_pk_mul_f32 v[30:31], v[42:43], v[30:31]
	v_pk_mul_f32 v[42:43], v[52:53], v[28:29]
	v_mov_b32_e32 v49, v48
	v_cndmask_b32_e64 v28, v42, v43, s[8:9]
	v_cndmask_b32_e32 v28, v28, v30, vcc
	v_cndmask_b32_e64 v28, v28, v31, s[6:7]
	ds_bpermute_b32 v46, v113, v28
	v_mov_b32_e32 v47, v48
	v_pk_mul_f32 v[54:55], v[48:49], v[24:25]
	v_mov_b32_e32 v45, v44
	v_cndmask_b32_e64 v24, v54, v55, s[8:9]
	s_waitcnt lgkmcnt(0)
	v_cndmask_b32_e64 v29, v31, v46, s[6:7]
	v_cndmask_b32_e32 v30, v30, v46, vcc
	v_cndmask_b32_e64 v41, v43, v46, s[8:9]
	v_cndmask_b32_e64 v42, v42, v46, s[10:11]
	v_mov_b32_e32 v46, v48
	v_pk_mul_f32 v[26:27], v[46:47], v[26:27]
	v_pk_mul_f32 v[58:59], v[44:45], v[20:21]
	v_cndmask_b32_e32 v24, v24, v26, vcc
	v_cndmask_b32_e64 v24, v24, v27, s[6:7]
	ds_bpermute_b32 v31, v113, v24
	v_cndmask_b32_e64 v20, v58, v59, s[8:9]
	v_cmp_eq_u32_e64 s[16:17], 3, v103
	v_cndmask_b32_e64 v28, v40, v35, s[12:13]
	v_cndmask_b32_e64 v24, v42, v41, s[12:13]
	s_waitcnt lgkmcnt(0)
	v_cndmask_b32_e64 v46, v55, v31, s[8:9]
	v_cndmask_b32_e64 v47, v54, v31, s[10:11]
	v_mov_b32_e32 v54, v44
	v_mov_b32_e32 v55, v44
	v_pk_mul_f32 v[54:55], v[54:55], v[22:23]
	v_cndmask_b32_e32 v26, v26, v31, vcc
	v_cndmask_b32_e32 v20, v20, v54, vcc
	v_cndmask_b32_e64 v20, v20, v55, s[6:7]
	ds_bpermute_b32 v21, v113, v20
	v_cndmask_b32_e64 v20, v47, v46, s[12:13]
	v_cndmask_b32_e64 v25, v27, v31, s[6:7]
	v_cndmask_b32_e64 v20, v20, v26, s[14:15]
	v_cndmask_b32_e64 v20, v20, v25, s[16:17]
	s_waitcnt lgkmcnt(0)
	v_cndmask_b32_e32 v27, v54, v21, vcc
	v_cmp_ne_u32_e32 vcc, 0, v102
	ds_bpermute_b32 v22, v113, v20
	v_cndmask_b32_e64 v23, v55, v21, s[6:7]
	v_cndmask_b32_e32 v20, v59, v21, vcc
	v_cndmask_b32_e64 v21, v58, v21, s[10:11]
	v_cndmask_b32_e64 v31, v21, v20, s[12:13]
	v_cvt_f16_f32_e32 v76, v76
	v_cvt_f16_f32_sdwa v75, v75 dst_sel:WORD_1 dst_unused:UNUSED_PAD src0_sel:DWORD
	v_cndmask_b32_e64 v28, v28, v34, s[14:15]
	v_cndmask_b32_e64 v24, v24, v30, s[14:15]
	;; [unrolled: 1-line block ×7, first 2 shown]
	ds_bpermute_b32 v32, v113, v32
	ds_bpermute_b32 v28, v113, v28
	ds_bpermute_b32 v24, v113, v24
	ds_bpermute_b32 v31, v113, v31
	v_or_b32_e32 v43, v75, v76
	;;#ASMSTART
	global_atomic_pk_add_f16 v[50:51], v43, off
	
	;;#ASMEND
	v_add_u32_e32 v43, s71, v107
	v_cmp_gt_u32_e32 vcc, 48, v43
	s_and_b64 exec, exec, vcc
	s_cbranch_execz .LBB302_45
; %bb.41:                               ;   in Loop: Header=BB302_7 Depth=1
	v_cmp_eq_u32_e64 s[8:9], 1, v103
	v_cmp_eq_u32_e64 s[10:11], 0, v103
	v_cmp_eq_u32_e32 vcc, 3, v103
	s_waitcnt lgkmcnt(3)
	v_cndmask_b32_e64 v38, v38, v32, s[8:9]
	v_cndmask_b32_e64 v39, v39, v32, s[10:11]
	s_waitcnt lgkmcnt(2)
	v_cndmask_b32_e64 v35, v35, v28, s[8:9]
	v_cndmask_b32_e64 v40, v40, v28, s[10:11]
	;; [unrolled: 3-line block ×3, first 2 shown]
	v_cvt_f16_f32_e32 v39, v39
	v_cvt_f16_f32_sdwa v38, v38 dst_sel:WORD_1 dst_unused:UNUSED_PAD src0_sel:DWORD
	v_cvt_f16_f32_e32 v40, v40
	v_cvt_f16_f32_sdwa v35, v35 dst_sel:WORD_1 dst_unused:UNUSED_PAD src0_sel:DWORD
	v_cvt_f16_f32_e32 v42, v42
	v_cvt_f16_f32_sdwa v41, v41 dst_sel:WORD_1 dst_unused:UNUSED_PAD src0_sel:DWORD
	s_waitcnt lgkmcnt(0)
	v_cndmask_b32_e64 v50, v20, v31, s[8:9]
	v_cndmask_b32_e64 v51, v21, v31, s[10:11]
	v_lshl_add_u64 v[20:21], v[64:65], 1, s[52:53]
	v_or_b32_e32 v38, v38, v39
	v_or_b32_e32 v35, v35, v40
	v_cndmask_b32_e64 v46, v46, v22, s[8:9]
	v_cndmask_b32_e64 v47, v47, v22, s[10:11]
	;;#ASMSTART
	global_atomic_pk_add_f16 v[20:21], v38, off
	
	;;#ASMEND
	v_lshl_add_u64 v[38:39], v[20:21], 0, 32
	;;#ASMSTART
	global_atomic_pk_add_f16 v[38:39], v35, off
	
	;;#ASMEND
	v_or_b32_e32 v35, v41, v42
	v_lshl_add_u64 v[38:39], v[20:21], 0, 64
	;;#ASMSTART
	global_atomic_pk_add_f16 v[38:39], v35, off
	
	;;#ASMEND
	v_cvt_f16_f32_e32 v35, v47
	v_cvt_f16_f32_sdwa v40, v46 dst_sel:WORD_1 dst_unused:UNUSED_PAD src0_sel:DWORD
	v_cvt_f16_f32_e32 v41, v51
	v_cvt_f16_f32_sdwa v42, v50 dst_sel:WORD_1 dst_unused:UNUSED_PAD src0_sel:DWORD
	v_cmp_eq_u32_e64 s[6:7], 2, v103
	v_lshl_add_u64 v[38:39], v[20:21], 0, s[30:31]
	v_or_b32_e32 v35, v40, v35
	v_cmp_gt_u32_e64 s[8:9], 46, v43
	;;#ASMSTART
	global_atomic_pk_add_f16 v[38:39], v35, off
	
	;;#ASMEND
	v_lshl_add_u64 v[38:39], v[20:21], 0, s[34:35]
	v_or_b32_e32 v35, v42, v41
	;;#ASMSTART
	global_atomic_pk_add_f16 v[38:39], v35, off
	
	;;#ASMEND
	s_and_b64 exec, exec, s[8:9]
	s_cbranch_execz .LBB302_45
; %bb.42:                               ;   in Loop: Header=BB302_7 Depth=1
	v_cndmask_b32_e32 v35, v36, v32, vcc
	v_cndmask_b32_e64 v32, v37, v32, s[6:7]
	v_cndmask_b32_e32 v33, v33, v28, vcc
	v_cndmask_b32_e64 v28, v34, v28, s[6:7]
	;; [unrolled: 2-line block ×5, first 2 shown]
	v_cvt_f16_f32_e32 v22, v32
	v_cvt_f16_f32_sdwa v23, v35 dst_sel:WORD_1 dst_unused:UNUSED_PAD src0_sel:DWORD
	v_cvt_f16_f32_e32 v28, v28
	v_cvt_f16_f32_sdwa v31, v33 dst_sel:WORD_1 dst_unused:UNUSED_PAD src0_sel:DWORD
	v_lshl_add_u64 v[20:21], s[28:29], 2, v[20:21]
	v_or_b32_e32 v22, v23, v22
	;;#ASMSTART
	global_atomic_pk_add_f16 v[20:21], v22, off
	
	;;#ASMEND
	v_or_b32_e32 v28, v31, v28
	v_lshl_add_u64 v[22:23], v[20:21], 0, 32
	;;#ASMSTART
	global_atomic_pk_add_f16 v[22:23], v28, off
	
	;;#ASMEND
	v_cvt_f16_f32_e32 v24, v24
	v_cvt_f16_f32_sdwa v28, v29 dst_sel:WORD_1 dst_unused:UNUSED_PAD src0_sel:DWORD
	v_cvt_f16_f32_e32 v26, v26
	v_cvt_f16_f32_sdwa v25, v25 dst_sel:WORD_1 dst_unused:UNUSED_PAD src0_sel:DWORD
	v_lshl_add_u64 v[22:23], v[20:21], 0, 64
	v_or_b32_e32 v24, v28, v24
	;;#ASMSTART
	global_atomic_pk_add_f16 v[22:23], v24, off
	
	;;#ASMEND
	v_or_b32_e32 v26, v25, v26
	v_mov_b32_e32 v24, v72
	v_mov_b32_e32 v25, v72
	v_pk_mul_f32 v[18:19], v[24:25], v[18:19]
	v_pk_mul_f32 v[24:25], v[72:73], v[16:17]
	v_cmp_eq_u32_e64 s[8:9], 1, v102
	v_lshl_add_u64 v[22:23], v[20:21], 0, s[30:31]
	v_cmp_eq_u32_e32 vcc, 2, v102
	v_cndmask_b32_e64 v16, v24, v25, s[8:9]
	;;#ASMSTART
	global_atomic_pk_add_f16 v[22:23], v26, off
	
	;;#ASMEND
	v_cvt_f16_f32_e32 v31, v27
	v_lshl_add_u64 v[26:27], v[20:21], 0, s[34:35]
	v_mov_b32_e32 v20, v56
	v_mov_b32_e32 v21, v56
	v_cndmask_b32_e32 v16, v16, v18, vcc
	v_cmp_eq_u32_e64 s[6:7], 3, v102
	v_pk_mul_f32 v[14:15], v[20:21], v[14:15]
	v_pk_mul_f32 v[20:21], v[56:57], v[12:13]
	v_cndmask_b32_e64 v16, v16, v19, s[6:7]
	v_cndmask_b32_e64 v12, v20, v21, s[8:9]
	ds_bpermute_b32 v28, v113, v16
	v_cndmask_b32_e32 v12, v12, v14, vcc
	v_cndmask_b32_e64 v12, v12, v15, s[6:7]
	ds_bpermute_b32 v23, v113, v12
	v_cmp_eq_u32_e64 s[10:11], 0, v102
	s_waitcnt lgkmcnt(1)
	v_cndmask_b32_e64 v16, v19, v28, s[6:7]
	v_cndmask_b32_e32 v17, v18, v28, vcc
	v_cndmask_b32_e64 v18, v25, v28, s[8:9]
	v_cndmask_b32_e64 v19, v24, v28, s[10:11]
	v_cmp_eq_u32_e64 s[12:13], 1, v103
	v_cmp_eq_u32_e64 s[14:15], 2, v103
	s_waitcnt lgkmcnt(0)
	v_cndmask_b32_e64 v13, v15, v23, s[6:7]
	v_cndmask_b32_e64 v22, v19, v18, s[12:13]
	;; [unrolled: 1-line block ×3, first 2 shown]
	v_cndmask_b32_e32 v14, v14, v23, vcc
	v_cndmask_b32_e64 v15, v21, v23, s[8:9]
	v_cndmask_b32_e64 v20, v20, v23, s[10:11]
	v_mov_b32_e32 v22, v52
	v_mov_b32_e32 v23, v52
	v_pk_mul_f32 v[6:7], v[22:23], v[6:7]
	v_pk_mul_f32 v[22:23], v[52:53], v[4:5]
	v_mov_b32_e32 v25, v48
	v_cndmask_b32_e64 v4, v22, v23, s[8:9]
	v_cndmask_b32_e32 v4, v4, v6, vcc
	v_cndmask_b32_e64 v4, v4, v7, s[6:7]
	ds_bpermute_b32 v24, v113, v4
	v_pk_mul_f32 v[28:29], v[48:49], v[0:1]
	v_cmp_eq_u32_e64 s[16:17], 3, v103
	v_cndmask_b32_e64 v0, v28, v29, s[8:9]
	v_cndmask_b32_e64 v4, v20, v15, s[12:13]
	s_waitcnt lgkmcnt(0)
	v_cndmask_b32_e64 v5, v7, v24, s[6:7]
	v_cndmask_b32_e32 v6, v6, v24, vcc
	v_cndmask_b32_e64 v21, v23, v24, s[8:9]
	v_cndmask_b32_e64 v22, v22, v24, s[10:11]
	v_mov_b32_e32 v24, v48
	v_pk_mul_f32 v[24:25], v[24:25], v[2:3]
	v_cvt_f16_f32_sdwa v30, v30 dst_sel:WORD_1 dst_unused:UNUSED_PAD src0_sel:DWORD
	v_cndmask_b32_e32 v0, v0, v24, vcc
	v_cndmask_b32_e64 v0, v0, v25, s[6:7]
	ds_bpermute_b32 v1, v113, v0
	v_cndmask_b32_e64 v0, v22, v21, s[12:13]
	v_cndmask_b32_e64 v0, v0, v6, s[14:15]
	;; [unrolled: 1-line block ×3, first 2 shown]
	ds_bpermute_b32 v2, v113, v0
	s_waitcnt lgkmcnt(1)
	v_cndmask_b32_e64 v3, v25, v1, s[6:7]
	v_cndmask_b32_e32 v7, v24, v1, vcc
	v_cndmask_b32_e64 v0, v29, v1, s[8:9]
	v_cndmask_b32_e64 v1, v28, v1, s[10:11]
	v_mov_b32_e32 v24, v44
	v_mov_b32_e32 v25, v44
	v_pk_mul_f32 v[28:29], v[44:45], v[8:9]
	v_pk_mul_f32 v[24:25], v[24:25], v[10:11]
	v_cndmask_b32_e64 v8, v28, v29, s[8:9]
	v_cndmask_b32_e32 v8, v8, v24, vcc
	v_cndmask_b32_e64 v8, v8, v25, s[6:7]
	ds_bpermute_b32 v11, v113, v8
	v_cndmask_b32_e64 v8, v1, v0, s[12:13]
	v_cndmask_b32_e64 v8, v8, v7, s[14:15]
	;; [unrolled: 1-line block ×3, first 2 shown]
	ds_bpermute_b32 v10, v113, v8
	s_waitcnt lgkmcnt(1)
	v_cndmask_b32_e32 v9, v24, v11, vcc
	v_cmp_ne_u32_e32 vcc, 0, v102
	v_cndmask_b32_e64 v8, v25, v11, s[6:7]
	v_cndmask_b32_e64 v25, v28, v11, s[10:11]
	v_cndmask_b32_e32 v24, v29, v11, vcc
	v_cndmask_b32_e64 v11, v25, v24, s[12:13]
	v_cndmask_b32_e64 v4, v4, v14, s[14:15]
	;; [unrolled: 1-line block ×6, first 2 shown]
	ds_bpermute_b32 v12, v113, v12
	ds_bpermute_b32 v4, v113, v4
	;; [unrolled: 1-line block ×3, first 2 shown]
	v_or_b32_e32 v23, v30, v31
	;;#ASMSTART
	global_atomic_pk_add_f16 v[26:27], v23, off
	
	;;#ASMEND
	v_add_u32_e32 v23, s71, v108
	v_cmp_gt_u32_e32 vcc, 48, v23
	s_and_b64 exec, exec, vcc
	s_cbranch_execz .LBB302_45
; %bb.43:                               ;   in Loop: Header=BB302_7 Depth=1
	v_cmp_eq_u32_e64 s[8:9], 1, v103
	v_cmp_eq_u32_e64 s[10:11], 0, v103
	v_cmp_eq_u32_e32 vcc, 3, v103
	s_waitcnt lgkmcnt(2)
	v_cndmask_b32_e64 v18, v18, v12, s[8:9]
	v_cndmask_b32_e64 v19, v19, v12, s[10:11]
	s_waitcnt lgkmcnt(1)
	v_cndmask_b32_e64 v15, v15, v4, s[8:9]
	v_cndmask_b32_e64 v20, v20, v4, s[10:11]
	;; [unrolled: 1-line block ×4, first 2 shown]
	v_cvt_f16_f32_e32 v19, v19
	v_cvt_f16_f32_sdwa v18, v18 dst_sel:WORD_1 dst_unused:UNUSED_PAD src0_sel:DWORD
	v_cvt_f16_f32_e32 v20, v20
	v_cvt_f16_f32_sdwa v15, v15 dst_sel:WORD_1 dst_unused:UNUSED_PAD src0_sel:DWORD
	;; [unrolled: 2-line block ×3, first 2 shown]
	v_cndmask_b32_e64 v26, v0, v10, s[8:9]
	v_cndmask_b32_e64 v27, v1, v10, s[10:11]
	v_lshl_add_u64 v[0:1], v[66:67], 1, s[52:53]
	v_or_b32_e32 v18, v18, v19
	v_or_b32_e32 v15, v15, v20
	;;#ASMSTART
	global_atomic_pk_add_f16 v[0:1], v18, off
	
	;;#ASMEND
	v_lshl_add_u64 v[18:19], v[0:1], 0, 32
	;;#ASMSTART
	global_atomic_pk_add_f16 v[18:19], v15, off
	
	;;#ASMEND
	v_or_b32_e32 v15, v21, v22
	s_waitcnt lgkmcnt(0)
	v_cndmask_b32_e64 v24, v24, v11, s[8:9]
	v_cndmask_b32_e64 v25, v25, v11, s[10:11]
	v_lshl_add_u64 v[18:19], v[0:1], 0, 64
	;;#ASMSTART
	global_atomic_pk_add_f16 v[18:19], v15, off
	
	;;#ASMEND
	v_cvt_f16_f32_e32 v15, v27
	v_cvt_f16_f32_sdwa v20, v26 dst_sel:WORD_1 dst_unused:UNUSED_PAD src0_sel:DWORD
	v_cvt_f16_f32_e32 v21, v25
	v_cvt_f16_f32_sdwa v22, v24 dst_sel:WORD_1 dst_unused:UNUSED_PAD src0_sel:DWORD
	v_cmp_eq_u32_e64 s[6:7], 2, v103
	v_lshl_add_u64 v[18:19], v[0:1], 0, s[30:31]
	v_or_b32_e32 v15, v20, v15
	v_cmp_gt_u32_e64 s[8:9], 46, v23
	;;#ASMSTART
	global_atomic_pk_add_f16 v[18:19], v15, off
	
	;;#ASMEND
	v_lshl_add_u64 v[18:19], v[0:1], 0, s[34:35]
	v_or_b32_e32 v15, v22, v21
	;;#ASMSTART
	global_atomic_pk_add_f16 v[18:19], v15, off
	
	;;#ASMEND
	s_and_b64 exec, exec, s[8:9]
	s_cbranch_execz .LBB302_45
; %bb.44:                               ;   in Loop: Header=BB302_7 Depth=1
	v_cndmask_b32_e32 v15, v16, v12, vcc
	v_cndmask_b32_e64 v12, v17, v12, s[6:7]
	v_cndmask_b32_e32 v13, v13, v4, vcc
	v_cndmask_b32_e64 v4, v14, v4, s[6:7]
	;; [unrolled: 2-line block ×4, first 2 shown]
	v_cvt_f16_f32_e32 v2, v12
	v_cvt_f16_f32_sdwa v3, v15 dst_sel:WORD_1 dst_unused:UNUSED_PAD src0_sel:DWORD
	v_cvt_f16_f32_e32 v4, v4
	v_cvt_f16_f32_sdwa v10, v13 dst_sel:WORD_1 dst_unused:UNUSED_PAD src0_sel:DWORD
	;; [unrolled: 2-line block ×3, first 2 shown]
	v_lshl_add_u64 v[0:1], s[28:29], 2, v[0:1]
	v_or_b32_e32 v2, v3, v2
	v_or_b32_e32 v4, v10, v4
	v_cndmask_b32_e32 v8, v8, v11, vcc
	v_cndmask_b32_e64 v9, v9, v11, s[6:7]
	;;#ASMSTART
	global_atomic_pk_add_f16 v[0:1], v2, off
	
	;;#ASMEND
	v_lshl_add_u64 v[2:3], v[0:1], 0, 32
	;;#ASMSTART
	global_atomic_pk_add_f16 v[2:3], v4, off
	
	;;#ASMEND
	v_or_b32_e32 v4, v5, v6
	v_lshl_add_u64 v[2:3], v[0:1], 0, 64
	;;#ASMSTART
	global_atomic_pk_add_f16 v[2:3], v4, off
	
	;;#ASMEND
	v_cvt_f16_f32_e32 v4, v7
	v_cvt_f16_f32_sdwa v5, v14 dst_sel:WORD_1 dst_unused:UNUSED_PAD src0_sel:DWORD
	v_cvt_f16_f32_e32 v6, v9
	v_cvt_f16_f32_sdwa v7, v8 dst_sel:WORD_1 dst_unused:UNUSED_PAD src0_sel:DWORD
	v_lshl_add_u64 v[2:3], v[0:1], 0, s[30:31]
	v_or_b32_e32 v4, v5, v4
	;;#ASMSTART
	global_atomic_pk_add_f16 v[2:3], v4, off
	
	;;#ASMEND
	v_lshl_add_u64 v[0:1], v[0:1], 0, s[34:35]
	v_or_b32_e32 v2, v7, v6
	;;#ASMSTART
	global_atomic_pk_add_f16 v[0:1], v2, off
	
	;;#ASMEND
.LBB302_45:                             ;   in Loop: Header=BB302_7 Depth=1
	s_or_b64 exec, exec, s[18:19]
	v_subrev_u32_e32 v114, s72, v114
.LBB302_46:                             ;   in Loop: Header=BB302_7 Depth=1
	s_or_b64 exec, exec, s[50:51]
.LBB302_47:                             ;   in Loop: Header=BB302_7 Depth=1
	s_andn2_saveexec_b64 s[6:7], s[48:49]
	s_cbranch_execz .LBB302_56
; %bb.48:                               ;   in Loop: Header=BB302_7 Depth=1
	s_mul_i32 s16, s72, 5
	v_cmp_gt_i32_e32 vcc, s16, v114
	s_and_saveexec_b64 s[8:9], vcc
	s_cbranch_execz .LBB302_55
; %bb.49:                               ;   in Loop: Header=BB302_7 Depth=1
	s_mul_i32 s10, s46, s23
	s_ashr_i32 s11, s10, 31
	s_waitcnt lgkmcnt(0)
	s_add_u32 s10, s38, s10
	s_addc_u32 s11, s39, s11
	s_ashr_i32 s12, s70, 31
	s_add_u32 s10, s10, s70
	s_addc_u32 s11, s11, s12
	v_lshl_add_u64 v[0:1], s[10:11], 0, v[70:71]
	v_lshl_add_u64 v[8:9], v[0:1], 0, v[68:69]
	s_mov_b64 s[10:11], 0
	s_branch .LBB302_51
.LBB302_50:                             ;   in Loop: Header=BB302_51 Depth=2
	s_or_b64 exec, exec, s[12:13]
	v_lshl_or_b32 v12, v10, 11, v110
	;;#ASMSTART
	s_waitcnt vmcnt(1)
	;;#ASMEND
	ds_write2_b32 v12, v4, v5 offset1:32
	ds_write2_b32 v12, v6, v7 offset0:64 offset1:96
	v_add_u32_e32 v4, 0x400, v12
	v_add_u32_e32 v114, s26, v114
	;;#ASMSTART
	s_waitcnt vmcnt(0)
	;;#ASMEND
	ds_write2_b32 v4, v0, v1 offset1:32
	ds_write2_b32 v4, v2, v3 offset0:64 offset1:96
	v_add_u32_e32 v0, 1, v100
	v_add_u32_e32 v74, s26, v10
	v_cmp_le_i32_e32 vcc, s16, v114
	ds_write_b32 v11, v0 offset:24
	v_add_u32_e32 v0, 2, v100
	s_or_b64 s[10:11], vcc, s[10:11]
	v_cmp_lt_i32_e32 vcc, 9, v74
	s_nop 1
	v_cndmask_b32_e32 v100, v100, v0, vcc
	s_andn2_b64 exec, exec, s[10:11]
	s_cbranch_execz .LBB302_54
.LBB302_51:                             ;   Parent Loop BB302_7 Depth=1
                                        ; =>  This Loop Header: Depth=2
                                        ;       Child Loop BB302_53 Depth 3
	v_cmp_gt_i32_e32 vcc, 10, v74
	s_nop 1
	v_cndmask_b32_e64 v0, -10, 0, vcc
	v_add_u32_e32 v10, v0, v74
	v_mul_hi_i32 v0, v114, s56
	v_lshrrev_b32_e32 v1, 31, v0
	v_ashrrev_i32_e32 v0, 1, v0
	v_add_u32_e32 v0, v0, v1
	v_lshl_add_u32 v1, v0, 2, v0
	v_sub_u32_e32 v2, v114, v1
	v_lshlrev_b32_e32 v0, 7, v0
	v_ashrrev_i32_e32 v1, 31, v0
	v_mul_lo_u32 v2, s60, v2
	v_lshl_add_u64 v[0:1], v[8:9], 0, v[0:1]
	v_ashrrev_i32_e32 v3, 31, v2
	v_lshl_add_u64 v[0:1], v[0:1], 0, v[2:3]
	v_lshlrev_b32_e32 v11, 2, v10
	;;#ASMSTART
	global_load_dwordx4 v[4:7], v[0:1], off offset:0   sc0 sc1 nt  
	global_load_dwordx4 v[0:3], v[0:1], off offset:64  sc0 sc1 nt  
	
	;;#ASMEND
	ds_read_b32 v12, v11 offset:32792
	v_add_u32_e32 v11, 0x8000, v11
	s_waitcnt lgkmcnt(0)
	v_cmp_ne_u32_e32 vcc, v12, v100
	s_and_saveexec_b64 s[12:13], vcc
	s_cbranch_execz .LBB302_50
; %bb.52:                               ;   in Loop: Header=BB302_51 Depth=2
	s_mov_b64 s[14:15], 0
.LBB302_53:                             ;   Parent Loop BB302_7 Depth=1
                                        ;     Parent Loop BB302_51 Depth=2
                                        ; =>    This Inner Loop Header: Depth=3
	;;#ASMSTART
	s_sleep 0
	;;#ASMEND
	ds_read_b32 v12, v11 offset:24
	s_waitcnt lgkmcnt(0)
	v_cmp_eq_u32_e32 vcc, v12, v100
	s_or_b64 s[14:15], vcc, s[14:15]
	s_andn2_b64 exec, exec, s[14:15]
	s_cbranch_execnz .LBB302_53
	s_branch .LBB302_50
.LBB302_54:                             ;   in Loop: Header=BB302_7 Depth=1
	s_or_b64 exec, exec, s[10:11]
.LBB302_55:                             ;   in Loop: Header=BB302_7 Depth=1
	s_or_b64 exec, exec, s[8:9]
	v_subrev_u32_e32 v114, s16, v114
.LBB302_56:                             ;   in Loop: Header=BB302_7 Depth=1
	s_or_b64 exec, exec, s[6:7]
.LBB302_57:                             ;   in Loop: Header=BB302_7 Depth=1
	s_andn2_saveexec_b64 s[6:7], s[44:45]
	s_cbranch_execz .LBB302_6
; %bb.58:                               ;   in Loop: Header=BB302_7 Depth=1
	s_mul_i32 s72, s72, 3
	v_cmp_gt_i32_e32 vcc, s72, v114
	s_and_saveexec_b64 s[8:9], vcc
	s_cbranch_execz .LBB302_5
; %bb.59:                               ;   in Loop: Header=BB302_7 Depth=1
	s_mul_i32 s69, s69, s22
	s_ashr_i32 s10, s69, 31
	s_waitcnt lgkmcnt(0)
	s_add_u32 s11, s36, s69
	v_add_u32_e32 v2, s71, v109
	s_addc_u32 s12, s37, s10
	s_ashr_i32 s13, s70, 31
	v_cmp_gt_u32_e32 vcc, 48, v2
	s_add_u32 s10, s11, s70
	s_addc_u32 s11, s12, s13
	v_cndmask_b32_e32 v0, 0, v111, vcc
	v_ashrrev_i32_e32 v1, 31, v0
	v_lshl_add_u64 v[0:1], s[10:11], 0, v[0:1]
	v_lshl_add_u64 v[8:9], v[0:1], 0, v[68:69]
	v_sub_u32_e32 v10, 47, v2
	s_mov_b64 s[10:11], 0
	s_branch .LBB302_61
.LBB302_60:                             ;   in Loop: Header=BB302_61 Depth=2
	s_or_b64 exec, exec, s[12:13]
	v_lshl_add_u32 v13, v11, 11, v112
	;;#ASMSTART
	s_waitcnt vmcnt(1)
	;;#ASMEND
	ds_write2_b32 v13, v4, v5 offset1:32
	ds_write2_b32 v13, v6, v7 offset0:64 offset1:96
	v_add_u32_e32 v4, 0x400, v13
	v_add_u32_e32 v114, s25, v114
	;;#ASMSTART
	s_waitcnt vmcnt(0)
	;;#ASMEND
	ds_write2_b32 v4, v0, v1 offset1:32
	ds_write2_b32 v4, v2, v3 offset0:64 offset1:96
	v_add_u32_e32 v0, 1, v100
	v_add_u32_e32 v74, s25, v11
	v_cmp_le_i32_e32 vcc, s72, v114
	ds_write_b32 v12, v0
	v_add_u32_e32 v0, 2, v100
	s_or_b64 s[10:11], vcc, s[10:11]
	v_cmp_lt_i32_e32 vcc, 5, v74
	s_nop 1
	v_cndmask_b32_e32 v100, v100, v0, vcc
	s_andn2_b64 exec, exec, s[10:11]
	s_cbranch_execz .LBB302_4
.LBB302_61:                             ;   Parent Loop BB302_7 Depth=1
                                        ; =>  This Loop Header: Depth=2
                                        ;       Child Loop BB302_63 Depth 3
	v_cmp_gt_i32_e32 vcc, 6, v74
	s_nop 1
	v_cndmask_b32_e64 v0, -6, 0, vcc
	v_add_u32_e32 v11, v0, v74
	v_mul_hi_i32 v0, v114, s68
	v_lshrrev_b32_e32 v1, 31, v0
	v_add_u32_e32 v0, v0, v1
	v_lshl_add_u32 v1, v0, 1, v0
	v_sub_u32_e32 v1, v114, v1
	v_lshlrev_b32_e32 v1, 4, v1
	v_cmp_le_i32_e32 vcc, v1, v10
	v_lshlrev_b32_e32 v0, 7, v0
	v_lshlrev_b32_e32 v12, 2, v11
	v_cndmask_b32_e32 v2, 0, v1, vcc
	v_ashrrev_i32_e32 v1, 31, v0
	v_mul_lo_u32 v2, v2, s22
	v_lshl_add_u64 v[0:1], v[8:9], 0, v[0:1]
	v_ashrrev_i32_e32 v3, 31, v2
	v_lshl_add_u64 v[0:1], v[0:1], 0, v[2:3]
	;;#ASMSTART
	global_load_dwordx4 v[4:7], v[0:1], off offset:0   
	global_load_dwordx4 v[0:3], v[0:1], off offset:64  
	
	;;#ASMEND
	ds_read_b32 v13, v12 offset:32768
	v_add_u32_e32 v12, 0x8000, v12
	s_waitcnt lgkmcnt(0)
	v_cmp_ne_u32_e32 vcc, v13, v100
	s_and_saveexec_b64 s[12:13], vcc
	s_cbranch_execz .LBB302_60
; %bb.62:                               ;   in Loop: Header=BB302_61 Depth=2
	s_mov_b64 s[14:15], 0
.LBB302_63:                             ;   Parent Loop BB302_7 Depth=1
                                        ;     Parent Loop BB302_61 Depth=2
                                        ; =>    This Inner Loop Header: Depth=3
	;;#ASMSTART
	s_sleep 0
	;;#ASMEND
	ds_read_b32 v13, v12
	s_waitcnt lgkmcnt(0)
	v_cmp_eq_u32_e32 vcc, v13, v100
	s_or_b64 s[14:15], vcc, s[14:15]
	s_andn2_b64 exec, exec, s[14:15]
	s_cbranch_execnz .LBB302_63
	s_branch .LBB302_60
.LBB302_64:
	s_endpgm
	.section	.rodata,"a",@progbits
	.p2align	6, 0x0
	.amdhsa_kernel _Z19_skinny_gemm_kernelILi3ELi5ELi2ELi16ELi4EEvPKhS1_P6__halfPKfiiiiiiii
		.amdhsa_group_segment_fixed_size 32832
		.amdhsa_private_segment_fixed_size 0
		.amdhsa_kernarg_size 64
		.amdhsa_user_sgpr_count 2
		.amdhsa_user_sgpr_dispatch_ptr 0
		.amdhsa_user_sgpr_queue_ptr 0
		.amdhsa_user_sgpr_kernarg_segment_ptr 1
		.amdhsa_user_sgpr_dispatch_id 0
		.amdhsa_user_sgpr_kernarg_preload_length 0
		.amdhsa_user_sgpr_kernarg_preload_offset 0
		.amdhsa_user_sgpr_private_segment_size 0
		.amdhsa_uses_dynamic_stack 0
		.amdhsa_enable_private_segment 0
		.amdhsa_system_sgpr_workgroup_id_x 1
		.amdhsa_system_sgpr_workgroup_id_y 0
		.amdhsa_system_sgpr_workgroup_id_z 0
		.amdhsa_system_sgpr_workgroup_info 0
		.amdhsa_system_vgpr_workitem_id 0
		.amdhsa_next_free_vgpr 126
		.amdhsa_next_free_sgpr 73
		.amdhsa_accum_offset 128
		.amdhsa_reserve_vcc 1
		.amdhsa_float_round_mode_32 0
		.amdhsa_float_round_mode_16_64 0
		.amdhsa_float_denorm_mode_32 3
		.amdhsa_float_denorm_mode_16_64 3
		.amdhsa_dx10_clamp 1
		.amdhsa_ieee_mode 1
		.amdhsa_fp16_overflow 0
		.amdhsa_tg_split 0
		.amdhsa_exception_fp_ieee_invalid_op 0
		.amdhsa_exception_fp_denorm_src 0
		.amdhsa_exception_fp_ieee_div_zero 0
		.amdhsa_exception_fp_ieee_overflow 0
		.amdhsa_exception_fp_ieee_underflow 0
		.amdhsa_exception_fp_ieee_inexact 0
		.amdhsa_exception_int_div_zero 0
	.end_amdhsa_kernel
	.section	.text._Z19_skinny_gemm_kernelILi3ELi5ELi2ELi16ELi4EEvPKhS1_P6__halfPKfiiiiiiii,"axG",@progbits,_Z19_skinny_gemm_kernelILi3ELi5ELi2ELi16ELi4EEvPKhS1_P6__halfPKfiiiiiiii,comdat
.Lfunc_end302:
	.size	_Z19_skinny_gemm_kernelILi3ELi5ELi2ELi16ELi4EEvPKhS1_P6__halfPKfiiiiiiii, .Lfunc_end302-_Z19_skinny_gemm_kernelILi3ELi5ELi2ELi16ELi4EEvPKhS1_P6__halfPKfiiiiiiii
                                        ; -- End function
	.set _Z19_skinny_gemm_kernelILi3ELi5ELi2ELi16ELi4EEvPKhS1_P6__halfPKfiiiiiiii.num_vgpr, 126
	.set _Z19_skinny_gemm_kernelILi3ELi5ELi2ELi16ELi4EEvPKhS1_P6__halfPKfiiiiiiii.num_agpr, 0
	.set _Z19_skinny_gemm_kernelILi3ELi5ELi2ELi16ELi4EEvPKhS1_P6__halfPKfiiiiiiii.numbered_sgpr, 73
	.set _Z19_skinny_gemm_kernelILi3ELi5ELi2ELi16ELi4EEvPKhS1_P6__halfPKfiiiiiiii.num_named_barrier, 0
	.set _Z19_skinny_gemm_kernelILi3ELi5ELi2ELi16ELi4EEvPKhS1_P6__halfPKfiiiiiiii.private_seg_size, 0
	.set _Z19_skinny_gemm_kernelILi3ELi5ELi2ELi16ELi4EEvPKhS1_P6__halfPKfiiiiiiii.uses_vcc, 1
	.set _Z19_skinny_gemm_kernelILi3ELi5ELi2ELi16ELi4EEvPKhS1_P6__halfPKfiiiiiiii.uses_flat_scratch, 0
	.set _Z19_skinny_gemm_kernelILi3ELi5ELi2ELi16ELi4EEvPKhS1_P6__halfPKfiiiiiiii.has_dyn_sized_stack, 0
	.set _Z19_skinny_gemm_kernelILi3ELi5ELi2ELi16ELi4EEvPKhS1_P6__halfPKfiiiiiiii.has_recursion, 0
	.set _Z19_skinny_gemm_kernelILi3ELi5ELi2ELi16ELi4EEvPKhS1_P6__halfPKfiiiiiiii.has_indirect_call, 0
	.section	.AMDGPU.csdata,"",@progbits
; Kernel info:
; codeLenInByte = 8076
; TotalNumSgprs: 79
; NumVgprs: 126
; NumAgprs: 0
; TotalNumVgprs: 126
; ScratchSize: 0
; MemoryBound: 0
; FloatMode: 240
; IeeeMode: 1
; LDSByteSize: 32832 bytes/workgroup (compile time only)
; SGPRBlocks: 9
; VGPRBlocks: 15
; NumSGPRsForWavesPerEU: 79
; NumVGPRsForWavesPerEU: 126
; AccumOffset: 128
; Occupancy: 4
; WaveLimiterHint : 0
; COMPUTE_PGM_RSRC2:SCRATCH_EN: 0
; COMPUTE_PGM_RSRC2:USER_SGPR: 2
; COMPUTE_PGM_RSRC2:TRAP_HANDLER: 0
; COMPUTE_PGM_RSRC2:TGID_X_EN: 1
; COMPUTE_PGM_RSRC2:TGID_Y_EN: 0
; COMPUTE_PGM_RSRC2:TGID_Z_EN: 0
; COMPUTE_PGM_RSRC2:TIDIG_COMP_CNT: 0
; COMPUTE_PGM_RSRC3_GFX90A:ACCUM_OFFSET: 31
; COMPUTE_PGM_RSRC3_GFX90A:TG_SPLIT: 0
	.section	.text._Z19_skinny_gemm_kernelILi3ELi5ELi2ELi32ELi4EEvPKhS1_P6__halfPKfiiiiiiii,"axG",@progbits,_Z19_skinny_gemm_kernelILi3ELi5ELi2ELi32ELi4EEvPKhS1_P6__halfPKfiiiiiiii,comdat
	.protected	_Z19_skinny_gemm_kernelILi3ELi5ELi2ELi32ELi4EEvPKhS1_P6__halfPKfiiiiiiii ; -- Begin function _Z19_skinny_gemm_kernelILi3ELi5ELi2ELi32ELi4EEvPKhS1_P6__halfPKfiiiiiiii
	.globl	_Z19_skinny_gemm_kernelILi3ELi5ELi2ELi32ELi4EEvPKhS1_P6__halfPKfiiiiiiii
	.p2align	8
	.type	_Z19_skinny_gemm_kernelILi3ELi5ELi2ELi32ELi4EEvPKhS1_P6__halfPKfiiiiiiii,@function
_Z19_skinny_gemm_kernelILi3ELi5ELi2ELi32ELi4EEvPKhS1_P6__halfPKfiiiiiiii: ; @_Z19_skinny_gemm_kernelILi3ELi5ELi2ELi32ELi4EEvPKhS1_P6__halfPKfiiiiiiii
; %bb.0:
	v_cmp_gt_u32_e32 vcc, 16, v0
	s_and_saveexec_b64 s[4:5], vcc
; %bb.1:
	v_lshlrev_b32_e32 v1, 2, v0
	v_mov_b32_e32 v2, 0
	ds_write_b32 v1, v2 offset:32768
; %bb.2:
	s_or_b64 exec, exec, s[4:5]
	s_load_dwordx8 s[24:31], s[0:1], 0x20
	s_waitcnt lgkmcnt(0)
	s_barrier
	s_add_i32 s3, s24, 0x5f
	s_mul_hi_i32 s3, s3, 0x2aaaaaab
	s_add_i32 s4, s25, 0x9f
	s_lshr_b32 s5, s3, 31
	s_ashr_i32 s3, s3, 4
	s_add_i32 s14, s3, s5
	s_mul_hi_i32 s3, s4, 0x66666667
	s_lshr_b32 s4, s3, 31
	s_ashr_i32 s3, s3, 6
	s_add_i32 s15, s3, s4
	s_mul_i32 s3, s15, s14
	s_mul_i32 s3, s3, s28
	s_add_i32 s4, s3, 0x12f
	s_mul_hi_i32 s4, s4, 0x6bca1af3
	s_lshr_b32 s5, s4, 31
	s_ashr_i32 s4, s4, 7
	s_add_i32 s4, s4, s5
	s_add_i32 s5, s2, 1
	s_mul_i32 s5, s4, s5
	v_cvt_f64_i32_e32 v[2:3], s3
	v_cvt_f64_u32_e32 v[4:5], s5
	v_min_f64 v[2:3], v[2:3], v[4:5]
	v_cvt_i32_f64_e32 v1, v[2:3]
	s_mul_i32 s2, s4, s2
	v_cmp_ge_i32_e32 vcc, s2, v1
	scratch_store_dword off, v1, off offset:4 ; 4-byte Folded Spill
	s_cbranch_vccnz .LBB303_55
; %bb.3:
	s_load_dwordx8 s[16:23], s[0:1], 0x0
	v_lshrrev_b32_e32 v1, 6, v0
	s_add_i32 s0, s30, s29
	v_cmp_le_i32_e64 s[34:35], s0, v1
	v_mov_b32_e32 v2, s29
	v_cmp_le_i32_e64 s[36:37], s29, v1
	v_mov_b32_e32 v3, s30
	v_cndmask_b32_e64 v3, 0, v3, s[34:35]
	v_cndmask_b32_e64 v2, 0, v2, s[36:37]
	s_abs_i32 s1, s28
	v_add_u32_e32 v2, v2, v3
	v_cvt_f32_u32_e32 v3, s1
	v_sub_u32_e32 v88, v1, v2
	s_ashr_i32 s3, s26, 31
	s_lshr_b32 s3, s3, 26
	v_rcp_iflag_f32_e32 v2, v3
	s_sub_i32 s6, 0, s1
	s_add_i32 s3, s26, s3
	s_ashr_i32 s3, s3, 6
	v_mul_f32_e32 v2, 0x4f7ffffe, v2
	v_cvt_u32_f32_e32 v2, v2
	s_abs_i32 s5, s3
	s_xor_b32 s4, s3, s28
	s_ashr_i32 s4, s4, 31
	v_readfirstlane_b32 s7, v2
	s_mul_i32 s6, s6, s7
	s_mul_hi_u32 s6, s7, s6
	s_add_i32 s7, s7, s6
	s_mul_hi_u32 s6, s5, s7
	s_mul_i32 s7, s6, s1
	s_sub_i32 s5, s5, s7
	s_add_i32 s7, s6, 1
	s_sub_i32 s8, s5, s1
	s_cmp_ge_u32 s5, s1
	s_cselect_b32 s6, s7, s6
	s_cselect_b32 s5, s8, s5
	s_add_i32 s7, s6, 1
	s_cmp_ge_u32 s5, s1
	s_cselect_b32 s1, s7, s6
	s_add_i32 s0, s0, s31
	v_and_b32_e32 v85, 31, v0
	v_lshrrev_b32_e32 v2, 3, v0
	v_cmp_gt_i32_e64 s[42:43], s0, v1
	v_lshlrev_b32_e32 v1, 2, v85
	v_and_b32_e32 v3, 4, v2
	v_lshlrev_b32_e32 v2, 6, v3
	v_or_b32_e32 v4, 0x5000, v1
	v_or_b32_e32 v5, v4, v2
	scratch_store_dword off, v5, off        ; 4-byte Folded Spill
	v_and_b32_e32 v5, 1, v0
	v_or_b32_e32 v98, v1, v2
	v_lshlrev_b32_e32 v2, 1, v5
	v_sub_u32_e32 v2, v0, v2
	v_add_u32_e32 v2, 1, v2
	v_and_b32_e32 v6, 63, v2
	v_bitop3_b32 v2, v0, 1, v0 bitop3:0xc
	scratch_store_dword off, v2, off offset:32 ; 4-byte Folded Spill
	v_bitop3_b32 v2, v0, 3, 1 bitop3:0x6c
	scratch_store_dword off, v2, off offset:36 ; 4-byte Folded Spill
	;; [unrolled: 2-line block ×8, first 2 shown]
	v_or_b32_e32 v2, 32, v85
	s_add_i32 s39, s28, -1
	scratch_store_dword off, v2, off offset:64 ; 4-byte Folded Spill
	v_or_b32_e32 v2, 64, v85
	v_lshrrev_b32_e32 v7, 1, v0
	s_abs_i32 s28, s14
	scratch_store_dword off, v2, off offset:68 ; 4-byte Folded Spill
	v_or_b32_e32 v2, 0x60, v85
	v_and_b32_e32 v8, 16, v7
	v_cvt_f32_u32_e32 v7, s28
	scratch_store_dword off, v2, off offset:72 ; 4-byte Folded Spill
	v_or_b32_e32 v2, 0x80, v85
	scratch_store_dword off, v2, off offset:76 ; 4-byte Folded Spill
	v_and_b32_e32 v2, 30, v0
	v_lshlrev_b32_e32 v0, 4, v0
                                        ; implicit-def: $vgpr127 : SGPR spill to VGPR lane
	v_and_b32_e32 v0, 0x200, v0
	v_writelane_b32 v127, s14, 0
	s_xor_b32 s1, s1, s4
	v_or_b32_e32 v111, v1, v0
	v_rcp_iflag_f32_e32 v1, v7
	v_writelane_b32 v127, s15, 1
	s_sub_i32 s38, s1, s4
	s_waitcnt lgkmcnt(0)
	v_writelane_b32 v127, s16, 2
	s_mul_i32 s1, s38, s39
	s_sub_i32 s40, s3, s1
	v_writelane_b32 v127, s17, 3
	s_abs_i32 s3, s15
	v_writelane_b32 v127, s18, 4
	v_or_b32_e32 v113, v4, v0
	v_mul_f32_e32 v0, 0x4f7ffffe, v1
	v_cvt_f32_u32_e32 v1, s3
	v_writelane_b32 v127, s19, 5
	v_writelane_b32 v127, s20, 6
	;; [unrolled: 1-line block ×4, first 2 shown]
	v_cvt_u32_f32_e32 v0, v0
	v_rcp_iflag_f32_e32 v1, v1
	v_writelane_b32 v127, s23, 9
	v_cndmask_b32_e64 v95, 0, 1, s[34:35]
	v_writelane_b32 v127, s34, 10
	v_readfirstlane_b32 s1, v0
	v_mul_f32_e32 v0, 0x4f7ffffe, v1
	v_writelane_b32 v127, s35, 11
	v_writelane_b32 v127, s36, 12
	v_cvt_u32_f32_e32 v0, v0
	s_sub_i32 s0, 0, s28
	v_writelane_b32 v127, s37, 13
	v_writelane_b32 v127, s38, 14
	;; [unrolled: 1-line block ×3, first 2 shown]
	s_mul_i32 s0, s0, s1
	v_writelane_b32 v127, s40, 16
	s_mul_hi_u32 s0, s1, s0
	v_writelane_b32 v127, s42, 17
	s_ashr_i32 s41, s14, 31
	s_add_i32 s44, s1, s0
	s_sub_i32 s0, 0, s3
	v_readfirstlane_b32 s1, v0
	v_writelane_b32 v127, s43, 18
	s_mul_i32 s0, s0, s1
	v_mbcnt_lo_u32_b32 v0, -1, 0
	v_writelane_b32 v127, s41, 19
	s_ashr_i32 s45, s15, 31
	s_mul_hi_u32 s0, s1, s0
	v_mbcnt_hi_u32_b32 v0, -1, v0
	v_writelane_b32 v127, s44, 20
	v_mov_b32_e32 v97, 0
	v_mul_lo_u32 v10, s27, v85
	s_add_i32 s46, s1, s0
	v_and_or_b32 v0, v0, 64, v6
	v_writelane_b32 v127, s45, 21
	v_ashrrev_i32_e32 v11, 31, v10
	v_mov_b32_e32 v9, v97
	s_lshl_b32 s33, s27, 5
	v_mul_lo_u32 v7, s26, v85
	v_or_b32_e32 v114, v5, v3
	v_lshlrev_b32_e32 v96, 1, v2
	v_lshlrev_b32_e32 v115, 2, v0
	v_mov_b32_e32 v116, v88
	v_writelane_b32 v127, s46, 22
	scratch_store_dwordx2 off, v[10:11], off offset:80 ; 8-byte Folded Spill
	scratch_store_dwordx2 off, v[8:9], off offset:8 ; 8-byte Folded Spill
	scratch_store_dword off, v7, off offset:16 ; 4-byte Folded Spill
	scratch_store_dword off, v85, off offset:28 ; 4-byte Folded Spill
	s_branch .LBB303_7
.LBB303_4:                              ;   in Loop: Header=BB303_7 Depth=1
	s_or_b64 exec, exec, s[6:7]
.LBB303_5:                              ;   in Loop: Header=BB303_7 Depth=1
	s_or_b64 exec, exec, s[4:5]
	v_subrev_u32_e32 v116, s98, v116
.LBB303_6:                              ;   in Loop: Header=BB303_7 Depth=1
	s_or_b64 exec, exec, s[0:1]
	scratch_load_dword v0, off, off offset:4 ; 4-byte Folded Reload
	s_add_i32 s2, s2, 1
	s_waitcnt vmcnt(0)
	v_cmp_ge_i32_e32 vcc, s2, v0
	s_cbranch_vccnz .LBB303_55
.LBB303_7:                              ; =>This Loop Header: Depth=1
                                        ;     Child Loop BB303_13 Depth 2
                                        ;       Child Loop BB303_15 Depth 3
                                        ;       Child Loop BB303_18 Depth 3
	;; [unrolled: 1-line block ×6, first 2 shown]
                                        ;     Child Loop BB303_34 Depth 2
                                        ;     Child Loop BB303_42 Depth 2
                                        ;       Child Loop BB303_44 Depth 3
                                        ;     Child Loop BB303_52 Depth 2
                                        ;       Child Loop BB303_54 Depth 3
	s_abs_i32 s1, s2
	s_mul_hi_u32 s4, s1, s44
	s_mul_i32 s5, s4, s28
	s_ashr_i32 s0, s2, 31
	s_sub_i32 s1, s1, s5
	s_xor_b32 s0, s0, s41
	s_add_i32 s5, s4, 1
	s_sub_i32 s6, s1, s28
	s_cmp_ge_u32 s1, s28
	s_cselect_b32 s4, s5, s4
	s_cselect_b32 s1, s6, s1
	s_add_i32 s5, s4, 1
	s_cmp_ge_u32 s1, s28
	s_cselect_b32 s1, s5, s4
	s_xor_b32 s1, s1, s0
	s_sub_i32 s0, s1, s0
	s_abs_i32 s4, s0
	s_mul_i32 s1, s0, s14
	s_mul_hi_u32 s5, s4, s46
	s_sub_i32 s1, s2, s1
	s_mul_i32 s6, s5, s3
	s_mul_i32 s47, s1, 0x60
	s_ashr_i32 s1, s0, 31
	s_sub_i32 s4, s4, s6
	s_xor_b32 s1, s1, s45
	s_add_i32 s6, s5, 1
	s_sub_i32 s7, s4, s3
	s_cmp_ge_u32 s4, s3
	s_cselect_b32 s5, s6, s5
	s_cselect_b32 s4, s7, s4
	s_add_i32 s6, s5, 1
	s_cmp_ge_u32 s4, s3
	s_cselect_b32 s4, s6, s5
	s_xor_b32 s4, s4, s1
	s_sub_i32 s1, s4, s1
	s_mul_i32 s4, s1, s38
	s_lshl_b32 s13, s4, 6
	s_cmp_eq_u32 s1, s39
	s_cselect_b32 s98, s40, s38
	s_sub_i32 s4, s47, s24
	s_addk_i32 s4, 0x60
	s_max_i32 s99, s4, 0
	s_and_saveexec_b64 s[4:5], s[36:37]
	s_xor_b64 s[48:49], exec, s[4:5]
	s_cbranch_execz .LBB303_48
; %bb.8:                                ;   in Loop: Header=BB303_7 Depth=1
	s_mul_i32 s1, s1, s15
	s_sub_i32 s0, s0, s1
	s_mulk_i32 s0, 0xa0
	s_sub_i32 s70, s0, s25
	s_addk_i32 s70, 0xa0
	v_writelane_b32 v127, s48, 23
	s_max_i32 s1, s70, 0
	s_mov_b32 s4, s13
	v_writelane_b32 v127, s49, 24
	s_sub_i32 s68, s0, s1
	s_and_saveexec_b64 s[0:1], s[34:35]
	s_xor_b64 s[0:1], exec, s[0:1]
	s_cbranch_execz .LBB303_38
; %bb.9:                                ;   in Loop: Header=BB303_7 Depth=1
	s_mov_b64 s[6:7], exec
	v_writelane_b32 v127, s6, 25
	s_nop 1
	v_writelane_b32 v127, s7, 26
	s_and_b64 s[6:7], s[6:7], s[42:43]
	s_mov_b64 exec, s[6:7]
	s_cbranch_execz .LBB303_37
; %bb.10:                               ;   in Loop: Header=BB303_7 Depth=1
	global_load_dword v117, v97, s[22:23]
	v_mov_b32_e32 v79, 0
	v_cmp_gt_i32_e32 vcc, s98, v116
	v_mov_b32_e32 v78, v79
	v_mov_b32_e32 v77, v79
	;; [unrolled: 1-line block ×79, first 2 shown]
	s_and_saveexec_b64 s[6:7], vcc
	s_cbranch_execz .LBB303_32
; %bb.11:                               ;   in Loop: Header=BB303_7 Depth=1
	v_mov_b32_e32 v0, 0
	s_mov_b64 s[8:9], 0
	v_mov_b32_e32 v1, v0
	v_mov_b32_e32 v2, v0
	v_mov_b32_e32 v3, v0
	v_mov_b32_e32 v4, v0
	v_mov_b32_e32 v5, v0
	v_mov_b32_e32 v6, v0
	v_mov_b32_e32 v7, v0
	v_mov_b32_e32 v8, v0
	v_mov_b32_e32 v9, v0
	v_mov_b32_e32 v10, v0
	v_mov_b32_e32 v11, v0
	v_mov_b32_e32 v12, v0
	v_mov_b32_e32 v13, v0
	v_mov_b32_e32 v14, v0
	v_mov_b32_e32 v15, v0
	v_mov_b32_e32 v16, v0
	v_mov_b32_e32 v17, v0
	v_mov_b32_e32 v18, v0
	v_mov_b32_e32 v19, v0
	v_mov_b32_e32 v20, v0
	v_mov_b32_e32 v21, v0
	v_mov_b32_e32 v22, v0
	v_mov_b32_e32 v23, v0
	v_mov_b32_e32 v24, v0
	v_mov_b32_e32 v25, v0
	v_mov_b32_e32 v26, v0
	v_mov_b32_e32 v27, v0
	v_mov_b32_e32 v28, v0
	v_mov_b32_e32 v29, v0
	v_mov_b32_e32 v30, v0
	v_mov_b32_e32 v31, v0
	v_mov_b32_e32 v32, v0
	v_mov_b32_e32 v33, v0
	v_mov_b32_e32 v34, v0
	v_mov_b32_e32 v35, v0
	v_mov_b32_e32 v36, v0
	v_mov_b32_e32 v37, v0
	v_mov_b32_e32 v38, v0
	v_mov_b32_e32 v39, v0
	v_mov_b32_e32 v40, v0
	v_mov_b32_e32 v41, v0
	v_mov_b32_e32 v42, v0
	v_mov_b32_e32 v43, v0
	v_mov_b32_e32 v44, v0
	v_mov_b32_e32 v45, v0
	v_mov_b32_e32 v46, v0
	v_mov_b32_e32 v47, v0
	v_mov_b32_e32 v48, v0
	v_mov_b32_e32 v49, v0
	v_mov_b32_e32 v50, v0
	v_mov_b32_e32 v51, v0
	v_mov_b32_e32 v52, v0
	v_mov_b32_e32 v53, v0
	v_mov_b32_e32 v54, v0
	v_mov_b32_e32 v55, v0
	v_mov_b32_e32 v56, v0
	v_mov_b32_e32 v57, v0
	v_mov_b32_e32 v58, v0
	v_mov_b32_e32 v59, v0
	v_mov_b32_e32 v60, v0
	v_mov_b32_e32 v61, v0
	v_mov_b32_e32 v62, v0
	v_mov_b32_e32 v63, v0
	v_mov_b32_e32 v64, v0
	v_mov_b32_e32 v65, v0
	v_mov_b32_e32 v66, v0
	v_mov_b32_e32 v67, v0
	v_mov_b32_e32 v68, v0
	v_mov_b32_e32 v69, v0
	v_mov_b32_e32 v70, v0
	v_mov_b32_e32 v71, v0
	v_mov_b32_e32 v72, v0
	v_mov_b32_e32 v73, v0
	v_mov_b32_e32 v74, v0
	v_mov_b32_e32 v75, v0
	v_mov_b32_e32 v76, v0
	v_mov_b32_e32 v77, v0
	v_mov_b32_e32 v78, v0
	v_mov_b32_e32 v79, v0
	s_branch .LBB303_13
.LBB303_12:                             ;   in Loop: Header=BB303_13 Depth=2
	s_or_b64 exec, exec, s[10:11]
	v_add_u32_e32 v81, 0x2000, v80
	ds_read2_b32 v[82:83], v81 offset1:32
	v_add_u32_e32 v116, s31, v116
	s_waitcnt lgkmcnt(0)
	v_mfma_f32_32x32x16_fp8_fp8 v[0:15], v[92:93], v[82:83], v[0:15]
	ds_read2_b32 v[82:83], v81 offset0:128 offset1:160
	s_waitcnt lgkmcnt(0)
	v_mfma_f32_32x32x16_fp8_fp8 v[0:15], v[90:91], v[82:83], v[0:15]
	v_add_u32_e32 v82, 0x2400, v80
	ds_read2_b32 v[80:81], v82 offset1:32
	ds_read2_b32 v[82:83], v82 offset0:128 offset1:160
	ds_write_b32 v119, v120 offset:32804
	s_waitcnt lgkmcnt(2)
	v_mfma_f32_32x32x16_fp8_fp8 v[0:15], v[88:89], v[80:81], v[0:15]
	v_add_u32_e32 v88, s31, v118
	v_add_u32_e32 v80, 2, v95
	v_cmp_lt_i32_e32 vcc, 1, v88
	s_nop 1
	v_cndmask_b32_e32 v95, v95, v80, vcc
	v_cmp_le_i32_e32 vcc, s98, v116
	s_waitcnt lgkmcnt(1)
	v_mfma_f32_32x32x16_fp8_fp8 v[0:15], v[86:87], v[82:83], v[0:15]
	s_or_b64 s[8:9], vcc, s[8:9]
	s_andn2_b64 exec, exec, s[8:9]
	s_cbranch_execz .LBB303_31
.LBB303_13:                             ;   Parent Loop BB303_7 Depth=1
                                        ; =>  This Loop Header: Depth=2
                                        ;       Child Loop BB303_15 Depth 3
                                        ;       Child Loop BB303_18 Depth 3
	;; [unrolled: 1-line block ×6, first 2 shown]
	v_cmp_gt_i32_e32 vcc, 2, v88
	s_nop 1
	v_cndmask_b32_e64 v80, -2, 0, vcc
	v_add_u32_e32 v118, v80, v88
	v_mul_lo_u32 v119, v118, 40
	ds_read_b32 v80, v119 offset:32768
	s_waitcnt lgkmcnt(0)
	v_cmp_ne_u32_e32 vcc, v80, v95
	s_and_saveexec_b64 s[10:11], vcc
	s_cbranch_execz .LBB303_16
; %bb.14:                               ;   in Loop: Header=BB303_13 Depth=2
	s_mov_b64 s[12:13], 0
.LBB303_15:                             ;   Parent Loop BB303_7 Depth=1
                                        ;     Parent Loop BB303_13 Depth=2
                                        ; =>    This Inner Loop Header: Depth=3
	;;#ASMSTART
	s_sleep 0
	;;#ASMEND
	ds_read_b32 v80, v119 offset:32768
	s_waitcnt lgkmcnt(0)
	v_cmp_eq_u32_e32 vcc, v80, v95
	s_or_b64 s[12:13], vcc, s[12:13]
	s_andn2_b64 exec, exec, s[12:13]
	s_cbranch_execnz .LBB303_15
.LBB303_16:                             ;   in Loop: Header=BB303_13 Depth=2
	s_or_b64 exec, exec, s[10:11]
	scratch_load_dword v80, off, off        ; 4-byte Folded Reload
	v_add_u32_e32 v120, 1, v95
	s_waitcnt vmcnt(0)
	v_lshl_add_u32 v80, v118, 11, v80
	ds_read2_b32 v[92:93], v80 offset1:32
	ds_read2_b32 v[90:91], v80 offset0:128 offset1:160
	v_add_u32_e32 v80, 0x400, v80
	ds_read2_b32 v[88:89], v80 offset1:32
	ds_read_b32 v81, v119 offset:32772
	ds_read2_b32 v[86:87], v80 offset0:128 offset1:160
	ds_write_b32 v119, v120 offset:32768
	s_waitcnt lgkmcnt(2)
	v_cmp_ne_u32_e32 vcc, v81, v95
	s_and_saveexec_b64 s[10:11], vcc
	s_cbranch_execz .LBB303_19
; %bb.17:                               ;   in Loop: Header=BB303_13 Depth=2
	s_mov_b64 s[12:13], 0
.LBB303_18:                             ;   Parent Loop BB303_7 Depth=1
                                        ;     Parent Loop BB303_13 Depth=2
                                        ; =>    This Inner Loop Header: Depth=3
	;;#ASMSTART
	s_sleep 0
	;;#ASMEND
	ds_read_b32 v80, v119 offset:32772
	s_waitcnt lgkmcnt(0)
	v_cmp_eq_u32_e32 vcc, v80, v95
	s_or_b64 s[12:13], vcc, s[12:13]
	s_andn2_b64 exec, exec, s[12:13]
	s_cbranch_execnz .LBB303_18
.LBB303_19:                             ;   in Loop: Header=BB303_13 Depth=2
	s_or_b64 exec, exec, s[10:11]
	s_movk_i32 s5, 0x2800
	v_mul_lo_u32 v80, v118, s5
	v_or_b32_e32 v81, v98, v80
	ds_read2_b32 v[82:83], v81 offset1:32
	ds_write_b32 v119, v120 offset:32772
	s_waitcnt lgkmcnt(1)
	v_mfma_f32_32x32x16_fp8_fp8 v[64:79], v[92:93], v[82:83], v[64:79]
	ds_read2_b32 v[82:83], v81 offset0:128 offset1:160
	v_add_u32_e32 v81, 0x400, v81
	s_waitcnt lgkmcnt(0)
	v_mfma_f32_32x32x16_fp8_fp8 v[64:79], v[90:91], v[82:83], v[64:79]
	ds_read2_b32 v[82:83], v81 offset1:32
	s_waitcnt lgkmcnt(0)
	v_mfma_f32_32x32x16_fp8_fp8 v[64:79], v[88:89], v[82:83], v[64:79]
	ds_read2_b32 v[82:83], v81 offset0:128 offset1:160
	ds_read_b32 v81, v119 offset:32780
	s_waitcnt lgkmcnt(0)
	v_cmp_ne_u32_e32 vcc, v81, v95
	v_mfma_f32_32x32x16_fp8_fp8 v[64:79], v[86:87], v[82:83], v[64:79]
	s_and_saveexec_b64 s[10:11], vcc
	s_cbranch_execz .LBB303_22
; %bb.20:                               ;   in Loop: Header=BB303_13 Depth=2
	s_mov_b64 s[12:13], 0
.LBB303_21:                             ;   Parent Loop BB303_7 Depth=1
                                        ;     Parent Loop BB303_13 Depth=2
                                        ; =>    This Inner Loop Header: Depth=3
	;;#ASMSTART
	s_sleep 0
	;;#ASMEND
	ds_read_b32 v81, v119 offset:32780
	s_waitcnt lgkmcnt(0)
	v_cmp_eq_u32_e32 vcc, v81, v95
	s_or_b64 s[12:13], vcc, s[12:13]
	s_andn2_b64 exec, exec, s[12:13]
	s_cbranch_execnz .LBB303_21
.LBB303_22:                             ;   in Loop: Header=BB303_13 Depth=2
	s_or_b64 exec, exec, s[10:11]
	v_add_u32_e32 v80, v98, v80
	v_add_u32_e32 v81, 0x800, v80
	ds_read2_b32 v[82:83], v81 offset1:32
	ds_write_b32 v119, v120 offset:32780
	s_waitcnt lgkmcnt(1)
	v_mfma_f32_32x32x16_fp8_fp8 v[48:63], v[92:93], v[82:83], v[48:63]
	ds_read2_b32 v[82:83], v81 offset0:128 offset1:160
	v_add_u32_e32 v81, 0xc00, v80
	s_waitcnt lgkmcnt(0)
	v_mfma_f32_32x32x16_fp8_fp8 v[48:63], v[90:91], v[82:83], v[48:63]
	ds_read2_b32 v[82:83], v81 offset1:32
	s_waitcnt lgkmcnt(0)
	v_mfma_f32_32x32x16_fp8_fp8 v[48:63], v[88:89], v[82:83], v[48:63]
	ds_read2_b32 v[82:83], v81 offset0:128 offset1:160
	ds_read_b32 v81, v119 offset:32788
	s_waitcnt lgkmcnt(0)
	v_cmp_ne_u32_e32 vcc, v81, v95
	v_mfma_f32_32x32x16_fp8_fp8 v[48:63], v[86:87], v[82:83], v[48:63]
	s_and_saveexec_b64 s[10:11], vcc
	s_cbranch_execz .LBB303_25
; %bb.23:                               ;   in Loop: Header=BB303_13 Depth=2
	s_mov_b64 s[12:13], 0
.LBB303_24:                             ;   Parent Loop BB303_7 Depth=1
                                        ;     Parent Loop BB303_13 Depth=2
                                        ; =>    This Inner Loop Header: Depth=3
	;;#ASMSTART
	s_sleep 0
	;;#ASMEND
	ds_read_b32 v81, v119 offset:32788
	s_waitcnt lgkmcnt(0)
	v_cmp_eq_u32_e32 vcc, v81, v95
	s_or_b64 s[12:13], vcc, s[12:13]
	s_andn2_b64 exec, exec, s[12:13]
	s_cbranch_execnz .LBB303_24
.LBB303_25:                             ;   in Loop: Header=BB303_13 Depth=2
	s_or_b64 exec, exec, s[10:11]
	v_add_u32_e32 v81, 0x1000, v80
	ds_read2_b32 v[82:83], v81 offset1:32
	s_waitcnt lgkmcnt(0)
	v_mfma_f32_32x32x16_fp8_fp8 v[32:47], v[92:93], v[82:83], v[32:47]
	ds_read2_b32 v[82:83], v81 offset0:128 offset1:160
	v_add_u32_e32 v81, 0x1400, v80
	s_waitcnt lgkmcnt(0)
	v_mfma_f32_32x32x16_fp8_fp8 v[32:47], v[90:91], v[82:83], v[32:47]
	ds_read2_b32 v[82:83], v81 offset1:32
	s_waitcnt lgkmcnt(0)
	v_mfma_f32_32x32x16_fp8_fp8 v[32:47], v[88:89], v[82:83], v[32:47]
	ds_read_b32 v84, v119 offset:32796
	ds_read2_b32 v[82:83], v81 offset0:128 offset1:160
	ds_write_b32 v119, v120 offset:32788
	s_waitcnt lgkmcnt(2)
	v_cmp_ne_u32_e32 vcc, v84, v95
	s_waitcnt lgkmcnt(1)
	v_mfma_f32_32x32x16_fp8_fp8 v[32:47], v[86:87], v[82:83], v[32:47]
	s_and_saveexec_b64 s[10:11], vcc
	s_cbranch_execz .LBB303_28
; %bb.26:                               ;   in Loop: Header=BB303_13 Depth=2
	s_mov_b64 s[12:13], 0
.LBB303_27:                             ;   Parent Loop BB303_7 Depth=1
                                        ;     Parent Loop BB303_13 Depth=2
                                        ; =>    This Inner Loop Header: Depth=3
	;;#ASMSTART
	s_sleep 0
	;;#ASMEND
	ds_read_b32 v81, v119 offset:32796
	s_waitcnt lgkmcnt(0)
	v_cmp_eq_u32_e32 vcc, v81, v95
	s_or_b64 s[12:13], vcc, s[12:13]
	s_andn2_b64 exec, exec, s[12:13]
	s_cbranch_execnz .LBB303_27
.LBB303_28:                             ;   in Loop: Header=BB303_13 Depth=2
	s_or_b64 exec, exec, s[10:11]
	v_add_u32_e32 v81, 0x1800, v80
	ds_read2_b32 v[82:83], v81 offset1:32
	s_waitcnt lgkmcnt(0)
	v_mfma_f32_32x32x16_fp8_fp8 v[16:31], v[92:93], v[82:83], v[16:31]
	ds_read2_b32 v[82:83], v81 offset0:128 offset1:160
	v_add_u32_e32 v81, 0x1c00, v80
	s_waitcnt lgkmcnt(0)
	v_mfma_f32_32x32x16_fp8_fp8 v[16:31], v[90:91], v[82:83], v[16:31]
	ds_read2_b32 v[82:83], v81 offset1:32
	s_waitcnt lgkmcnt(0)
	v_mfma_f32_32x32x16_fp8_fp8 v[16:31], v[88:89], v[82:83], v[16:31]
	ds_read_b32 v84, v119 offset:32804
	ds_read2_b32 v[82:83], v81 offset0:128 offset1:160
	ds_write_b32 v119, v120 offset:32796
	s_waitcnt lgkmcnt(2)
	v_cmp_ne_u32_e32 vcc, v84, v95
	s_waitcnt lgkmcnt(1)
	v_mfma_f32_32x32x16_fp8_fp8 v[16:31], v[86:87], v[82:83], v[16:31]
	s_and_saveexec_b64 s[10:11], vcc
	s_cbranch_execz .LBB303_12
; %bb.29:                               ;   in Loop: Header=BB303_13 Depth=2
	s_mov_b64 s[12:13], 0
.LBB303_30:                             ;   Parent Loop BB303_7 Depth=1
                                        ;     Parent Loop BB303_13 Depth=2
                                        ; =>    This Inner Loop Header: Depth=3
	;;#ASMSTART
	s_sleep 0
	;;#ASMEND
	ds_read_b32 v81, v119 offset:32804
	s_waitcnt lgkmcnt(0)
	v_cmp_eq_u32_e32 vcc, v81, v95
	s_or_b64 s[12:13], vcc, s[12:13]
	s_andn2_b64 exec, exec, s[12:13]
	s_cbranch_execnz .LBB303_30
	s_branch .LBB303_12
.LBB303_31:                             ;   in Loop: Header=BB303_7 Depth=1
	s_or_b64 exec, exec, s[8:9]
.LBB303_32:                             ;   in Loop: Header=BB303_7 Depth=1
	s_or_b64 exec, exec, s[6:7]
	scratch_load_dword v99, off, off offset:32 ; 4-byte Folded Reload
	scratch_load_dword v106, off, off offset:40 ; 4-byte Folded Reload
	v_cmp_le_i32_e32 vcc, s70, v85
	v_writelane_b32 v127, s47, 27
	s_mul_i32 s6, s47, s25
	s_waitcnt vmcnt(2)
	v_cndmask_b32_e32 v80, 0, v117, vcc
	v_pk_mul_f32 v[64:65], v[80:81], v[64:65] op_sel_hi:[0,1]
	v_pk_mul_f32 v[78:79], v[80:81], v[78:79] op_sel_hi:[0,1]
	v_pk_mul_f32 v[76:77], v[80:81], v[76:77] op_sel_hi:[0,1]
	v_pk_mul_f32 v[74:75], v[80:81], v[74:75] op_sel_hi:[0,1]
	v_pk_mul_f32 v[72:73], v[80:81], v[72:73] op_sel_hi:[0,1]
	v_pk_mul_f32 v[70:71], v[80:81], v[70:71] op_sel_hi:[0,1]
	v_pk_mul_f32 v[68:69], v[80:81], v[68:69] op_sel_hi:[0,1]
	v_pk_mul_f32 v[66:67], v[80:81], v[66:67] op_sel_hi:[0,1]
	s_ashr_i32 s7, s6, 31
	s_lshl_b64 s[6:7], s[6:7], 1
	s_add_u32 s71, s20, s6
	s_addc_u32 s72, s21, s7
	s_ashr_i32 s69, s68, 31
	s_mov_b32 s82, s68
	s_lshl_b64 s[68:69], s[68:69], 1
	v_writelane_b32 v127, s82, 28
	s_add_u32 s68, s71, s68
	s_addc_u32 s69, s72, s69
	v_writelane_b32 v127, s83, 29
	v_writelane_b32 v127, s68, 30
	scratch_store_dwordx2 off, v[96:97], off offset:20 ; 8-byte Folded Spill
	v_subrev_u32_e32 v116, s98, v116
	v_writelane_b32 v127, s69, 31
	s_mov_b32 s5, 0
	s_waitcnt vmcnt(2)
	v_cmp_eq_u32_e64 s[64:65], 1, v99
	s_nop 1
	v_cndmask_b32_e64 v80, v64, v65, s[64:65]
	v_cmp_eq_u32_e64 s[38:39], 2, v99
	v_cmp_eq_u32_e64 s[40:41], 3, v99
	v_cmp_eq_u32_e64 s[42:43], 4, v99
	v_cndmask_b32_e64 v80, v80, v66, s[38:39]
	v_cndmask_b32_e64 v80, v80, v67, s[40:41]
	v_cndmask_b32_e64 v80, v80, v68, s[42:43]
	v_cmp_eq_u32_e64 s[44:45], 5, v99
	v_cmp_eq_u32_e64 s[46:47], 6, v99
	v_cmp_eq_u32_e64 s[48:49], 7, v99
	v_cndmask_b32_e64 v80, v80, v69, s[44:45]
	v_cndmask_b32_e64 v80, v80, v70, s[46:47]
	;; [unrolled: 6-line block ×5, first 2 shown]
	ds_bpermute_b32 v80, v115, v80
	s_waitcnt vmcnt(1)
	v_cmp_eq_u32_e64 s[72:73], 8, v106
	s_waitcnt lgkmcnt(0)
	v_cndmask_b32_e64 v79, v79, v80, s[66:67]
	v_cndmask_b32_e64 v78, v78, v80, s[62:63]
	;; [unrolled: 1-line block ×16, first 2 shown]
	scratch_load_dword v80, off, off offset:36 ; 4-byte Folded Reload
	s_waitcnt vmcnt(0)
	v_cmp_eq_u32_e32 vcc, 1, v80
	s_nop 1
	v_cndmask_b32_e32 v64, v87, v90, vcc
	v_cmp_eq_u32_e64 s[6:7], 2, v80
	v_cmp_eq_u32_e64 s[8:9], 3, v80
	v_cmp_eq_u32_e64 s[10:11], 4, v80
	v_cndmask_b32_e64 v64, v64, v66, s[6:7]
	v_cndmask_b32_e64 v64, v64, v86, s[8:9]
	v_cndmask_b32_e64 v64, v64, v85, s[10:11]
	v_cmp_eq_u32_e64 s[12:13], 5, v80
	v_cmp_eq_u32_e64 s[14:15], 6, v80
	v_cmp_eq_u32_e64 s[16:17], 7, v80
	v_cndmask_b32_e64 v64, v64, v84, s[12:13]
	v_cndmask_b32_e64 v64, v64, v83, s[14:15]
	v_cndmask_b32_e64 v64, v64, v82, s[16:17]
	;; [unrolled: 6-line block ×4, first 2 shown]
	v_cmp_eq_u32_e64 s[80:81], 14, v80
	v_cmp_eq_u32_e64 s[34:35], 15, v80
	s_nop 0
	v_cndmask_b32_e64 v64, v64, v78, s[80:81]
	v_cndmask_b32_e64 v64, v64, v79, s[34:35]
	ds_bpermute_b32 v89, v115, v64
	scratch_load_dword v64, off, off offset:64 ; 4-byte Folded Reload
	s_waitcnt lgkmcnt(0)
	v_cndmask_b32_e64 v65, v79, v89, s[34:35]
	v_cndmask_b32_e64 v79, v66, v89, s[6:7]
	scratch_load_dword v66, off, off offset:72 ; 4-byte Folded Reload
	v_cndmask_b32_e64 v67, v78, v89, s[80:81]
	v_cndmask_b32_e64 v70, v75, v89, s[74:75]
	;; [unrolled: 1-line block ×8, first 2 shown]
	v_cndmask_b32_e32 v86, v90, v89, vcc
	v_cndmask_b32_e64 v68, v77, v89, s[78:79]
	v_cndmask_b32_e64 v77, v85, v89, s[10:11]
	;; [unrolled: 1-line block ×4, first 2 shown]
	s_waitcnt vmcnt(1)
	v_cmp_le_i32_e64 s[68:69], s70, v64
	s_nop 1
	v_cndmask_b32_e64 v64, 0, v117, s[68:69]
	v_pk_mul_f32 v[62:63], v[64:65], v[62:63] op_sel_hi:[0,1]
	v_pk_mul_f32 v[60:61], v[64:65], v[60:61] op_sel_hi:[0,1]
	;; [unrolled: 1-line block ×8, first 2 shown]
	scratch_load_dword v64, off, off offset:68 ; 4-byte Folded Reload
	v_cndmask_b32_e64 v81, v48, v49, s[64:65]
	v_cndmask_b32_e64 v81, v81, v50, s[38:39]
	;; [unrolled: 1-line block ×15, first 2 shown]
	ds_bpermute_b32 v122, v115, v81
	s_waitcnt vmcnt(0)
	v_cmp_le_i32_e64 s[68:69], s70, v64
	s_nop 1
	v_cndmask_b32_e64 v64, 0, v117, s[68:69]
	v_cmp_le_i32_e64 s[68:69], s70, v66
	v_pk_mul_f32 v[32:33], v[64:65], v[32:33] op_sel_hi:[0,1]
	v_pk_mul_f32 v[34:35], v[64:65], v[34:35] op_sel_hi:[0,1]
	v_cndmask_b32_e64 v66, 0, v117, s[68:69]
	v_cmp_eq_u32_e64 s[68:69], 0, v80
	scratch_load_dword v80, off, off offset:76 ; 4-byte Folded Reload
	v_pk_mul_f32 v[82:83], v[66:67], v[28:29] op_sel_hi:[0,1]
	v_cndmask_b32_e64 v28, v32, v33, s[64:65]
	v_cndmask_b32_e64 v28, v28, v34, s[38:39]
	v_pk_mul_f32 v[36:37], v[64:65], v[36:37] op_sel_hi:[0,1]
	v_cndmask_b32_e64 v28, v28, v35, s[40:41]
	v_cndmask_b32_e64 v28, v28, v36, s[42:43]
	;; [unrolled: 3-line block ×7, first 2 shown]
	v_pk_mul_f32 v[16:17], v[66:67], v[16:17] op_sel_hi:[0,1]
	v_cndmask_b32_e64 v28, v28, v47, s[66:67]
	v_pk_mul_f32 v[18:19], v[66:67], v[18:19] op_sel_hi:[0,1]
	ds_bpermute_b32 v123, v115, v28
	v_cndmask_b32_e64 v28, v16, v17, s[64:65]
	v_cndmask_b32_e64 v28, v28, v18, s[38:39]
	v_pk_mul_f32 v[20:21], v[66:67], v[20:21] op_sel_hi:[0,1]
	v_cndmask_b32_e64 v28, v28, v19, s[40:41]
	v_cndmask_b32_e64 v28, v28, v20, s[42:43]
	v_pk_mul_f32 v[22:23], v[66:67], v[22:23] op_sel_hi:[0,1]
	;; [unrolled: 3-line block ×4, first 2 shown]
	v_cndmask_b32_e64 v28, v28, v25, s[52:53]
	v_cndmask_b32_e64 v28, v28, v26, s[54:55]
	;; [unrolled: 1-line block ×4, first 2 shown]
	v_pk_mul_f32 v[30:31], v[66:67], v[30:31] op_sel_hi:[0,1]
	v_cndmask_b32_e64 v28, v28, v83, s[60:61]
	v_cndmask_b32_e64 v28, v28, v30, s[62:63]
	;; [unrolled: 1-line block ×3, first 2 shown]
	ds_bpermute_b32 v124, v115, v28
	v_cndmask_b32_e64 v87, v87, v89, s[68:69]
	s_waitcnt lgkmcnt(2)
	v_cndmask_b32_e64 v28, v63, v122, s[66:67]
	s_waitcnt lgkmcnt(1)
	v_cndmask_b32_e64 v63, v47, v123, s[66:67]
	v_cndmask_b32_e64 v29, v62, v122, s[62:63]
	s_waitcnt lgkmcnt(0)
	v_cndmask_b32_e64 v85, v31, v124, s[66:67]
	v_cndmask_b32_e64 v62, v46, v123, s[62:63]
	;; [unrolled: 1-line block ×27, first 2 shown]
	s_waitcnt vmcnt(0)
	v_cmp_le_i32_e64 s[70:71], s70, v80
	s_nop 1
	v_cndmask_b32_e64 v80, 0, v117, s[70:71]
	v_pk_mul_f32 v[0:1], v[80:81], v[0:1] op_sel_hi:[0,1]
	v_pk_mul_f32 v[96:97], v[80:81], v[8:9] op_sel_hi:[0,1]
	v_pk_mul_f32 v[2:3], v[80:81], v[2:3] op_sel_hi:[0,1]
	v_cndmask_b32_e64 v9, v0, v1, s[64:65]
	v_cndmask_b32_e64 v9, v9, v2, s[38:39]
	v_pk_mul_f32 v[4:5], v[80:81], v[4:5] op_sel_hi:[0,1]
	v_cndmask_b32_e64 v9, v9, v3, s[40:41]
	v_cndmask_b32_e64 v9, v9, v4, s[42:43]
	v_pk_mul_f32 v[118:119], v[80:81], v[6:7] op_sel_hi:[0,1]
	v_cndmask_b32_e64 v9, v9, v5, s[44:45]
	v_cndmask_b32_e64 v9, v9, v118, s[46:47]
	;; [unrolled: 1-line block ×4, first 2 shown]
	v_pk_mul_f32 v[10:11], v[80:81], v[10:11] op_sel_hi:[0,1]
	v_cndmask_b32_e64 v9, v9, v97, s[52:53]
	v_cndmask_b32_e64 v9, v9, v10, s[54:55]
	v_pk_mul_f32 v[12:13], v[80:81], v[12:13] op_sel_hi:[0,1]
	v_cndmask_b32_e64 v9, v9, v11, s[56:57]
	v_cndmask_b32_e64 v9, v9, v12, s[58:59]
	;; [unrolled: 3-line block ×3, first 2 shown]
	v_cndmask_b32_e64 v9, v9, v15, s[66:67]
	ds_bpermute_b32 v125, v115, v9
	v_cmp_eq_u32_e64 s[70:71], 1, v106
	v_cndmask_b32_e64 v6, v49, v122, s[64:65]
	v_cndmask_b32_e64 v7, v33, v123, s[64:65]
	;; [unrolled: 1-line block ×4, first 2 shown]
	v_cmp_eq_u32_e64 s[64:65], 2, v106
	s_waitcnt lgkmcnt(0)
	v_cndmask_b32_e64 v101, v15, v125, s[66:67]
	v_cmp_eq_u32_e64 s[66:67], 3, v106
	v_cndmask_b32_e64 v9, v64, v79, s[64:65]
	v_cndmask_b32_e64 v102, v14, v125, s[62:63]
	;; [unrolled: 1-line block ×3, first 2 shown]
	v_cmp_eq_u32_e64 s[62:63], 4, v106
	v_cndmask_b32_e64 v103, v13, v125, s[60:61]
	v_cmp_eq_u32_e64 s[60:61], 5, v106
	v_cndmask_b32_e64 v9, v9, v77, s[62:63]
	v_cndmask_b32_e64 v104, v12, v125, s[58:59]
	v_cndmask_b32_e64 v9, v9, v76, s[60:61]
	v_cmp_eq_u32_e64 s[58:59], 6, v106
	v_cndmask_b32_e64 v33, v59, v122, s[56:57]
	v_cndmask_b32_e64 v59, v27, v124, s[56:57]
	v_cndmask_b32_e64 v9, v9, v75, s[58:59]
	v_cndmask_b32_e64 v105, v11, v125, s[56:57]
	v_cmp_eq_u32_e64 s[56:57], 7, v106
	v_cndmask_b32_e64 v80, v41, v123, s[52:53]
	;; [unrolled: 5-line block ×3, first 2 shown]
	v_cndmask_b32_e64 v109, v96, v125, s[50:51]
	v_cndmask_b32_e64 v9, v9, v72, s[52:53]
	v_cmp_eq_u32_e64 s[50:51], 10, v106
	v_cndmask_b32_e64 v64, v42, v123, s[54:55]
	v_cndmask_b32_e64 v107, v10, v125, s[54:55]
	v_cndmask_b32_e64 v9, v9, v71, s[50:51]
	v_cmp_eq_u32_e64 s[54:55], 11, v106
	v_cndmask_b32_e64 v96, v23, v124, s[48:49]
	;; [unrolled: 4-line block ×3, first 2 shown]
	v_cndmask_b32_e64 v118, v53, v122, s[44:45]
	v_cndmask_b32_e64 v9, v9, v69, s[48:49]
	;; [unrolled: 1-line block ×4, first 2 shown]
	v_cmp_eq_u32_e64 s[44:45], 13, v106
	v_cndmask_b32_e64 v117, v4, v125, s[42:43]
	v_cmp_eq_u32_e64 s[42:43], 14, v106
	v_cndmask_b32_e64 v5, v9, v68, s[44:45]
	v_cndmask_b32_e64 v37, v35, v123, s[40:41]
	;; [unrolled: 1-line block ×4, first 2 shown]
	v_cmp_eq_u32_e64 s[40:41], 15, v106
	v_cndmask_b32_e64 v2, v2, v125, s[38:39]
	v_cndmask_b32_e64 v97, v22, v124, s[46:47]
	;; [unrolled: 1-line block ×3, first 2 shown]
	ds_bpermute_b32 v23, v115, v3
	v_cndmask_b32_e64 v49, v54, v122, s[46:47]
	v_cndmask_b32_e64 v54, v16, v124, s[36:37]
	s_waitcnt lgkmcnt(0)
	v_cndmask_b32_e64 v5, v68, v23, s[44:45]
	v_cndmask_b32_e64 v9, v69, v23, s[48:49]
	;; [unrolled: 1-line block ×4, first 2 shown]
	v_cmp_ne_u32_e64 s[38:39], 0, v99
	scratch_load_dword v99, off, off offset:44 ; 4-byte Folded Reload
	v_cndmask_b32_e64 v10, v70, v23, s[54:55]
	v_cndmask_b32_e64 v70, v1, v125, s[38:39]
	v_cmp_eq_u32_e64 s[38:39], 0, v106
	v_cndmask_b32_e64 v3, v65, v23, s[40:41]
	v_cndmask_b32_e64 v4, v67, v23, s[42:43]
	;; [unrolled: 1-line block ×15, first 2 shown]
	v_cndmask_b32_e32 v0, v23, v6, vcc
	v_cndmask_b32_e64 v0, v0, v68, s[6:7]
	v_cndmask_b32_e64 v0, v0, v36, s[8:9]
	v_cndmask_b32_e64 v0, v0, v66, s[10:11]
	v_cndmask_b32_e64 v0, v0, v118, s[12:13]
	v_cndmask_b32_e64 v0, v0, v49, s[14:15]
	v_cndmask_b32_e64 v0, v0, v47, s[16:17]
	v_cndmask_b32_e64 v0, v0, v46, s[18:19]
	v_cndmask_b32_e64 v0, v0, v45, s[20:21]
	v_cndmask_b32_e64 v0, v0, v44, s[22:23]
	v_cndmask_b32_e64 v0, v0, v33, s[74:75]
	v_cndmask_b32_e64 v0, v0, v31, s[76:77]
	v_cndmask_b32_e64 v0, v0, v30, s[78:79]
	v_cndmask_b32_e64 v0, v0, v29, s[80:81]
	v_cndmask_b32_e64 v0, v0, v28, s[34:35]
	ds_bpermute_b32 v122, v115, v0
	v_cndmask_b32_e32 v0, v38, v7, vcc
	v_cndmask_b32_e64 v0, v0, v69, s[6:7]
	v_cndmask_b32_e64 v0, v0, v37, s[8:9]
	v_cndmask_b32_e64 v0, v0, v84, s[10:11]
	v_cndmask_b32_e64 v0, v0, v119, s[12:13]
	v_cndmask_b32_e64 v0, v0, v83, s[14:15]
	v_cndmask_b32_e64 v0, v0, v82, s[16:17]
	v_cndmask_b32_e64 v0, v0, v81, s[18:19]
	v_cndmask_b32_e64 v0, v0, v80, s[20:21]
	v_cndmask_b32_e64 v0, v0, v64, s[22:23]
	v_cndmask_b32_e64 v0, v0, v43, s[74:75]
	v_cndmask_b32_e64 v0, v0, v60, s[76:77]
	v_cndmask_b32_e64 v0, v0, v61, s[78:79]
	v_cndmask_b32_e64 v0, v0, v62, s[80:81]
	v_cndmask_b32_e64 v0, v0, v63, s[34:35]
	ds_bpermute_b32 v123, v115, v0
	;; [unrolled: 16-line block ×4, first 2 shown]
	s_waitcnt lgkmcnt(2)
	v_cndmask_b32_e64 v48, v83, v123, s[14:15]
	scratch_load_dword v83, off, off offset:48 ; 4-byte Folded Reload
	s_waitcnt vmcnt(1)
	v_cmp_eq_u32_e64 s[36:37], 1, v99
	v_cndmask_b32_e64 v24, v28, v122, s[34:35]
	v_cndmask_b32_e64 v39, v63, v123, s[34:35]
	;; [unrolled: 1-line block ×3, first 2 shown]
	s_waitcnt lgkmcnt(1)
	v_cndmask_b32_e64 v55, v85, v124, s[34:35]
	s_waitcnt lgkmcnt(0)
	v_cndmask_b32_e64 v72, v101, v125, s[34:35]
	v_cmp_eq_u32_e64 s[34:35], 2, v99
	v_cmp_eq_u32_e64 s[88:89], 3, v99
	;; [unrolled: 1-line block ×3, first 2 shown]
	v_cndmask_b32_e64 v0, v0, v21, s[34:35]
	v_cndmask_b32_e64 v0, v0, v20, s[88:89]
	;; [unrolled: 1-line block ×3, first 2 shown]
	v_cmp_eq_u32_e64 s[94:95], 5, v99
	v_cmp_eq_u32_e64 s[96:97], 6, v99
	v_cndmask_b32_e64 v25, v29, v122, s[80:81]
	v_cndmask_b32_e64 v0, v0, v17, s[94:95]
	;; [unrolled: 1-line block ×8, first 2 shown]
	v_cmp_eq_u32_e64 s[22:23], 7, v99
	v_cndmask_b32_e64 v28, v33, v122, s[74:75]
	v_cndmask_b32_e64 v43, v43, v123, s[74:75]
	;; [unrolled: 1-line block ×5, first 2 shown]
	v_cmp_eq_u32_e64 s[74:75], 8, v99
	v_cndmask_b32_e64 v40, v62, v123, s[80:81]
	v_cndmask_b32_e64 v27, v31, v122, s[76:77]
	;; [unrolled: 1-line block ×7, first 2 shown]
	v_cmp_eq_u32_e64 s[18:19], 9, v99
	v_cndmask_b32_e64 v32, v47, v122, s[16:17]
	v_cndmask_b32_e64 v47, v82, v123, s[16:17]
	;; [unrolled: 1-line block ×5, first 2 shown]
	v_cmp_eq_u32_e64 s[16:17], 10, v99
	v_cndmask_b32_e64 v33, v49, v122, s[14:15]
	v_cndmask_b32_e64 v64, v97, v124, s[14:15]
	;; [unrolled: 1-line block ×4, first 2 shown]
	v_cmp_eq_u32_e64 s[14:15], 11, v99
	v_cndmask_b32_e64 v56, v89, v124, s[80:81]
	v_cndmask_b32_e64 v34, v118, v122, s[12:13]
	;; [unrolled: 1-line block ×6, first 2 shown]
	v_cmp_eq_u32_e64 s[12:13], 12, v99
	v_cmp_eq_u32_e64 s[84:85], 13, v99
	v_cndmask_b32_e64 v57, v90, v124, s[78:79]
	v_cndmask_b32_e64 v0, v0, v9, s[12:13]
	;; [unrolled: 1-line block ×7, first 2 shown]
	v_cmp_eq_u32_e64 s[10:11], 14, v99
	v_cndmask_b32_e64 v58, v91, v124, s[76:77]
	v_cndmask_b32_e64 v36, v36, v122, s[8:9]
	v_cndmask_b32_e64 v51, v37, v123, s[8:9]
	v_cndmask_b32_e64 v67, v52, v124, s[8:9]
	v_cndmask_b32_e64 v91, v53, v125, s[8:9]
	v_cndmask_b32_e64 v0, v0, v4, s[10:11]
	v_cmp_eq_u32_e64 s[8:9], 15, v99
	v_cndmask_b32_e64 v26, v30, v122, s[78:79]
	v_cndmask_b32_e64 v30, v45, v122, s[20:21]
	;; [unrolled: 1-line block ×4, first 2 shown]
	ds_bpermute_b32 v80, v115, v0
	v_cndmask_b32_e64 v92, v2, v125, s[6:7]
	v_cndmask_b32_e64 v37, v68, v122, s[6:7]
	v_cndmask_b32_e32 v53, v7, v123, vcc
	v_cndmask_b32_e64 v38, v38, v123, s[68:69]
	s_waitcnt lgkmcnt(0)
	v_cndmask_b32_e64 v2, v4, v80, s[10:11]
	v_cndmask_b32_e64 v4, v9, v80, s[12:13]
	;; [unrolled: 1-line block ×7, first 2 shown]
	v_cndmask_b32_e32 v19, v6, v122, vcc
	v_cndmask_b32_e64 v20, v23, v122, s[68:69]
	v_cndmask_b32_e64 v6, v20, v19, s[70:71]
	;; [unrolled: 1-line block ×19, first 2 shown]
	v_cndmask_b32_e32 v93, v70, v125, vcc
	v_cndmask_b32_e64 v70, v54, v124, s[68:69]
	ds_bpermute_b32 v54, v115, v6
	v_cndmask_b32_e64 v6, v38, v53, s[70:71]
	v_cndmask_b32_e64 v6, v6, v52, s[64:65]
	;; [unrolled: 1-line block ×15, first 2 shown]
	v_cndmask_b32_e32 v69, v8, v124, vcc
	v_cmp_eq_u32_e64 s[6:7], 0, v99
	v_cndmask_b32_e64 v6, v6, v39, s[40:41]
	v_cndmask_b32_e64 v0, v3, v80, s[8:9]
	;; [unrolled: 1-line block ×10, first 2 shown]
	ds_bpermute_b32 v80, v115, v6
	v_cndmask_b32_e64 v6, v70, v69, s[70:71]
	v_cndmask_b32_e64 v6, v6, v68, s[64:65]
	;; [unrolled: 1-line block ×16, first 2 shown]
	ds_bpermute_b32 v81, v115, v6
	v_cndmask_b32_e64 v6, v107, v93, s[70:71]
	v_cndmask_b32_e64 v6, v6, v92, s[64:65]
	;; [unrolled: 1-line block ×19, first 2 shown]
	ds_bpermute_b32 v82, v115, v6
	s_waitcnt vmcnt(0)
	v_cmp_eq_u32_e64 s[20:21], 1, v83
	v_cmp_eq_u32_e64 s[46:47], 2, v83
	s_waitcnt lgkmcnt(3)
	v_cndmask_b32_e64 v22, v25, v54, s[42:43]
	v_cndmask_b32_e64 v6, v1, v18, s[20:21]
	s_waitcnt lgkmcnt(0)
	v_cndmask_b32_e64 v108, v72, v82, s[40:41]
	v_cndmask_b32_e64 v6, v6, v17, s[46:47]
	;; [unrolled: 1-line block ×5, first 2 shown]
	v_cmp_eq_u32_e64 s[42:43], 3, v83
	v_cndmask_b32_e64 v21, v24, v54, s[40:41]
	v_cndmask_b32_e64 v39, v39, v80, s[40:41]
	;; [unrolled: 1-line block ×4, first 2 shown]
	v_cmp_eq_u32_e64 s[40:41], 4, v83
	v_cndmask_b32_e64 v117, v74, v82, s[44:45]
	v_cndmask_b32_e64 v24, v27, v54, s[48:49]
	;; [unrolled: 1-line block ×6, first 2 shown]
	v_cmp_eq_u32_e64 s[48:49], 5, v83
	v_cndmask_b32_e64 v25, v28, v54, s[54:55]
	v_cndmask_b32_e64 v43, v43, v80, s[54:55]
	;; [unrolled: 1-line block ×5, first 2 shown]
	v_cmp_eq_u32_e64 s[54:55], 6, v83
	scratch_load_dword v99, off, off offset:52 ; 4-byte Folded Reload
	v_cmp_eq_u32_e64 s[68:69], 7, v83
	v_cndmask_b32_e64 v6, v6, v13, s[54:55]
	v_cmp_eq_u32_e64 s[76:77], 8, v83
	v_cndmask_b32_e64 v6, v6, v12, s[68:69]
	v_cndmask_b32_e64 v121, v78, v82, s[52:53]
	;; [unrolled: 1-line block ×7, first 2 shown]
	v_cmp_eq_u32_e64 s[72:73], 9, v83
	v_cmp_eq_u32_e64 s[78:79], 10, v83
	v_cmp_eq_u32_e64 s[80:81], 11, v83
	v_cndmask_b32_e64 v6, v6, v10, s[72:73]
	v_cndmask_b32_e64 v6, v6, v9, s[78:79]
	;; [unrolled: 1-line block ×3, first 2 shown]
	v_cmp_eq_u32_e64 s[82:83], 12, v83
	v_cndmask_b32_e64 v23, v26, v54, s[44:45]
	v_cndmask_b32_e64 v26, v29, v54, s[50:51]
	;; [unrolled: 1-line block ×8, first 2 shown]
	v_cmp_eq_u32_e64 s[62:63], 13, v83
	v_cmp_eq_u32_e64 s[86:87], 14, v83
	;; [unrolled: 1-line block ×3, first 2 shown]
	v_cndmask_b32_e64 v6, v6, v3, s[62:63]
	v_cndmask_b32_e64 v6, v6, v2, s[86:87]
	;; [unrolled: 1-line block ×6, first 2 shown]
	ds_bpermute_b32 v36, v115, v6
	v_cndmask_b32_e64 v35, v19, v54, s[70:71]
	v_cndmask_b32_e64 v20, v20, v54, s[38:39]
	;; [unrolled: 1-line block ×4, first 2 shown]
	s_waitcnt lgkmcnt(0)
	v_cndmask_b32_e64 v7, v10, v36, s[72:73]
	v_cndmask_b32_e64 v10, v13, v36, s[54:55]
	;; [unrolled: 1-line block ×21, first 2 shown]
	ds_bpermute_b32 v102, v115, v16
	v_cndmask_b32_e64 v16, v54, v53, s[36:37]
	v_cndmask_b32_e64 v51, v51, v80, s[66:67]
	;; [unrolled: 1-line block ×25, first 2 shown]
	ds_bpermute_b32 v103, v115, v16
	v_cndmask_b32_e64 v16, v70, v69, s[36:37]
	v_cndmask_b32_e64 v67, v67, v81, s[66:67]
	v_cndmask_b32_e64 v16, v16, v68, s[34:35]
	v_cndmask_b32_e64 v16, v16, v67, s[88:89]
	v_cndmask_b32_e64 v65, v65, v81, s[60:61]
	v_cndmask_b32_e64 v16, v16, v66, s[92:93]
	v_cndmask_b32_e64 v64, v64, v81, s[58:59]
	v_cndmask_b32_e64 v16, v16, v65, s[94:95]
	v_cndmask_b32_e64 v79, v63, v81, s[56:57]
	v_cndmask_b32_e64 v16, v16, v64, s[96:97]
	v_cndmask_b32_e64 v16, v16, v79, s[22:23]
	v_cndmask_b32_e64 v120, v77, v82, s[50:51]
	v_cndmask_b32_e64 v77, v61, v81, s[52:53]
	v_cndmask_b32_e64 v16, v16, v78, s[74:75]
	v_cndmask_b32_e64 v76, v60, v81, s[50:51]
	v_cndmask_b32_e64 v16, v16, v77, s[18:19]
	v_cndmask_b32_e64 v16, v16, v76, s[16:17]
	v_cndmask_b32_e64 v16, v16, v75, s[14:15]
	v_cndmask_b32_e64 v73, v57, v81, s[44:45]
	v_cndmask_b32_e64 v16, v16, v74, s[12:13]
	v_cndmask_b32_e64 v16, v16, v73, s[84:85]
	v_cndmask_b32_e64 v16, v16, v72, s[10:11]
	v_cndmask_b32_e64 v110, v93, v82, s[70:71]
	v_cndmask_b32_e64 v107, v107, v82, s[38:39]
	v_cndmask_b32_e64 v16, v16, v71, s[8:9]
	v_cndmask_b32_e64 v126, v92, v82, s[64:65]
	ds_bpermute_b32 v104, v115, v16
	v_cndmask_b32_e64 v16, v107, v110, s[36:37]
	v_cndmask_b32_e64 v125, v91, v82, s[66:67]
	;; [unrolled: 1-line block ×19, first 2 shown]
	ds_bpermute_b32 v105, v115, v16
	v_cmp_eq_u32_e64 s[50:51], 0, v83
	v_cndmask_b32_e64 v6, v9, v36, s[78:79]
	v_cndmask_b32_e64 v9, v12, v36, s[68:69]
	v_cndmask_b32_e64 v12, v15, v36, s[40:41]
	v_cndmask_b32_e64 v15, v18, v36, s[20:21]
	v_cndmask_b32_e64 v1, v1, v36, s[50:51]
	s_waitcnt vmcnt(0)
	v_cmp_eq_u32_e32 vcc, 1, v99
	v_cndmask_b32_e64 v8, v11, v36, s[76:77]
	v_cndmask_b32_e64 v11, v14, v36, s[48:49]
	;; [unrolled: 1-line block ×3, first 2 shown]
	v_cndmask_b32_e32 v16, v1, v15, vcc
	s_waitcnt lgkmcnt(3)
	v_cndmask_b32_e64 v21, v21, v102, s[8:9]
	s_waitcnt lgkmcnt(2)
	v_cndmask_b32_e64 v55, v39, v103, s[8:9]
	s_waitcnt lgkmcnt(1)
	v_cndmask_b32_e64 v71, v71, v104, s[8:9]
	s_waitcnt lgkmcnt(0)
	v_cndmask_b32_e64 v108, v108, v105, s[8:9]
	v_cmp_eq_u32_e64 s[8:9], 2, v99
	v_cndmask_b32_e64 v0, v0, v36, s[90:91]
	v_cndmask_b32_e64 v2, v2, v36, s[86:87]
	;; [unrolled: 1-line block ×10, first 2 shown]
	v_cmp_eq_u32_e64 s[10:11], 3, v99
	v_cmp_eq_u32_e64 s[44:45], 4, v99
	;; [unrolled: 1-line block ×3, first 2 shown]
	v_cndmask_b32_e64 v16, v16, v13, s[10:11]
	v_cndmask_b32_e64 v16, v16, v12, s[44:45]
	;; [unrolled: 1-line block ×3, first 2 shown]
	v_cmp_eq_u32_e64 s[56:57], 6, v99
	v_cmp_eq_u32_e64 s[58:59], 7, v99
	;; [unrolled: 1-line block ×3, first 2 shown]
	v_cndmask_b32_e64 v16, v16, v10, s[56:57]
	v_cndmask_b32_e64 v16, v16, v9, s[58:59]
	;; [unrolled: 1-line block ×3, first 2 shown]
	v_cmp_eq_u32_e64 s[64:65], 9, v99
	v_cmp_eq_u32_e64 s[70:71], 10, v99
	v_cndmask_b32_e64 v28, v28, v102, s[74:75]
	v_cndmask_b32_e64 v16, v16, v7, s[64:65]
	;; [unrolled: 1-line block ×6, first 2 shown]
	v_cmp_eq_u32_e64 s[74:75], 11, v99
	v_cmp_eq_u32_e64 s[66:67], 12, v99
	v_cndmask_b32_e64 v37, v23, v102, s[84:85]
	v_cndmask_b32_e64 v16, v16, v5, s[74:75]
	;; [unrolled: 1-line block ×6, first 2 shown]
	v_cmp_eq_u32_e64 s[84:85], 13, v99
	v_cndmask_b32_e64 v33, v33, v102, s[88:89]
	v_cndmask_b32_e64 v51, v51, v103, s[88:89]
	;; [unrolled: 1-line block ×5, first 2 shown]
	v_cmp_eq_u32_e64 s[88:89], 14, v99
	v_cndmask_b32_e64 v32, v32, v102, s[92:93]
	v_cndmask_b32_e64 v50, v50, v103, s[92:93]
	;; [unrolled: 1-line block ×5, first 2 shown]
	v_cmp_eq_u32_e64 s[92:93], 15, v99
	v_cndmask_b32_e64 v41, v27, v102, s[18:19]
	v_cndmask_b32_e64 v58, v42, v103, s[12:13]
	;; [unrolled: 1-line block ×3, first 2 shown]
	ds_bpermute_b32 v27, v115, v16
	v_cndmask_b32_e64 v31, v31, v102, s[94:95]
	v_cndmask_b32_e64 v49, v49, v103, s[94:95]
	;; [unrolled: 1-line block ×4, first 2 shown]
	s_waitcnt lgkmcnt(0)
	v_cndmask_b32_e64 v18, v5, v27, s[74:75]
	scratch_load_dword v5, off, off offset:56 ; 4-byte Folded Reload
	v_cndmask_b32_e64 v35, v35, v102, s[36:37]
	v_cmp_eq_u32_e64 s[94:95], 0, v99
	v_cndmask_b32_e64 v42, v20, v102, s[6:7]
	v_cndmask_b32_e64 v38, v24, v102, s[12:13]
	v_cndmask_b32_e64 v39, v25, v102, s[14:15]
	v_cndmask_b32_e64 v40, v26, v102, s[16:17]
	v_cndmask_b32_e64 v34, v34, v102, s[34:35]
	v_cndmask_b32_e64 v0, v0, v27, s[92:93]
	v_cndmask_b32_e64 v2, v2, v27, s[88:89]
	v_cndmask_b32_e64 v16, v3, v27, s[84:85]
	v_cndmask_b32_e64 v17, v4, v27, s[66:67]
	v_cndmask_b32_e64 v19, v6, v27, s[70:71]
	v_cndmask_b32_e64 v22, v7, v27, s[64:65]
	v_cndmask_b32_e64 v23, v8, v27, s[60:61]
	v_cndmask_b32_e64 v24, v9, v27, s[58:59]
	v_cndmask_b32_e64 v25, v10, v27, s[56:57]
	v_cndmask_b32_e64 v26, v11, v27, s[52:53]
	v_cndmask_b32_e64 v12, v12, v27, s[44:45]
	v_cndmask_b32_e64 v13, v13, v27, s[10:11]
	v_cndmask_b32_e64 v14, v14, v27, s[8:9]
	v_cndmask_b32_e32 v15, v15, v27, vcc
	v_cndmask_b32_e64 v27, v1, v27, s[94:95]
	v_cndmask_b32_e64 v1, v42, v35, s[20:21]
	;; [unrolled: 1-line block ×22, first 2 shown]
	ds_bpermute_b32 v106, v115, v1
	v_cndmask_b32_e64 v1, v65, v64, s[20:21]
	v_cndmask_b32_e64 v1, v1, v52, s[46:47]
	;; [unrolled: 1-line block ×28, first 2 shown]
	ds_bpermute_b32 v99, v115, v1
	v_cndmask_b32_e64 v1, v119, v118, s[20:21]
	v_cndmask_b32_e64 v3, v102, v110, s[20:21]
	;; [unrolled: 1-line block ×37, first 2 shown]
	s_waitcnt vmcnt(0)
	v_cmp_eq_u32_e64 s[6:7], 1, v5
	v_cndmask_b32_e64 v1, v1, v71, s[90:91]
	v_cndmask_b32_e64 v3, v3, v108, s[90:91]
	ds_bpermute_b32 v1, v115, v1
	ds_bpermute_b32 v3, v115, v3
	v_cndmask_b32_e64 v4, v27, v15, s[6:7]
	v_cmp_eq_u32_e64 s[12:13], 2, v5
	v_cmp_eq_u32_e64 s[14:15], 3, v5
	;; [unrolled: 1-line block ×3, first 2 shown]
	v_cndmask_b32_e64 v4, v4, v14, s[12:13]
	v_cndmask_b32_e64 v4, v4, v13, s[14:15]
	;; [unrolled: 1-line block ×3, first 2 shown]
	v_cmp_eq_u32_e64 s[18:19], 5, v5
	v_cmp_eq_u32_e64 s[22:23], 6, v5
	s_waitcnt lgkmcnt(3)
	v_cndmask_b32_e64 v53, v40, v106, s[78:79]
	v_cndmask_b32_e64 v4, v4, v26, s[18:19]
	;; [unrolled: 1-line block ×3, first 2 shown]
	s_waitcnt lgkmcnt(2)
	v_cndmask_b32_e64 v78, v60, v99, s[78:79]
	s_waitcnt lgkmcnt(1)
	v_cndmask_b32_e64 v125, v76, v1, s[78:79]
	;; [unrolled: 2-line block ×3, first 2 shown]
	v_cmp_eq_u32_e64 s[78:79], 7, v5
	v_cndmask_b32_e64 v54, v41, v106, s[72:73]
	v_cndmask_b32_e64 v61, v61, v99, s[72:73]
	;; [unrolled: 1-line block ×5, first 2 shown]
	v_cmp_eq_u32_e64 s[72:73], 8, v5
	v_cndmask_b32_e64 v66, v55, v99, s[90:91]
	v_cndmask_b32_e64 v55, v28, v106, s[76:77]
	;; [unrolled: 1-line block ×6, first 2 shown]
	v_cmp_eq_u32_e64 s[76:77], 9, v5
	v_cmp_eq_u32_e64 s[34:35], 10, v5
	;; [unrolled: 1-line block ×3, first 2 shown]
	v_cndmask_b32_e64 v4, v4, v22, s[76:77]
	v_cndmask_b32_e64 v4, v4, v19, s[34:35]
	v_cndmask_b32_e64 v4, v4, v18, s[36:37]
	v_cmp_eq_u32_e64 s[38:39], 12, v5
	v_cndmask_b32_e64 v120, v71, v1, s[90:91]
	v_cndmask_b32_e64 v121, v72, v1, s[86:87]
	v_cndmask_b32_e64 v87, v63, v99, s[68:69]
	v_cndmask_b32_e64 v4, v4, v17, s[38:39]
	v_cndmask_b32_e64 v105, v32, v106, s[40:41]
	v_cndmask_b32_e64 v63, v50, v99, s[40:41]
	v_cndmask_b32_e64 v71, v92, v1, s[40:41]
	v_cndmask_b32_e64 v72, v97, v3, s[40:41]
	v_cmp_eq_u32_e64 s[40:41], 13, v5
	v_cndmask_b32_e64 v68, v57, v99, s[62:63]
	v_cndmask_b32_e64 v123, v74, v1, s[82:83]
	v_cndmask_b32_e64 v57, v30, v106, s[54:55]
	v_cndmask_b32_e64 v4, v4, v16, s[40:41]
	v_cndmask_b32_e64 v74, v33, v106, s[42:43]
	;; [unrolled: 9-line block ×3, first 2 shown]
	v_cmp_eq_u32_e64 s[46:47], 15, v5
	v_cndmask_b32_e64 v67, v56, v99, s[86:87]
	v_cndmask_b32_e64 v104, v109, v3, s[86:87]
	;; [unrolled: 1-line block ×3, first 2 shown]
	ds_bpermute_b32 v28, v115, v8
	v_cndmask_b32_e64 v69, v58, v99, s[82:83]
	v_cndmask_b32_e64 v70, v59, v99, s[80:81]
	;; [unrolled: 1-line block ×5, first 2 shown]
	s_waitcnt lgkmcnt(0)
	v_cndmask_b32_e64 v9, v2, v28, s[42:43]
	v_cndmask_b32_e64 v10, v16, v28, s[40:41]
	;; [unrolled: 1-line block ×5, first 2 shown]
	scratch_load_dword v99, off, off offset:60 ; 4-byte Folded Reload
	v_cndmask_b32_e64 v11, v17, v28, s[38:39]
	v_cndmask_b32_e64 v20, v18, v28, s[36:37]
	;; [unrolled: 1-line block ×8, first 2 shown]
	v_cmp_eq_u32_e64 s[20:21], 0, v5
	v_cndmask_b32_e64 v43, v21, v106, s[90:91]
	v_cndmask_b32_e64 v8, v0, v28, s[46:47]
	;; [unrolled: 1-line block ×16, first 2 shown]
	v_cndmask_b32_e32 v1, v28, v12, vcc
	v_cndmask_b32_e64 v1, v1, v93, s[8:9]
	v_cndmask_b32_e64 v1, v1, v74, s[10:11]
	v_cndmask_b32_e64 v58, v31, v106, s[48:49]
	v_cndmask_b32_e64 v1, v1, v105, s[44:45]
	v_cndmask_b32_e64 v1, v1, v58, s[52:53]
	v_cndmask_b32_e64 v56, v29, v106, s[68:69]
	v_cndmask_b32_e64 v1, v1, v57, s[56:57]
	v_cndmask_b32_e64 v1, v1, v56, s[58:59]
	v_cndmask_b32_e64 v1, v1, v55, s[60:61]
	v_cndmask_b32_e64 v1, v1, v54, s[64:65]
	v_cndmask_b32_e64 v47, v39, v106, s[80:81]
	v_cndmask_b32_e64 v1, v1, v53, s[70:71]
	v_cndmask_b32_e64 v46, v38, v106, s[82:83]
	v_cndmask_b32_e64 v1, v1, v47, s[74:75]
	v_cndmask_b32_e64 v45, v37, v106, s[62:63]
	v_cndmask_b32_e64 v1, v1, v46, s[66:67]
	v_cndmask_b32_e64 v44, v36, v106, s[86:87]
	v_cndmask_b32_e64 v1, v1, v45, s[84:85]
	v_cndmask_b32_e64 v1, v1, v44, s[88:89]
	v_cndmask_b32_e64 v1, v1, v43, s[92:93]
	ds_bpermute_b32 v42, v115, v1
	v_cndmask_b32_e32 v1, v16, v13, vcc
	v_cndmask_b32_e64 v1, v1, v4, s[8:9]
	v_cndmask_b32_e64 v1, v1, v60, s[10:11]
	;; [unrolled: 1-line block ×14, first 2 shown]
	ds_bpermute_b32 v29, v115, v1
	v_cndmask_b32_e32 v1, v19, v14, vcc
	v_cndmask_b32_e64 v1, v1, v97, s[8:9]
	v_cndmask_b32_e64 v1, v1, v30, s[10:11]
	;; [unrolled: 1-line block ×15, first 2 shown]
	ds_bpermute_b32 v31, v115, v1
	v_cndmask_b32_e32 v1, v27, v15, vcc
	v_cndmask_b32_e64 v1, v1, v7, s[8:9]
	v_cndmask_b32_e64 v1, v1, v6, s[10:11]
	;; [unrolled: 1-line block ×20, first 2 shown]
	ds_bpermute_b32 v40, v115, v1
	s_waitcnt vmcnt(0)
	v_cmp_eq_u32_e64 s[48:49], 1, v99
	v_cmp_eq_u32_e64 s[50:51], 2, v99
	;; [unrolled: 1-line block ×3, first 2 shown]
	v_cndmask_b32_e64 v1, v0, v18, s[48:49]
	v_cndmask_b32_e64 v1, v1, v17, s[50:51]
	;; [unrolled: 1-line block ×3, first 2 shown]
	v_cmp_eq_u32_e64 s[62:63], 4, v99
	s_waitcnt lgkmcnt(3)
	v_cndmask_b32_e64 v75, v46, v42, s[66:67]
	s_waitcnt lgkmcnt(2)
	v_cndmask_b32_e64 v39, v69, v29, s[66:67]
	v_cndmask_b32_e64 v1, v1, v92, s[62:63]
	s_waitcnt lgkmcnt(1)
	v_cndmask_b32_e64 v35, v123, v31, s[66:67]
	s_waitcnt lgkmcnt(0)
	v_cndmask_b32_e64 v51, v85, v40, s[66:67]
	v_cmp_eq_u32_e64 s[66:67], 5, v99
	v_cmp_eq_u32_e64 s[68:69], 6, v99
	v_cndmask_b32_e64 v59, v43, v42, s[92:93]
	v_cndmask_b32_e64 v1, v1, v26, s[66:67]
	v_cndmask_b32_e64 v1, v1, v25, s[68:69]
	v_cndmask_b32_e64 v77, v53, v42, s[70:71]
	v_cndmask_b32_e64 v43, v78, v29, s[70:71]
	v_cndmask_b32_e64 v53, v125, v31, s[70:71]
	v_cndmask_b32_e64 v65, v80, v40, s[70:71]
	v_cmp_eq_u32_e64 s[70:71], 7, v99
	v_cndmask_b32_e64 v36, v66, v29, s[92:93]
	v_cndmask_b32_e64 v62, v44, v42, s[88:89]
	v_cndmask_b32_e64 v1, v1, v24, s[70:71]
	v_cndmask_b32_e64 v78, v54, v42, s[64:65]
	v_cndmask_b32_e64 v44, v61, v29, s[64:65]
	v_cndmask_b32_e64 v54, v126, v31, s[64:65]
	v_cndmask_b32_e64 v66, v81, v40, s[64:65]
	;; [unrolled: 8-line block ×3, first 2 shown]
	v_cmp_eq_u32_e64 s[60:61], 9, v99
	v_cndmask_b32_e64 v38, v68, v29, s[84:85]
	v_cndmask_b32_e64 v86, v56, v42, s[58:59]
	v_cndmask_b32_e64 v1, v1, v22, s[60:61]
	v_cndmask_b32_e64 v46, v87, v29, s[58:59]
	v_cndmask_b32_e64 v56, v108, v31, s[58:59]
	v_cndmask_b32_e64 v68, v83, v40, s[58:59]
	v_cmp_eq_u32_e64 s[58:59], 10, v99
	v_cndmask_b32_e64 v76, v47, v42, s[74:75]
	v_cndmask_b32_e64 v87, v57, v42, s[56:57]
	v_cndmask_b32_e64 v1, v1, v21, s[58:59]
	v_cndmask_b32_e64 v47, v89, v29, s[56:57]
	v_cndmask_b32_e64 v57, v109, v31, s[56:57]
	v_cndmask_b32_e64 v69, v96, v40, s[56:57]
	v_cmp_eq_u32_e64 s[56:57], 11, v99
	v_cndmask_b32_e64 v41, v70, v29, s[74:75]
	v_cndmask_b32_e64 v80, v58, v42, s[52:53]
	v_cndmask_b32_e64 v1, v1, v20, s[56:57]
	v_cndmask_b32_e64 v61, v90, v29, s[52:53]
	v_cndmask_b32_e64 v58, v91, v31, s[52:53]
	v_cndmask_b32_e64 v70, v94, v40, s[52:53]
	v_cmp_eq_u32_e64 s[52:53], 12, v99
	v_cndmask_b32_e64 v82, v105, v42, s[44:45]
	v_cndmask_b32_e64 v81, v63, v29, s[44:45]
	v_cndmask_b32_e64 v1, v1, v11, s[52:53]
	v_cndmask_b32_e64 v63, v71, v31, s[44:45]
	v_cndmask_b32_e64 v71, v72, v40, s[44:45]
	v_cmp_eq_u32_e64 s[44:45], 13, v99
	v_cndmask_b32_e64 v74, v74, v42, s[10:11]
	v_cndmask_b32_e64 v60, v60, v29, s[10:11]
	v_cndmask_b32_e64 v1, v1, v10, s[44:45]
	v_cndmask_b32_e64 v72, v30, v31, s[10:11]
	v_cndmask_b32_e64 v83, v6, v40, s[10:11]
	;; [unrolled: 6-line block ×3, first 2 shown]
	v_cndmask_b32_e64 v89, v7, v40, s[8:9]
	v_cmp_eq_u32_e64 s[8:9], 15, v99
	v_cndmask_b32_e32 v91, v12, v42, vcc
	v_cndmask_b32_e32 v93, v13, v29, vcc
	v_cndmask_b32_e64 v1, v1, v8, s[8:9]
	ds_bpermute_b32 v90, v115, v1
	v_cndmask_b32_e32 v96, v15, v40, vcc
	v_cndmask_b32_e32 v94, v14, v31, vcc
	v_cndmask_b32_e64 v16, v16, v29, s[94:95]
	v_cndmask_b32_e64 v32, v120, v31, s[92:93]
	s_waitcnt lgkmcnt(0)
	v_cndmask_b32_e64 v12, v11, v90, s[52:53]
	v_cndmask_b32_e64 v11, v20, v90, s[56:57]
	;; [unrolled: 1-line block ×20, first 2 shown]
	ds_bpermute_b32 v21, v115, v1
	v_cndmask_b32_e64 v3, v2, v90, s[54:55]
	v_cndmask_b32_e64 v2, v17, v90, s[50:51]
	;; [unrolled: 1-line block ×4, first 2 shown]
	s_waitcnt lgkmcnt(0)
	v_cndmask_b32_e64 v17, v59, v21, s[46:47]
	v_cndmask_b32_e64 v42, v78, v21, s[76:77]
	;; [unrolled: 1-line block ×36, first 2 shown]
	ds_bpermute_b32 v80, v115, v20
	v_cndmask_b32_e64 v33, v121, v31, s[88:89]
	v_cndmask_b32_e64 v34, v122, v31, s[84:85]
	;; [unrolled: 1-line block ×4, first 2 shown]
	s_waitcnt lgkmcnt(0)
	v_cndmask_b32_e64 v31, v17, v80, s[8:9]
	v_cndmask_b32_e64 v17, v16, v93, s[6:7]
	;; [unrolled: 1-line block ×16, first 2 shown]
	ds_bpermute_b32 v17, v115, v17
	v_cndmask_b32_e64 v20, v76, v80, s[62:63]
	v_cndmask_b32_e64 v21, v75, v80, s[66:67]
	;; [unrolled: 1-line block ×4, first 2 shown]
	s_waitcnt lgkmcnt(0)
	v_cndmask_b32_e64 v76, v81, v17, s[16:17]
	v_cndmask_b32_e64 v81, v84, v17, s[12:13]
	;; [unrolled: 1-line block ×38, first 2 shown]
	v_cmp_eq_u32_e32 vcc, 0, v99
	v_cndmask_b32_e64 v16, v16, v36, s[8:9]
	v_cndmask_b32_e64 v5, v26, v90, s[66:67]
	;; [unrolled: 1-line block ×3, first 2 shown]
	v_cndmask_b32_e32 v0, v0, v90, vcc
	ds_bpermute_b32 v90, v115, v16
	v_cndmask_b32_e64 v26, v25, v80, s[58:59]
	v_cndmask_b32_e64 v25, v42, v80, s[60:61]
	v_cndmask_b32_e64 v30, v18, v80, s[10:11]
	v_cndmask_b32_e64 v19, v74, v80, s[54:55]
	s_waitcnt lgkmcnt(0)
	v_cndmask_b32_e64 v47, v36, v90, s[8:9]
	v_cndmask_b32_e64 v36, v82, v94, s[6:7]
	;; [unrolled: 1-line block ×18, first 2 shown]
	ds_bpermute_b32 v59, v115, v36
	v_cndmask_b32_e64 v18, v77, v80, s[50:51]
	v_cndmask_b32_e64 v17, v78, v80, s[48:49]
	v_cndmask_b32_e32 v16, v79, v80, vcc
	v_cndmask_b32_e64 v46, v37, v90, s[10:11]
	s_waitcnt lgkmcnt(0)
	v_cndmask_b32_e64 v80, v94, v59, s[6:7]
	v_cndmask_b32_e64 v82, v82, v59, s[20:21]
	;; [unrolled: 1-line block ×39, first 2 shown]
	ds_bpermute_b32 v85, v115, v32
	v_cndmask_b32_e64 v35, v60, v90, s[54:55]
	v_cndmask_b32_e64 v34, v81, v90, s[50:51]
	;; [unrolled: 1-line block ×3, first 2 shown]
	v_cndmask_b32_e32 v32, v87, v90, vcc
	s_waitcnt lgkmcnt(0)
	v_cndmask_b32_e64 v59, v52, v85, s[56:57]
	v_cndmask_b32_e64 v52, v86, v96, s[6:7]
	;; [unrolled: 1-line block ×18, first 2 shown]
	ds_bpermute_b32 v73, v115, v52
	v_cndmask_b32_e64 v60, v74, v85, s[52:53]
	v_cndmask_b32_e64 v57, v54, v85, s[60:61]
	;; [unrolled: 1-line block ×4, first 2 shown]
	s_waitcnt lgkmcnt(0)
	v_cndmask_b32_e64 v90, v96, v73, s[6:7]
	scratch_load_dwordx2 v[96:97], off, off offset:20 ; 8-byte Folded Reload
	v_cndmask_b32_e64 v86, v86, v73, s[20:21]
	v_cndmask_b32_e64 v74, v48, v73, s[46:47]
	;; [unrolled: 1-line block ×31, first 2 shown]
	ds_bpermute_b32 v91, v115, v48
	v_readlane_b32 s6, v127, 30
	v_readlane_b32 s7, v127, 31
	;; [unrolled: 1-line block ×5, first 2 shown]
	v_cndmask_b32_e64 v62, v62, v85, s[10:11]
	v_cndmask_b32_e64 v58, v53, v85, s[58:59]
	;; [unrolled: 1-line block ×7, first 2 shown]
	v_cndmask_b32_e32 v48, v82, v85, vcc
	s_waitcnt lgkmcnt(0)
	v_cndmask_b32_e64 v79, v74, v91, s[8:9]
	v_cndmask_b32_e64 v78, v75, v91, s[10:11]
	;; [unrolled: 1-line block ×15, first 2 shown]
	v_cndmask_b32_e32 v64, v86, v91, vcc
	s_mov_b32 s12, 0
	v_readlane_b32 s35, v127, 11
	v_readlane_b32 s37, v127, 13
	;; [unrolled: 1-line block ×10, first 2 shown]
                                        ; implicit-def: $sgpr8_sgpr9
	s_waitcnt vmcnt(0)
	v_lshl_add_u64 v[86:87], s[6:7], 0, v[96:97]
	s_mov_b64 s[6:7], 0
	s_branch .LBB303_34
.LBB303_33:                             ;   in Loop: Header=BB303_34 Depth=2
	s_or_b64 exec, exec, s[10:11]
	s_and_b64 s[10:11], exec, s[8:9]
	s_or_b64 s[6:7], s[10:11], s[6:7]
	s_andn2_b64 exec, exec, s[6:7]
	s_cbranch_execz .LBB303_36
.LBB303_34:                             ;   Parent Loop BB303_7 Depth=1
                                        ; =>  This Inner Loop Header: Depth=2
	s_and_b32 s10, s12, 2
	s_and_b32 s11, s5, 24
	s_or_b32 s10, s11, s10
	v_or_b32_e32 v80, s10, v114
	v_add_u32_e32 v81, s99, v80
	v_cmp_gt_u32_e32 vcc, 32, v81
	s_or_b64 s[8:9], s[8:9], exec
	s_and_saveexec_b64 s[10:11], vcc
	s_cbranch_execz .LBB303_33
; %bb.35:                               ;   in Loop: Header=BB303_34 Depth=2
	s_add_i32 s13, s12, 1
	s_set_gpr_idx_on s12, gpr_idx(SRC0)
	v_mov_b32_e32 v81, v0
	s_set_gpr_idx_off
	v_cvt_f16_f32_e32 v82, v81
	s_set_gpr_idx_on s13, gpr_idx(SRC0)
	v_mov_b32_e32 v81, v0
	s_set_gpr_idx_off
	v_cvt_f16_f32_sdwa v83, v81 dst_sel:WORD_1 dst_unused:UNUSED_PAD src0_sel:DWORD
	v_mul_lo_u32 v80, v80, s25
	v_ashrrev_i32_e32 v81, 31, v80
	v_lshl_add_u64 v[80:81], v[80:81], 1, v[86:87]
	v_or_b32_e32 v82, v83, v82
	;;#ASMSTART
	global_atomic_pk_add_f16 v[80:81], v82, off
	
	;;#ASMEND
	s_set_gpr_idx_on s12, gpr_idx(SRC0)
	v_mov_b32_e32 v82, v16
	s_set_gpr_idx_off
	v_cvt_f16_f32_e32 v84, v82
	s_set_gpr_idx_on s13, gpr_idx(SRC0)
	v_mov_b32_e32 v82, v16
	s_set_gpr_idx_off
	v_cvt_f16_f32_sdwa v85, v82 dst_sel:WORD_1 dst_unused:UNUSED_PAD src0_sel:DWORD
	v_lshl_add_u64 v[82:83], v[80:81], 0, 64
	s_mov_b64 s[14:15], 0x80
	s_add_i32 s5, s5, 4
	v_or_b32_e32 v84, v85, v84
	;;#ASMSTART
	global_atomic_pk_add_f16 v[82:83], v84, off
	
	;;#ASMEND
	s_set_gpr_idx_on s12, gpr_idx(SRC0)
	v_mov_b32_e32 v82, v32
	s_set_gpr_idx_off
	v_cvt_f16_f32_e32 v84, v82
	s_set_gpr_idx_on s13, gpr_idx(SRC0)
	v_mov_b32_e32 v82, v32
	s_set_gpr_idx_off
	v_cvt_f16_f32_sdwa v85, v82 dst_sel:WORD_1 dst_unused:UNUSED_PAD src0_sel:DWORD
	v_lshl_add_u64 v[82:83], v[80:81], 0, s[14:15]
	s_mov_b64 s[14:15], 0xc0
	v_or_b32_e32 v84, v85, v84
	;;#ASMSTART
	global_atomic_pk_add_f16 v[82:83], v84, off
	
	;;#ASMEND
	s_set_gpr_idx_on s12, gpr_idx(SRC0)
	v_mov_b32_e32 v82, v48
	s_set_gpr_idx_off
	v_cvt_f16_f32_e32 v84, v82
	s_set_gpr_idx_on s13, gpr_idx(SRC0)
	v_mov_b32_e32 v82, v48
	s_set_gpr_idx_off
	v_cvt_f16_f32_sdwa v85, v82 dst_sel:WORD_1 dst_unused:UNUSED_PAD src0_sel:DWORD
	v_lshl_add_u64 v[82:83], v[80:81], 0, s[14:15]
	s_mov_b64 s[14:15], 0x100
	v_lshl_add_u64 v[80:81], v[80:81], 0, s[14:15]
	v_or_b32_e32 v84, v85, v84
	;;#ASMSTART
	global_atomic_pk_add_f16 v[82:83], v84, off
	
	;;#ASMEND
	s_set_gpr_idx_on s12, gpr_idx(SRC0)
	v_mov_b32_e32 v82, v64
	s_set_gpr_idx_off
	v_cvt_f16_f32_e32 v82, v82
	s_set_gpr_idx_on s13, gpr_idx(SRC0)
	v_mov_b32_e32 v83, v64
	s_set_gpr_idx_off
	s_add_i32 s12, s12, 2
	v_cvt_f16_f32_sdwa v83, v83 dst_sel:WORD_1 dst_unused:UNUSED_PAD src0_sel:DWORD
	s_cmp_eq_u32 s12, 16
	s_cselect_b64 s[14:15], -1, 0
	s_andn2_b64 s[8:9], s[8:9], exec
	s_and_b64 s[14:15], s[14:15], exec
	s_or_b64 s[8:9], s[8:9], s[14:15]
	v_or_b32_e32 v82, v83, v82
	;;#ASMSTART
	global_atomic_pk_add_f16 v[80:81], v82, off
	
	;;#ASMEND
	s_branch .LBB303_33
.LBB303_36:                             ;   in Loop: Header=BB303_7 Depth=1
	s_or_b64 exec, exec, s[6:7]
	scratch_load_dword v85, off, off offset:28 ; 4-byte Folded Reload
	v_readlane_b32 s16, v127, 2
	v_readlane_b32 s14, v127, 0
	;; [unrolled: 1-line block ×13, first 2 shown]
.LBB303_37:                             ;   in Loop: Header=BB303_7 Depth=1
	v_readlane_b32 s6, v127, 25
	v_readlane_b32 s7, v127, 26
	s_or_b64 exec, exec, s[6:7]
.LBB303_38:                             ;   in Loop: Header=BB303_7 Depth=1
	s_or_saveexec_b64 s[0:1], s[0:1]
	v_readlane_b32 s48, v127, 23
	s_mov_b32 s13, s4
	v_readlane_b32 s49, v127, 24
	s_xor_b64 exec, exec, s[0:1]
	s_cbranch_execz .LBB303_47
; %bb.39:                               ;   in Loop: Header=BB303_7 Depth=1
	s_mul_i32 s12, s98, 5
	v_cmp_gt_i32_e32 vcc, s12, v116
	s_and_saveexec_b64 s[6:7], vcc
	s_cbranch_execz .LBB303_46
; %bb.40:                               ;   in Loop: Header=BB303_7 Depth=1
	scratch_load_dwordx2 v[0:1], off, off offset:80 ; 8-byte Folded Reload
	scratch_load_dwordx2 v[2:3], off, off offset:8 ; 8-byte Folded Reload
	s_mul_i32 s4, s68, s27
	s_ashr_i32 s5, s4, 31
	s_add_u32 s4, s18, s4
	s_addc_u32 s5, s19, s5
	s_ashr_i32 s8, s13, 31
	s_add_u32 s4, s4, s13
	s_addc_u32 s5, s5, s8
	s_waitcnt vmcnt(1)
	v_lshl_add_u64 v[0:1], s[4:5], 0, v[0:1]
	s_waitcnt vmcnt(0)
	v_lshl_add_u64 v[8:9], v[0:1], 0, v[2:3]
	s_mov_b64 s[4:5], 0
	s_branch .LBB303_42
.LBB303_41:                             ;   in Loop: Header=BB303_42 Depth=2
	s_or_b64 exec, exec, s[8:9]
	v_lshl_or_b32 v12, v10, 11, v111
	;;#ASMSTART
	s_waitcnt vmcnt(1)
	;;#ASMEND
	ds_write2_b32 v12, v4, v5 offset1:32
	ds_write2_b32 v12, v6, v7 offset0:64 offset1:96
	v_add_u32_e32 v4, 0x400, v12
	v_add_u32_e32 v116, s30, v116
	;;#ASMSTART
	s_waitcnt vmcnt(0)
	;;#ASMEND
	ds_write2_b32 v4, v0, v1 offset1:32
	ds_write2_b32 v4, v2, v3 offset0:64 offset1:96
	v_add_u32_e32 v0, 1, v95
	v_add_u32_e32 v88, s30, v10
	v_cmp_le_i32_e32 vcc, s12, v116
	ds_write_b32 v11, v0 offset:24
	v_add_u32_e32 v0, 2, v95
	s_or_b64 s[4:5], vcc, s[4:5]
	v_cmp_lt_i32_e32 vcc, 9, v88
	s_nop 1
	v_cndmask_b32_e32 v95, v95, v0, vcc
	s_andn2_b64 exec, exec, s[4:5]
	s_cbranch_execz .LBB303_45
.LBB303_42:                             ;   Parent Loop BB303_7 Depth=1
                                        ; =>  This Loop Header: Depth=2
                                        ;       Child Loop BB303_44 Depth 3
	v_cmp_gt_i32_e32 vcc, 10, v88
	s_mov_b32 s8, 0x66666667
	s_nop 0
	v_cndmask_b32_e64 v0, -10, 0, vcc
	v_add_u32_e32 v10, v0, v88
	v_mul_hi_i32 v0, v116, s8
	v_lshrrev_b32_e32 v1, 31, v0
	v_ashrrev_i32_e32 v0, 1, v0
	v_add_u32_e32 v0, v0, v1
	v_lshl_add_u32 v1, v0, 2, v0
	v_sub_u32_e32 v2, v116, v1
	v_lshlrev_b32_e32 v0, 6, v0
	v_ashrrev_i32_e32 v1, 31, v0
	v_mul_lo_u32 v2, s33, v2
	v_lshl_add_u64 v[0:1], v[8:9], 0, v[0:1]
	v_ashrrev_i32_e32 v3, 31, v2
	v_lshl_add_u64 v[0:1], v[0:1], 0, v[2:3]
	v_lshlrev_b32_e32 v11, 2, v10
	;;#ASMSTART
	global_load_dwordx4 v[4:7], v[0:1], off offset:0   sc0 sc1 nt  
	global_load_dwordx4 v[0:3], v[0:1], off offset:32  sc0 sc1 nt  
	
	;;#ASMEND
	ds_read_b32 v12, v11 offset:32792
	v_add_u32_e32 v11, 0x8000, v11
	s_waitcnt lgkmcnt(0)
	v_cmp_ne_u32_e32 vcc, v12, v95
	s_and_saveexec_b64 s[8:9], vcc
	s_cbranch_execz .LBB303_41
; %bb.43:                               ;   in Loop: Header=BB303_42 Depth=2
	s_mov_b64 s[10:11], 0
.LBB303_44:                             ;   Parent Loop BB303_7 Depth=1
                                        ;     Parent Loop BB303_42 Depth=2
                                        ; =>    This Inner Loop Header: Depth=3
	;;#ASMSTART
	s_sleep 0
	;;#ASMEND
	ds_read_b32 v12, v11 offset:24
	s_waitcnt lgkmcnt(0)
	v_cmp_eq_u32_e32 vcc, v12, v95
	s_or_b64 s[10:11], vcc, s[10:11]
	s_andn2_b64 exec, exec, s[10:11]
	s_cbranch_execnz .LBB303_44
	s_branch .LBB303_41
.LBB303_45:                             ;   in Loop: Header=BB303_7 Depth=1
	s_or_b64 exec, exec, s[4:5]
.LBB303_46:                             ;   in Loop: Header=BB303_7 Depth=1
	s_or_b64 exec, exec, s[6:7]
	v_subrev_u32_e32 v116, s12, v116
.LBB303_47:                             ;   in Loop: Header=BB303_7 Depth=1
	s_or_b64 exec, exec, s[0:1]
.LBB303_48:                             ;   in Loop: Header=BB303_7 Depth=1
	s_andn2_saveexec_b64 s[0:1], s[48:49]
	s_cbranch_execz .LBB303_6
; %bb.49:                               ;   in Loop: Header=BB303_7 Depth=1
	s_mul_i32 s98, s98, 3
	v_cmp_gt_i32_e32 vcc, s98, v116
	s_and_saveexec_b64 s[4:5], vcc
	s_cbranch_execz .LBB303_5
; %bb.50:                               ;   in Loop: Header=BB303_7 Depth=1
	scratch_load_dword v0, off, off offset:16 ; 4-byte Folded Reload
	scratch_load_dwordx2 v[4:5], off, off offset:8 ; 8-byte Folded Reload
	s_mul_i32 s6, s47, s26
	s_ashr_i32 s7, s6, 31
	s_add_u32 s6, s16, s6
	s_addc_u32 s7, s17, s7
	s_ashr_i32 s8, s13, 31
	s_add_u32 s6, s6, s13
	s_addc_u32 s7, s7, s8
	s_waitcnt vmcnt(2)
	v_add_u32_e32 v2, s99, v85
	s_movk_i32 s8, 0x60
	v_cmp_gt_u32_e32 vcc, s8, v2
	v_sub_u32_e32 v10, 0x5f, v2
	s_waitcnt vmcnt(1)
	v_cndmask_b32_e32 v0, 0, v0, vcc
	v_ashrrev_i32_e32 v1, 31, v0
	v_lshl_add_u64 v[0:1], s[6:7], 0, v[0:1]
	s_waitcnt vmcnt(0)
	v_lshl_add_u64 v[8:9], v[0:1], 0, v[4:5]
	s_mov_b64 s[6:7], 0
	s_branch .LBB303_52
.LBB303_51:                             ;   in Loop: Header=BB303_52 Depth=2
	s_or_b64 exec, exec, s[8:9]
	v_lshl_add_u32 v13, v11, 11, v113
	;;#ASMSTART
	s_waitcnt vmcnt(1)
	;;#ASMEND
	ds_write2_b32 v13, v4, v5 offset1:32
	ds_write2_b32 v13, v6, v7 offset0:64 offset1:96
	v_add_u32_e32 v4, 0x400, v13
	v_add_u32_e32 v116, s29, v116
	;;#ASMSTART
	s_waitcnt vmcnt(0)
	;;#ASMEND
	ds_write2_b32 v4, v0, v1 offset1:32
	ds_write2_b32 v4, v2, v3 offset0:64 offset1:96
	v_add_u32_e32 v0, 1, v95
	v_add_u32_e32 v88, s29, v11
	v_cmp_le_i32_e32 vcc, s98, v116
	ds_write_b32 v12, v0
	v_add_u32_e32 v0, 2, v95
	s_or_b64 s[6:7], vcc, s[6:7]
	v_cmp_lt_i32_e32 vcc, 5, v88
	s_nop 1
	v_cndmask_b32_e32 v95, v95, v0, vcc
	s_andn2_b64 exec, exec, s[6:7]
	s_cbranch_execz .LBB303_4
.LBB303_52:                             ;   Parent Loop BB303_7 Depth=1
                                        ; =>  This Loop Header: Depth=2
                                        ;       Child Loop BB303_54 Depth 3
	v_cmp_gt_i32_e32 vcc, 6, v88
	s_mov_b32 s8, 0x55555556
	s_nop 0
	v_cndmask_b32_e64 v0, -6, 0, vcc
	v_add_u32_e32 v11, v0, v88
	v_mul_hi_i32 v0, v116, s8
	v_lshrrev_b32_e32 v1, 31, v0
	v_add_u32_e32 v0, v0, v1
	v_lshl_add_u32 v1, v0, 1, v0
	v_sub_u32_e32 v1, v116, v1
	v_lshlrev_b32_e32 v1, 5, v1
	v_cmp_le_i32_e32 vcc, v1, v10
	v_lshlrev_b32_e32 v0, 6, v0
	v_lshlrev_b32_e32 v12, 2, v11
	v_cndmask_b32_e32 v2, 0, v1, vcc
	v_ashrrev_i32_e32 v1, 31, v0
	v_mul_lo_u32 v2, v2, s26
	v_lshl_add_u64 v[0:1], v[8:9], 0, v[0:1]
	v_ashrrev_i32_e32 v3, 31, v2
	v_lshl_add_u64 v[0:1], v[0:1], 0, v[2:3]
	;;#ASMSTART
	global_load_dwordx4 v[4:7], v[0:1], off offset:0   
	global_load_dwordx4 v[0:3], v[0:1], off offset:32  
	
	;;#ASMEND
	ds_read_b32 v13, v12 offset:32768
	v_add_u32_e32 v12, 0x8000, v12
	s_waitcnt lgkmcnt(0)
	v_cmp_ne_u32_e32 vcc, v13, v95
	s_and_saveexec_b64 s[8:9], vcc
	s_cbranch_execz .LBB303_51
; %bb.53:                               ;   in Loop: Header=BB303_52 Depth=2
	s_mov_b64 s[10:11], 0
.LBB303_54:                             ;   Parent Loop BB303_7 Depth=1
                                        ;     Parent Loop BB303_52 Depth=2
                                        ; =>    This Inner Loop Header: Depth=3
	;;#ASMSTART
	s_sleep 0
	;;#ASMEND
	ds_read_b32 v13, v12
	s_waitcnt lgkmcnt(0)
	v_cmp_eq_u32_e32 vcc, v13, v95
	s_or_b64 s[10:11], vcc, s[10:11]
	s_andn2_b64 exec, exec, s[10:11]
	s_cbranch_execnz .LBB303_54
	s_branch .LBB303_51
.LBB303_55:
	s_endpgm
	.section	.rodata,"a",@progbits
	.p2align	6, 0x0
	.amdhsa_kernel _Z19_skinny_gemm_kernelILi3ELi5ELi2ELi32ELi4EEvPKhS1_P6__halfPKfiiiiiiii
		.amdhsa_group_segment_fixed_size 32832
		.amdhsa_private_segment_fixed_size 92
		.amdhsa_kernarg_size 64
		.amdhsa_user_sgpr_count 2
		.amdhsa_user_sgpr_dispatch_ptr 0
		.amdhsa_user_sgpr_queue_ptr 0
		.amdhsa_user_sgpr_kernarg_segment_ptr 1
		.amdhsa_user_sgpr_dispatch_id 0
		.amdhsa_user_sgpr_kernarg_preload_length 0
		.amdhsa_user_sgpr_kernarg_preload_offset 0
		.amdhsa_user_sgpr_private_segment_size 0
		.amdhsa_uses_dynamic_stack 0
		.amdhsa_enable_private_segment 1
		.amdhsa_system_sgpr_workgroup_id_x 1
		.amdhsa_system_sgpr_workgroup_id_y 0
		.amdhsa_system_sgpr_workgroup_id_z 0
		.amdhsa_system_sgpr_workgroup_info 0
		.amdhsa_system_vgpr_workitem_id 0
		.amdhsa_next_free_vgpr 128
		.amdhsa_next_free_sgpr 100
		.amdhsa_accum_offset 128
		.amdhsa_reserve_vcc 1
		.amdhsa_float_round_mode_32 0
		.amdhsa_float_round_mode_16_64 0
		.amdhsa_float_denorm_mode_32 3
		.amdhsa_float_denorm_mode_16_64 3
		.amdhsa_dx10_clamp 1
		.amdhsa_ieee_mode 1
		.amdhsa_fp16_overflow 0
		.amdhsa_tg_split 0
		.amdhsa_exception_fp_ieee_invalid_op 0
		.amdhsa_exception_fp_denorm_src 0
		.amdhsa_exception_fp_ieee_div_zero 0
		.amdhsa_exception_fp_ieee_overflow 0
		.amdhsa_exception_fp_ieee_underflow 0
		.amdhsa_exception_fp_ieee_inexact 0
		.amdhsa_exception_int_div_zero 0
	.end_amdhsa_kernel
	.section	.text._Z19_skinny_gemm_kernelILi3ELi5ELi2ELi32ELi4EEvPKhS1_P6__halfPKfiiiiiiii,"axG",@progbits,_Z19_skinny_gemm_kernelILi3ELi5ELi2ELi32ELi4EEvPKhS1_P6__halfPKfiiiiiiii,comdat
.Lfunc_end303:
	.size	_Z19_skinny_gemm_kernelILi3ELi5ELi2ELi32ELi4EEvPKhS1_P6__halfPKfiiiiiiii, .Lfunc_end303-_Z19_skinny_gemm_kernelILi3ELi5ELi2ELi32ELi4EEvPKhS1_P6__halfPKfiiiiiiii
                                        ; -- End function
	.set _Z19_skinny_gemm_kernelILi3ELi5ELi2ELi32ELi4EEvPKhS1_P6__halfPKfiiiiiiii.num_vgpr, 128
	.set _Z19_skinny_gemm_kernelILi3ELi5ELi2ELi32ELi4EEvPKhS1_P6__halfPKfiiiiiiii.num_agpr, 0
	.set _Z19_skinny_gemm_kernelILi3ELi5ELi2ELi32ELi4EEvPKhS1_P6__halfPKfiiiiiiii.numbered_sgpr, 100
	.set _Z19_skinny_gemm_kernelILi3ELi5ELi2ELi32ELi4EEvPKhS1_P6__halfPKfiiiiiiii.num_named_barrier, 0
	.set _Z19_skinny_gemm_kernelILi3ELi5ELi2ELi32ELi4EEvPKhS1_P6__halfPKfiiiiiiii.private_seg_size, 92
	.set _Z19_skinny_gemm_kernelILi3ELi5ELi2ELi32ELi4EEvPKhS1_P6__halfPKfiiiiiiii.uses_vcc, 1
	.set _Z19_skinny_gemm_kernelILi3ELi5ELi2ELi32ELi4EEvPKhS1_P6__halfPKfiiiiiiii.uses_flat_scratch, 0
	.set _Z19_skinny_gemm_kernelILi3ELi5ELi2ELi32ELi4EEvPKhS1_P6__halfPKfiiiiiiii.has_dyn_sized_stack, 0
	.set _Z19_skinny_gemm_kernelILi3ELi5ELi2ELi32ELi4EEvPKhS1_P6__halfPKfiiiiiiii.has_recursion, 0
	.set _Z19_skinny_gemm_kernelILi3ELi5ELi2ELi32ELi4EEvPKhS1_P6__halfPKfiiiiiiii.has_indirect_call, 0
	.section	.AMDGPU.csdata,"",@progbits
; Kernel info:
; codeLenInByte = 16884
; TotalNumSgprs: 106
; NumVgprs: 128
; NumAgprs: 0
; TotalNumVgprs: 128
; ScratchSize: 92
; MemoryBound: 0
; FloatMode: 240
; IeeeMode: 1
; LDSByteSize: 32832 bytes/workgroup (compile time only)
; SGPRBlocks: 13
; VGPRBlocks: 15
; NumSGPRsForWavesPerEU: 106
; NumVGPRsForWavesPerEU: 128
; AccumOffset: 128
; Occupancy: 4
; WaveLimiterHint : 0
; COMPUTE_PGM_RSRC2:SCRATCH_EN: 1
; COMPUTE_PGM_RSRC2:USER_SGPR: 2
; COMPUTE_PGM_RSRC2:TRAP_HANDLER: 0
; COMPUTE_PGM_RSRC2:TGID_X_EN: 1
; COMPUTE_PGM_RSRC2:TGID_Y_EN: 0
; COMPUTE_PGM_RSRC2:TGID_Z_EN: 0
; COMPUTE_PGM_RSRC2:TIDIG_COMP_CNT: 0
; COMPUTE_PGM_RSRC3_GFX90A:ACCUM_OFFSET: 31
; COMPUTE_PGM_RSRC3_GFX90A:TG_SPLIT: 0
	.section	.text._Z19_skinny_gemm_kernelILi3ELi5ELi3ELi16ELi4EEvPKhS1_P6__halfPKfiiiiiiii,"axG",@progbits,_Z19_skinny_gemm_kernelILi3ELi5ELi3ELi16ELi4EEvPKhS1_P6__halfPKfiiiiiiii,comdat
	.protected	_Z19_skinny_gemm_kernelILi3ELi5ELi3ELi16ELi4EEvPKhS1_P6__halfPKfiiiiiiii ; -- Begin function _Z19_skinny_gemm_kernelILi3ELi5ELi3ELi16ELi4EEvPKhS1_P6__halfPKfiiiiiiii
	.globl	_Z19_skinny_gemm_kernelILi3ELi5ELi3ELi16ELi4EEvPKhS1_P6__halfPKfiiiiiiii
	.p2align	8
	.type	_Z19_skinny_gemm_kernelILi3ELi5ELi3ELi16ELi4EEvPKhS1_P6__halfPKfiiiiiiii,@function
_Z19_skinny_gemm_kernelILi3ELi5ELi3ELi16ELi4EEvPKhS1_P6__halfPKfiiiiiiii: ; @_Z19_skinny_gemm_kernelILi3ELi5ELi3ELi16ELi4EEvPKhS1_P6__halfPKfiiiiiiii
; %bb.0:
	v_cmp_gt_u32_e32 vcc, 24, v0
	v_lshlrev_b32_e32 v1, 2, v0
	s_and_saveexec_b64 s[4:5], vcc
; %bb.1:
	v_mov_b32_e32 v2, 0
	ds_write_b32 v1, v2 offset:49152
; %bb.2:
	s_or_b64 exec, exec, s[4:5]
	s_load_dwordx8 s[20:27], s[0:1], 0x20
	s_mov_b32 s56, 0x66666667
	s_waitcnt lgkmcnt(0)
	s_barrier
	s_add_i32 s3, s20, 47
	s_mul_hi_i32 s3, s3, 0x2aaaaaab
	s_lshr_b32 s4, s3, 31
	s_ashr_i32 s33, s3, 3
	s_add_i32 s3, s21, 0x4f
	s_mul_hi_i32 s3, s3, 0x66666667
	s_add_i32 s33, s33, s4
	s_lshr_b32 s4, s3, 31
	s_ashr_i32 s54, s3, 5
	s_add_i32 s54, s54, s4
	s_mul_i32 s3, s54, s33
	s_mul_i32 s3, s3, s24
	s_add_i32 s4, s3, 0x12f
	s_mul_hi_i32 s4, s4, 0x6bca1af3
	s_lshr_b32 s5, s4, 31
	s_ashr_i32 s4, s4, 7
	s_add_i32 s4, s4, s5
	s_add_i32 s5, s2, 1
	s_mul_i32 s5, s4, s5
	v_cvt_f64_i32_e32 v[2:3], s3
	v_cvt_f64_u32_e32 v[4:5], s5
	v_min_f64 v[2:3], v[2:3], v[4:5]
	v_cvt_i32_f64_e32 v61, v[2:3]
	s_mul_i32 s55, s4, s2
	v_cmp_ge_i32_e32 vcc, s55, v61
	s_cbranch_vccnz .LBB304_64
; %bb.3:
	v_lshrrev_b32_e32 v2, 6, v0
	s_add_i32 s4, s26, s25
	s_load_dwordx8 s[36:43], s[0:1], 0x0
	v_cmp_le_i32_e64 s[0:1], s4, v2
	v_mov_b32_e32 v3, s25
	v_cmp_le_i32_e64 s[2:3], s25, v2
	v_mov_b32_e32 v4, s26
	v_cndmask_b32_e64 v4, 0, v4, s[0:1]
	v_cndmask_b32_e64 v3, 0, v3, s[2:3]
	s_abs_i32 s5, s24
	v_add_u32_e32 v3, v3, v4
	v_cvt_f32_u32_e32 v4, s5
	v_sub_u32_e32 v74, v2, v3
	s_ashr_i32 s6, s22, 31
	s_lshr_b32 s6, s6, 25
	v_rcp_iflag_f32_e32 v3, v4
	s_sub_i32 s9, 0, s5
	s_add_i32 s6, s22, s6
	s_ashr_i32 s6, s6, 7
	v_mul_f32_e32 v3, 0x4f7ffffe, v3
	v_cvt_u32_f32_e32 v3, v3
	s_abs_i32 s8, s6
	s_xor_b32 s7, s6, s24
	s_ashr_i32 s7, s7, 31
	v_readfirstlane_b32 s10, v3
	s_mul_i32 s9, s9, s10
	s_mul_hi_u32 s9, s10, s9
	s_add_i32 s10, s10, s9
	s_mul_hi_u32 s9, s8, s10
	s_mul_i32 s10, s9, s5
	s_sub_i32 s8, s8, s10
	s_add_i32 s10, s9, 1
	s_sub_i32 s11, s8, s5
	s_cmp_ge_u32 s8, s5
	s_cselect_b32 s9, s10, s9
	s_cselect_b32 s8, s11, s8
	s_add_i32 s10, s9, 1
	s_cmp_ge_u32 s8, s5
	s_cselect_b32 s5, s10, s9
	s_xor_b32 s5, s5, s7
	s_sub_i32 s57, s5, s7
	s_add_i32 s24, s24, -1
	s_mul_i32 s5, s57, s24
	s_add_i32 s4, s4, s27
	s_sub_i32 s58, s6, s5
	v_cmp_gt_i32_e64 s[4:5], s4, v2
	v_lshlrev_b32_e32 v2, 1, v0
	v_lshlrev_b32_e32 v3, 4, v0
	v_and_b32_e32 v1, 60, v1
	v_and_b32_e32 v2, 64, v2
	;; [unrolled: 1-line block ×3, first 2 shown]
	v_or3_b32 v103, v1, v2, v4
	v_and_b32_e32 v1, 1, v0
	v_lshrrev_b32_e32 v4, 2, v0
	s_abs_i32 s59, s33
	v_and_or_b32 v108, v4, 12, v1
	v_cvt_f32_u32_e32 v4, s59
	v_lshlrev_b32_e32 v2, 1, v1
	v_and_b32_e32 v60, 14, v0
	v_sub_u32_e32 v2, v0, v2
	v_bitop3_b32 v104, v0, 1, v0 bitop3:0xc
	v_bitop3_b32 v105, v0, 3, 1 bitop3:0x6c
	v_and_b32_e32 v68, 48, v3
	v_bfe_u32 v111, v0, 2, 4
	v_and_b32_e32 v1, 60, v0
	v_lshlrev_b32_e32 v3, 8, v0
	v_lshlrev_b32_e32 v0, 6, v0
	v_and_b32_e32 v3, 0x200, v3
	v_and_b32_e32 v0, 64, v0
	v_or3_b32 v112, v1, v3, v0
	v_rcp_iflag_f32_e32 v0, v4
	s_abs_i32 s61, s54
	v_cvt_f32_u32_e32 v1, s61
	v_mad_u64_u32 v[62:63], s[6:7], s21, v108, v[60:61]
	v_mul_f32_e32 v0, 0x4f7ffffe, v0
	v_cvt_u32_f32_e32 v0, v0
	v_rcp_iflag_f32_e32 v1, v1
	s_lshl_b32 s6, s21, 4
	v_add_u32_e32 v64, s6, v62
	v_readfirstlane_b32 s7, v0
	v_mul_f32_e32 v0, 0x4f7ffffe, v1
	v_cvt_u32_f32_e32 v0, v0
	v_add_u32_e32 v66, s6, v64
	s_sub_i32 s6, 0, s59
	s_mul_i32 s6, s6, s7
	s_mul_hi_u32 s6, s7, s6
	v_add_u32_e32 v2, 1, v2
	s_add_i32 s63, s7, s6
	s_sub_i32 s6, 0, s61
	v_readfirstlane_b32 s7, v0
	v_mbcnt_lo_u32_b32 v0, -1, 0
	v_and_b32_e32 v2, 63, v2
	s_mul_i32 s6, s6, s7
	v_mbcnt_hi_u32_b32 v0, -1, v0
	v_mul_lo_u32 v70, s23, v111
	s_mul_hi_u32 s6, s7, s6
	v_and_or_b32 v0, v0, 64, v2
	v_cndmask_b32_e64 v102, 0, 1, s[0:1]
	s_ashr_i32 s29, s21, 31
	s_mov_b32 s28, s21
	v_or_b32_e32 v106, 48, v60
	v_or_b32_e32 v107, 64, v60
	v_ashrrev_i32_e32 v63, 31, v62
	v_or_b32_e32 v109, 16, v108
	v_ashrrev_i32_e32 v65, 31, v64
	;; [unrolled: 2-line block ×3, first 2 shown]
	v_ashrrev_i32_e32 v71, 31, v70
	v_mov_b32_e32 v69, 0
	s_lshl_b32 s60, s23, 4
	v_mul_lo_u32 v113, s22, v111
	v_or_b32_e32 v114, 0x7800, v112
	s_ashr_i32 s62, s33, 31
	s_ashr_i32 s64, s54, 31
	s_add_i32 s65, s7, s6
	s_movk_i32 s66, 0x2800
	s_movk_i32 s67, 0x1800
	s_mov_b64 s[30:31], 0x60
	s_mov_b64 s[34:35], 0x80
	s_mov_b32 s68, 0x55555556
	v_lshlrev_b32_e32 v115, 2, v0
	v_mov_b32_e32 v116, v74
	s_branch .LBB304_7
.LBB304_4:                              ;   in Loop: Header=BB304_7 Depth=1
	s_or_b64 exec, exec, s[10:11]
.LBB304_5:                              ;   in Loop: Header=BB304_7 Depth=1
	s_or_b64 exec, exec, s[8:9]
	v_subrev_u32_e32 v116, s72, v116
.LBB304_6:                              ;   in Loop: Header=BB304_7 Depth=1
	s_or_b64 exec, exec, s[6:7]
	s_add_i32 s55, s55, 1
	v_cmp_ge_i32_e32 vcc, s55, v61
	s_cbranch_vccnz .LBB304_64
.LBB304_7:                              ; =>This Loop Header: Depth=1
                                        ;     Child Loop BB304_13 Depth 2
                                        ;       Child Loop BB304_15 Depth 3
                                        ;       Child Loop BB304_18 Depth 3
	;; [unrolled: 1-line block ×8, first 2 shown]
                                        ;     Child Loop BB304_51 Depth 2
                                        ;       Child Loop BB304_53 Depth 3
                                        ;     Child Loop BB304_61 Depth 2
                                        ;       Child Loop BB304_63 Depth 3
	s_abs_i32 s7, s55
	s_mul_hi_u32 s8, s7, s63
	s_mul_i32 s9, s8, s59
	s_ashr_i32 s6, s55, 31
	s_sub_i32 s7, s7, s9
	s_xor_b32 s6, s6, s62
	s_add_i32 s9, s8, 1
	s_sub_i32 s10, s7, s59
	s_cmp_ge_u32 s7, s59
	s_cselect_b32 s8, s9, s8
	s_cselect_b32 s7, s10, s7
	s_add_i32 s9, s8, 1
	s_cmp_ge_u32 s7, s59
	s_cselect_b32 s7, s9, s8
	s_xor_b32 s7, s7, s6
	s_sub_i32 s6, s7, s6
	s_abs_i32 s8, s6
	s_mul_hi_u32 s9, s8, s65
	s_mul_i32 s7, s6, s33
	s_mul_i32 s10, s9, s61
	s_sub_i32 s69, s55, s7
	s_ashr_i32 s7, s6, 31
	s_sub_i32 s8, s8, s10
	s_xor_b32 s7, s7, s64
	s_add_i32 s10, s9, 1
	s_sub_i32 s11, s8, s61
	s_cmp_ge_u32 s8, s61
	s_cselect_b32 s9, s10, s9
	s_cselect_b32 s8, s11, s8
	s_add_i32 s10, s9, 1
	s_cmp_ge_u32 s8, s61
	s_cselect_b32 s8, s10, s9
	s_xor_b32 s8, s8, s7
	s_sub_i32 s7, s8, s7
	s_mul_i32 s8, s7, s57
	s_lshl_b32 s70, s8, 7
	s_mul_i32 s69, s69, 48
	s_cmp_eq_u32 s7, s24
	s_cselect_b32 s72, s58, s57
	s_sub_i32 s8, s69, s20
	s_add_i32 s8, s8, 48
	s_max_i32 s71, s8, 0
	s_and_saveexec_b64 s[8:9], s[2:3]
	s_xor_b64 s[44:45], exec, s[8:9]
	s_cbranch_execz .LBB304_57
; %bb.8:                                ;   in Loop: Header=BB304_7 Depth=1
	s_mul_i32 s7, s7, s54
	s_sub_i32 s6, s6, s7
	s_mulk_i32 s6, 0x50
	s_sub_i32 s47, s6, s21
	s_addk_i32 s47, 0x50
	s_max_i32 s7, s47, 0
	s_sub_i32 s46, s6, s7
	s_and_saveexec_b64 s[6:7], s[0:1]
	s_xor_b64 s[48:49], exec, s[6:7]
	s_cbranch_execz .LBB304_47
; %bb.9:                                ;   in Loop: Header=BB304_7 Depth=1
	s_and_saveexec_b64 s[50:51], s[4:5]
	s_cbranch_execz .LBB304_46
; %bb.10:                               ;   in Loop: Header=BB304_7 Depth=1
	s_waitcnt lgkmcnt(0)
	global_load_dword v117, v69, s[42:43]
	v_mov_b32_e32 v59, 0
	v_cmp_gt_i32_e32 vcc, s72, v116
	v_mov_b32_e32 v58, v59
	v_mov_b32_e32 v57, v59
	;; [unrolled: 1-line block ×59, first 2 shown]
	s_and_saveexec_b64 s[6:7], vcc
	s_cbranch_execz .LBB304_38
; %bb.11:                               ;   in Loop: Header=BB304_7 Depth=1
	v_mov_b32_e32 v8, 0
	s_mov_b64 s[8:9], 0
	v_mov_b32_e32 v9, v8
	v_mov_b32_e32 v10, v8
	;; [unrolled: 1-line block ×59, first 2 shown]
	s_branch .LBB304_13
.LBB304_12:                             ;   in Loop: Header=BB304_13 Depth=2
	s_or_b64 exec, exec, s[10:11]
	v_add_u32_e32 v97, 0x2000, v96
	ds_read2_b32 v[98:99], v97 offset1:32
	v_add_u32_e32 v100, 0x2400, v96
	v_add_u32_e32 v116, s27, v116
	s_waitcnt lgkmcnt(0)
	v_mfma_f32_16x16x32_fp8_fp8 v[40:43], v[72:73], v[98:99], v[40:43]
	ds_read2_b32 v[72:73], v97 offset0:128 offset1:160
	ds_read2_b32 v[96:97], v100 offset1:32
	v_mfma_f32_16x16x32_fp8_fp8 v[20:23], v[80:81], v[98:99], v[20:23]
	v_mfma_f32_16x16x32_fp8_fp8 v[8:11], v[90:91], v[98:99], v[8:11]
	s_waitcnt lgkmcnt(1)
	v_mfma_f32_16x16x32_fp8_fp8 v[40:43], v[74:75], v[72:73], v[40:43]
	v_add_u32_e32 v74, s27, v118
	v_cmp_lt_i32_e32 vcc, 2, v74
	v_mfma_f32_16x16x32_fp8_fp8 v[20:23], v[84:85], v[72:73], v[20:23]
	v_mfma_f32_16x16x32_fp8_fp8 v[8:11], v[92:93], v[72:73], v[8:11]
	v_add_u32_e32 v72, 2, v102
	v_cndmask_b32_e32 v102, v102, v72, vcc
	v_cmp_le_i32_e32 vcc, s72, v116
	s_waitcnt lgkmcnt(0)
	v_mfma_f32_16x16x32_fp8_fp8 v[40:43], v[76:77], v[96:97], v[40:43]
	ds_read2_b32 v[76:77], v100 offset0:128 offset1:160
	s_or_b64 s[8:9], vcc, s[8:9]
	;;#ASMSTART
	s_waitcnt lgkmcnt(0)
	;;#ASMEND
	v_mfma_f32_16x16x32_fp8_fp8 v[20:23], v[86:87], v[96:97], v[20:23]
	ds_write_b32 v119, v120 offset:49204
	v_mfma_f32_16x16x32_fp8_fp8 v[8:11], v[94:95], v[96:97], v[8:11]
	s_waitcnt lgkmcnt(1)
	v_mfma_f32_16x16x32_fp8_fp8 v[40:43], v[78:79], v[76:77], v[40:43]
	v_mfma_f32_16x16x32_fp8_fp8 v[20:23], v[88:89], v[76:77], v[20:23]
	;; [unrolled: 1-line block ×3, first 2 shown]
	s_andn2_b64 exec, exec, s[8:9]
	s_cbranch_execz .LBB304_37
.LBB304_13:                             ;   Parent Loop BB304_7 Depth=1
                                        ; =>  This Loop Header: Depth=2
                                        ;       Child Loop BB304_15 Depth 3
                                        ;       Child Loop BB304_18 Depth 3
	;; [unrolled: 1-line block ×8, first 2 shown]
	v_cmp_gt_i32_e32 vcc, 3, v74
	s_nop 1
	v_cndmask_b32_e64 v72, -3, 0, vcc
	v_add_u32_e32 v118, v72, v74
	v_mul_lo_u32 v119, v118, 20
	ds_read_b32 v72, v119 offset:49188
	s_waitcnt lgkmcnt(0)
	v_cmp_ne_u32_e32 vcc, v72, v102
	s_and_saveexec_b64 s[10:11], vcc
	s_cbranch_execz .LBB304_16
; %bb.14:                               ;   in Loop: Header=BB304_13 Depth=2
	s_mov_b64 s[12:13], 0
.LBB304_15:                             ;   Parent Loop BB304_7 Depth=1
                                        ;     Parent Loop BB304_13 Depth=2
                                        ; =>    This Inner Loop Header: Depth=3
	;;#ASMSTART
	s_sleep 0
	;;#ASMEND
	ds_read_b32 v72, v119 offset:49188
	s_waitcnt lgkmcnt(0)
	v_cmp_eq_u32_e32 vcc, v72, v102
	s_or_b64 s[12:13], vcc, s[12:13]
	s_andn2_b64 exec, exec, s[12:13]
	s_cbranch_execnz .LBB304_15
.LBB304_16:                             ;   in Loop: Header=BB304_13 Depth=2
	s_or_b64 exec, exec, s[10:11]
	v_mul_lo_u32 v121, v118, s66
	v_or_b32_e32 v72, v103, v121
	ds_read2_b32 v[82:83], v72 offset1:32
	ds_read2_b32 v[96:97], v72 offset0:128 offset1:160
	v_add_u32_e32 v72, 0x400, v72
	v_mul_lo_u32 v122, v118, 12
	ds_read2_b32 v[100:101], v72 offset1:32
	ds_read2_b32 v[98:99], v72 offset0:128 offset1:160
	;;#ASMSTART
	s_waitcnt lgkmcnt(0)
	;;#ASMEND
	ds_read_b32 v72, v122 offset:49152
	v_add_u32_e32 v120, 1, v102
	ds_write_b32 v119, v120 offset:49188
	s_waitcnt lgkmcnt(1)
	v_cmp_ne_u32_e32 vcc, v72, v102
	s_and_saveexec_b64 s[10:11], vcc
	s_cbranch_execz .LBB304_19
; %bb.17:                               ;   in Loop: Header=BB304_13 Depth=2
	s_mov_b64 s[12:13], 0
.LBB304_18:                             ;   Parent Loop BB304_7 Depth=1
                                        ;     Parent Loop BB304_13 Depth=2
                                        ; =>    This Inner Loop Header: Depth=3
	;;#ASMSTART
	s_sleep 0
	;;#ASMEND
	ds_read_b32 v72, v122 offset:49152
	s_waitcnt lgkmcnt(0)
	v_cmp_eq_u32_e32 vcc, v72, v102
	s_or_b64 s[12:13], vcc, s[12:13]
	s_andn2_b64 exec, exec, s[12:13]
	s_cbranch_execnz .LBB304_18
.LBB304_19:                             ;   in Loop: Header=BB304_13 Depth=2
	s_or_b64 exec, exec, s[10:11]
	v_mul_lo_u32 v72, v118, s67
	v_or_b32_e32 v73, 0x7800, v103
	v_add_u32_e32 v94, v73, v72
	ds_read2_b32 v[72:73], v94 offset1:32
	ds_read2_b32 v[74:75], v94 offset0:128 offset1:160
	v_add_u32_e32 v78, 0x400, v94
	ds_read2_b32 v[76:77], v78 offset1:32
	ds_read2_b32 v[78:79], v78 offset0:128 offset1:160
	ds_read_b32 v80, v122 offset:49156
	ds_write_b32 v122, v120 offset:49152
	s_waitcnt lgkmcnt(5)
	v_mfma_f32_16x16x32_fp8_fp8 v[56:59], v[72:73], v[82:83], v[56:59]
	s_waitcnt lgkmcnt(1)
	v_cmp_ne_u32_e32 vcc, v80, v102
	v_mfma_f32_16x16x32_fp8_fp8 v[56:59], v[74:75], v[96:97], v[56:59]
	v_mfma_f32_16x16x32_fp8_fp8 v[56:59], v[76:77], v[100:101], v[56:59]
	;; [unrolled: 1-line block ×3, first 2 shown]
	s_and_saveexec_b64 s[10:11], vcc
	s_cbranch_execz .LBB304_22
; %bb.20:                               ;   in Loop: Header=BB304_13 Depth=2
	s_mov_b64 s[12:13], 0
.LBB304_21:                             ;   Parent Loop BB304_7 Depth=1
                                        ;     Parent Loop BB304_13 Depth=2
                                        ; =>    This Inner Loop Header: Depth=3
	;;#ASMSTART
	s_sleep 0
	;;#ASMEND
	ds_read_b32 v80, v122 offset:49156
	s_waitcnt lgkmcnt(0)
	v_cmp_eq_u32_e32 vcc, v80, v102
	s_or_b64 s[12:13], vcc, s[12:13]
	s_andn2_b64 exec, exec, s[12:13]
	s_cbranch_execnz .LBB304_21
.LBB304_22:                             ;   in Loop: Header=BB304_13 Depth=2
	s_or_b64 exec, exec, s[10:11]
	v_add_u32_e32 v84, 0x800, v94
	ds_read2_b32 v[80:81], v84 offset1:32
	ds_read2_b32 v[84:85], v84 offset0:128 offset1:160
	v_add_u32_e32 v88, 0xc00, v94
	ds_read2_b32 v[86:87], v88 offset1:32
	ds_read2_b32 v[88:89], v88 offset0:128 offset1:160
	ds_read_b32 v90, v122 offset:49160
	ds_write_b32 v122, v120 offset:49156
	s_waitcnt lgkmcnt(5)
	v_mfma_f32_16x16x32_fp8_fp8 v[36:39], v[80:81], v[82:83], v[36:39]
	s_waitcnt lgkmcnt(1)
	v_cmp_ne_u32_e32 vcc, v90, v102
	v_mfma_f32_16x16x32_fp8_fp8 v[36:39], v[84:85], v[96:97], v[36:39]
	v_mfma_f32_16x16x32_fp8_fp8 v[36:39], v[86:87], v[100:101], v[36:39]
	;; [unrolled: 1-line block ×3, first 2 shown]
	s_and_saveexec_b64 s[10:11], vcc
	s_cbranch_execz .LBB304_25
; %bb.23:                               ;   in Loop: Header=BB304_13 Depth=2
	s_mov_b64 s[12:13], 0
.LBB304_24:                             ;   Parent Loop BB304_7 Depth=1
                                        ;     Parent Loop BB304_13 Depth=2
                                        ; =>    This Inner Loop Header: Depth=3
	;;#ASMSTART
	s_sleep 0
	;;#ASMEND
	ds_read_b32 v90, v122 offset:49160
	s_waitcnt lgkmcnt(0)
	v_cmp_eq_u32_e32 vcc, v90, v102
	s_or_b64 s[12:13], vcc, s[12:13]
	s_andn2_b64 exec, exec, s[12:13]
	s_cbranch_execnz .LBB304_24
.LBB304_25:                             ;   in Loop: Header=BB304_13 Depth=2
	s_or_b64 exec, exec, s[10:11]
	v_add_u32_e32 v92, 0x1000, v94
	ds_read2_b32 v[90:91], v92 offset1:32
	ds_read2_b32 v[92:93], v92 offset0:128 offset1:160
	v_add_u32_e32 v123, 0x1400, v94
	ds_read2_b32 v[94:95], v123 offset1:32
	ds_write_b32 v122, v120 offset:49160
	s_waitcnt lgkmcnt(3)
	v_mfma_f32_16x16x32_fp8_fp8 v[16:19], v[90:91], v[82:83], v[16:19]
	ds_read2_b32 v[82:83], v123 offset0:128 offset1:160
	s_waitcnt lgkmcnt(3)
	v_mfma_f32_16x16x32_fp8_fp8 v[16:19], v[92:93], v[96:97], v[16:19]
	ds_read_b32 v96, v119 offset:49192
	s_waitcnt lgkmcnt(0)
	v_cmp_ne_u32_e32 vcc, v96, v102
	v_mfma_f32_16x16x32_fp8_fp8 v[16:19], v[94:95], v[100:101], v[16:19]
	v_mfma_f32_16x16x32_fp8_fp8 v[16:19], v[82:83], v[98:99], v[16:19]
	s_and_saveexec_b64 s[10:11], vcc
	s_cbranch_execz .LBB304_28
; %bb.26:                               ;   in Loop: Header=BB304_13 Depth=2
	s_mov_b64 s[12:13], 0
.LBB304_27:                             ;   Parent Loop BB304_7 Depth=1
                                        ;     Parent Loop BB304_13 Depth=2
                                        ; =>    This Inner Loop Header: Depth=3
	;;#ASMSTART
	s_sleep 0
	;;#ASMEND
	ds_read_b32 v96, v119 offset:49192
	s_waitcnt lgkmcnt(0)
	v_cmp_eq_u32_e32 vcc, v96, v102
	s_or_b64 s[12:13], vcc, s[12:13]
	s_andn2_b64 exec, exec, s[12:13]
	s_cbranch_execnz .LBB304_27
.LBB304_28:                             ;   in Loop: Header=BB304_13 Depth=2
	s_or_b64 exec, exec, s[10:11]
	v_add_u32_e32 v96, v103, v121
	v_add_u32_e32 v97, 0x800, v96
	ds_read2_b32 v[98:99], v97 offset1:32
	ds_read2_b32 v[100:101], v97 offset0:128 offset1:160
	v_add_u32_e32 v97, 0xc00, v96
	ds_read2_b32 v[122:123], v97 offset1:32
	ds_read2_b32 v[124:125], v97 offset0:128 offset1:160
	s_waitcnt lgkmcnt(3)
	v_mfma_f32_16x16x32_fp8_fp8 v[52:55], v[72:73], v[98:99], v[52:55]
	;;#ASMSTART
	s_waitcnt lgkmcnt(0)
	;;#ASMEND
	ds_read_b32 v97, v119 offset:49196
	ds_write_b32 v119, v120 offset:49192
	v_mfma_f32_16x16x32_fp8_fp8 v[32:35], v[80:81], v[98:99], v[32:35]
	s_waitcnt lgkmcnt(1)
	v_cmp_ne_u32_e32 vcc, v97, v102
	v_mfma_f32_16x16x32_fp8_fp8 v[12:15], v[90:91], v[98:99], v[12:15]
	v_mfma_f32_16x16x32_fp8_fp8 v[52:55], v[74:75], v[100:101], v[52:55]
	;; [unrolled: 1-line block ×10, first 2 shown]
	s_and_saveexec_b64 s[10:11], vcc
	s_cbranch_execz .LBB304_31
; %bb.29:                               ;   in Loop: Header=BB304_13 Depth=2
	s_mov_b64 s[12:13], 0
.LBB304_30:                             ;   Parent Loop BB304_7 Depth=1
                                        ;     Parent Loop BB304_13 Depth=2
                                        ; =>    This Inner Loop Header: Depth=3
	;;#ASMSTART
	s_sleep 0
	;;#ASMEND
	ds_read_b32 v97, v119 offset:49196
	s_waitcnt lgkmcnt(0)
	v_cmp_eq_u32_e32 vcc, v97, v102
	s_or_b64 s[12:13], vcc, s[12:13]
	s_andn2_b64 exec, exec, s[12:13]
	s_cbranch_execnz .LBB304_30
.LBB304_31:                             ;   in Loop: Header=BB304_13 Depth=2
	s_or_b64 exec, exec, s[10:11]
	v_add_u32_e32 v97, 0x1000, v96
	ds_read2_b32 v[98:99], v97 offset1:32
	ds_read2_b32 v[100:101], v97 offset0:128 offset1:160
	v_add_u32_e32 v97, 0x1400, v96
	ds_read2_b32 v[122:123], v97 offset1:32
	ds_read2_b32 v[124:125], v97 offset0:128 offset1:160
	s_waitcnt lgkmcnt(3)
	v_mfma_f32_16x16x32_fp8_fp8 v[48:51], v[72:73], v[98:99], v[48:51]
	;;#ASMSTART
	s_waitcnt lgkmcnt(0)
	;;#ASMEND
	ds_read_b32 v97, v119 offset:49200
	ds_write_b32 v119, v120 offset:49196
	v_mfma_f32_16x16x32_fp8_fp8 v[28:31], v[80:81], v[98:99], v[28:31]
	s_waitcnt lgkmcnt(1)
	v_cmp_ne_u32_e32 vcc, v97, v102
	v_mfma_f32_16x16x32_fp8_fp8 v[4:7], v[90:91], v[98:99], v[4:7]
	v_mfma_f32_16x16x32_fp8_fp8 v[48:51], v[74:75], v[100:101], v[48:51]
	;; [unrolled: 1-line block ×10, first 2 shown]
	s_and_saveexec_b64 s[10:11], vcc
	s_cbranch_execz .LBB304_34
; %bb.32:                               ;   in Loop: Header=BB304_13 Depth=2
	s_mov_b64 s[12:13], 0
.LBB304_33:                             ;   Parent Loop BB304_7 Depth=1
                                        ;     Parent Loop BB304_13 Depth=2
                                        ; =>    This Inner Loop Header: Depth=3
	;;#ASMSTART
	s_sleep 0
	;;#ASMEND
	ds_read_b32 v97, v119 offset:49200
	s_waitcnt lgkmcnt(0)
	v_cmp_eq_u32_e32 vcc, v97, v102
	s_or_b64 s[12:13], vcc, s[12:13]
	s_andn2_b64 exec, exec, s[12:13]
	s_cbranch_execnz .LBB304_33
.LBB304_34:                             ;   in Loop: Header=BB304_13 Depth=2
	s_or_b64 exec, exec, s[10:11]
	v_add_u32_e32 v97, 0x1800, v96
	ds_read2_b32 v[98:99], v97 offset1:32
	ds_read2_b32 v[100:101], v97 offset0:128 offset1:160
	v_add_u32_e32 v97, 0x1c00, v96
	ds_read2_b32 v[122:123], v97 offset1:32
	ds_read2_b32 v[124:125], v97 offset0:128 offset1:160
	s_waitcnt lgkmcnt(3)
	v_mfma_f32_16x16x32_fp8_fp8 v[44:47], v[72:73], v[98:99], v[44:47]
	;;#ASMSTART
	s_waitcnt lgkmcnt(0)
	;;#ASMEND
	ds_read_b32 v97, v119 offset:49204
	ds_write_b32 v119, v120 offset:49200
	v_mfma_f32_16x16x32_fp8_fp8 v[24:27], v[80:81], v[98:99], v[24:27]
	s_waitcnt lgkmcnt(1)
	v_cmp_ne_u32_e32 vcc, v97, v102
	v_mfma_f32_16x16x32_fp8_fp8 v[0:3], v[90:91], v[98:99], v[0:3]
	v_mfma_f32_16x16x32_fp8_fp8 v[44:47], v[74:75], v[100:101], v[44:47]
	;; [unrolled: 1-line block ×10, first 2 shown]
	s_and_saveexec_b64 s[10:11], vcc
	s_cbranch_execz .LBB304_12
; %bb.35:                               ;   in Loop: Header=BB304_13 Depth=2
	s_mov_b64 s[12:13], 0
.LBB304_36:                             ;   Parent Loop BB304_7 Depth=1
                                        ;     Parent Loop BB304_13 Depth=2
                                        ; =>    This Inner Loop Header: Depth=3
	;;#ASMSTART
	s_sleep 0
	;;#ASMEND
	ds_read_b32 v97, v119 offset:49204
	s_waitcnt lgkmcnt(0)
	v_cmp_eq_u32_e32 vcc, v97, v102
	s_or_b64 s[12:13], vcc, s[12:13]
	s_andn2_b64 exec, exec, s[12:13]
	s_cbranch_execnz .LBB304_36
	s_branch .LBB304_12
.LBB304_37:                             ;   in Loop: Header=BB304_7 Depth=1
	s_or_b64 exec, exec, s[8:9]
.LBB304_38:                             ;   in Loop: Header=BB304_7 Depth=1
	s_or_b64 exec, exec, s[6:7]
	v_cmp_le_i32_e32 vcc, s47, v60
	v_cmp_eq_u32_e64 s[12:13], 1, v104
	v_cmp_eq_u32_e64 s[6:7], 3, v104
	s_waitcnt vmcnt(0)
	v_cndmask_b32_e32 v72, 0, v117, vcc
	v_pk_mul_f32 v[56:57], v[72:73], v[56:57] op_sel_hi:[0,1]
	v_pk_mul_f32 v[76:77], v[72:73], v[58:59] op_sel_hi:[0,1]
	v_cndmask_b32_e64 v58, v56, v57, s[12:13]
	v_cmp_eq_u32_e32 vcc, 2, v104
	v_cmp_eq_u32_e64 s[8:9], 0, v104
	v_cmp_eq_u32_e64 s[10:11], 1, v105
	v_cndmask_b32_e32 v58, v58, v76, vcc
	v_cndmask_b32_e64 v58, v58, v77, s[6:7]
	ds_bpermute_b32 v73, v115, v58
	v_cmp_eq_u32_e64 s[16:17], 3, v105
	s_waitcnt lgkmcnt(0)
	v_cndmask_b32_e64 v58, v77, v73, s[6:7]
	v_cndmask_b32_e32 v59, v76, v73, vcc
	v_cndmask_b32_e64 v57, v57, v73, s[12:13]
	v_cndmask_b32_e64 v73, v56, v73, s[8:9]
	v_or_b32_e32 v56, 16, v60
	v_cmp_le_i32_e64 s[14:15], s47, v56
	v_cndmask_b32_e64 v75, v73, v57, s[10:11]
	s_nop 0
	v_cndmask_b32_e64 v56, 0, v117, s[14:15]
	v_pk_mul_f32 v[52:53], v[56:57], v[52:53] op_sel_hi:[0,1]
	v_pk_mul_f32 v[76:77], v[56:57], v[54:55] op_sel_hi:[0,1]
	v_cndmask_b32_e64 v54, v52, v53, s[12:13]
	v_cndmask_b32_e32 v54, v54, v76, vcc
	v_cndmask_b32_e64 v54, v54, v77, s[6:7]
	ds_bpermute_b32 v78, v115, v54
	v_cmp_eq_u32_e64 s[14:15], 2, v105
	s_waitcnt lgkmcnt(0)
	v_cndmask_b32_e64 v79, v52, v78, s[8:9]
	v_or_b32_e32 v52, 32, v60
	v_cmp_le_i32_e64 s[18:19], s47, v52
	v_cndmask_b32_e64 v53, v53, v78, s[12:13]
	v_cndmask_b32_e64 v54, v75, v59, s[14:15]
	;; [unrolled: 1-line block ×3, first 2 shown]
	v_pk_mul_f32 v[48:49], v[52:53], v[48:49] op_sel_hi:[0,1]
	v_cndmask_b32_e64 v55, v77, v78, s[6:7]
	v_cndmask_b32_e32 v75, v76, v78, vcc
	v_pk_mul_f32 v[76:77], v[52:53], v[50:51] op_sel_hi:[0,1]
	v_cndmask_b32_e64 v50, v48, v49, s[12:13]
	v_cndmask_b32_e32 v50, v50, v76, vcc
	v_cndmask_b32_e64 v50, v50, v77, s[6:7]
	ds_bpermute_b32 v78, v115, v50
	v_cmp_le_i32_e64 s[18:19], s47, v106
	v_cndmask_b32_e64 v50, v79, v53, s[10:11]
	v_cndmask_b32_e64 v50, v50, v75, s[14:15]
	v_cndmask_b32_e64 v54, v54, v58, s[16:17]
	s_waitcnt lgkmcnt(0)
	v_cndmask_b32_e64 v49, v49, v78, s[12:13]
	v_cndmask_b32_e64 v81, v48, v78, s[8:9]
	;; [unrolled: 1-line block ×3, first 2 shown]
	v_pk_mul_f32 v[44:45], v[48:49], v[44:45] op_sel_hi:[0,1]
	v_pk_mul_f32 v[82:83], v[48:49], v[46:47] op_sel_hi:[0,1]
	v_cndmask_b32_e64 v46, v44, v45, s[12:13]
	v_cndmask_b32_e32 v46, v46, v82, vcc
	v_cndmask_b32_e64 v46, v46, v83, s[6:7]
	v_cndmask_b32_e64 v51, v77, v78, s[6:7]
	v_cndmask_b32_e32 v76, v76, v78, vcc
	ds_bpermute_b32 v78, v115, v46
	v_cmp_le_i32_e64 s[18:19], s47, v107
	v_cndmask_b32_e64 v46, v81, v49, s[10:11]
	v_cndmask_b32_e64 v46, v46, v76, s[14:15]
	;; [unrolled: 1-line block ×3, first 2 shown]
	s_waitcnt lgkmcnt(0)
	v_cndmask_b32_e64 v47, v83, v78, s[6:7]
	v_cndmask_b32_e64 v83, v44, v78, s[8:9]
	v_cndmask_b32_e64 v44, 0, v117, s[18:19]
	v_pk_mul_f32 v[86:87], v[44:45], v[40:41] op_sel_hi:[0,1]
	v_pk_mul_f32 v[84:85], v[44:45], v[42:43] op_sel_hi:[0,1]
	v_cndmask_b32_e64 v40, v86, v87, s[12:13]
	v_cndmask_b32_e32 v40, v40, v84, vcc
	v_cndmask_b32_e64 v40, v40, v85, s[6:7]
	ds_bpermute_b32 v41, v115, v40
	v_cndmask_b32_e32 v77, v82, v78, vcc
	v_cndmask_b32_e64 v82, v45, v78, s[12:13]
	v_cndmask_b32_e64 v40, v83, v82, s[10:11]
	;; [unrolled: 1-line block ×4, first 2 shown]
	s_waitcnt lgkmcnt(0)
	v_cndmask_b32_e32 v78, v84, v41, vcc
	v_cmp_ne_u32_e32 vcc, 0, v104
	ds_bpermute_b32 v42, v115, v40
	v_cndmask_b32_e64 v43, v85, v41, s[6:7]
	v_cndmask_b32_e32 v40, v87, v41, vcc
	v_cndmask_b32_e64 v41, v86, v41, s[8:9]
	v_cndmask_b32_e64 v45, v41, v40, s[10:11]
	;; [unrolled: 1-line block ×5, first 2 shown]
	ds_bpermute_b32 v54, v115, v54
	ds_bpermute_b32 v50, v115, v50
	;; [unrolled: 1-line block ×4, first 2 shown]
	v_add_u32_e32 v45, s71, v108
	v_cmp_gt_u32_e32 vcc, 48, v45
	s_and_saveexec_b64 s[18:19], vcc
	s_cbranch_execz .LBB304_45
; %bb.39:                               ;   in Loop: Header=BB304_7 Depth=1
	v_cmp_eq_u32_e64 s[8:9], 1, v105
	v_cmp_eq_u32_e64 s[10:11], 0, v105
	v_cmp_eq_u32_e32 vcc, 3, v105
	s_waitcnt lgkmcnt(3)
	v_cndmask_b32_e64 v57, v57, v54, s[8:9]
	s_waitcnt lgkmcnt(2)
	v_cndmask_b32_e64 v53, v53, v50, s[8:9]
	s_waitcnt lgkmcnt(1)
	v_cndmask_b32_e64 v49, v49, v46, s[8:9]
	v_cndmask_b32_e64 v84, v82, v42, s[8:9]
	s_waitcnt lgkmcnt(0)
	v_cndmask_b32_e64 v86, v40, v80, s[8:9]
	s_mul_i32 s8, s69, s21
	s_ashr_i32 s9, s8, 31
	v_cndmask_b32_e64 v73, v73, v54, s[10:11]
	s_lshl_b64 s[8:9], s[8:9], 1
	v_cndmask_b32_e64 v79, v79, v50, s[10:11]
	v_cndmask_b32_e64 v81, v81, v46, s[10:11]
	v_cndmask_b32_e64 v85, v83, v42, s[10:11]
	v_cndmask_b32_e64 v87, v41, v80, s[10:11]
	s_add_u32 s10, s40, s8
	v_cvt_f16_f32_e32 v73, v73
	v_cvt_f16_f32_sdwa v57, v57 dst_sel:WORD_1 dst_unused:UNUSED_PAD src0_sel:DWORD
	s_addc_u32 s11, s41, s9
	s_ashr_i32 s47, s46, 31
	s_lshl_b64 s[8:9], s[46:47], 1
	s_add_u32 s52, s10, s8
	s_addc_u32 s53, s11, s9
	v_or_b32_e32 v57, v57, v73
	v_lshl_add_u64 v[40:41], v[62:63], 1, s[52:53]
	;;#ASMSTART
	global_atomic_pk_add_f16 v[40:41], v57, off
	
	;;#ASMEND
	v_cvt_f16_f32_e32 v57, v79
	v_cvt_f16_f32_sdwa v53, v53 dst_sel:WORD_1 dst_unused:UNUSED_PAD src0_sel:DWORD
	v_cvt_f16_f32_e32 v73, v81
	v_cvt_f16_f32_sdwa v49, v49 dst_sel:WORD_1 dst_unused:UNUSED_PAD src0_sel:DWORD
	v_lshl_add_u64 v[82:83], v[40:41], 0, 32
	v_or_b32_e32 v53, v53, v57
	;;#ASMSTART
	global_atomic_pk_add_f16 v[82:83], v53, off
	
	;;#ASMEND
	v_or_b32_e32 v49, v49, v73
	v_lshl_add_u64 v[82:83], v[40:41], 0, 64
	;;#ASMSTART
	global_atomic_pk_add_f16 v[82:83], v49, off
	
	;;#ASMEND
	v_cvt_f16_f32_e32 v49, v85
	v_cvt_f16_f32_sdwa v53, v84 dst_sel:WORD_1 dst_unused:UNUSED_PAD src0_sel:DWORD
	v_cvt_f16_f32_e32 v57, v87
	v_cvt_f16_f32_sdwa v73, v86 dst_sel:WORD_1 dst_unused:UNUSED_PAD src0_sel:DWORD
	v_cmp_eq_u32_e64 s[6:7], 2, v105
	v_lshl_add_u64 v[82:83], v[40:41], 0, s[30:31]
	v_or_b32_e32 v49, v53, v49
	v_cmp_gt_u32_e64 s[8:9], 46, v45
	;;#ASMSTART
	global_atomic_pk_add_f16 v[82:83], v49, off
	
	;;#ASMEND
	v_lshl_add_u64 v[82:83], v[40:41], 0, s[34:35]
	v_or_b32_e32 v49, v73, v57
	;;#ASMSTART
	global_atomic_pk_add_f16 v[82:83], v49, off
	
	;;#ASMEND
	s_and_b64 exec, exec, s[8:9]
	s_cbranch_execz .LBB304_45
; %bb.40:                               ;   in Loop: Header=BB304_7 Depth=1
	v_cndmask_b32_e32 v58, v58, v54, vcc
	v_cndmask_b32_e64 v54, v59, v54, s[6:7]
	v_cndmask_b32_e32 v55, v55, v50, vcc
	v_cndmask_b32_e64 v50, v75, v50, s[6:7]
	;; [unrolled: 2-line block ×3, first 2 shown]
	v_cndmask_b32_e32 v75, v43, v80, vcc
	v_cvt_f16_f32_e32 v42, v54
	v_cvt_f16_f32_sdwa v43, v58 dst_sel:WORD_1 dst_unused:UNUSED_PAD src0_sel:DWORD
	v_cvt_f16_f32_e32 v50, v50
	v_cvt_f16_f32_sdwa v54, v55 dst_sel:WORD_1 dst_unused:UNUSED_PAD src0_sel:DWORD
	v_cndmask_b32_e32 v51, v51, v46, vcc
	v_cndmask_b32_e64 v46, v76, v46, s[6:7]
	v_lshl_add_u64 v[40:41], s[28:29], 2, v[40:41]
	v_or_b32_e32 v42, v43, v42
	v_or_b32_e32 v50, v54, v50
	;;#ASMSTART
	global_atomic_pk_add_f16 v[40:41], v42, off
	
	;;#ASMEND
	v_lshl_add_u64 v[42:43], v[40:41], 0, 32
	;;#ASMSTART
	global_atomic_pk_add_f16 v[42:43], v50, off
	
	;;#ASMEND
	v_cvt_f16_f32_e32 v46, v46
	v_cvt_f16_f32_sdwa v50, v51 dst_sel:WORD_1 dst_unused:UNUSED_PAD src0_sel:DWORD
	v_cvt_f16_f32_e32 v51, v59
	v_cvt_f16_f32_sdwa v47, v47 dst_sel:WORD_1 dst_unused:UNUSED_PAD src0_sel:DWORD
	v_mov_b32_e32 v73, v72
	v_or_b32_e32 v46, v50, v46
	v_lshl_add_u64 v[42:43], v[40:41], 0, 64
	;;#ASMSTART
	global_atomic_pk_add_f16 v[42:43], v46, off
	
	;;#ASMEND
	v_or_b32_e32 v50, v47, v51
	v_mov_b32_e32 v46, v72
	v_mov_b32_e32 v47, v72
	v_pk_mul_f32 v[38:39], v[46:47], v[38:39]
	v_pk_mul_f32 v[46:47], v[72:73], v[36:37]
	v_cmp_eq_u32_e64 s[8:9], 1, v104
	v_mov_b32_e32 v57, v56
	v_lshl_add_u64 v[42:43], v[40:41], 0, s[30:31]
	v_cndmask_b32_e64 v36, v46, v47, s[8:9]
	v_cmp_eq_u32_e32 vcc, 2, v104
	;;#ASMSTART
	global_atomic_pk_add_f16 v[42:43], v50, off
	
	;;#ASMEND
	v_lshl_add_u64 v[50:51], v[40:41], 0, s[34:35]
	v_mov_b32_e32 v40, v56
	v_mov_b32_e32 v41, v56
	v_cndmask_b32_e64 v76, v78, v80, s[6:7]
	v_cndmask_b32_e32 v36, v36, v38, vcc
	v_cmp_eq_u32_e64 s[6:7], 3, v104
	v_pk_mul_f32 v[34:35], v[40:41], v[34:35]
	v_pk_mul_f32 v[40:41], v[56:57], v[32:33]
	v_cndmask_b32_e64 v36, v36, v39, s[6:7]
	v_cndmask_b32_e64 v32, v40, v41, s[8:9]
	ds_bpermute_b32 v54, v115, v36
	v_cndmask_b32_e32 v32, v32, v34, vcc
	v_cndmask_b32_e64 v32, v32, v35, s[6:7]
	ds_bpermute_b32 v43, v115, v32
	v_cmp_eq_u32_e64 s[10:11], 0, v104
	s_waitcnt lgkmcnt(1)
	v_cndmask_b32_e64 v36, v39, v54, s[6:7]
	v_cndmask_b32_e32 v37, v38, v54, vcc
	v_cndmask_b32_e64 v38, v47, v54, s[8:9]
	v_cndmask_b32_e64 v39, v46, v54, s[10:11]
	v_cmp_eq_u32_e64 s[12:13], 1, v105
	v_cmp_eq_u32_e64 s[14:15], 2, v105
	v_mov_b32_e32 v53, v52
	v_cndmask_b32_e64 v42, v39, v38, s[12:13]
	v_cndmask_b32_e64 v32, v42, v37, s[14:15]
	s_waitcnt lgkmcnt(0)
	v_cndmask_b32_e64 v33, v35, v43, s[6:7]
	v_cndmask_b32_e32 v34, v34, v43, vcc
	v_cndmask_b32_e64 v35, v41, v43, s[8:9]
	v_cndmask_b32_e64 v40, v40, v43, s[10:11]
	v_mov_b32_e32 v42, v52
	v_mov_b32_e32 v43, v52
	v_pk_mul_f32 v[30:31], v[42:43], v[30:31]
	v_pk_mul_f32 v[42:43], v[52:53], v[28:29]
	v_mov_b32_e32 v49, v48
	v_cndmask_b32_e64 v28, v42, v43, s[8:9]
	v_cndmask_b32_e32 v28, v28, v30, vcc
	v_cndmask_b32_e64 v28, v28, v31, s[6:7]
	ds_bpermute_b32 v46, v115, v28
	v_mov_b32_e32 v47, v48
	v_pk_mul_f32 v[54:55], v[48:49], v[24:25]
	v_mov_b32_e32 v45, v44
	v_cndmask_b32_e64 v24, v54, v55, s[8:9]
	s_waitcnt lgkmcnt(0)
	v_cndmask_b32_e64 v29, v31, v46, s[6:7]
	v_cndmask_b32_e32 v30, v30, v46, vcc
	v_cndmask_b32_e64 v41, v43, v46, s[8:9]
	v_cndmask_b32_e64 v42, v42, v46, s[10:11]
	v_mov_b32_e32 v46, v48
	v_pk_mul_f32 v[26:27], v[46:47], v[26:27]
	v_pk_mul_f32 v[58:59], v[44:45], v[20:21]
	v_cndmask_b32_e32 v24, v24, v26, vcc
	v_cndmask_b32_e64 v24, v24, v27, s[6:7]
	ds_bpermute_b32 v31, v115, v24
	v_cndmask_b32_e64 v20, v58, v59, s[8:9]
	v_cmp_eq_u32_e64 s[16:17], 3, v105
	v_cndmask_b32_e64 v28, v40, v35, s[12:13]
	v_cndmask_b32_e64 v24, v42, v41, s[12:13]
	s_waitcnt lgkmcnt(0)
	v_cndmask_b32_e64 v46, v55, v31, s[8:9]
	v_cndmask_b32_e64 v47, v54, v31, s[10:11]
	v_mov_b32_e32 v54, v44
	v_mov_b32_e32 v55, v44
	v_pk_mul_f32 v[54:55], v[54:55], v[22:23]
	v_cndmask_b32_e32 v26, v26, v31, vcc
	v_cndmask_b32_e32 v20, v20, v54, vcc
	v_cndmask_b32_e64 v20, v20, v55, s[6:7]
	ds_bpermute_b32 v21, v115, v20
	v_cndmask_b32_e64 v20, v47, v46, s[12:13]
	v_cndmask_b32_e64 v25, v27, v31, s[6:7]
	;; [unrolled: 1-line block ×4, first 2 shown]
	s_waitcnt lgkmcnt(0)
	v_cndmask_b32_e32 v27, v54, v21, vcc
	v_cmp_ne_u32_e32 vcc, 0, v104
	ds_bpermute_b32 v22, v115, v20
	v_cndmask_b32_e64 v23, v55, v21, s[6:7]
	v_cndmask_b32_e32 v20, v59, v21, vcc
	v_cndmask_b32_e64 v21, v58, v21, s[10:11]
	v_cndmask_b32_e64 v31, v21, v20, s[12:13]
	v_cvt_f16_f32_e32 v76, v76
	v_cvt_f16_f32_sdwa v75, v75 dst_sel:WORD_1 dst_unused:UNUSED_PAD src0_sel:DWORD
	v_cndmask_b32_e64 v28, v28, v34, s[14:15]
	v_cndmask_b32_e64 v24, v24, v30, s[14:15]
	;; [unrolled: 1-line block ×7, first 2 shown]
	ds_bpermute_b32 v32, v115, v32
	ds_bpermute_b32 v28, v115, v28
	;; [unrolled: 1-line block ×4, first 2 shown]
	v_or_b32_e32 v43, v75, v76
	;;#ASMSTART
	global_atomic_pk_add_f16 v[50:51], v43, off
	
	;;#ASMEND
	v_add_u32_e32 v43, s71, v109
	v_cmp_gt_u32_e32 vcc, 48, v43
	s_and_b64 exec, exec, vcc
	s_cbranch_execz .LBB304_45
; %bb.41:                               ;   in Loop: Header=BB304_7 Depth=1
	v_cmp_eq_u32_e64 s[8:9], 1, v105
	v_cmp_eq_u32_e64 s[10:11], 0, v105
	v_cmp_eq_u32_e32 vcc, 3, v105
	s_waitcnt lgkmcnt(3)
	v_cndmask_b32_e64 v38, v38, v32, s[8:9]
	v_cndmask_b32_e64 v39, v39, v32, s[10:11]
	s_waitcnt lgkmcnt(2)
	v_cndmask_b32_e64 v35, v35, v28, s[8:9]
	v_cndmask_b32_e64 v40, v40, v28, s[10:11]
	;; [unrolled: 3-line block ×3, first 2 shown]
	v_cvt_f16_f32_e32 v39, v39
	v_cvt_f16_f32_sdwa v38, v38 dst_sel:WORD_1 dst_unused:UNUSED_PAD src0_sel:DWORD
	v_cvt_f16_f32_e32 v40, v40
	v_cvt_f16_f32_sdwa v35, v35 dst_sel:WORD_1 dst_unused:UNUSED_PAD src0_sel:DWORD
	;; [unrolled: 2-line block ×3, first 2 shown]
	s_waitcnt lgkmcnt(0)
	v_cndmask_b32_e64 v50, v20, v31, s[8:9]
	v_cndmask_b32_e64 v51, v21, v31, s[10:11]
	v_lshl_add_u64 v[20:21], v[64:65], 1, s[52:53]
	v_or_b32_e32 v38, v38, v39
	v_or_b32_e32 v35, v35, v40
	v_cndmask_b32_e64 v46, v46, v22, s[8:9]
	v_cndmask_b32_e64 v47, v47, v22, s[10:11]
	;;#ASMSTART
	global_atomic_pk_add_f16 v[20:21], v38, off
	
	;;#ASMEND
	v_lshl_add_u64 v[38:39], v[20:21], 0, 32
	;;#ASMSTART
	global_atomic_pk_add_f16 v[38:39], v35, off
	
	;;#ASMEND
	v_or_b32_e32 v35, v41, v42
	v_lshl_add_u64 v[38:39], v[20:21], 0, 64
	;;#ASMSTART
	global_atomic_pk_add_f16 v[38:39], v35, off
	
	;;#ASMEND
	v_cvt_f16_f32_e32 v35, v47
	v_cvt_f16_f32_sdwa v40, v46 dst_sel:WORD_1 dst_unused:UNUSED_PAD src0_sel:DWORD
	v_cvt_f16_f32_e32 v41, v51
	v_cvt_f16_f32_sdwa v42, v50 dst_sel:WORD_1 dst_unused:UNUSED_PAD src0_sel:DWORD
	v_cmp_eq_u32_e64 s[6:7], 2, v105
	v_lshl_add_u64 v[38:39], v[20:21], 0, s[30:31]
	v_or_b32_e32 v35, v40, v35
	v_cmp_gt_u32_e64 s[8:9], 46, v43
	;;#ASMSTART
	global_atomic_pk_add_f16 v[38:39], v35, off
	
	;;#ASMEND
	v_lshl_add_u64 v[38:39], v[20:21], 0, s[34:35]
	v_or_b32_e32 v35, v42, v41
	;;#ASMSTART
	global_atomic_pk_add_f16 v[38:39], v35, off
	
	;;#ASMEND
	s_and_b64 exec, exec, s[8:9]
	s_cbranch_execz .LBB304_45
; %bb.42:                               ;   in Loop: Header=BB304_7 Depth=1
	v_cndmask_b32_e32 v35, v36, v32, vcc
	v_cndmask_b32_e64 v32, v37, v32, s[6:7]
	v_cndmask_b32_e32 v33, v33, v28, vcc
	v_cndmask_b32_e64 v28, v34, v28, s[6:7]
	;; [unrolled: 2-line block ×5, first 2 shown]
	v_cvt_f16_f32_e32 v22, v32
	v_cvt_f16_f32_sdwa v23, v35 dst_sel:WORD_1 dst_unused:UNUSED_PAD src0_sel:DWORD
	v_cvt_f16_f32_e32 v28, v28
	v_cvt_f16_f32_sdwa v31, v33 dst_sel:WORD_1 dst_unused:UNUSED_PAD src0_sel:DWORD
	v_lshl_add_u64 v[20:21], s[28:29], 2, v[20:21]
	v_or_b32_e32 v22, v23, v22
	;;#ASMSTART
	global_atomic_pk_add_f16 v[20:21], v22, off
	
	;;#ASMEND
	v_or_b32_e32 v28, v31, v28
	v_lshl_add_u64 v[22:23], v[20:21], 0, 32
	;;#ASMSTART
	global_atomic_pk_add_f16 v[22:23], v28, off
	
	;;#ASMEND
	v_cvt_f16_f32_e32 v24, v24
	v_cvt_f16_f32_sdwa v28, v29 dst_sel:WORD_1 dst_unused:UNUSED_PAD src0_sel:DWORD
	v_cvt_f16_f32_e32 v26, v26
	v_cvt_f16_f32_sdwa v25, v25 dst_sel:WORD_1 dst_unused:UNUSED_PAD src0_sel:DWORD
	v_lshl_add_u64 v[22:23], v[20:21], 0, 64
	v_or_b32_e32 v24, v28, v24
	;;#ASMSTART
	global_atomic_pk_add_f16 v[22:23], v24, off
	
	;;#ASMEND
	v_or_b32_e32 v26, v25, v26
	v_mov_b32_e32 v24, v72
	v_mov_b32_e32 v25, v72
	v_pk_mul_f32 v[18:19], v[24:25], v[18:19]
	v_pk_mul_f32 v[24:25], v[72:73], v[16:17]
	v_cmp_eq_u32_e64 s[8:9], 1, v104
	v_lshl_add_u64 v[22:23], v[20:21], 0, s[30:31]
	v_cmp_eq_u32_e32 vcc, 2, v104
	v_cndmask_b32_e64 v16, v24, v25, s[8:9]
	;;#ASMSTART
	global_atomic_pk_add_f16 v[22:23], v26, off
	
	;;#ASMEND
	v_cvt_f16_f32_e32 v31, v27
	v_lshl_add_u64 v[26:27], v[20:21], 0, s[34:35]
	v_mov_b32_e32 v20, v56
	v_mov_b32_e32 v21, v56
	v_cndmask_b32_e32 v16, v16, v18, vcc
	v_cmp_eq_u32_e64 s[6:7], 3, v104
	v_pk_mul_f32 v[14:15], v[20:21], v[14:15]
	v_pk_mul_f32 v[20:21], v[56:57], v[12:13]
	v_cndmask_b32_e64 v16, v16, v19, s[6:7]
	v_cndmask_b32_e64 v12, v20, v21, s[8:9]
	ds_bpermute_b32 v28, v115, v16
	v_cndmask_b32_e32 v12, v12, v14, vcc
	v_cndmask_b32_e64 v12, v12, v15, s[6:7]
	ds_bpermute_b32 v23, v115, v12
	v_cmp_eq_u32_e64 s[10:11], 0, v104
	s_waitcnt lgkmcnt(1)
	v_cndmask_b32_e64 v16, v19, v28, s[6:7]
	v_cndmask_b32_e32 v17, v18, v28, vcc
	v_cndmask_b32_e64 v18, v25, v28, s[8:9]
	v_cndmask_b32_e64 v19, v24, v28, s[10:11]
	v_cmp_eq_u32_e64 s[12:13], 1, v105
	v_cmp_eq_u32_e64 s[14:15], 2, v105
	s_waitcnt lgkmcnt(0)
	v_cndmask_b32_e64 v13, v15, v23, s[6:7]
	v_cndmask_b32_e64 v22, v19, v18, s[12:13]
	;; [unrolled: 1-line block ×3, first 2 shown]
	v_cndmask_b32_e32 v14, v14, v23, vcc
	v_cndmask_b32_e64 v15, v21, v23, s[8:9]
	v_cndmask_b32_e64 v20, v20, v23, s[10:11]
	v_mov_b32_e32 v22, v52
	v_mov_b32_e32 v23, v52
	v_pk_mul_f32 v[6:7], v[22:23], v[6:7]
	v_pk_mul_f32 v[22:23], v[52:53], v[4:5]
	v_mov_b32_e32 v25, v48
	v_cndmask_b32_e64 v4, v22, v23, s[8:9]
	v_cndmask_b32_e32 v4, v4, v6, vcc
	v_cndmask_b32_e64 v4, v4, v7, s[6:7]
	ds_bpermute_b32 v24, v115, v4
	v_pk_mul_f32 v[28:29], v[48:49], v[0:1]
	v_cmp_eq_u32_e64 s[16:17], 3, v105
	v_cndmask_b32_e64 v0, v28, v29, s[8:9]
	v_cndmask_b32_e64 v4, v20, v15, s[12:13]
	s_waitcnt lgkmcnt(0)
	v_cndmask_b32_e64 v5, v7, v24, s[6:7]
	v_cndmask_b32_e32 v6, v6, v24, vcc
	v_cndmask_b32_e64 v21, v23, v24, s[8:9]
	v_cndmask_b32_e64 v22, v22, v24, s[10:11]
	v_mov_b32_e32 v24, v48
	v_pk_mul_f32 v[24:25], v[24:25], v[2:3]
	v_cvt_f16_f32_sdwa v30, v30 dst_sel:WORD_1 dst_unused:UNUSED_PAD src0_sel:DWORD
	v_cndmask_b32_e32 v0, v0, v24, vcc
	v_cndmask_b32_e64 v0, v0, v25, s[6:7]
	ds_bpermute_b32 v1, v115, v0
	v_cndmask_b32_e64 v0, v22, v21, s[12:13]
	v_cndmask_b32_e64 v0, v0, v6, s[14:15]
	;; [unrolled: 1-line block ×3, first 2 shown]
	ds_bpermute_b32 v2, v115, v0
	s_waitcnt lgkmcnt(1)
	v_cndmask_b32_e64 v3, v25, v1, s[6:7]
	v_cndmask_b32_e32 v7, v24, v1, vcc
	v_cndmask_b32_e64 v0, v29, v1, s[8:9]
	v_cndmask_b32_e64 v1, v28, v1, s[10:11]
	v_mov_b32_e32 v24, v44
	v_mov_b32_e32 v25, v44
	v_pk_mul_f32 v[28:29], v[44:45], v[8:9]
	v_pk_mul_f32 v[24:25], v[24:25], v[10:11]
	v_cndmask_b32_e64 v8, v28, v29, s[8:9]
	v_cndmask_b32_e32 v8, v8, v24, vcc
	v_cndmask_b32_e64 v8, v8, v25, s[6:7]
	ds_bpermute_b32 v11, v115, v8
	v_cndmask_b32_e64 v8, v1, v0, s[12:13]
	v_cndmask_b32_e64 v8, v8, v7, s[14:15]
	v_cndmask_b32_e64 v8, v8, v3, s[16:17]
	ds_bpermute_b32 v10, v115, v8
	s_waitcnt lgkmcnt(1)
	v_cndmask_b32_e32 v9, v24, v11, vcc
	v_cmp_ne_u32_e32 vcc, 0, v104
	v_cndmask_b32_e64 v8, v25, v11, s[6:7]
	v_cndmask_b32_e64 v25, v28, v11, s[10:11]
	v_cndmask_b32_e32 v24, v29, v11, vcc
	v_cndmask_b32_e64 v11, v25, v24, s[12:13]
	v_cndmask_b32_e64 v4, v4, v14, s[14:15]
	;; [unrolled: 1-line block ×6, first 2 shown]
	ds_bpermute_b32 v12, v115, v12
	ds_bpermute_b32 v4, v115, v4
	;; [unrolled: 1-line block ×3, first 2 shown]
	v_or_b32_e32 v23, v30, v31
	;;#ASMSTART
	global_atomic_pk_add_f16 v[26:27], v23, off
	
	;;#ASMEND
	v_add_u32_e32 v23, s71, v110
	v_cmp_gt_u32_e32 vcc, 48, v23
	s_and_b64 exec, exec, vcc
	s_cbranch_execz .LBB304_45
; %bb.43:                               ;   in Loop: Header=BB304_7 Depth=1
	v_cmp_eq_u32_e64 s[8:9], 1, v105
	v_cmp_eq_u32_e64 s[10:11], 0, v105
	v_cmp_eq_u32_e32 vcc, 3, v105
	s_waitcnt lgkmcnt(2)
	v_cndmask_b32_e64 v18, v18, v12, s[8:9]
	v_cndmask_b32_e64 v19, v19, v12, s[10:11]
	s_waitcnt lgkmcnt(1)
	v_cndmask_b32_e64 v15, v15, v4, s[8:9]
	v_cndmask_b32_e64 v20, v20, v4, s[10:11]
	v_cndmask_b32_e64 v21, v21, v2, s[8:9]
	v_cndmask_b32_e64 v22, v22, v2, s[10:11]
	v_cvt_f16_f32_e32 v19, v19
	v_cvt_f16_f32_sdwa v18, v18 dst_sel:WORD_1 dst_unused:UNUSED_PAD src0_sel:DWORD
	v_cvt_f16_f32_e32 v20, v20
	v_cvt_f16_f32_sdwa v15, v15 dst_sel:WORD_1 dst_unused:UNUSED_PAD src0_sel:DWORD
	;; [unrolled: 2-line block ×3, first 2 shown]
	v_cndmask_b32_e64 v26, v0, v10, s[8:9]
	v_cndmask_b32_e64 v27, v1, v10, s[10:11]
	v_lshl_add_u64 v[0:1], v[66:67], 1, s[52:53]
	v_or_b32_e32 v18, v18, v19
	v_or_b32_e32 v15, v15, v20
	;;#ASMSTART
	global_atomic_pk_add_f16 v[0:1], v18, off
	
	;;#ASMEND
	v_lshl_add_u64 v[18:19], v[0:1], 0, 32
	;;#ASMSTART
	global_atomic_pk_add_f16 v[18:19], v15, off
	
	;;#ASMEND
	v_or_b32_e32 v15, v21, v22
	s_waitcnt lgkmcnt(0)
	v_cndmask_b32_e64 v24, v24, v11, s[8:9]
	v_cndmask_b32_e64 v25, v25, v11, s[10:11]
	v_lshl_add_u64 v[18:19], v[0:1], 0, 64
	;;#ASMSTART
	global_atomic_pk_add_f16 v[18:19], v15, off
	
	;;#ASMEND
	v_cvt_f16_f32_e32 v15, v27
	v_cvt_f16_f32_sdwa v20, v26 dst_sel:WORD_1 dst_unused:UNUSED_PAD src0_sel:DWORD
	v_cvt_f16_f32_e32 v21, v25
	v_cvt_f16_f32_sdwa v22, v24 dst_sel:WORD_1 dst_unused:UNUSED_PAD src0_sel:DWORD
	v_cmp_eq_u32_e64 s[6:7], 2, v105
	v_lshl_add_u64 v[18:19], v[0:1], 0, s[30:31]
	v_or_b32_e32 v15, v20, v15
	v_cmp_gt_u32_e64 s[8:9], 46, v23
	;;#ASMSTART
	global_atomic_pk_add_f16 v[18:19], v15, off
	
	;;#ASMEND
	v_lshl_add_u64 v[18:19], v[0:1], 0, s[34:35]
	v_or_b32_e32 v15, v22, v21
	;;#ASMSTART
	global_atomic_pk_add_f16 v[18:19], v15, off
	
	;;#ASMEND
	s_and_b64 exec, exec, s[8:9]
	s_cbranch_execz .LBB304_45
; %bb.44:                               ;   in Loop: Header=BB304_7 Depth=1
	v_cndmask_b32_e32 v15, v16, v12, vcc
	v_cndmask_b32_e64 v12, v17, v12, s[6:7]
	v_cndmask_b32_e32 v13, v13, v4, vcc
	v_cndmask_b32_e64 v4, v14, v4, s[6:7]
	;; [unrolled: 2-line block ×4, first 2 shown]
	v_cvt_f16_f32_e32 v2, v12
	v_cvt_f16_f32_sdwa v3, v15 dst_sel:WORD_1 dst_unused:UNUSED_PAD src0_sel:DWORD
	v_cvt_f16_f32_e32 v4, v4
	v_cvt_f16_f32_sdwa v10, v13 dst_sel:WORD_1 dst_unused:UNUSED_PAD src0_sel:DWORD
	;; [unrolled: 2-line block ×3, first 2 shown]
	v_lshl_add_u64 v[0:1], s[28:29], 2, v[0:1]
	v_or_b32_e32 v2, v3, v2
	v_or_b32_e32 v4, v10, v4
	v_cndmask_b32_e32 v8, v8, v11, vcc
	v_cndmask_b32_e64 v9, v9, v11, s[6:7]
	;;#ASMSTART
	global_atomic_pk_add_f16 v[0:1], v2, off
	
	;;#ASMEND
	v_lshl_add_u64 v[2:3], v[0:1], 0, 32
	;;#ASMSTART
	global_atomic_pk_add_f16 v[2:3], v4, off
	
	;;#ASMEND
	v_or_b32_e32 v4, v5, v6
	v_lshl_add_u64 v[2:3], v[0:1], 0, 64
	;;#ASMSTART
	global_atomic_pk_add_f16 v[2:3], v4, off
	
	;;#ASMEND
	v_cvt_f16_f32_e32 v4, v7
	v_cvt_f16_f32_sdwa v5, v14 dst_sel:WORD_1 dst_unused:UNUSED_PAD src0_sel:DWORD
	v_cvt_f16_f32_e32 v6, v9
	v_cvt_f16_f32_sdwa v7, v8 dst_sel:WORD_1 dst_unused:UNUSED_PAD src0_sel:DWORD
	v_lshl_add_u64 v[2:3], v[0:1], 0, s[30:31]
	v_or_b32_e32 v4, v5, v4
	;;#ASMSTART
	global_atomic_pk_add_f16 v[2:3], v4, off
	
	;;#ASMEND
	v_lshl_add_u64 v[0:1], v[0:1], 0, s[34:35]
	v_or_b32_e32 v2, v7, v6
	;;#ASMSTART
	global_atomic_pk_add_f16 v[0:1], v2, off
	
	;;#ASMEND
.LBB304_45:                             ;   in Loop: Header=BB304_7 Depth=1
	s_or_b64 exec, exec, s[18:19]
	v_subrev_u32_e32 v116, s72, v116
.LBB304_46:                             ;   in Loop: Header=BB304_7 Depth=1
	s_or_b64 exec, exec, s[50:51]
.LBB304_47:                             ;   in Loop: Header=BB304_7 Depth=1
	s_andn2_saveexec_b64 s[6:7], s[48:49]
	s_cbranch_execz .LBB304_56
; %bb.48:                               ;   in Loop: Header=BB304_7 Depth=1
	s_mul_i32 s16, s72, 5
	v_cmp_gt_i32_e32 vcc, s16, v116
	s_and_saveexec_b64 s[8:9], vcc
	s_cbranch_execz .LBB304_55
; %bb.49:                               ;   in Loop: Header=BB304_7 Depth=1
	s_mul_i32 s10, s46, s23
	s_ashr_i32 s11, s10, 31
	s_waitcnt lgkmcnt(0)
	s_add_u32 s10, s38, s10
	s_addc_u32 s11, s39, s11
	s_ashr_i32 s12, s70, 31
	s_add_u32 s10, s10, s70
	s_addc_u32 s11, s11, s12
	v_lshl_add_u64 v[0:1], s[10:11], 0, v[70:71]
	v_lshl_add_u64 v[8:9], v[0:1], 0, v[68:69]
	s_mov_b64 s[10:11], 0
	s_branch .LBB304_51
.LBB304_50:                             ;   in Loop: Header=BB304_51 Depth=2
	s_or_b64 exec, exec, s[12:13]
	v_lshl_or_b32 v12, v10, 11, v112
	;;#ASMSTART
	s_waitcnt vmcnt(1)
	;;#ASMEND
	ds_write2_b32 v12, v4, v5 offset1:32
	ds_write2_b32 v12, v6, v7 offset0:64 offset1:96
	v_add_u32_e32 v4, 0x400, v12
	v_add_u32_e32 v116, s26, v116
	;;#ASMSTART
	s_waitcnt vmcnt(0)
	;;#ASMEND
	ds_write2_b32 v4, v0, v1 offset1:32
	ds_write2_b32 v4, v2, v3 offset0:64 offset1:96
	v_add_u32_e32 v0, 1, v102
	v_add_u32_e32 v74, s26, v10
	v_cmp_le_i32_e32 vcc, s16, v116
	ds_write_b32 v11, v0 offset:36
	v_add_u32_e32 v0, 2, v102
	s_or_b64 s[10:11], vcc, s[10:11]
	v_cmp_lt_i32_e32 vcc, 14, v74
	s_nop 1
	v_cndmask_b32_e32 v102, v102, v0, vcc
	s_andn2_b64 exec, exec, s[10:11]
	s_cbranch_execz .LBB304_54
.LBB304_51:                             ;   Parent Loop BB304_7 Depth=1
                                        ; =>  This Loop Header: Depth=2
                                        ;       Child Loop BB304_53 Depth 3
	v_cmp_gt_i32_e32 vcc, 15, v74
	s_nop 1
	v_cndmask_b32_e64 v0, -15, 0, vcc
	v_add_u32_e32 v10, v0, v74
	v_mul_hi_i32 v0, v116, s56
	v_lshrrev_b32_e32 v1, 31, v0
	v_ashrrev_i32_e32 v0, 1, v0
	v_add_u32_e32 v0, v0, v1
	v_lshl_add_u32 v1, v0, 2, v0
	v_sub_u32_e32 v2, v116, v1
	v_lshlrev_b32_e32 v0, 7, v0
	v_ashrrev_i32_e32 v1, 31, v0
	v_mul_lo_u32 v2, s60, v2
	v_lshl_add_u64 v[0:1], v[8:9], 0, v[0:1]
	v_ashrrev_i32_e32 v3, 31, v2
	v_lshl_add_u64 v[0:1], v[0:1], 0, v[2:3]
	v_lshlrev_b32_e32 v11, 2, v10
	;;#ASMSTART
	global_load_dwordx4 v[4:7], v[0:1], off offset:0   sc0 sc1 nt  
	global_load_dwordx4 v[0:3], v[0:1], off offset:64  sc0 sc1 nt  
	
	;;#ASMEND
	ds_read_b32 v12, v11 offset:49188
	v_add_u32_e32 v11, 0xc000, v11
	s_waitcnt lgkmcnt(0)
	v_cmp_ne_u32_e32 vcc, v12, v102
	s_and_saveexec_b64 s[12:13], vcc
	s_cbranch_execz .LBB304_50
; %bb.52:                               ;   in Loop: Header=BB304_51 Depth=2
	s_mov_b64 s[14:15], 0
.LBB304_53:                             ;   Parent Loop BB304_7 Depth=1
                                        ;     Parent Loop BB304_51 Depth=2
                                        ; =>    This Inner Loop Header: Depth=3
	;;#ASMSTART
	s_sleep 0
	;;#ASMEND
	ds_read_b32 v12, v11 offset:36
	s_waitcnt lgkmcnt(0)
	v_cmp_eq_u32_e32 vcc, v12, v102
	s_or_b64 s[14:15], vcc, s[14:15]
	s_andn2_b64 exec, exec, s[14:15]
	s_cbranch_execnz .LBB304_53
	s_branch .LBB304_50
.LBB304_54:                             ;   in Loop: Header=BB304_7 Depth=1
	s_or_b64 exec, exec, s[10:11]
.LBB304_55:                             ;   in Loop: Header=BB304_7 Depth=1
	s_or_b64 exec, exec, s[8:9]
	v_subrev_u32_e32 v116, s16, v116
.LBB304_56:                             ;   in Loop: Header=BB304_7 Depth=1
	s_or_b64 exec, exec, s[6:7]
.LBB304_57:                             ;   in Loop: Header=BB304_7 Depth=1
	s_andn2_saveexec_b64 s[6:7], s[44:45]
	s_cbranch_execz .LBB304_6
; %bb.58:                               ;   in Loop: Header=BB304_7 Depth=1
	s_mul_i32 s72, s72, 3
	v_cmp_gt_i32_e32 vcc, s72, v116
	s_and_saveexec_b64 s[8:9], vcc
	s_cbranch_execz .LBB304_5
; %bb.59:                               ;   in Loop: Header=BB304_7 Depth=1
	s_mul_i32 s69, s69, s22
	s_ashr_i32 s10, s69, 31
	s_waitcnt lgkmcnt(0)
	s_add_u32 s11, s36, s69
	v_add_u32_e32 v2, s71, v111
	s_addc_u32 s12, s37, s10
	s_ashr_i32 s13, s70, 31
	v_cmp_gt_u32_e32 vcc, 48, v2
	s_add_u32 s10, s11, s70
	s_addc_u32 s11, s12, s13
	v_cndmask_b32_e32 v0, 0, v113, vcc
	v_ashrrev_i32_e32 v1, 31, v0
	v_lshl_add_u64 v[0:1], s[10:11], 0, v[0:1]
	v_lshl_add_u64 v[8:9], v[0:1], 0, v[68:69]
	v_sub_u32_e32 v10, 47, v2
	s_mov_b64 s[10:11], 0
	s_branch .LBB304_61
.LBB304_60:                             ;   in Loop: Header=BB304_61 Depth=2
	s_or_b64 exec, exec, s[12:13]
	v_lshl_add_u32 v13, v11, 11, v114
	;;#ASMSTART
	s_waitcnt vmcnt(1)
	;;#ASMEND
	ds_write2_b32 v13, v4, v5 offset1:32
	ds_write2_b32 v13, v6, v7 offset0:64 offset1:96
	v_add_u32_e32 v4, 0x400, v13
	v_add_u32_e32 v116, s25, v116
	;;#ASMSTART
	s_waitcnt vmcnt(0)
	;;#ASMEND
	ds_write2_b32 v4, v0, v1 offset1:32
	ds_write2_b32 v4, v2, v3 offset0:64 offset1:96
	v_add_u32_e32 v0, 1, v102
	v_add_u32_e32 v74, s25, v11
	v_cmp_le_i32_e32 vcc, s72, v116
	ds_write_b32 v12, v0
	v_add_u32_e32 v0, 2, v102
	s_or_b64 s[10:11], vcc, s[10:11]
	v_cmp_lt_i32_e32 vcc, 8, v74
	s_nop 1
	v_cndmask_b32_e32 v102, v102, v0, vcc
	s_andn2_b64 exec, exec, s[10:11]
	s_cbranch_execz .LBB304_4
.LBB304_61:                             ;   Parent Loop BB304_7 Depth=1
                                        ; =>  This Loop Header: Depth=2
                                        ;       Child Loop BB304_63 Depth 3
	v_cmp_gt_i32_e32 vcc, 9, v74
	s_nop 1
	v_cndmask_b32_e64 v0, -9, 0, vcc
	v_add_u32_e32 v11, v0, v74
	v_mul_hi_i32 v0, v116, s68
	v_lshrrev_b32_e32 v1, 31, v0
	v_add_u32_e32 v0, v0, v1
	v_lshl_add_u32 v1, v0, 1, v0
	v_sub_u32_e32 v1, v116, v1
	v_lshlrev_b32_e32 v1, 4, v1
	v_cmp_le_i32_e32 vcc, v1, v10
	v_lshlrev_b32_e32 v0, 7, v0
	v_lshlrev_b32_e32 v12, 2, v11
	v_cndmask_b32_e32 v2, 0, v1, vcc
	v_ashrrev_i32_e32 v1, 31, v0
	v_mul_lo_u32 v2, v2, s22
	v_lshl_add_u64 v[0:1], v[8:9], 0, v[0:1]
	v_ashrrev_i32_e32 v3, 31, v2
	v_lshl_add_u64 v[0:1], v[0:1], 0, v[2:3]
	;;#ASMSTART
	global_load_dwordx4 v[4:7], v[0:1], off offset:0   
	global_load_dwordx4 v[0:3], v[0:1], off offset:64  
	
	;;#ASMEND
	ds_read_b32 v13, v12 offset:49152
	v_add_u32_e32 v12, 0xc000, v12
	s_waitcnt lgkmcnt(0)
	v_cmp_ne_u32_e32 vcc, v13, v102
	s_and_saveexec_b64 s[12:13], vcc
	s_cbranch_execz .LBB304_60
; %bb.62:                               ;   in Loop: Header=BB304_61 Depth=2
	s_mov_b64 s[14:15], 0
.LBB304_63:                             ;   Parent Loop BB304_7 Depth=1
                                        ;     Parent Loop BB304_61 Depth=2
                                        ; =>    This Inner Loop Header: Depth=3
	;;#ASMSTART
	s_sleep 0
	;;#ASMEND
	ds_read_b32 v13, v12
	s_waitcnt lgkmcnt(0)
	v_cmp_eq_u32_e32 vcc, v13, v102
	s_or_b64 s[14:15], vcc, s[14:15]
	s_andn2_b64 exec, exec, s[14:15]
	s_cbranch_execnz .LBB304_63
	s_branch .LBB304_60
.LBB304_64:
	s_endpgm
	.section	.rodata,"a",@progbits
	.p2align	6, 0x0
	.amdhsa_kernel _Z19_skinny_gemm_kernelILi3ELi5ELi3ELi16ELi4EEvPKhS1_P6__halfPKfiiiiiiii
		.amdhsa_group_segment_fixed_size 49248
		.amdhsa_private_segment_fixed_size 0
		.amdhsa_kernarg_size 64
		.amdhsa_user_sgpr_count 2
		.amdhsa_user_sgpr_dispatch_ptr 0
		.amdhsa_user_sgpr_queue_ptr 0
		.amdhsa_user_sgpr_kernarg_segment_ptr 1
		.amdhsa_user_sgpr_dispatch_id 0
		.amdhsa_user_sgpr_kernarg_preload_length 0
		.amdhsa_user_sgpr_kernarg_preload_offset 0
		.amdhsa_user_sgpr_private_segment_size 0
		.amdhsa_uses_dynamic_stack 0
		.amdhsa_enable_private_segment 0
		.amdhsa_system_sgpr_workgroup_id_x 1
		.amdhsa_system_sgpr_workgroup_id_y 0
		.amdhsa_system_sgpr_workgroup_id_z 0
		.amdhsa_system_sgpr_workgroup_info 0
		.amdhsa_system_vgpr_workitem_id 0
		.amdhsa_next_free_vgpr 126
		.amdhsa_next_free_sgpr 73
		.amdhsa_accum_offset 128
		.amdhsa_reserve_vcc 1
		.amdhsa_float_round_mode_32 0
		.amdhsa_float_round_mode_16_64 0
		.amdhsa_float_denorm_mode_32 3
		.amdhsa_float_denorm_mode_16_64 3
		.amdhsa_dx10_clamp 1
		.amdhsa_ieee_mode 1
		.amdhsa_fp16_overflow 0
		.amdhsa_tg_split 0
		.amdhsa_exception_fp_ieee_invalid_op 0
		.amdhsa_exception_fp_denorm_src 0
		.amdhsa_exception_fp_ieee_div_zero 0
		.amdhsa_exception_fp_ieee_overflow 0
		.amdhsa_exception_fp_ieee_underflow 0
		.amdhsa_exception_fp_ieee_inexact 0
		.amdhsa_exception_int_div_zero 0
	.end_amdhsa_kernel
	.section	.text._Z19_skinny_gemm_kernelILi3ELi5ELi3ELi16ELi4EEvPKhS1_P6__halfPKfiiiiiiii,"axG",@progbits,_Z19_skinny_gemm_kernelILi3ELi5ELi3ELi16ELi4EEvPKhS1_P6__halfPKfiiiiiiii,comdat
.Lfunc_end304:
	.size	_Z19_skinny_gemm_kernelILi3ELi5ELi3ELi16ELi4EEvPKhS1_P6__halfPKfiiiiiiii, .Lfunc_end304-_Z19_skinny_gemm_kernelILi3ELi5ELi3ELi16ELi4EEvPKhS1_P6__halfPKfiiiiiiii
                                        ; -- End function
	.set _Z19_skinny_gemm_kernelILi3ELi5ELi3ELi16ELi4EEvPKhS1_P6__halfPKfiiiiiiii.num_vgpr, 126
	.set _Z19_skinny_gemm_kernelILi3ELi5ELi3ELi16ELi4EEvPKhS1_P6__halfPKfiiiiiiii.num_agpr, 0
	.set _Z19_skinny_gemm_kernelILi3ELi5ELi3ELi16ELi4EEvPKhS1_P6__halfPKfiiiiiiii.numbered_sgpr, 73
	.set _Z19_skinny_gemm_kernelILi3ELi5ELi3ELi16ELi4EEvPKhS1_P6__halfPKfiiiiiiii.num_named_barrier, 0
	.set _Z19_skinny_gemm_kernelILi3ELi5ELi3ELi16ELi4EEvPKhS1_P6__halfPKfiiiiiiii.private_seg_size, 0
	.set _Z19_skinny_gemm_kernelILi3ELi5ELi3ELi16ELi4EEvPKhS1_P6__halfPKfiiiiiiii.uses_vcc, 1
	.set _Z19_skinny_gemm_kernelILi3ELi5ELi3ELi16ELi4EEvPKhS1_P6__halfPKfiiiiiiii.uses_flat_scratch, 0
	.set _Z19_skinny_gemm_kernelILi3ELi5ELi3ELi16ELi4EEvPKhS1_P6__halfPKfiiiiiiii.has_dyn_sized_stack, 0
	.set _Z19_skinny_gemm_kernelILi3ELi5ELi3ELi16ELi4EEvPKhS1_P6__halfPKfiiiiiiii.has_recursion, 0
	.set _Z19_skinny_gemm_kernelILi3ELi5ELi3ELi16ELi4EEvPKhS1_P6__halfPKfiiiiiiii.has_indirect_call, 0
	.section	.AMDGPU.csdata,"",@progbits
; Kernel info:
; codeLenInByte = 8072
; TotalNumSgprs: 79
; NumVgprs: 126
; NumAgprs: 0
; TotalNumVgprs: 126
; ScratchSize: 0
; MemoryBound: 0
; FloatMode: 240
; IeeeMode: 1
; LDSByteSize: 49248 bytes/workgroup (compile time only)
; SGPRBlocks: 9
; VGPRBlocks: 15
; NumSGPRsForWavesPerEU: 79
; NumVGPRsForWavesPerEU: 126
; AccumOffset: 128
; Occupancy: 4
; WaveLimiterHint : 0
; COMPUTE_PGM_RSRC2:SCRATCH_EN: 0
; COMPUTE_PGM_RSRC2:USER_SGPR: 2
; COMPUTE_PGM_RSRC2:TRAP_HANDLER: 0
; COMPUTE_PGM_RSRC2:TGID_X_EN: 1
; COMPUTE_PGM_RSRC2:TGID_Y_EN: 0
; COMPUTE_PGM_RSRC2:TGID_Z_EN: 0
; COMPUTE_PGM_RSRC2:TIDIG_COMP_CNT: 0
; COMPUTE_PGM_RSRC3_GFX90A:ACCUM_OFFSET: 31
; COMPUTE_PGM_RSRC3_GFX90A:TG_SPLIT: 0
	.section	.text._Z19_skinny_gemm_kernelILi3ELi5ELi3ELi32ELi4EEvPKhS1_P6__halfPKfiiiiiiii,"axG",@progbits,_Z19_skinny_gemm_kernelILi3ELi5ELi3ELi32ELi4EEvPKhS1_P6__halfPKfiiiiiiii,comdat
	.protected	_Z19_skinny_gemm_kernelILi3ELi5ELi3ELi32ELi4EEvPKhS1_P6__halfPKfiiiiiiii ; -- Begin function _Z19_skinny_gemm_kernelILi3ELi5ELi3ELi32ELi4EEvPKhS1_P6__halfPKfiiiiiiii
	.globl	_Z19_skinny_gemm_kernelILi3ELi5ELi3ELi32ELi4EEvPKhS1_P6__halfPKfiiiiiiii
	.p2align	8
	.type	_Z19_skinny_gemm_kernelILi3ELi5ELi3ELi32ELi4EEvPKhS1_P6__halfPKfiiiiiiii,@function
_Z19_skinny_gemm_kernelILi3ELi5ELi3ELi32ELi4EEvPKhS1_P6__halfPKfiiiiiiii: ; @_Z19_skinny_gemm_kernelILi3ELi5ELi3ELi32ELi4EEvPKhS1_P6__halfPKfiiiiiiii
; %bb.0:
	v_cmp_gt_u32_e32 vcc, 24, v0
	s_and_saveexec_b64 s[4:5], vcc
; %bb.1:
	v_lshlrev_b32_e32 v1, 2, v0
	v_mov_b32_e32 v2, 0
	ds_write_b32 v1, v2 offset:49152
; %bb.2:
	s_or_b64 exec, exec, s[4:5]
	s_load_dwordx8 s[24:31], s[0:1], 0x20
	s_waitcnt lgkmcnt(0)
	s_barrier
	s_add_i32 s3, s24, 0x5f
	s_mul_hi_i32 s3, s3, 0x2aaaaaab
	s_add_i32 s4, s25, 0x9f
	s_lshr_b32 s5, s3, 31
	s_ashr_i32 s3, s3, 4
	s_add_i32 s14, s3, s5
	s_mul_hi_i32 s3, s4, 0x66666667
	s_lshr_b32 s4, s3, 31
	s_ashr_i32 s3, s3, 6
	s_add_i32 s15, s3, s4
	s_mul_i32 s3, s15, s14
	s_mul_i32 s3, s3, s28
	s_add_i32 s4, s3, 0x12f
	s_mul_hi_i32 s4, s4, 0x6bca1af3
	s_lshr_b32 s5, s4, 31
	s_ashr_i32 s4, s4, 7
	s_add_i32 s4, s4, s5
	s_add_i32 s5, s2, 1
	s_mul_i32 s5, s4, s5
	v_cvt_f64_i32_e32 v[2:3], s3
	v_cvt_f64_u32_e32 v[4:5], s5
	v_min_f64 v[2:3], v[2:3], v[4:5]
	v_cvt_i32_f64_e32 v1, v[2:3]
	s_mul_i32 s2, s4, s2
	v_cmp_ge_i32_e32 vcc, s2, v1
	scratch_store_dword off, v1, off offset:4 ; 4-byte Folded Spill
	s_cbranch_vccnz .LBB305_55
; %bb.3:
	s_load_dwordx8 s[16:23], s[0:1], 0x0
	v_lshrrev_b32_e32 v1, 6, v0
	s_add_i32 s0, s30, s29
	v_cmp_le_i32_e64 s[34:35], s0, v1
	v_mov_b32_e32 v2, s29
	v_cmp_le_i32_e64 s[36:37], s29, v1
	v_mov_b32_e32 v3, s30
	v_cndmask_b32_e64 v3, 0, v3, s[34:35]
	v_cndmask_b32_e64 v2, 0, v2, s[36:37]
	s_abs_i32 s1, s28
	v_add_u32_e32 v2, v2, v3
	v_cvt_f32_u32_e32 v3, s1
	v_sub_u32_e32 v88, v1, v2
	s_ashr_i32 s3, s26, 31
	s_lshr_b32 s3, s3, 26
	v_rcp_iflag_f32_e32 v2, v3
	s_sub_i32 s6, 0, s1
	s_add_i32 s3, s26, s3
	s_ashr_i32 s3, s3, 6
	v_mul_f32_e32 v2, 0x4f7ffffe, v2
	v_cvt_u32_f32_e32 v2, v2
	s_abs_i32 s5, s3
	s_xor_b32 s4, s3, s28
	s_ashr_i32 s4, s4, 31
	v_readfirstlane_b32 s7, v2
	s_mul_i32 s6, s6, s7
	s_mul_hi_u32 s6, s7, s6
	s_add_i32 s7, s7, s6
	s_mul_hi_u32 s6, s5, s7
	s_mul_i32 s7, s6, s1
	s_sub_i32 s5, s5, s7
	s_add_i32 s7, s6, 1
	s_sub_i32 s8, s5, s1
	s_cmp_ge_u32 s5, s1
	s_cselect_b32 s6, s7, s6
	s_cselect_b32 s5, s8, s5
	s_add_i32 s7, s6, 1
	s_cmp_ge_u32 s5, s1
	s_cselect_b32 s1, s7, s6
	s_add_i32 s0, s0, s31
	v_and_b32_e32 v85, 31, v0
	v_lshrrev_b32_e32 v2, 3, v0
	v_cmp_gt_i32_e64 s[42:43], s0, v1
	v_lshlrev_b32_e32 v1, 2, v85
	v_and_b32_e32 v3, 4, v2
	v_lshlrev_b32_e32 v2, 6, v3
	v_or_b32_e32 v4, 0x7800, v1
	v_or_b32_e32 v5, v4, v2
	scratch_store_dword off, v5, off        ; 4-byte Folded Spill
	v_and_b32_e32 v5, 1, v0
	v_or_b32_e32 v98, v1, v2
	v_lshlrev_b32_e32 v2, 1, v5
	v_sub_u32_e32 v2, v0, v2
	v_add_u32_e32 v2, 1, v2
	v_and_b32_e32 v6, 63, v2
	v_bitop3_b32 v2, v0, 1, v0 bitop3:0xc
	scratch_store_dword off, v2, off offset:32 ; 4-byte Folded Spill
	v_bitop3_b32 v2, v0, 3, 1 bitop3:0x6c
	scratch_store_dword off, v2, off offset:36 ; 4-byte Folded Spill
	;; [unrolled: 2-line block ×8, first 2 shown]
	v_or_b32_e32 v2, 32, v85
	s_add_i32 s39, s28, -1
	scratch_store_dword off, v2, off offset:64 ; 4-byte Folded Spill
	v_or_b32_e32 v2, 64, v85
	v_lshrrev_b32_e32 v7, 1, v0
	s_abs_i32 s28, s14
	scratch_store_dword off, v2, off offset:68 ; 4-byte Folded Spill
	v_or_b32_e32 v2, 0x60, v85
	v_and_b32_e32 v8, 16, v7
	v_cvt_f32_u32_e32 v7, s28
	scratch_store_dword off, v2, off offset:72 ; 4-byte Folded Spill
	v_or_b32_e32 v2, 0x80, v85
	scratch_store_dword off, v2, off offset:76 ; 4-byte Folded Spill
	v_and_b32_e32 v2, 30, v0
	v_lshlrev_b32_e32 v0, 4, v0
                                        ; implicit-def: $vgpr127 : SGPR spill to VGPR lane
	v_and_b32_e32 v0, 0x200, v0
	v_writelane_b32 v127, s14, 0
	s_xor_b32 s1, s1, s4
	v_or_b32_e32 v111, v1, v0
	v_rcp_iflag_f32_e32 v1, v7
	v_writelane_b32 v127, s15, 1
	s_sub_i32 s38, s1, s4
	s_waitcnt lgkmcnt(0)
	v_writelane_b32 v127, s16, 2
	s_mul_i32 s1, s38, s39
	s_sub_i32 s40, s3, s1
	v_writelane_b32 v127, s17, 3
	s_abs_i32 s3, s15
	v_writelane_b32 v127, s18, 4
	v_or_b32_e32 v113, v4, v0
	v_mul_f32_e32 v0, 0x4f7ffffe, v1
	v_cvt_f32_u32_e32 v1, s3
	v_writelane_b32 v127, s19, 5
	v_writelane_b32 v127, s20, 6
	v_writelane_b32 v127, s21, 7
	v_writelane_b32 v127, s22, 8
	v_cvt_u32_f32_e32 v0, v0
	v_rcp_iflag_f32_e32 v1, v1
	v_writelane_b32 v127, s23, 9
	v_cndmask_b32_e64 v95, 0, 1, s[34:35]
	v_writelane_b32 v127, s34, 10
	v_readfirstlane_b32 s1, v0
	v_mul_f32_e32 v0, 0x4f7ffffe, v1
	v_writelane_b32 v127, s35, 11
	v_writelane_b32 v127, s36, 12
	v_cvt_u32_f32_e32 v0, v0
	s_sub_i32 s0, 0, s28
	v_writelane_b32 v127, s37, 13
	v_writelane_b32 v127, s38, 14
	;; [unrolled: 1-line block ×3, first 2 shown]
	s_mul_i32 s0, s0, s1
	v_writelane_b32 v127, s40, 16
	s_mul_hi_u32 s0, s1, s0
	v_writelane_b32 v127, s42, 17
	s_ashr_i32 s41, s14, 31
	s_add_i32 s44, s1, s0
	s_sub_i32 s0, 0, s3
	v_readfirstlane_b32 s1, v0
	v_writelane_b32 v127, s43, 18
	s_mul_i32 s0, s0, s1
	v_mbcnt_lo_u32_b32 v0, -1, 0
	v_writelane_b32 v127, s41, 19
	s_ashr_i32 s45, s15, 31
	s_mul_hi_u32 s0, s1, s0
	v_mbcnt_hi_u32_b32 v0, -1, v0
	v_writelane_b32 v127, s44, 20
	v_mov_b32_e32 v97, 0
	v_mul_lo_u32 v10, s27, v85
	s_add_i32 s46, s1, s0
	v_and_or_b32 v0, v0, 64, v6
	v_writelane_b32 v127, s45, 21
	v_ashrrev_i32_e32 v11, 31, v10
	v_mov_b32_e32 v9, v97
	s_lshl_b32 s33, s27, 5
	v_mul_lo_u32 v7, s26, v85
	v_or_b32_e32 v114, v5, v3
	v_lshlrev_b32_e32 v96, 1, v2
	v_lshlrev_b32_e32 v115, 2, v0
	v_mov_b32_e32 v116, v88
	v_writelane_b32 v127, s46, 22
	scratch_store_dwordx2 off, v[10:11], off offset:80 ; 8-byte Folded Spill
	scratch_store_dwordx2 off, v[8:9], off offset:8 ; 8-byte Folded Spill
	scratch_store_dword off, v7, off offset:16 ; 4-byte Folded Spill
	scratch_store_dword off, v85, off offset:28 ; 4-byte Folded Spill
	s_branch .LBB305_7
.LBB305_4:                              ;   in Loop: Header=BB305_7 Depth=1
	s_or_b64 exec, exec, s[6:7]
.LBB305_5:                              ;   in Loop: Header=BB305_7 Depth=1
	s_or_b64 exec, exec, s[4:5]
	v_subrev_u32_e32 v116, s98, v116
.LBB305_6:                              ;   in Loop: Header=BB305_7 Depth=1
	s_or_b64 exec, exec, s[0:1]
	scratch_load_dword v0, off, off offset:4 ; 4-byte Folded Reload
	s_add_i32 s2, s2, 1
	s_waitcnt vmcnt(0)
	v_cmp_ge_i32_e32 vcc, s2, v0
	s_cbranch_vccnz .LBB305_55
.LBB305_7:                              ; =>This Loop Header: Depth=1
                                        ;     Child Loop BB305_13 Depth 2
                                        ;       Child Loop BB305_15 Depth 3
                                        ;       Child Loop BB305_18 Depth 3
                                        ;       Child Loop BB305_21 Depth 3
                                        ;       Child Loop BB305_24 Depth 3
                                        ;       Child Loop BB305_27 Depth 3
                                        ;       Child Loop BB305_30 Depth 3
                                        ;     Child Loop BB305_34 Depth 2
                                        ;     Child Loop BB305_42 Depth 2
                                        ;       Child Loop BB305_44 Depth 3
                                        ;     Child Loop BB305_52 Depth 2
                                        ;       Child Loop BB305_54 Depth 3
	s_abs_i32 s1, s2
	s_mul_hi_u32 s4, s1, s44
	s_mul_i32 s5, s4, s28
	s_ashr_i32 s0, s2, 31
	s_sub_i32 s1, s1, s5
	s_xor_b32 s0, s0, s41
	s_add_i32 s5, s4, 1
	s_sub_i32 s6, s1, s28
	s_cmp_ge_u32 s1, s28
	s_cselect_b32 s4, s5, s4
	s_cselect_b32 s1, s6, s1
	s_add_i32 s5, s4, 1
	s_cmp_ge_u32 s1, s28
	s_cselect_b32 s1, s5, s4
	s_xor_b32 s1, s1, s0
	s_sub_i32 s0, s1, s0
	s_abs_i32 s4, s0
	s_mul_i32 s1, s0, s14
	s_mul_hi_u32 s5, s4, s46
	s_sub_i32 s1, s2, s1
	s_mul_i32 s6, s5, s3
	s_mul_i32 s47, s1, 0x60
	s_ashr_i32 s1, s0, 31
	s_sub_i32 s4, s4, s6
	s_xor_b32 s1, s1, s45
	s_add_i32 s6, s5, 1
	s_sub_i32 s7, s4, s3
	s_cmp_ge_u32 s4, s3
	s_cselect_b32 s5, s6, s5
	s_cselect_b32 s4, s7, s4
	s_add_i32 s6, s5, 1
	s_cmp_ge_u32 s4, s3
	s_cselect_b32 s4, s6, s5
	s_xor_b32 s4, s4, s1
	s_sub_i32 s1, s4, s1
	s_mul_i32 s4, s1, s38
	s_lshl_b32 s13, s4, 6
	s_cmp_eq_u32 s1, s39
	s_cselect_b32 s98, s40, s38
	s_sub_i32 s4, s47, s24
	s_addk_i32 s4, 0x60
	s_max_i32 s99, s4, 0
	s_and_saveexec_b64 s[4:5], s[36:37]
	s_xor_b64 s[48:49], exec, s[4:5]
	s_cbranch_execz .LBB305_48
; %bb.8:                                ;   in Loop: Header=BB305_7 Depth=1
	s_mul_i32 s1, s1, s15
	s_sub_i32 s0, s0, s1
	s_mulk_i32 s0, 0xa0
	s_sub_i32 s70, s0, s25
	s_addk_i32 s70, 0xa0
	v_writelane_b32 v127, s48, 23
	s_max_i32 s1, s70, 0
	s_mov_b32 s4, s13
	v_writelane_b32 v127, s49, 24
	s_sub_i32 s68, s0, s1
	s_and_saveexec_b64 s[0:1], s[34:35]
	s_xor_b64 s[0:1], exec, s[0:1]
	s_cbranch_execz .LBB305_38
; %bb.9:                                ;   in Loop: Header=BB305_7 Depth=1
	s_mov_b64 s[6:7], exec
	v_writelane_b32 v127, s6, 25
	s_nop 1
	v_writelane_b32 v127, s7, 26
	s_and_b64 s[6:7], s[6:7], s[42:43]
	s_mov_b64 exec, s[6:7]
	s_cbranch_execz .LBB305_37
; %bb.10:                               ;   in Loop: Header=BB305_7 Depth=1
	global_load_dword v117, v97, s[22:23]
	v_mov_b32_e32 v79, 0
	v_cmp_gt_i32_e32 vcc, s98, v116
	v_mov_b32_e32 v78, v79
	v_mov_b32_e32 v77, v79
	;; [unrolled: 1-line block ×79, first 2 shown]
	s_and_saveexec_b64 s[6:7], vcc
	s_cbranch_execz .LBB305_32
; %bb.11:                               ;   in Loop: Header=BB305_7 Depth=1
	v_mov_b32_e32 v0, 0
	s_mov_b64 s[8:9], 0
	v_mov_b32_e32 v1, v0
	v_mov_b32_e32 v2, v0
	v_mov_b32_e32 v3, v0
	v_mov_b32_e32 v4, v0
	v_mov_b32_e32 v5, v0
	v_mov_b32_e32 v6, v0
	v_mov_b32_e32 v7, v0
	v_mov_b32_e32 v8, v0
	v_mov_b32_e32 v9, v0
	v_mov_b32_e32 v10, v0
	v_mov_b32_e32 v11, v0
	v_mov_b32_e32 v12, v0
	v_mov_b32_e32 v13, v0
	v_mov_b32_e32 v14, v0
	v_mov_b32_e32 v15, v0
	v_mov_b32_e32 v16, v0
	v_mov_b32_e32 v17, v0
	v_mov_b32_e32 v18, v0
	v_mov_b32_e32 v19, v0
	v_mov_b32_e32 v20, v0
	v_mov_b32_e32 v21, v0
	v_mov_b32_e32 v22, v0
	v_mov_b32_e32 v23, v0
	v_mov_b32_e32 v24, v0
	v_mov_b32_e32 v25, v0
	v_mov_b32_e32 v26, v0
	v_mov_b32_e32 v27, v0
	v_mov_b32_e32 v28, v0
	v_mov_b32_e32 v29, v0
	v_mov_b32_e32 v30, v0
	v_mov_b32_e32 v31, v0
	v_mov_b32_e32 v32, v0
	v_mov_b32_e32 v33, v0
	v_mov_b32_e32 v34, v0
	v_mov_b32_e32 v35, v0
	v_mov_b32_e32 v36, v0
	v_mov_b32_e32 v37, v0
	v_mov_b32_e32 v38, v0
	v_mov_b32_e32 v39, v0
	v_mov_b32_e32 v40, v0
	v_mov_b32_e32 v41, v0
	v_mov_b32_e32 v42, v0
	v_mov_b32_e32 v43, v0
	v_mov_b32_e32 v44, v0
	v_mov_b32_e32 v45, v0
	v_mov_b32_e32 v46, v0
	v_mov_b32_e32 v47, v0
	v_mov_b32_e32 v48, v0
	v_mov_b32_e32 v49, v0
	v_mov_b32_e32 v50, v0
	v_mov_b32_e32 v51, v0
	v_mov_b32_e32 v52, v0
	v_mov_b32_e32 v53, v0
	v_mov_b32_e32 v54, v0
	v_mov_b32_e32 v55, v0
	v_mov_b32_e32 v56, v0
	v_mov_b32_e32 v57, v0
	v_mov_b32_e32 v58, v0
	v_mov_b32_e32 v59, v0
	v_mov_b32_e32 v60, v0
	v_mov_b32_e32 v61, v0
	v_mov_b32_e32 v62, v0
	v_mov_b32_e32 v63, v0
	v_mov_b32_e32 v64, v0
	v_mov_b32_e32 v65, v0
	v_mov_b32_e32 v66, v0
	v_mov_b32_e32 v67, v0
	v_mov_b32_e32 v68, v0
	v_mov_b32_e32 v69, v0
	v_mov_b32_e32 v70, v0
	v_mov_b32_e32 v71, v0
	v_mov_b32_e32 v72, v0
	v_mov_b32_e32 v73, v0
	v_mov_b32_e32 v74, v0
	v_mov_b32_e32 v75, v0
	v_mov_b32_e32 v76, v0
	v_mov_b32_e32 v77, v0
	v_mov_b32_e32 v78, v0
	v_mov_b32_e32 v79, v0
	s_branch .LBB305_13
.LBB305_12:                             ;   in Loop: Header=BB305_13 Depth=2
	s_or_b64 exec, exec, s[10:11]
	v_add_u32_e32 v81, 0x2000, v80
	ds_read2_b32 v[82:83], v81 offset1:32
	v_add_u32_e32 v116, s31, v116
	s_waitcnt lgkmcnt(0)
	v_mfma_f32_32x32x16_fp8_fp8 v[0:15], v[92:93], v[82:83], v[0:15]
	ds_read2_b32 v[82:83], v81 offset0:128 offset1:160
	s_waitcnt lgkmcnt(0)
	v_mfma_f32_32x32x16_fp8_fp8 v[0:15], v[90:91], v[82:83], v[0:15]
	v_add_u32_e32 v82, 0x2400, v80
	ds_read2_b32 v[80:81], v82 offset1:32
	ds_read2_b32 v[82:83], v82 offset0:128 offset1:160
	ds_write_b32 v119, v120 offset:49188
	s_waitcnt lgkmcnt(2)
	v_mfma_f32_32x32x16_fp8_fp8 v[0:15], v[88:89], v[80:81], v[0:15]
	v_add_u32_e32 v88, s31, v118
	v_add_u32_e32 v80, 2, v95
	v_cmp_lt_i32_e32 vcc, 2, v88
	s_nop 1
	v_cndmask_b32_e32 v95, v95, v80, vcc
	v_cmp_le_i32_e32 vcc, s98, v116
	s_waitcnt lgkmcnt(1)
	v_mfma_f32_32x32x16_fp8_fp8 v[0:15], v[86:87], v[82:83], v[0:15]
	s_or_b64 s[8:9], vcc, s[8:9]
	s_andn2_b64 exec, exec, s[8:9]
	s_cbranch_execz .LBB305_31
.LBB305_13:                             ;   Parent Loop BB305_7 Depth=1
                                        ; =>  This Loop Header: Depth=2
                                        ;       Child Loop BB305_15 Depth 3
                                        ;       Child Loop BB305_18 Depth 3
	;; [unrolled: 1-line block ×6, first 2 shown]
	v_cmp_gt_i32_e32 vcc, 3, v88
	s_nop 1
	v_cndmask_b32_e64 v80, -3, 0, vcc
	v_add_u32_e32 v118, v80, v88
	v_mul_lo_u32 v119, v118, 40
	ds_read_b32 v80, v119 offset:49152
	s_waitcnt lgkmcnt(0)
	v_cmp_ne_u32_e32 vcc, v80, v95
	s_and_saveexec_b64 s[10:11], vcc
	s_cbranch_execz .LBB305_16
; %bb.14:                               ;   in Loop: Header=BB305_13 Depth=2
	s_mov_b64 s[12:13], 0
.LBB305_15:                             ;   Parent Loop BB305_7 Depth=1
                                        ;     Parent Loop BB305_13 Depth=2
                                        ; =>    This Inner Loop Header: Depth=3
	;;#ASMSTART
	s_sleep 0
	;;#ASMEND
	ds_read_b32 v80, v119 offset:49152
	s_waitcnt lgkmcnt(0)
	v_cmp_eq_u32_e32 vcc, v80, v95
	s_or_b64 s[12:13], vcc, s[12:13]
	s_andn2_b64 exec, exec, s[12:13]
	s_cbranch_execnz .LBB305_15
.LBB305_16:                             ;   in Loop: Header=BB305_13 Depth=2
	s_or_b64 exec, exec, s[10:11]
	scratch_load_dword v80, off, off        ; 4-byte Folded Reload
	v_add_u32_e32 v120, 1, v95
	s_waitcnt vmcnt(0)
	v_lshl_add_u32 v80, v118, 11, v80
	ds_read2_b32 v[92:93], v80 offset1:32
	ds_read2_b32 v[90:91], v80 offset0:128 offset1:160
	v_add_u32_e32 v80, 0x400, v80
	ds_read2_b32 v[88:89], v80 offset1:32
	ds_read_b32 v81, v119 offset:49156
	ds_read2_b32 v[86:87], v80 offset0:128 offset1:160
	ds_write_b32 v119, v120 offset:49152
	s_waitcnt lgkmcnt(2)
	v_cmp_ne_u32_e32 vcc, v81, v95
	s_and_saveexec_b64 s[10:11], vcc
	s_cbranch_execz .LBB305_19
; %bb.17:                               ;   in Loop: Header=BB305_13 Depth=2
	s_mov_b64 s[12:13], 0
.LBB305_18:                             ;   Parent Loop BB305_7 Depth=1
                                        ;     Parent Loop BB305_13 Depth=2
                                        ; =>    This Inner Loop Header: Depth=3
	;;#ASMSTART
	s_sleep 0
	;;#ASMEND
	ds_read_b32 v80, v119 offset:49156
	s_waitcnt lgkmcnt(0)
	v_cmp_eq_u32_e32 vcc, v80, v95
	s_or_b64 s[12:13], vcc, s[12:13]
	s_andn2_b64 exec, exec, s[12:13]
	s_cbranch_execnz .LBB305_18
.LBB305_19:                             ;   in Loop: Header=BB305_13 Depth=2
	s_or_b64 exec, exec, s[10:11]
	s_movk_i32 s5, 0x2800
	v_mul_lo_u32 v80, v118, s5
	v_or_b32_e32 v81, v98, v80
	ds_read2_b32 v[82:83], v81 offset1:32
	ds_write_b32 v119, v120 offset:49156
	s_waitcnt lgkmcnt(1)
	v_mfma_f32_32x32x16_fp8_fp8 v[64:79], v[92:93], v[82:83], v[64:79]
	ds_read2_b32 v[82:83], v81 offset0:128 offset1:160
	v_add_u32_e32 v81, 0x400, v81
	s_waitcnt lgkmcnt(0)
	v_mfma_f32_32x32x16_fp8_fp8 v[64:79], v[90:91], v[82:83], v[64:79]
	ds_read2_b32 v[82:83], v81 offset1:32
	s_waitcnt lgkmcnt(0)
	v_mfma_f32_32x32x16_fp8_fp8 v[64:79], v[88:89], v[82:83], v[64:79]
	ds_read2_b32 v[82:83], v81 offset0:128 offset1:160
	ds_read_b32 v81, v119 offset:49164
	s_waitcnt lgkmcnt(0)
	v_cmp_ne_u32_e32 vcc, v81, v95
	v_mfma_f32_32x32x16_fp8_fp8 v[64:79], v[86:87], v[82:83], v[64:79]
	s_and_saveexec_b64 s[10:11], vcc
	s_cbranch_execz .LBB305_22
; %bb.20:                               ;   in Loop: Header=BB305_13 Depth=2
	s_mov_b64 s[12:13], 0
.LBB305_21:                             ;   Parent Loop BB305_7 Depth=1
                                        ;     Parent Loop BB305_13 Depth=2
                                        ; =>    This Inner Loop Header: Depth=3
	;;#ASMSTART
	s_sleep 0
	;;#ASMEND
	ds_read_b32 v81, v119 offset:49164
	s_waitcnt lgkmcnt(0)
	v_cmp_eq_u32_e32 vcc, v81, v95
	s_or_b64 s[12:13], vcc, s[12:13]
	s_andn2_b64 exec, exec, s[12:13]
	s_cbranch_execnz .LBB305_21
.LBB305_22:                             ;   in Loop: Header=BB305_13 Depth=2
	s_or_b64 exec, exec, s[10:11]
	v_add_u32_e32 v80, v98, v80
	v_add_u32_e32 v81, 0x800, v80
	ds_read2_b32 v[82:83], v81 offset1:32
	ds_write_b32 v119, v120 offset:49164
	s_waitcnt lgkmcnt(1)
	v_mfma_f32_32x32x16_fp8_fp8 v[48:63], v[92:93], v[82:83], v[48:63]
	ds_read2_b32 v[82:83], v81 offset0:128 offset1:160
	v_add_u32_e32 v81, 0xc00, v80
	s_waitcnt lgkmcnt(0)
	v_mfma_f32_32x32x16_fp8_fp8 v[48:63], v[90:91], v[82:83], v[48:63]
	ds_read2_b32 v[82:83], v81 offset1:32
	s_waitcnt lgkmcnt(0)
	v_mfma_f32_32x32x16_fp8_fp8 v[48:63], v[88:89], v[82:83], v[48:63]
	ds_read2_b32 v[82:83], v81 offset0:128 offset1:160
	ds_read_b32 v81, v119 offset:49172
	s_waitcnt lgkmcnt(0)
	v_cmp_ne_u32_e32 vcc, v81, v95
	v_mfma_f32_32x32x16_fp8_fp8 v[48:63], v[86:87], v[82:83], v[48:63]
	s_and_saveexec_b64 s[10:11], vcc
	s_cbranch_execz .LBB305_25
; %bb.23:                               ;   in Loop: Header=BB305_13 Depth=2
	s_mov_b64 s[12:13], 0
.LBB305_24:                             ;   Parent Loop BB305_7 Depth=1
                                        ;     Parent Loop BB305_13 Depth=2
                                        ; =>    This Inner Loop Header: Depth=3
	;;#ASMSTART
	s_sleep 0
	;;#ASMEND
	ds_read_b32 v81, v119 offset:49172
	s_waitcnt lgkmcnt(0)
	v_cmp_eq_u32_e32 vcc, v81, v95
	s_or_b64 s[12:13], vcc, s[12:13]
	s_andn2_b64 exec, exec, s[12:13]
	s_cbranch_execnz .LBB305_24
.LBB305_25:                             ;   in Loop: Header=BB305_13 Depth=2
	s_or_b64 exec, exec, s[10:11]
	v_add_u32_e32 v81, 0x1000, v80
	ds_read2_b32 v[82:83], v81 offset1:32
	s_waitcnt lgkmcnt(0)
	v_mfma_f32_32x32x16_fp8_fp8 v[32:47], v[92:93], v[82:83], v[32:47]
	ds_read2_b32 v[82:83], v81 offset0:128 offset1:160
	v_add_u32_e32 v81, 0x1400, v80
	s_waitcnt lgkmcnt(0)
	v_mfma_f32_32x32x16_fp8_fp8 v[32:47], v[90:91], v[82:83], v[32:47]
	ds_read2_b32 v[82:83], v81 offset1:32
	s_waitcnt lgkmcnt(0)
	v_mfma_f32_32x32x16_fp8_fp8 v[32:47], v[88:89], v[82:83], v[32:47]
	ds_read_b32 v84, v119 offset:49180
	ds_read2_b32 v[82:83], v81 offset0:128 offset1:160
	ds_write_b32 v119, v120 offset:49172
	s_waitcnt lgkmcnt(2)
	v_cmp_ne_u32_e32 vcc, v84, v95
	s_waitcnt lgkmcnt(1)
	v_mfma_f32_32x32x16_fp8_fp8 v[32:47], v[86:87], v[82:83], v[32:47]
	s_and_saveexec_b64 s[10:11], vcc
	s_cbranch_execz .LBB305_28
; %bb.26:                               ;   in Loop: Header=BB305_13 Depth=2
	s_mov_b64 s[12:13], 0
.LBB305_27:                             ;   Parent Loop BB305_7 Depth=1
                                        ;     Parent Loop BB305_13 Depth=2
                                        ; =>    This Inner Loop Header: Depth=3
	;;#ASMSTART
	s_sleep 0
	;;#ASMEND
	ds_read_b32 v81, v119 offset:49180
	s_waitcnt lgkmcnt(0)
	v_cmp_eq_u32_e32 vcc, v81, v95
	s_or_b64 s[12:13], vcc, s[12:13]
	s_andn2_b64 exec, exec, s[12:13]
	s_cbranch_execnz .LBB305_27
.LBB305_28:                             ;   in Loop: Header=BB305_13 Depth=2
	s_or_b64 exec, exec, s[10:11]
	v_add_u32_e32 v81, 0x1800, v80
	ds_read2_b32 v[82:83], v81 offset1:32
	s_waitcnt lgkmcnt(0)
	v_mfma_f32_32x32x16_fp8_fp8 v[16:31], v[92:93], v[82:83], v[16:31]
	ds_read2_b32 v[82:83], v81 offset0:128 offset1:160
	v_add_u32_e32 v81, 0x1c00, v80
	s_waitcnt lgkmcnt(0)
	v_mfma_f32_32x32x16_fp8_fp8 v[16:31], v[90:91], v[82:83], v[16:31]
	ds_read2_b32 v[82:83], v81 offset1:32
	s_waitcnt lgkmcnt(0)
	v_mfma_f32_32x32x16_fp8_fp8 v[16:31], v[88:89], v[82:83], v[16:31]
	ds_read_b32 v84, v119 offset:49188
	ds_read2_b32 v[82:83], v81 offset0:128 offset1:160
	ds_write_b32 v119, v120 offset:49180
	s_waitcnt lgkmcnt(2)
	v_cmp_ne_u32_e32 vcc, v84, v95
	s_waitcnt lgkmcnt(1)
	v_mfma_f32_32x32x16_fp8_fp8 v[16:31], v[86:87], v[82:83], v[16:31]
	s_and_saveexec_b64 s[10:11], vcc
	s_cbranch_execz .LBB305_12
; %bb.29:                               ;   in Loop: Header=BB305_13 Depth=2
	s_mov_b64 s[12:13], 0
.LBB305_30:                             ;   Parent Loop BB305_7 Depth=1
                                        ;     Parent Loop BB305_13 Depth=2
                                        ; =>    This Inner Loop Header: Depth=3
	;;#ASMSTART
	s_sleep 0
	;;#ASMEND
	ds_read_b32 v81, v119 offset:49188
	s_waitcnt lgkmcnt(0)
	v_cmp_eq_u32_e32 vcc, v81, v95
	s_or_b64 s[12:13], vcc, s[12:13]
	s_andn2_b64 exec, exec, s[12:13]
	s_cbranch_execnz .LBB305_30
	s_branch .LBB305_12
.LBB305_31:                             ;   in Loop: Header=BB305_7 Depth=1
	s_or_b64 exec, exec, s[8:9]
.LBB305_32:                             ;   in Loop: Header=BB305_7 Depth=1
	s_or_b64 exec, exec, s[6:7]
	scratch_load_dword v99, off, off offset:32 ; 4-byte Folded Reload
	scratch_load_dword v106, off, off offset:40 ; 4-byte Folded Reload
	v_cmp_le_i32_e32 vcc, s70, v85
	v_writelane_b32 v127, s47, 27
	s_mul_i32 s6, s47, s25
	s_waitcnt vmcnt(2)
	v_cndmask_b32_e32 v80, 0, v117, vcc
	v_pk_mul_f32 v[64:65], v[80:81], v[64:65] op_sel_hi:[0,1]
	v_pk_mul_f32 v[78:79], v[80:81], v[78:79] op_sel_hi:[0,1]
	;; [unrolled: 1-line block ×8, first 2 shown]
	s_ashr_i32 s7, s6, 31
	s_lshl_b64 s[6:7], s[6:7], 1
	s_add_u32 s71, s20, s6
	s_addc_u32 s72, s21, s7
	s_ashr_i32 s69, s68, 31
	s_mov_b32 s82, s68
	s_lshl_b64 s[68:69], s[68:69], 1
	v_writelane_b32 v127, s82, 28
	s_add_u32 s68, s71, s68
	s_addc_u32 s69, s72, s69
	v_writelane_b32 v127, s83, 29
	v_writelane_b32 v127, s68, 30
	scratch_store_dwordx2 off, v[96:97], off offset:20 ; 8-byte Folded Spill
	v_subrev_u32_e32 v116, s98, v116
	v_writelane_b32 v127, s69, 31
	s_mov_b32 s5, 0
	s_waitcnt vmcnt(2)
	v_cmp_eq_u32_e64 s[64:65], 1, v99
	s_nop 1
	v_cndmask_b32_e64 v80, v64, v65, s[64:65]
	v_cmp_eq_u32_e64 s[38:39], 2, v99
	v_cmp_eq_u32_e64 s[40:41], 3, v99
	v_cmp_eq_u32_e64 s[42:43], 4, v99
	v_cndmask_b32_e64 v80, v80, v66, s[38:39]
	v_cndmask_b32_e64 v80, v80, v67, s[40:41]
	v_cndmask_b32_e64 v80, v80, v68, s[42:43]
	v_cmp_eq_u32_e64 s[44:45], 5, v99
	v_cmp_eq_u32_e64 s[46:47], 6, v99
	v_cmp_eq_u32_e64 s[48:49], 7, v99
	v_cndmask_b32_e64 v80, v80, v69, s[44:45]
	v_cndmask_b32_e64 v80, v80, v70, s[46:47]
	;; [unrolled: 6-line block ×5, first 2 shown]
	ds_bpermute_b32 v80, v115, v80
	s_waitcnt vmcnt(1)
	v_cmp_eq_u32_e64 s[72:73], 8, v106
	s_waitcnt lgkmcnt(0)
	v_cndmask_b32_e64 v79, v79, v80, s[66:67]
	v_cndmask_b32_e64 v78, v78, v80, s[62:63]
	;; [unrolled: 1-line block ×16, first 2 shown]
	scratch_load_dword v80, off, off offset:36 ; 4-byte Folded Reload
	s_waitcnt vmcnt(0)
	v_cmp_eq_u32_e32 vcc, 1, v80
	s_nop 1
	v_cndmask_b32_e32 v64, v87, v90, vcc
	v_cmp_eq_u32_e64 s[6:7], 2, v80
	v_cmp_eq_u32_e64 s[8:9], 3, v80
	v_cmp_eq_u32_e64 s[10:11], 4, v80
	v_cndmask_b32_e64 v64, v64, v66, s[6:7]
	v_cndmask_b32_e64 v64, v64, v86, s[8:9]
	v_cndmask_b32_e64 v64, v64, v85, s[10:11]
	v_cmp_eq_u32_e64 s[12:13], 5, v80
	v_cmp_eq_u32_e64 s[14:15], 6, v80
	v_cmp_eq_u32_e64 s[16:17], 7, v80
	v_cndmask_b32_e64 v64, v64, v84, s[12:13]
	v_cndmask_b32_e64 v64, v64, v83, s[14:15]
	v_cndmask_b32_e64 v64, v64, v82, s[16:17]
	;; [unrolled: 6-line block ×4, first 2 shown]
	v_cmp_eq_u32_e64 s[80:81], 14, v80
	v_cmp_eq_u32_e64 s[34:35], 15, v80
	s_nop 0
	v_cndmask_b32_e64 v64, v64, v78, s[80:81]
	v_cndmask_b32_e64 v64, v64, v79, s[34:35]
	ds_bpermute_b32 v89, v115, v64
	scratch_load_dword v64, off, off offset:64 ; 4-byte Folded Reload
	s_waitcnt lgkmcnt(0)
	v_cndmask_b32_e64 v65, v79, v89, s[34:35]
	v_cndmask_b32_e64 v79, v66, v89, s[6:7]
	scratch_load_dword v66, off, off offset:72 ; 4-byte Folded Reload
	v_cndmask_b32_e64 v67, v78, v89, s[80:81]
	v_cndmask_b32_e64 v70, v75, v89, s[74:75]
	;; [unrolled: 1-line block ×8, first 2 shown]
	v_cndmask_b32_e32 v86, v90, v89, vcc
	v_cndmask_b32_e64 v68, v77, v89, s[78:79]
	v_cndmask_b32_e64 v77, v85, v89, s[10:11]
	;; [unrolled: 1-line block ×4, first 2 shown]
	s_waitcnt vmcnt(1)
	v_cmp_le_i32_e64 s[68:69], s70, v64
	s_nop 1
	v_cndmask_b32_e64 v64, 0, v117, s[68:69]
	v_pk_mul_f32 v[62:63], v[64:65], v[62:63] op_sel_hi:[0,1]
	v_pk_mul_f32 v[60:61], v[64:65], v[60:61] op_sel_hi:[0,1]
	;; [unrolled: 1-line block ×8, first 2 shown]
	scratch_load_dword v64, off, off offset:68 ; 4-byte Folded Reload
	v_cndmask_b32_e64 v81, v48, v49, s[64:65]
	v_cndmask_b32_e64 v81, v81, v50, s[38:39]
	;; [unrolled: 1-line block ×15, first 2 shown]
	ds_bpermute_b32 v122, v115, v81
	s_waitcnt vmcnt(0)
	v_cmp_le_i32_e64 s[68:69], s70, v64
	s_nop 1
	v_cndmask_b32_e64 v64, 0, v117, s[68:69]
	v_cmp_le_i32_e64 s[68:69], s70, v66
	v_pk_mul_f32 v[32:33], v[64:65], v[32:33] op_sel_hi:[0,1]
	v_pk_mul_f32 v[34:35], v[64:65], v[34:35] op_sel_hi:[0,1]
	v_cndmask_b32_e64 v66, 0, v117, s[68:69]
	v_cmp_eq_u32_e64 s[68:69], 0, v80
	scratch_load_dword v80, off, off offset:76 ; 4-byte Folded Reload
	v_pk_mul_f32 v[82:83], v[66:67], v[28:29] op_sel_hi:[0,1]
	v_cndmask_b32_e64 v28, v32, v33, s[64:65]
	v_cndmask_b32_e64 v28, v28, v34, s[38:39]
	v_pk_mul_f32 v[36:37], v[64:65], v[36:37] op_sel_hi:[0,1]
	v_cndmask_b32_e64 v28, v28, v35, s[40:41]
	v_cndmask_b32_e64 v28, v28, v36, s[42:43]
	;; [unrolled: 3-line block ×7, first 2 shown]
	v_pk_mul_f32 v[16:17], v[66:67], v[16:17] op_sel_hi:[0,1]
	v_cndmask_b32_e64 v28, v28, v47, s[66:67]
	v_pk_mul_f32 v[18:19], v[66:67], v[18:19] op_sel_hi:[0,1]
	ds_bpermute_b32 v123, v115, v28
	v_cndmask_b32_e64 v28, v16, v17, s[64:65]
	v_cndmask_b32_e64 v28, v28, v18, s[38:39]
	v_pk_mul_f32 v[20:21], v[66:67], v[20:21] op_sel_hi:[0,1]
	v_cndmask_b32_e64 v28, v28, v19, s[40:41]
	v_cndmask_b32_e64 v28, v28, v20, s[42:43]
	v_pk_mul_f32 v[22:23], v[66:67], v[22:23] op_sel_hi:[0,1]
	;; [unrolled: 3-line block ×4, first 2 shown]
	v_cndmask_b32_e64 v28, v28, v25, s[52:53]
	v_cndmask_b32_e64 v28, v28, v26, s[54:55]
	;; [unrolled: 1-line block ×4, first 2 shown]
	v_pk_mul_f32 v[30:31], v[66:67], v[30:31] op_sel_hi:[0,1]
	v_cndmask_b32_e64 v28, v28, v83, s[60:61]
	v_cndmask_b32_e64 v28, v28, v30, s[62:63]
	;; [unrolled: 1-line block ×3, first 2 shown]
	ds_bpermute_b32 v124, v115, v28
	v_cndmask_b32_e64 v87, v87, v89, s[68:69]
	s_waitcnt lgkmcnt(2)
	v_cndmask_b32_e64 v28, v63, v122, s[66:67]
	s_waitcnt lgkmcnt(1)
	v_cndmask_b32_e64 v63, v47, v123, s[66:67]
	v_cndmask_b32_e64 v29, v62, v122, s[62:63]
	s_waitcnt lgkmcnt(0)
	v_cndmask_b32_e64 v85, v31, v124, s[66:67]
	v_cndmask_b32_e64 v62, v46, v123, s[62:63]
	;; [unrolled: 1-line block ×27, first 2 shown]
	s_waitcnt vmcnt(0)
	v_cmp_le_i32_e64 s[70:71], s70, v80
	s_nop 1
	v_cndmask_b32_e64 v80, 0, v117, s[70:71]
	v_pk_mul_f32 v[0:1], v[80:81], v[0:1] op_sel_hi:[0,1]
	v_pk_mul_f32 v[96:97], v[80:81], v[8:9] op_sel_hi:[0,1]
	;; [unrolled: 1-line block ×3, first 2 shown]
	v_cndmask_b32_e64 v9, v0, v1, s[64:65]
	v_cndmask_b32_e64 v9, v9, v2, s[38:39]
	v_pk_mul_f32 v[4:5], v[80:81], v[4:5] op_sel_hi:[0,1]
	v_cndmask_b32_e64 v9, v9, v3, s[40:41]
	v_cndmask_b32_e64 v9, v9, v4, s[42:43]
	v_pk_mul_f32 v[118:119], v[80:81], v[6:7] op_sel_hi:[0,1]
	v_cndmask_b32_e64 v9, v9, v5, s[44:45]
	v_cndmask_b32_e64 v9, v9, v118, s[46:47]
	;; [unrolled: 1-line block ×4, first 2 shown]
	v_pk_mul_f32 v[10:11], v[80:81], v[10:11] op_sel_hi:[0,1]
	v_cndmask_b32_e64 v9, v9, v97, s[52:53]
	v_cndmask_b32_e64 v9, v9, v10, s[54:55]
	v_pk_mul_f32 v[12:13], v[80:81], v[12:13] op_sel_hi:[0,1]
	v_cndmask_b32_e64 v9, v9, v11, s[56:57]
	v_cndmask_b32_e64 v9, v9, v12, s[58:59]
	;; [unrolled: 3-line block ×3, first 2 shown]
	v_cndmask_b32_e64 v9, v9, v15, s[66:67]
	ds_bpermute_b32 v125, v115, v9
	v_cmp_eq_u32_e64 s[70:71], 1, v106
	v_cndmask_b32_e64 v6, v49, v122, s[64:65]
	v_cndmask_b32_e64 v7, v33, v123, s[64:65]
	;; [unrolled: 1-line block ×4, first 2 shown]
	v_cmp_eq_u32_e64 s[64:65], 2, v106
	s_waitcnt lgkmcnt(0)
	v_cndmask_b32_e64 v101, v15, v125, s[66:67]
	v_cmp_eq_u32_e64 s[66:67], 3, v106
	v_cndmask_b32_e64 v9, v64, v79, s[64:65]
	v_cndmask_b32_e64 v102, v14, v125, s[62:63]
	;; [unrolled: 1-line block ×3, first 2 shown]
	v_cmp_eq_u32_e64 s[62:63], 4, v106
	v_cndmask_b32_e64 v103, v13, v125, s[60:61]
	v_cmp_eq_u32_e64 s[60:61], 5, v106
	v_cndmask_b32_e64 v9, v9, v77, s[62:63]
	v_cndmask_b32_e64 v104, v12, v125, s[58:59]
	v_cndmask_b32_e64 v9, v9, v76, s[60:61]
	v_cmp_eq_u32_e64 s[58:59], 6, v106
	v_cndmask_b32_e64 v33, v59, v122, s[56:57]
	v_cndmask_b32_e64 v59, v27, v124, s[56:57]
	v_cndmask_b32_e64 v9, v9, v75, s[58:59]
	v_cndmask_b32_e64 v105, v11, v125, s[56:57]
	v_cmp_eq_u32_e64 s[56:57], 7, v106
	v_cndmask_b32_e64 v80, v41, v123, s[52:53]
	;; [unrolled: 5-line block ×3, first 2 shown]
	v_cndmask_b32_e64 v109, v96, v125, s[50:51]
	v_cndmask_b32_e64 v9, v9, v72, s[52:53]
	v_cmp_eq_u32_e64 s[50:51], 10, v106
	v_cndmask_b32_e64 v64, v42, v123, s[54:55]
	v_cndmask_b32_e64 v107, v10, v125, s[54:55]
	v_cndmask_b32_e64 v9, v9, v71, s[50:51]
	v_cmp_eq_u32_e64 s[54:55], 11, v106
	v_cndmask_b32_e64 v96, v23, v124, s[48:49]
	;; [unrolled: 4-line block ×3, first 2 shown]
	v_cndmask_b32_e64 v118, v53, v122, s[44:45]
	v_cndmask_b32_e64 v9, v9, v69, s[48:49]
	;; [unrolled: 1-line block ×4, first 2 shown]
	v_cmp_eq_u32_e64 s[44:45], 13, v106
	v_cndmask_b32_e64 v117, v4, v125, s[42:43]
	v_cmp_eq_u32_e64 s[42:43], 14, v106
	v_cndmask_b32_e64 v5, v9, v68, s[44:45]
	v_cndmask_b32_e64 v37, v35, v123, s[40:41]
	;; [unrolled: 1-line block ×4, first 2 shown]
	v_cmp_eq_u32_e64 s[40:41], 15, v106
	v_cndmask_b32_e64 v2, v2, v125, s[38:39]
	v_cndmask_b32_e64 v97, v22, v124, s[46:47]
	v_cndmask_b32_e64 v3, v4, v65, s[40:41]
	ds_bpermute_b32 v23, v115, v3
	v_cndmask_b32_e64 v49, v54, v122, s[46:47]
	v_cndmask_b32_e64 v54, v16, v124, s[36:37]
	s_waitcnt lgkmcnt(0)
	v_cndmask_b32_e64 v5, v68, v23, s[44:45]
	v_cndmask_b32_e64 v9, v69, v23, s[48:49]
	v_cndmask_b32_e64 v68, v50, v122, s[38:39]
	v_cndmask_b32_e64 v69, v34, v123, s[38:39]
	v_cmp_ne_u32_e64 s[38:39], 0, v99
	scratch_load_dword v99, off, off offset:44 ; 4-byte Folded Reload
	v_cndmask_b32_e64 v10, v70, v23, s[54:55]
	v_cndmask_b32_e64 v70, v1, v125, s[38:39]
	v_cmp_eq_u32_e64 s[38:39], 0, v106
	v_cndmask_b32_e64 v3, v65, v23, s[40:41]
	v_cndmask_b32_e64 v4, v67, v23, s[42:43]
	;; [unrolled: 1-line block ×15, first 2 shown]
	v_cndmask_b32_e32 v0, v23, v6, vcc
	v_cndmask_b32_e64 v0, v0, v68, s[6:7]
	v_cndmask_b32_e64 v0, v0, v36, s[8:9]
	v_cndmask_b32_e64 v0, v0, v66, s[10:11]
	v_cndmask_b32_e64 v0, v0, v118, s[12:13]
	v_cndmask_b32_e64 v0, v0, v49, s[14:15]
	v_cndmask_b32_e64 v0, v0, v47, s[16:17]
	v_cndmask_b32_e64 v0, v0, v46, s[18:19]
	v_cndmask_b32_e64 v0, v0, v45, s[20:21]
	v_cndmask_b32_e64 v0, v0, v44, s[22:23]
	v_cndmask_b32_e64 v0, v0, v33, s[74:75]
	v_cndmask_b32_e64 v0, v0, v31, s[76:77]
	v_cndmask_b32_e64 v0, v0, v30, s[78:79]
	v_cndmask_b32_e64 v0, v0, v29, s[80:81]
	v_cndmask_b32_e64 v0, v0, v28, s[34:35]
	ds_bpermute_b32 v122, v115, v0
	v_cndmask_b32_e32 v0, v38, v7, vcc
	v_cndmask_b32_e64 v0, v0, v69, s[6:7]
	v_cndmask_b32_e64 v0, v0, v37, s[8:9]
	v_cndmask_b32_e64 v0, v0, v84, s[10:11]
	v_cndmask_b32_e64 v0, v0, v119, s[12:13]
	v_cndmask_b32_e64 v0, v0, v83, s[14:15]
	v_cndmask_b32_e64 v0, v0, v82, s[16:17]
	v_cndmask_b32_e64 v0, v0, v81, s[18:19]
	v_cndmask_b32_e64 v0, v0, v80, s[20:21]
	v_cndmask_b32_e64 v0, v0, v64, s[22:23]
	v_cndmask_b32_e64 v0, v0, v43, s[74:75]
	v_cndmask_b32_e64 v0, v0, v60, s[76:77]
	v_cndmask_b32_e64 v0, v0, v61, s[78:79]
	v_cndmask_b32_e64 v0, v0, v62, s[80:81]
	v_cndmask_b32_e64 v0, v0, v63, s[34:35]
	ds_bpermute_b32 v123, v115, v0
	;; [unrolled: 16-line block ×4, first 2 shown]
	s_waitcnt lgkmcnt(2)
	v_cndmask_b32_e64 v48, v83, v123, s[14:15]
	scratch_load_dword v83, off, off offset:48 ; 4-byte Folded Reload
	s_waitcnt vmcnt(1)
	v_cmp_eq_u32_e64 s[36:37], 1, v99
	v_cndmask_b32_e64 v24, v28, v122, s[34:35]
	v_cndmask_b32_e64 v39, v63, v123, s[34:35]
	;; [unrolled: 1-line block ×3, first 2 shown]
	s_waitcnt lgkmcnt(1)
	v_cndmask_b32_e64 v55, v85, v124, s[34:35]
	s_waitcnt lgkmcnt(0)
	v_cndmask_b32_e64 v72, v101, v125, s[34:35]
	v_cmp_eq_u32_e64 s[34:35], 2, v99
	v_cmp_eq_u32_e64 s[88:89], 3, v99
	;; [unrolled: 1-line block ×3, first 2 shown]
	v_cndmask_b32_e64 v0, v0, v21, s[34:35]
	v_cndmask_b32_e64 v0, v0, v20, s[88:89]
	v_cndmask_b32_e64 v0, v0, v19, s[92:93]
	v_cmp_eq_u32_e64 s[94:95], 5, v99
	v_cmp_eq_u32_e64 s[96:97], 6, v99
	v_cndmask_b32_e64 v25, v29, v122, s[80:81]
	v_cndmask_b32_e64 v0, v0, v17, s[94:95]
	;; [unrolled: 1-line block ×8, first 2 shown]
	v_cmp_eq_u32_e64 s[22:23], 7, v99
	v_cndmask_b32_e64 v28, v33, v122, s[74:75]
	v_cndmask_b32_e64 v43, v43, v123, s[74:75]
	;; [unrolled: 1-line block ×5, first 2 shown]
	v_cmp_eq_u32_e64 s[74:75], 8, v99
	v_cndmask_b32_e64 v40, v62, v123, s[80:81]
	v_cndmask_b32_e64 v27, v31, v122, s[76:77]
	v_cndmask_b32_e64 v0, v0, v13, s[74:75]
	v_cndmask_b32_e64 v31, v46, v122, s[18:19]
	v_cndmask_b32_e64 v46, v81, v123, s[18:19]
	v_cndmask_b32_e64 v62, v94, v124, s[18:19]
	v_cndmask_b32_e64 v79, v109, v125, s[18:19]
	v_cmp_eq_u32_e64 s[18:19], 9, v99
	v_cndmask_b32_e64 v32, v47, v122, s[16:17]
	v_cndmask_b32_e64 v47, v82, v123, s[16:17]
	;; [unrolled: 1-line block ×5, first 2 shown]
	v_cmp_eq_u32_e64 s[16:17], 10, v99
	v_cndmask_b32_e64 v33, v49, v122, s[14:15]
	v_cndmask_b32_e64 v64, v97, v124, s[14:15]
	v_cndmask_b32_e64 v0, v0, v11, s[16:17]
	v_cndmask_b32_e64 v87, v112, v125, s[14:15]
	v_cmp_eq_u32_e64 s[14:15], 11, v99
	v_cndmask_b32_e64 v56, v89, v124, s[80:81]
	v_cndmask_b32_e64 v34, v118, v122, s[12:13]
	v_cndmask_b32_e64 v0, v0, v10, s[14:15]
	v_cndmask_b32_e64 v49, v119, v123, s[12:13]
	v_cndmask_b32_e64 v65, v120, v124, s[12:13]
	v_cndmask_b32_e64 v89, v121, v125, s[12:13]
	v_cmp_eq_u32_e64 s[12:13], 12, v99
	v_cmp_eq_u32_e64 s[84:85], 13, v99
	v_cndmask_b32_e64 v57, v90, v124, s[78:79]
	v_cndmask_b32_e64 v0, v0, v9, s[12:13]
	;; [unrolled: 1-line block ×7, first 2 shown]
	v_cmp_eq_u32_e64 s[10:11], 14, v99
	v_cndmask_b32_e64 v58, v91, v124, s[76:77]
	v_cndmask_b32_e64 v36, v36, v122, s[8:9]
	;; [unrolled: 1-line block ×6, first 2 shown]
	v_cmp_eq_u32_e64 s[8:9], 15, v99
	v_cndmask_b32_e64 v26, v30, v122, s[78:79]
	v_cndmask_b32_e64 v30, v45, v122, s[20:21]
	;; [unrolled: 1-line block ×4, first 2 shown]
	ds_bpermute_b32 v80, v115, v0
	v_cndmask_b32_e64 v92, v2, v125, s[6:7]
	v_cndmask_b32_e64 v37, v68, v122, s[6:7]
	v_cndmask_b32_e32 v53, v7, v123, vcc
	v_cndmask_b32_e64 v38, v38, v123, s[68:69]
	s_waitcnt lgkmcnt(0)
	v_cndmask_b32_e64 v2, v4, v80, s[10:11]
	v_cndmask_b32_e64 v4, v9, v80, s[12:13]
	;; [unrolled: 1-line block ×7, first 2 shown]
	v_cndmask_b32_e32 v19, v6, v122, vcc
	v_cndmask_b32_e64 v20, v23, v122, s[68:69]
	v_cndmask_b32_e64 v6, v20, v19, s[70:71]
	;; [unrolled: 1-line block ×19, first 2 shown]
	v_cndmask_b32_e32 v93, v70, v125, vcc
	v_cndmask_b32_e64 v70, v54, v124, s[68:69]
	ds_bpermute_b32 v54, v115, v6
	v_cndmask_b32_e64 v6, v38, v53, s[70:71]
	v_cndmask_b32_e64 v6, v6, v52, s[64:65]
	;; [unrolled: 1-line block ×15, first 2 shown]
	v_cndmask_b32_e32 v69, v8, v124, vcc
	v_cmp_eq_u32_e64 s[6:7], 0, v99
	v_cndmask_b32_e64 v6, v6, v39, s[40:41]
	v_cndmask_b32_e64 v0, v3, v80, s[8:9]
	;; [unrolled: 1-line block ×10, first 2 shown]
	ds_bpermute_b32 v80, v115, v6
	v_cndmask_b32_e64 v6, v70, v69, s[70:71]
	v_cndmask_b32_e64 v6, v6, v68, s[64:65]
	;; [unrolled: 1-line block ×16, first 2 shown]
	ds_bpermute_b32 v81, v115, v6
	v_cndmask_b32_e64 v6, v107, v93, s[70:71]
	v_cndmask_b32_e64 v6, v6, v92, s[64:65]
	v_cndmask_b32_e64 v6, v6, v91, s[66:67]
	v_cndmask_b32_e64 v6, v6, v90, s[62:63]
	v_cndmask_b32_e64 v6, v6, v89, s[60:61]
	v_cndmask_b32_e64 v6, v6, v87, s[58:59]
	v_cndmask_b32_e64 v6, v6, v86, s[56:57]
	v_cndmask_b32_e64 v78, v108, v125, s[20:21]
	v_cndmask_b32_e64 v6, v6, v79, s[72:73]
	v_cndmask_b32_e64 v6, v6, v78, s[52:53]
	v_cndmask_b32_e64 v6, v6, v77, s[50:51]
	v_cndmask_b32_e64 v75, v104, v125, s[76:77]
	v_cndmask_b32_e64 v6, v6, v76, s[54:55]
	v_cndmask_b32_e64 v74, v103, v125, s[78:79]
	v_cndmask_b32_e64 v6, v6, v75, s[48:49]
	v_cndmask_b32_e64 v73, v102, v125, s[80:81]
	v_cndmask_b32_e64 v6, v6, v74, s[44:45]
	v_cndmask_b32_e64 v6, v6, v73, s[42:43]
	v_cndmask_b32_e64 v6, v6, v72, s[40:41]
	ds_bpermute_b32 v82, v115, v6
	s_waitcnt vmcnt(0)
	v_cmp_eq_u32_e64 s[20:21], 1, v83
	v_cmp_eq_u32_e64 s[46:47], 2, v83
	s_waitcnt lgkmcnt(3)
	v_cndmask_b32_e64 v22, v25, v54, s[42:43]
	v_cndmask_b32_e64 v6, v1, v18, s[20:21]
	s_waitcnt lgkmcnt(0)
	v_cndmask_b32_e64 v108, v72, v82, s[40:41]
	v_cndmask_b32_e64 v6, v6, v17, s[46:47]
	;; [unrolled: 1-line block ×5, first 2 shown]
	v_cmp_eq_u32_e64 s[42:43], 3, v83
	v_cndmask_b32_e64 v21, v24, v54, s[40:41]
	v_cndmask_b32_e64 v39, v39, v80, s[40:41]
	;; [unrolled: 1-line block ×4, first 2 shown]
	v_cmp_eq_u32_e64 s[40:41], 4, v83
	v_cndmask_b32_e64 v117, v74, v82, s[44:45]
	v_cndmask_b32_e64 v24, v27, v54, s[48:49]
	;; [unrolled: 1-line block ×6, first 2 shown]
	v_cmp_eq_u32_e64 s[48:49], 5, v83
	v_cndmask_b32_e64 v25, v28, v54, s[54:55]
	v_cndmask_b32_e64 v43, v43, v80, s[54:55]
	;; [unrolled: 1-line block ×5, first 2 shown]
	v_cmp_eq_u32_e64 s[54:55], 6, v83
	scratch_load_dword v99, off, off offset:52 ; 4-byte Folded Reload
	v_cmp_eq_u32_e64 s[68:69], 7, v83
	v_cndmask_b32_e64 v6, v6, v13, s[54:55]
	v_cmp_eq_u32_e64 s[76:77], 8, v83
	v_cndmask_b32_e64 v6, v6, v12, s[68:69]
	v_cndmask_b32_e64 v121, v78, v82, s[52:53]
	;; [unrolled: 1-line block ×7, first 2 shown]
	v_cmp_eq_u32_e64 s[72:73], 9, v83
	v_cmp_eq_u32_e64 s[78:79], 10, v83
	;; [unrolled: 1-line block ×3, first 2 shown]
	v_cndmask_b32_e64 v6, v6, v10, s[72:73]
	v_cndmask_b32_e64 v6, v6, v9, s[78:79]
	v_cndmask_b32_e64 v6, v6, v5, s[80:81]
	v_cmp_eq_u32_e64 s[82:83], 12, v83
	v_cndmask_b32_e64 v23, v26, v54, s[44:45]
	v_cndmask_b32_e64 v26, v29, v54, s[50:51]
	;; [unrolled: 1-line block ×8, first 2 shown]
	v_cmp_eq_u32_e64 s[62:63], 13, v83
	v_cmp_eq_u32_e64 s[86:87], 14, v83
	;; [unrolled: 1-line block ×3, first 2 shown]
	v_cndmask_b32_e64 v6, v6, v3, s[62:63]
	v_cndmask_b32_e64 v6, v6, v2, s[86:87]
	;; [unrolled: 1-line block ×6, first 2 shown]
	ds_bpermute_b32 v36, v115, v6
	v_cndmask_b32_e64 v35, v19, v54, s[70:71]
	v_cndmask_b32_e64 v20, v20, v54, s[38:39]
	;; [unrolled: 1-line block ×4, first 2 shown]
	s_waitcnt lgkmcnt(0)
	v_cndmask_b32_e64 v7, v10, v36, s[72:73]
	v_cndmask_b32_e64 v10, v13, v36, s[54:55]
	;; [unrolled: 1-line block ×21, first 2 shown]
	ds_bpermute_b32 v102, v115, v16
	v_cndmask_b32_e64 v16, v54, v53, s[36:37]
	v_cndmask_b32_e64 v51, v51, v80, s[66:67]
	;; [unrolled: 1-line block ×25, first 2 shown]
	ds_bpermute_b32 v103, v115, v16
	v_cndmask_b32_e64 v16, v70, v69, s[36:37]
	v_cndmask_b32_e64 v67, v67, v81, s[66:67]
	;; [unrolled: 1-line block ×26, first 2 shown]
	ds_bpermute_b32 v104, v115, v16
	v_cndmask_b32_e64 v16, v107, v110, s[36:37]
	v_cndmask_b32_e64 v125, v91, v82, s[66:67]
	;; [unrolled: 1-line block ×19, first 2 shown]
	ds_bpermute_b32 v105, v115, v16
	v_cmp_eq_u32_e64 s[50:51], 0, v83
	v_cndmask_b32_e64 v6, v9, v36, s[78:79]
	v_cndmask_b32_e64 v9, v12, v36, s[68:69]
	v_cndmask_b32_e64 v12, v15, v36, s[40:41]
	v_cndmask_b32_e64 v15, v18, v36, s[20:21]
	v_cndmask_b32_e64 v1, v1, v36, s[50:51]
	s_waitcnt vmcnt(0)
	v_cmp_eq_u32_e32 vcc, 1, v99
	v_cndmask_b32_e64 v8, v11, v36, s[76:77]
	v_cndmask_b32_e64 v11, v14, v36, s[48:49]
	;; [unrolled: 1-line block ×3, first 2 shown]
	v_cndmask_b32_e32 v16, v1, v15, vcc
	s_waitcnt lgkmcnt(3)
	v_cndmask_b32_e64 v21, v21, v102, s[8:9]
	s_waitcnt lgkmcnt(2)
	v_cndmask_b32_e64 v55, v39, v103, s[8:9]
	;; [unrolled: 2-line block ×4, first 2 shown]
	v_cmp_eq_u32_e64 s[8:9], 2, v99
	v_cndmask_b32_e64 v0, v0, v36, s[90:91]
	v_cndmask_b32_e64 v2, v2, v36, s[86:87]
	;; [unrolled: 1-line block ×10, first 2 shown]
	v_cmp_eq_u32_e64 s[10:11], 3, v99
	v_cmp_eq_u32_e64 s[44:45], 4, v99
	;; [unrolled: 1-line block ×3, first 2 shown]
	v_cndmask_b32_e64 v16, v16, v13, s[10:11]
	v_cndmask_b32_e64 v16, v16, v12, s[44:45]
	;; [unrolled: 1-line block ×3, first 2 shown]
	v_cmp_eq_u32_e64 s[56:57], 6, v99
	v_cmp_eq_u32_e64 s[58:59], 7, v99
	;; [unrolled: 1-line block ×3, first 2 shown]
	v_cndmask_b32_e64 v16, v16, v10, s[56:57]
	v_cndmask_b32_e64 v16, v16, v9, s[58:59]
	;; [unrolled: 1-line block ×3, first 2 shown]
	v_cmp_eq_u32_e64 s[64:65], 9, v99
	v_cmp_eq_u32_e64 s[70:71], 10, v99
	v_cndmask_b32_e64 v28, v28, v102, s[74:75]
	v_cndmask_b32_e64 v16, v16, v7, s[64:65]
	;; [unrolled: 1-line block ×6, first 2 shown]
	v_cmp_eq_u32_e64 s[74:75], 11, v99
	v_cmp_eq_u32_e64 s[66:67], 12, v99
	v_cndmask_b32_e64 v37, v23, v102, s[84:85]
	v_cndmask_b32_e64 v16, v16, v5, s[74:75]
	;; [unrolled: 1-line block ×6, first 2 shown]
	v_cmp_eq_u32_e64 s[84:85], 13, v99
	v_cndmask_b32_e64 v33, v33, v102, s[88:89]
	v_cndmask_b32_e64 v51, v51, v103, s[88:89]
	;; [unrolled: 1-line block ×5, first 2 shown]
	v_cmp_eq_u32_e64 s[88:89], 14, v99
	v_cndmask_b32_e64 v32, v32, v102, s[92:93]
	v_cndmask_b32_e64 v50, v50, v103, s[92:93]
	;; [unrolled: 1-line block ×5, first 2 shown]
	v_cmp_eq_u32_e64 s[92:93], 15, v99
	v_cndmask_b32_e64 v41, v27, v102, s[18:19]
	v_cndmask_b32_e64 v58, v42, v103, s[12:13]
	;; [unrolled: 1-line block ×3, first 2 shown]
	ds_bpermute_b32 v27, v115, v16
	v_cndmask_b32_e64 v31, v31, v102, s[94:95]
	v_cndmask_b32_e64 v49, v49, v103, s[94:95]
	;; [unrolled: 1-line block ×4, first 2 shown]
	s_waitcnt lgkmcnt(0)
	v_cndmask_b32_e64 v18, v5, v27, s[74:75]
	scratch_load_dword v5, off, off offset:56 ; 4-byte Folded Reload
	v_cndmask_b32_e64 v35, v35, v102, s[36:37]
	v_cmp_eq_u32_e64 s[94:95], 0, v99
	v_cndmask_b32_e64 v42, v20, v102, s[6:7]
	v_cndmask_b32_e64 v38, v24, v102, s[12:13]
	;; [unrolled: 1-line block ×18, first 2 shown]
	v_cndmask_b32_e32 v15, v15, v27, vcc
	v_cndmask_b32_e64 v27, v1, v27, s[94:95]
	v_cndmask_b32_e64 v1, v42, v35, s[20:21]
	;; [unrolled: 1-line block ×22, first 2 shown]
	ds_bpermute_b32 v106, v115, v1
	v_cndmask_b32_e64 v1, v65, v64, s[20:21]
	v_cndmask_b32_e64 v1, v1, v52, s[46:47]
	;; [unrolled: 1-line block ×28, first 2 shown]
	ds_bpermute_b32 v99, v115, v1
	v_cndmask_b32_e64 v1, v119, v118, s[20:21]
	v_cndmask_b32_e64 v3, v102, v110, s[20:21]
	;; [unrolled: 1-line block ×37, first 2 shown]
	s_waitcnt vmcnt(0)
	v_cmp_eq_u32_e64 s[6:7], 1, v5
	v_cndmask_b32_e64 v1, v1, v71, s[90:91]
	v_cndmask_b32_e64 v3, v3, v108, s[90:91]
	ds_bpermute_b32 v1, v115, v1
	ds_bpermute_b32 v3, v115, v3
	v_cndmask_b32_e64 v4, v27, v15, s[6:7]
	v_cmp_eq_u32_e64 s[12:13], 2, v5
	v_cmp_eq_u32_e64 s[14:15], 3, v5
	;; [unrolled: 1-line block ×3, first 2 shown]
	v_cndmask_b32_e64 v4, v4, v14, s[12:13]
	v_cndmask_b32_e64 v4, v4, v13, s[14:15]
	;; [unrolled: 1-line block ×3, first 2 shown]
	v_cmp_eq_u32_e64 s[18:19], 5, v5
	v_cmp_eq_u32_e64 s[22:23], 6, v5
	s_waitcnt lgkmcnt(3)
	v_cndmask_b32_e64 v53, v40, v106, s[78:79]
	v_cndmask_b32_e64 v4, v4, v26, s[18:19]
	;; [unrolled: 1-line block ×3, first 2 shown]
	s_waitcnt lgkmcnt(2)
	v_cndmask_b32_e64 v78, v60, v99, s[78:79]
	s_waitcnt lgkmcnt(1)
	v_cndmask_b32_e64 v125, v76, v1, s[78:79]
	;; [unrolled: 2-line block ×3, first 2 shown]
	v_cmp_eq_u32_e64 s[78:79], 7, v5
	v_cndmask_b32_e64 v54, v41, v106, s[72:73]
	v_cndmask_b32_e64 v61, v61, v99, s[72:73]
	v_cndmask_b32_e64 v4, v4, v24, s[78:79]
	v_cndmask_b32_e64 v126, v77, v1, s[72:73]
	v_cndmask_b32_e64 v81, v81, v3, s[72:73]
	v_cmp_eq_u32_e64 s[72:73], 8, v5
	v_cndmask_b32_e64 v66, v55, v99, s[90:91]
	v_cndmask_b32_e64 v55, v28, v106, s[76:77]
	;; [unrolled: 1-line block ×6, first 2 shown]
	v_cmp_eq_u32_e64 s[76:77], 9, v5
	v_cmp_eq_u32_e64 s[34:35], 10, v5
	;; [unrolled: 1-line block ×3, first 2 shown]
	v_cndmask_b32_e64 v4, v4, v22, s[76:77]
	v_cndmask_b32_e64 v4, v4, v19, s[34:35]
	v_cndmask_b32_e64 v4, v4, v18, s[36:37]
	v_cmp_eq_u32_e64 s[38:39], 12, v5
	v_cndmask_b32_e64 v120, v71, v1, s[90:91]
	v_cndmask_b32_e64 v121, v72, v1, s[86:87]
	v_cndmask_b32_e64 v87, v63, v99, s[68:69]
	v_cndmask_b32_e64 v4, v4, v17, s[38:39]
	v_cndmask_b32_e64 v105, v32, v106, s[40:41]
	v_cndmask_b32_e64 v63, v50, v99, s[40:41]
	v_cndmask_b32_e64 v71, v92, v1, s[40:41]
	v_cndmask_b32_e64 v72, v97, v3, s[40:41]
	v_cmp_eq_u32_e64 s[40:41], 13, v5
	v_cndmask_b32_e64 v68, v57, v99, s[62:63]
	v_cndmask_b32_e64 v123, v74, v1, s[82:83]
	v_cndmask_b32_e64 v57, v30, v106, s[54:55]
	v_cndmask_b32_e64 v4, v4, v16, s[40:41]
	v_cndmask_b32_e64 v74, v33, v106, s[42:43]
	;; [unrolled: 9-line block ×3, first 2 shown]
	v_cmp_eq_u32_e64 s[46:47], 15, v5
	v_cndmask_b32_e64 v67, v56, v99, s[86:87]
	v_cndmask_b32_e64 v104, v109, v3, s[86:87]
	;; [unrolled: 1-line block ×3, first 2 shown]
	ds_bpermute_b32 v28, v115, v8
	v_cndmask_b32_e64 v69, v58, v99, s[82:83]
	v_cndmask_b32_e64 v70, v59, v99, s[80:81]
	v_cndmask_b32_e64 v89, v48, v99, s[54:55]
	v_cndmask_b32_e64 v109, v90, v1, s[54:55]
	v_cndmask_b32_e64 v90, v49, v99, s[48:49]
	s_waitcnt lgkmcnt(0)
	v_cndmask_b32_e64 v9, v2, v28, s[42:43]
	v_cndmask_b32_e64 v10, v16, v28, s[40:41]
	v_cndmask_b32_e64 v2, v13, v28, s[14:15]
	v_cndmask_b32_e64 v13, v64, v99, s[20:21]
	v_cndmask_b32_e64 v16, v65, v99, s[50:51]
	scratch_load_dword v99, off, off offset:60 ; 4-byte Folded Reload
	v_cndmask_b32_e64 v11, v17, v28, s[38:39]
	v_cndmask_b32_e64 v20, v18, v28, s[36:37]
	;; [unrolled: 1-line block ×8, first 2 shown]
	v_cmp_eq_u32_e64 s[20:21], 0, v5
	v_cndmask_b32_e64 v43, v21, v106, s[90:91]
	v_cndmask_b32_e64 v8, v0, v28, s[46:47]
	;; [unrolled: 1-line block ×16, first 2 shown]
	v_cndmask_b32_e32 v1, v28, v12, vcc
	v_cndmask_b32_e64 v1, v1, v93, s[8:9]
	v_cndmask_b32_e64 v1, v1, v74, s[10:11]
	v_cndmask_b32_e64 v58, v31, v106, s[48:49]
	v_cndmask_b32_e64 v1, v1, v105, s[44:45]
	v_cndmask_b32_e64 v1, v1, v58, s[52:53]
	v_cndmask_b32_e64 v56, v29, v106, s[68:69]
	v_cndmask_b32_e64 v1, v1, v57, s[56:57]
	v_cndmask_b32_e64 v1, v1, v56, s[58:59]
	v_cndmask_b32_e64 v1, v1, v55, s[60:61]
	v_cndmask_b32_e64 v1, v1, v54, s[64:65]
	v_cndmask_b32_e64 v47, v39, v106, s[80:81]
	v_cndmask_b32_e64 v1, v1, v53, s[70:71]
	v_cndmask_b32_e64 v46, v38, v106, s[82:83]
	v_cndmask_b32_e64 v1, v1, v47, s[74:75]
	v_cndmask_b32_e64 v45, v37, v106, s[62:63]
	v_cndmask_b32_e64 v1, v1, v46, s[66:67]
	v_cndmask_b32_e64 v44, v36, v106, s[86:87]
	v_cndmask_b32_e64 v1, v1, v45, s[84:85]
	v_cndmask_b32_e64 v1, v1, v44, s[88:89]
	v_cndmask_b32_e64 v1, v1, v43, s[92:93]
	ds_bpermute_b32 v42, v115, v1
	v_cndmask_b32_e32 v1, v16, v13, vcc
	v_cndmask_b32_e64 v1, v1, v4, s[8:9]
	v_cndmask_b32_e64 v1, v1, v60, s[10:11]
	v_cndmask_b32_e64 v1, v1, v63, s[44:45]
	v_cndmask_b32_e64 v1, v1, v90, s[52:53]
	v_cndmask_b32_e64 v1, v1, v89, s[56:57]
	v_cndmask_b32_e64 v1, v1, v87, s[58:59]
	v_cndmask_b32_e64 v1, v1, v86, s[60:61]
	v_cndmask_b32_e64 v1, v1, v61, s[64:65]
	v_cndmask_b32_e64 v1, v1, v78, s[70:71]
	v_cndmask_b32_e64 v1, v1, v70, s[74:75]
	v_cndmask_b32_e64 v1, v1, v69, s[66:67]
	v_cndmask_b32_e64 v1, v1, v68, s[84:85]
	v_cndmask_b32_e64 v1, v1, v67, s[88:89]
	v_cndmask_b32_e64 v1, v1, v66, s[92:93]
	ds_bpermute_b32 v29, v115, v1
	v_cndmask_b32_e32 v1, v19, v14, vcc
	v_cndmask_b32_e64 v1, v1, v97, s[8:9]
	v_cndmask_b32_e64 v1, v1, v30, s[10:11]
	;; [unrolled: 1-line block ×15, first 2 shown]
	ds_bpermute_b32 v31, v115, v1
	v_cndmask_b32_e32 v1, v27, v15, vcc
	v_cndmask_b32_e64 v1, v1, v7, s[8:9]
	v_cndmask_b32_e64 v1, v1, v6, s[10:11]
	;; [unrolled: 1-line block ×20, first 2 shown]
	ds_bpermute_b32 v40, v115, v1
	s_waitcnt vmcnt(0)
	v_cmp_eq_u32_e64 s[48:49], 1, v99
	v_cmp_eq_u32_e64 s[50:51], 2, v99
	;; [unrolled: 1-line block ×3, first 2 shown]
	v_cndmask_b32_e64 v1, v0, v18, s[48:49]
	v_cndmask_b32_e64 v1, v1, v17, s[50:51]
	;; [unrolled: 1-line block ×3, first 2 shown]
	v_cmp_eq_u32_e64 s[62:63], 4, v99
	s_waitcnt lgkmcnt(3)
	v_cndmask_b32_e64 v75, v46, v42, s[66:67]
	s_waitcnt lgkmcnt(2)
	v_cndmask_b32_e64 v39, v69, v29, s[66:67]
	v_cndmask_b32_e64 v1, v1, v92, s[62:63]
	s_waitcnt lgkmcnt(1)
	v_cndmask_b32_e64 v35, v123, v31, s[66:67]
	s_waitcnt lgkmcnt(0)
	v_cndmask_b32_e64 v51, v85, v40, s[66:67]
	v_cmp_eq_u32_e64 s[66:67], 5, v99
	v_cmp_eq_u32_e64 s[68:69], 6, v99
	v_cndmask_b32_e64 v59, v43, v42, s[92:93]
	v_cndmask_b32_e64 v1, v1, v26, s[66:67]
	v_cndmask_b32_e64 v1, v1, v25, s[68:69]
	v_cndmask_b32_e64 v77, v53, v42, s[70:71]
	v_cndmask_b32_e64 v43, v78, v29, s[70:71]
	v_cndmask_b32_e64 v53, v125, v31, s[70:71]
	v_cndmask_b32_e64 v65, v80, v40, s[70:71]
	v_cmp_eq_u32_e64 s[70:71], 7, v99
	v_cndmask_b32_e64 v36, v66, v29, s[92:93]
	v_cndmask_b32_e64 v62, v44, v42, s[88:89]
	v_cndmask_b32_e64 v1, v1, v24, s[70:71]
	v_cndmask_b32_e64 v78, v54, v42, s[64:65]
	v_cndmask_b32_e64 v44, v61, v29, s[64:65]
	v_cndmask_b32_e64 v54, v126, v31, s[64:65]
	v_cndmask_b32_e64 v66, v81, v40, s[64:65]
	;; [unrolled: 8-line block ×3, first 2 shown]
	v_cmp_eq_u32_e64 s[60:61], 9, v99
	v_cndmask_b32_e64 v38, v68, v29, s[84:85]
	v_cndmask_b32_e64 v86, v56, v42, s[58:59]
	v_cndmask_b32_e64 v1, v1, v22, s[60:61]
	v_cndmask_b32_e64 v46, v87, v29, s[58:59]
	v_cndmask_b32_e64 v56, v108, v31, s[58:59]
	v_cndmask_b32_e64 v68, v83, v40, s[58:59]
	v_cmp_eq_u32_e64 s[58:59], 10, v99
	v_cndmask_b32_e64 v76, v47, v42, s[74:75]
	v_cndmask_b32_e64 v87, v57, v42, s[56:57]
	v_cndmask_b32_e64 v1, v1, v21, s[58:59]
	v_cndmask_b32_e64 v47, v89, v29, s[56:57]
	v_cndmask_b32_e64 v57, v109, v31, s[56:57]
	v_cndmask_b32_e64 v69, v96, v40, s[56:57]
	;; [unrolled: 7-line block ×3, first 2 shown]
	v_cmp_eq_u32_e64 s[52:53], 12, v99
	v_cndmask_b32_e64 v82, v105, v42, s[44:45]
	v_cndmask_b32_e64 v81, v63, v29, s[44:45]
	v_cndmask_b32_e64 v1, v1, v11, s[52:53]
	v_cndmask_b32_e64 v63, v71, v31, s[44:45]
	v_cndmask_b32_e64 v71, v72, v40, s[44:45]
	v_cmp_eq_u32_e64 s[44:45], 13, v99
	v_cndmask_b32_e64 v74, v74, v42, s[10:11]
	v_cndmask_b32_e64 v60, v60, v29, s[10:11]
	v_cndmask_b32_e64 v1, v1, v10, s[44:45]
	v_cndmask_b32_e64 v72, v30, v31, s[10:11]
	v_cndmask_b32_e64 v83, v6, v40, s[10:11]
	;; [unrolled: 6-line block ×3, first 2 shown]
	v_cndmask_b32_e64 v89, v7, v40, s[8:9]
	v_cmp_eq_u32_e64 s[8:9], 15, v99
	v_cndmask_b32_e32 v91, v12, v42, vcc
	v_cndmask_b32_e32 v93, v13, v29, vcc
	v_cndmask_b32_e64 v1, v1, v8, s[8:9]
	ds_bpermute_b32 v90, v115, v1
	v_cndmask_b32_e32 v96, v15, v40, vcc
	v_cndmask_b32_e32 v94, v14, v31, vcc
	v_cndmask_b32_e64 v16, v16, v29, s[94:95]
	v_cndmask_b32_e64 v32, v120, v31, s[92:93]
	s_waitcnt lgkmcnt(0)
	v_cndmask_b32_e64 v12, v11, v90, s[52:53]
	v_cndmask_b32_e64 v11, v20, v90, s[56:57]
	;; [unrolled: 1-line block ×20, first 2 shown]
	ds_bpermute_b32 v21, v115, v1
	v_cndmask_b32_e64 v3, v2, v90, s[54:55]
	v_cndmask_b32_e64 v2, v17, v90, s[50:51]
	;; [unrolled: 1-line block ×4, first 2 shown]
	s_waitcnt lgkmcnt(0)
	v_cndmask_b32_e64 v17, v59, v21, s[46:47]
	v_cndmask_b32_e64 v42, v78, v21, s[76:77]
	;; [unrolled: 1-line block ×36, first 2 shown]
	ds_bpermute_b32 v80, v115, v20
	v_cndmask_b32_e64 v33, v121, v31, s[88:89]
	v_cndmask_b32_e64 v34, v122, v31, s[84:85]
	;; [unrolled: 1-line block ×4, first 2 shown]
	s_waitcnt lgkmcnt(0)
	v_cndmask_b32_e64 v31, v17, v80, s[8:9]
	v_cndmask_b32_e64 v17, v16, v93, s[6:7]
	;; [unrolled: 1-line block ×16, first 2 shown]
	ds_bpermute_b32 v17, v115, v17
	v_cndmask_b32_e64 v20, v76, v80, s[62:63]
	v_cndmask_b32_e64 v21, v75, v80, s[66:67]
	;; [unrolled: 1-line block ×4, first 2 shown]
	s_waitcnt lgkmcnt(0)
	v_cndmask_b32_e64 v76, v81, v17, s[16:17]
	v_cndmask_b32_e64 v81, v84, v17, s[12:13]
	;; [unrolled: 1-line block ×38, first 2 shown]
	v_cmp_eq_u32_e32 vcc, 0, v99
	v_cndmask_b32_e64 v16, v16, v36, s[8:9]
	v_cndmask_b32_e64 v5, v26, v90, s[66:67]
	;; [unrolled: 1-line block ×3, first 2 shown]
	v_cndmask_b32_e32 v0, v0, v90, vcc
	ds_bpermute_b32 v90, v115, v16
	v_cndmask_b32_e64 v26, v25, v80, s[58:59]
	v_cndmask_b32_e64 v25, v42, v80, s[60:61]
	;; [unrolled: 1-line block ×4, first 2 shown]
	s_waitcnt lgkmcnt(0)
	v_cndmask_b32_e64 v47, v36, v90, s[8:9]
	v_cndmask_b32_e64 v36, v82, v94, s[6:7]
	;; [unrolled: 1-line block ×18, first 2 shown]
	ds_bpermute_b32 v59, v115, v36
	v_cndmask_b32_e64 v18, v77, v80, s[50:51]
	v_cndmask_b32_e64 v17, v78, v80, s[48:49]
	v_cndmask_b32_e32 v16, v79, v80, vcc
	v_cndmask_b32_e64 v46, v37, v90, s[10:11]
	s_waitcnt lgkmcnt(0)
	v_cndmask_b32_e64 v80, v94, v59, s[6:7]
	v_cndmask_b32_e64 v82, v82, v59, s[20:21]
	;; [unrolled: 1-line block ×39, first 2 shown]
	ds_bpermute_b32 v85, v115, v32
	v_cndmask_b32_e64 v35, v60, v90, s[54:55]
	v_cndmask_b32_e64 v34, v81, v90, s[50:51]
	v_cndmask_b32_e64 v33, v84, v90, s[48:49]
	v_cndmask_b32_e32 v32, v87, v90, vcc
	s_waitcnt lgkmcnt(0)
	v_cndmask_b32_e64 v59, v52, v85, s[56:57]
	v_cndmask_b32_e64 v52, v86, v96, s[6:7]
	;; [unrolled: 1-line block ×18, first 2 shown]
	ds_bpermute_b32 v73, v115, v52
	v_cndmask_b32_e64 v60, v74, v85, s[52:53]
	v_cndmask_b32_e64 v57, v54, v85, s[60:61]
	;; [unrolled: 1-line block ×4, first 2 shown]
	s_waitcnt lgkmcnt(0)
	v_cndmask_b32_e64 v90, v96, v73, s[6:7]
	scratch_load_dwordx2 v[96:97], off, off offset:20 ; 8-byte Folded Reload
	v_cndmask_b32_e64 v86, v86, v73, s[20:21]
	v_cndmask_b32_e64 v74, v48, v73, s[46:47]
	;; [unrolled: 1-line block ×31, first 2 shown]
	ds_bpermute_b32 v91, v115, v48
	v_readlane_b32 s6, v127, 30
	v_readlane_b32 s7, v127, 31
	;; [unrolled: 1-line block ×5, first 2 shown]
	v_cndmask_b32_e64 v62, v62, v85, s[10:11]
	v_cndmask_b32_e64 v58, v53, v85, s[58:59]
	;; [unrolled: 1-line block ×7, first 2 shown]
	v_cndmask_b32_e32 v48, v82, v85, vcc
	s_waitcnt lgkmcnt(0)
	v_cndmask_b32_e64 v79, v74, v91, s[8:9]
	v_cndmask_b32_e64 v78, v75, v91, s[10:11]
	v_cndmask_b32_e64 v77, v76, v91, s[44:45]
	v_cndmask_b32_e64 v76, v81, v91, s[52:53]
	v_cndmask_b32_e64 v75, v64, v91, s[56:57]
	v_cndmask_b32_e64 v74, v65, v91, s[58:59]
	v_cndmask_b32_e64 v73, v66, v91, s[60:61]
	v_cndmask_b32_e64 v72, v67, v91, s[64:65]
	v_cndmask_b32_e64 v71, v68, v91, s[70:71]
	v_cndmask_b32_e64 v70, v69, v91, s[68:69]
	v_cndmask_b32_e64 v69, v84, v91, s[66:67]
	v_cndmask_b32_e64 v68, v87, v91, s[62:63]
	v_cndmask_b32_e64 v67, v83, v91, s[54:55]
	v_cndmask_b32_e64 v66, v89, v91, s[50:51]
	v_cndmask_b32_e64 v65, v90, v91, s[48:49]
	v_cndmask_b32_e32 v64, v86, v91, vcc
	s_mov_b32 s12, 0
	v_readlane_b32 s35, v127, 11
	v_readlane_b32 s37, v127, 13
	v_readlane_b32 s38, v127, 14
	v_readlane_b32 s39, v127, 15
	v_readlane_b32 s40, v127, 16
	v_readlane_b32 s43, v127, 18
	v_readlane_b32 s41, v127, 19
	v_readlane_b32 s44, v127, 20
	v_readlane_b32 s45, v127, 21
	v_readlane_b32 s46, v127, 22
                                        ; implicit-def: $sgpr8_sgpr9
	s_waitcnt vmcnt(0)
	v_lshl_add_u64 v[86:87], s[6:7], 0, v[96:97]
	s_mov_b64 s[6:7], 0
	s_branch .LBB305_34
.LBB305_33:                             ;   in Loop: Header=BB305_34 Depth=2
	s_or_b64 exec, exec, s[10:11]
	s_and_b64 s[10:11], exec, s[8:9]
	s_or_b64 s[6:7], s[10:11], s[6:7]
	s_andn2_b64 exec, exec, s[6:7]
	s_cbranch_execz .LBB305_36
.LBB305_34:                             ;   Parent Loop BB305_7 Depth=1
                                        ; =>  This Inner Loop Header: Depth=2
	s_and_b32 s10, s12, 2
	s_and_b32 s11, s5, 24
	s_or_b32 s10, s11, s10
	v_or_b32_e32 v80, s10, v114
	v_add_u32_e32 v81, s99, v80
	v_cmp_gt_u32_e32 vcc, 32, v81
	s_or_b64 s[8:9], s[8:9], exec
	s_and_saveexec_b64 s[10:11], vcc
	s_cbranch_execz .LBB305_33
; %bb.35:                               ;   in Loop: Header=BB305_34 Depth=2
	s_add_i32 s13, s12, 1
	s_set_gpr_idx_on s12, gpr_idx(SRC0)
	v_mov_b32_e32 v81, v0
	s_set_gpr_idx_off
	v_cvt_f16_f32_e32 v82, v81
	s_set_gpr_idx_on s13, gpr_idx(SRC0)
	v_mov_b32_e32 v81, v0
	s_set_gpr_idx_off
	v_cvt_f16_f32_sdwa v83, v81 dst_sel:WORD_1 dst_unused:UNUSED_PAD src0_sel:DWORD
	v_mul_lo_u32 v80, v80, s25
	v_ashrrev_i32_e32 v81, 31, v80
	v_lshl_add_u64 v[80:81], v[80:81], 1, v[86:87]
	v_or_b32_e32 v82, v83, v82
	;;#ASMSTART
	global_atomic_pk_add_f16 v[80:81], v82, off
	
	;;#ASMEND
	s_set_gpr_idx_on s12, gpr_idx(SRC0)
	v_mov_b32_e32 v82, v16
	s_set_gpr_idx_off
	v_cvt_f16_f32_e32 v84, v82
	s_set_gpr_idx_on s13, gpr_idx(SRC0)
	v_mov_b32_e32 v82, v16
	s_set_gpr_idx_off
	v_cvt_f16_f32_sdwa v85, v82 dst_sel:WORD_1 dst_unused:UNUSED_PAD src0_sel:DWORD
	v_lshl_add_u64 v[82:83], v[80:81], 0, 64
	s_mov_b64 s[14:15], 0x80
	s_add_i32 s5, s5, 4
	v_or_b32_e32 v84, v85, v84
	;;#ASMSTART
	global_atomic_pk_add_f16 v[82:83], v84, off
	
	;;#ASMEND
	s_set_gpr_idx_on s12, gpr_idx(SRC0)
	v_mov_b32_e32 v82, v32
	s_set_gpr_idx_off
	v_cvt_f16_f32_e32 v84, v82
	s_set_gpr_idx_on s13, gpr_idx(SRC0)
	v_mov_b32_e32 v82, v32
	s_set_gpr_idx_off
	v_cvt_f16_f32_sdwa v85, v82 dst_sel:WORD_1 dst_unused:UNUSED_PAD src0_sel:DWORD
	v_lshl_add_u64 v[82:83], v[80:81], 0, s[14:15]
	s_mov_b64 s[14:15], 0xc0
	v_or_b32_e32 v84, v85, v84
	;;#ASMSTART
	global_atomic_pk_add_f16 v[82:83], v84, off
	
	;;#ASMEND
	s_set_gpr_idx_on s12, gpr_idx(SRC0)
	v_mov_b32_e32 v82, v48
	s_set_gpr_idx_off
	v_cvt_f16_f32_e32 v84, v82
	s_set_gpr_idx_on s13, gpr_idx(SRC0)
	v_mov_b32_e32 v82, v48
	s_set_gpr_idx_off
	v_cvt_f16_f32_sdwa v85, v82 dst_sel:WORD_1 dst_unused:UNUSED_PAD src0_sel:DWORD
	v_lshl_add_u64 v[82:83], v[80:81], 0, s[14:15]
	s_mov_b64 s[14:15], 0x100
	v_lshl_add_u64 v[80:81], v[80:81], 0, s[14:15]
	v_or_b32_e32 v84, v85, v84
	;;#ASMSTART
	global_atomic_pk_add_f16 v[82:83], v84, off
	
	;;#ASMEND
	s_set_gpr_idx_on s12, gpr_idx(SRC0)
	v_mov_b32_e32 v82, v64
	s_set_gpr_idx_off
	v_cvt_f16_f32_e32 v82, v82
	s_set_gpr_idx_on s13, gpr_idx(SRC0)
	v_mov_b32_e32 v83, v64
	s_set_gpr_idx_off
	s_add_i32 s12, s12, 2
	v_cvt_f16_f32_sdwa v83, v83 dst_sel:WORD_1 dst_unused:UNUSED_PAD src0_sel:DWORD
	s_cmp_eq_u32 s12, 16
	s_cselect_b64 s[14:15], -1, 0
	s_andn2_b64 s[8:9], s[8:9], exec
	s_and_b64 s[14:15], s[14:15], exec
	s_or_b64 s[8:9], s[8:9], s[14:15]
	v_or_b32_e32 v82, v83, v82
	;;#ASMSTART
	global_atomic_pk_add_f16 v[80:81], v82, off
	
	;;#ASMEND
	s_branch .LBB305_33
.LBB305_36:                             ;   in Loop: Header=BB305_7 Depth=1
	s_or_b64 exec, exec, s[6:7]
	scratch_load_dword v85, off, off offset:28 ; 4-byte Folded Reload
	v_readlane_b32 s16, v127, 2
	v_readlane_b32 s14, v127, 0
	v_readlane_b32 s15, v127, 1
	v_readlane_b32 s17, v127, 3
	v_readlane_b32 s18, v127, 4
	v_readlane_b32 s19, v127, 5
	v_readlane_b32 s20, v127, 6
	v_readlane_b32 s21, v127, 7
	v_readlane_b32 s22, v127, 8
	v_readlane_b32 s23, v127, 9
	v_readlane_b32 s47, v127, 27
	v_readlane_b32 s68, v127, 28
	v_readlane_b32 s69, v127, 29
.LBB305_37:                             ;   in Loop: Header=BB305_7 Depth=1
	v_readlane_b32 s6, v127, 25
	v_readlane_b32 s7, v127, 26
	s_or_b64 exec, exec, s[6:7]
.LBB305_38:                             ;   in Loop: Header=BB305_7 Depth=1
	s_or_saveexec_b64 s[0:1], s[0:1]
	v_readlane_b32 s48, v127, 23
	s_mov_b32 s13, s4
	v_readlane_b32 s49, v127, 24
	s_xor_b64 exec, exec, s[0:1]
	s_cbranch_execz .LBB305_47
; %bb.39:                               ;   in Loop: Header=BB305_7 Depth=1
	s_mul_i32 s12, s98, 5
	v_cmp_gt_i32_e32 vcc, s12, v116
	s_and_saveexec_b64 s[6:7], vcc
	s_cbranch_execz .LBB305_46
; %bb.40:                               ;   in Loop: Header=BB305_7 Depth=1
	scratch_load_dwordx2 v[0:1], off, off offset:80 ; 8-byte Folded Reload
	scratch_load_dwordx2 v[2:3], off, off offset:8 ; 8-byte Folded Reload
	s_mul_i32 s4, s68, s27
	s_ashr_i32 s5, s4, 31
	s_add_u32 s4, s18, s4
	s_addc_u32 s5, s19, s5
	s_ashr_i32 s8, s13, 31
	s_add_u32 s4, s4, s13
	s_addc_u32 s5, s5, s8
	s_waitcnt vmcnt(1)
	v_lshl_add_u64 v[0:1], s[4:5], 0, v[0:1]
	s_waitcnt vmcnt(0)
	v_lshl_add_u64 v[8:9], v[0:1], 0, v[2:3]
	s_mov_b64 s[4:5], 0
	s_branch .LBB305_42
.LBB305_41:                             ;   in Loop: Header=BB305_42 Depth=2
	s_or_b64 exec, exec, s[8:9]
	v_lshl_or_b32 v12, v10, 11, v111
	;;#ASMSTART
	s_waitcnt vmcnt(1)
	;;#ASMEND
	ds_write2_b32 v12, v4, v5 offset1:32
	ds_write2_b32 v12, v6, v7 offset0:64 offset1:96
	v_add_u32_e32 v4, 0x400, v12
	v_add_u32_e32 v116, s30, v116
	;;#ASMSTART
	s_waitcnt vmcnt(0)
	;;#ASMEND
	ds_write2_b32 v4, v0, v1 offset1:32
	ds_write2_b32 v4, v2, v3 offset0:64 offset1:96
	v_add_u32_e32 v0, 1, v95
	v_add_u32_e32 v88, s30, v10
	v_cmp_le_i32_e32 vcc, s12, v116
	ds_write_b32 v11, v0 offset:36
	v_add_u32_e32 v0, 2, v95
	s_or_b64 s[4:5], vcc, s[4:5]
	v_cmp_lt_i32_e32 vcc, 14, v88
	s_nop 1
	v_cndmask_b32_e32 v95, v95, v0, vcc
	s_andn2_b64 exec, exec, s[4:5]
	s_cbranch_execz .LBB305_45
.LBB305_42:                             ;   Parent Loop BB305_7 Depth=1
                                        ; =>  This Loop Header: Depth=2
                                        ;       Child Loop BB305_44 Depth 3
	v_cmp_gt_i32_e32 vcc, 15, v88
	s_mov_b32 s8, 0x66666667
	s_nop 0
	v_cndmask_b32_e64 v0, -15, 0, vcc
	v_add_u32_e32 v10, v0, v88
	v_mul_hi_i32 v0, v116, s8
	v_lshrrev_b32_e32 v1, 31, v0
	v_ashrrev_i32_e32 v0, 1, v0
	v_add_u32_e32 v0, v0, v1
	v_lshl_add_u32 v1, v0, 2, v0
	v_sub_u32_e32 v2, v116, v1
	v_lshlrev_b32_e32 v0, 6, v0
	v_ashrrev_i32_e32 v1, 31, v0
	v_mul_lo_u32 v2, s33, v2
	v_lshl_add_u64 v[0:1], v[8:9], 0, v[0:1]
	v_ashrrev_i32_e32 v3, 31, v2
	v_lshl_add_u64 v[0:1], v[0:1], 0, v[2:3]
	v_lshlrev_b32_e32 v11, 2, v10
	;;#ASMSTART
	global_load_dwordx4 v[4:7], v[0:1], off offset:0   sc0 sc1 nt  
	global_load_dwordx4 v[0:3], v[0:1], off offset:32  sc0 sc1 nt  
	
	;;#ASMEND
	ds_read_b32 v12, v11 offset:49188
	v_add_u32_e32 v11, 0xc000, v11
	s_waitcnt lgkmcnt(0)
	v_cmp_ne_u32_e32 vcc, v12, v95
	s_and_saveexec_b64 s[8:9], vcc
	s_cbranch_execz .LBB305_41
; %bb.43:                               ;   in Loop: Header=BB305_42 Depth=2
	s_mov_b64 s[10:11], 0
.LBB305_44:                             ;   Parent Loop BB305_7 Depth=1
                                        ;     Parent Loop BB305_42 Depth=2
                                        ; =>    This Inner Loop Header: Depth=3
	;;#ASMSTART
	s_sleep 0
	;;#ASMEND
	ds_read_b32 v12, v11 offset:36
	s_waitcnt lgkmcnt(0)
	v_cmp_eq_u32_e32 vcc, v12, v95
	s_or_b64 s[10:11], vcc, s[10:11]
	s_andn2_b64 exec, exec, s[10:11]
	s_cbranch_execnz .LBB305_44
	s_branch .LBB305_41
.LBB305_45:                             ;   in Loop: Header=BB305_7 Depth=1
	s_or_b64 exec, exec, s[4:5]
.LBB305_46:                             ;   in Loop: Header=BB305_7 Depth=1
	s_or_b64 exec, exec, s[6:7]
	v_subrev_u32_e32 v116, s12, v116
.LBB305_47:                             ;   in Loop: Header=BB305_7 Depth=1
	s_or_b64 exec, exec, s[0:1]
.LBB305_48:                             ;   in Loop: Header=BB305_7 Depth=1
	s_andn2_saveexec_b64 s[0:1], s[48:49]
	s_cbranch_execz .LBB305_6
; %bb.49:                               ;   in Loop: Header=BB305_7 Depth=1
	s_mul_i32 s98, s98, 3
	v_cmp_gt_i32_e32 vcc, s98, v116
	s_and_saveexec_b64 s[4:5], vcc
	s_cbranch_execz .LBB305_5
; %bb.50:                               ;   in Loop: Header=BB305_7 Depth=1
	scratch_load_dword v0, off, off offset:16 ; 4-byte Folded Reload
	scratch_load_dwordx2 v[4:5], off, off offset:8 ; 8-byte Folded Reload
	s_mul_i32 s6, s47, s26
	s_ashr_i32 s7, s6, 31
	s_add_u32 s6, s16, s6
	s_addc_u32 s7, s17, s7
	s_ashr_i32 s8, s13, 31
	s_add_u32 s6, s6, s13
	s_addc_u32 s7, s7, s8
	s_waitcnt vmcnt(2)
	v_add_u32_e32 v2, s99, v85
	s_movk_i32 s8, 0x60
	v_cmp_gt_u32_e32 vcc, s8, v2
	v_sub_u32_e32 v10, 0x5f, v2
	s_waitcnt vmcnt(1)
	v_cndmask_b32_e32 v0, 0, v0, vcc
	v_ashrrev_i32_e32 v1, 31, v0
	v_lshl_add_u64 v[0:1], s[6:7], 0, v[0:1]
	s_waitcnt vmcnt(0)
	v_lshl_add_u64 v[8:9], v[0:1], 0, v[4:5]
	s_mov_b64 s[6:7], 0
	s_branch .LBB305_52
.LBB305_51:                             ;   in Loop: Header=BB305_52 Depth=2
	s_or_b64 exec, exec, s[8:9]
	v_lshl_add_u32 v13, v11, 11, v113
	;;#ASMSTART
	s_waitcnt vmcnt(1)
	;;#ASMEND
	ds_write2_b32 v13, v4, v5 offset1:32
	ds_write2_b32 v13, v6, v7 offset0:64 offset1:96
	v_add_u32_e32 v4, 0x400, v13
	v_add_u32_e32 v116, s29, v116
	;;#ASMSTART
	s_waitcnt vmcnt(0)
	;;#ASMEND
	ds_write2_b32 v4, v0, v1 offset1:32
	ds_write2_b32 v4, v2, v3 offset0:64 offset1:96
	v_add_u32_e32 v0, 1, v95
	v_add_u32_e32 v88, s29, v11
	v_cmp_le_i32_e32 vcc, s98, v116
	ds_write_b32 v12, v0
	v_add_u32_e32 v0, 2, v95
	s_or_b64 s[6:7], vcc, s[6:7]
	v_cmp_lt_i32_e32 vcc, 8, v88
	s_nop 1
	v_cndmask_b32_e32 v95, v95, v0, vcc
	s_andn2_b64 exec, exec, s[6:7]
	s_cbranch_execz .LBB305_4
.LBB305_52:                             ;   Parent Loop BB305_7 Depth=1
                                        ; =>  This Loop Header: Depth=2
                                        ;       Child Loop BB305_54 Depth 3
	v_cmp_gt_i32_e32 vcc, 9, v88
	s_mov_b32 s8, 0x55555556
	s_nop 0
	v_cndmask_b32_e64 v0, -9, 0, vcc
	v_add_u32_e32 v11, v0, v88
	v_mul_hi_i32 v0, v116, s8
	v_lshrrev_b32_e32 v1, 31, v0
	v_add_u32_e32 v0, v0, v1
	v_lshl_add_u32 v1, v0, 1, v0
	v_sub_u32_e32 v1, v116, v1
	v_lshlrev_b32_e32 v1, 5, v1
	v_cmp_le_i32_e32 vcc, v1, v10
	v_lshlrev_b32_e32 v0, 6, v0
	v_lshlrev_b32_e32 v12, 2, v11
	v_cndmask_b32_e32 v2, 0, v1, vcc
	v_ashrrev_i32_e32 v1, 31, v0
	v_mul_lo_u32 v2, v2, s26
	v_lshl_add_u64 v[0:1], v[8:9], 0, v[0:1]
	v_ashrrev_i32_e32 v3, 31, v2
	v_lshl_add_u64 v[0:1], v[0:1], 0, v[2:3]
	;;#ASMSTART
	global_load_dwordx4 v[4:7], v[0:1], off offset:0   
	global_load_dwordx4 v[0:3], v[0:1], off offset:32  
	
	;;#ASMEND
	ds_read_b32 v13, v12 offset:49152
	v_add_u32_e32 v12, 0xc000, v12
	s_waitcnt lgkmcnt(0)
	v_cmp_ne_u32_e32 vcc, v13, v95
	s_and_saveexec_b64 s[8:9], vcc
	s_cbranch_execz .LBB305_51
; %bb.53:                               ;   in Loop: Header=BB305_52 Depth=2
	s_mov_b64 s[10:11], 0
.LBB305_54:                             ;   Parent Loop BB305_7 Depth=1
                                        ;     Parent Loop BB305_52 Depth=2
                                        ; =>    This Inner Loop Header: Depth=3
	;;#ASMSTART
	s_sleep 0
	;;#ASMEND
	ds_read_b32 v13, v12
	s_waitcnt lgkmcnt(0)
	v_cmp_eq_u32_e32 vcc, v13, v95
	s_or_b64 s[10:11], vcc, s[10:11]
	s_andn2_b64 exec, exec, s[10:11]
	s_cbranch_execnz .LBB305_54
	s_branch .LBB305_51
.LBB305_55:
	s_endpgm
	.section	.rodata,"a",@progbits
	.p2align	6, 0x0
	.amdhsa_kernel _Z19_skinny_gemm_kernelILi3ELi5ELi3ELi32ELi4EEvPKhS1_P6__halfPKfiiiiiiii
		.amdhsa_group_segment_fixed_size 49248
		.amdhsa_private_segment_fixed_size 92
		.amdhsa_kernarg_size 64
		.amdhsa_user_sgpr_count 2
		.amdhsa_user_sgpr_dispatch_ptr 0
		.amdhsa_user_sgpr_queue_ptr 0
		.amdhsa_user_sgpr_kernarg_segment_ptr 1
		.amdhsa_user_sgpr_dispatch_id 0
		.amdhsa_user_sgpr_kernarg_preload_length 0
		.amdhsa_user_sgpr_kernarg_preload_offset 0
		.amdhsa_user_sgpr_private_segment_size 0
		.amdhsa_uses_dynamic_stack 0
		.amdhsa_enable_private_segment 1
		.amdhsa_system_sgpr_workgroup_id_x 1
		.amdhsa_system_sgpr_workgroup_id_y 0
		.amdhsa_system_sgpr_workgroup_id_z 0
		.amdhsa_system_sgpr_workgroup_info 0
		.amdhsa_system_vgpr_workitem_id 0
		.amdhsa_next_free_vgpr 128
		.amdhsa_next_free_sgpr 100
		.amdhsa_accum_offset 128
		.amdhsa_reserve_vcc 1
		.amdhsa_float_round_mode_32 0
		.amdhsa_float_round_mode_16_64 0
		.amdhsa_float_denorm_mode_32 3
		.amdhsa_float_denorm_mode_16_64 3
		.amdhsa_dx10_clamp 1
		.amdhsa_ieee_mode 1
		.amdhsa_fp16_overflow 0
		.amdhsa_tg_split 0
		.amdhsa_exception_fp_ieee_invalid_op 0
		.amdhsa_exception_fp_denorm_src 0
		.amdhsa_exception_fp_ieee_div_zero 0
		.amdhsa_exception_fp_ieee_overflow 0
		.amdhsa_exception_fp_ieee_underflow 0
		.amdhsa_exception_fp_ieee_inexact 0
		.amdhsa_exception_int_div_zero 0
	.end_amdhsa_kernel
	.section	.text._Z19_skinny_gemm_kernelILi3ELi5ELi3ELi32ELi4EEvPKhS1_P6__halfPKfiiiiiiii,"axG",@progbits,_Z19_skinny_gemm_kernelILi3ELi5ELi3ELi32ELi4EEvPKhS1_P6__halfPKfiiiiiiii,comdat
.Lfunc_end305:
	.size	_Z19_skinny_gemm_kernelILi3ELi5ELi3ELi32ELi4EEvPKhS1_P6__halfPKfiiiiiiii, .Lfunc_end305-_Z19_skinny_gemm_kernelILi3ELi5ELi3ELi32ELi4EEvPKhS1_P6__halfPKfiiiiiiii
                                        ; -- End function
	.set _Z19_skinny_gemm_kernelILi3ELi5ELi3ELi32ELi4EEvPKhS1_P6__halfPKfiiiiiiii.num_vgpr, 128
	.set _Z19_skinny_gemm_kernelILi3ELi5ELi3ELi32ELi4EEvPKhS1_P6__halfPKfiiiiiiii.num_agpr, 0
	.set _Z19_skinny_gemm_kernelILi3ELi5ELi3ELi32ELi4EEvPKhS1_P6__halfPKfiiiiiiii.numbered_sgpr, 100
	.set _Z19_skinny_gemm_kernelILi3ELi5ELi3ELi32ELi4EEvPKhS1_P6__halfPKfiiiiiiii.num_named_barrier, 0
	.set _Z19_skinny_gemm_kernelILi3ELi5ELi3ELi32ELi4EEvPKhS1_P6__halfPKfiiiiiiii.private_seg_size, 92
	.set _Z19_skinny_gemm_kernelILi3ELi5ELi3ELi32ELi4EEvPKhS1_P6__halfPKfiiiiiiii.uses_vcc, 1
	.set _Z19_skinny_gemm_kernelILi3ELi5ELi3ELi32ELi4EEvPKhS1_P6__halfPKfiiiiiiii.uses_flat_scratch, 0
	.set _Z19_skinny_gemm_kernelILi3ELi5ELi3ELi32ELi4EEvPKhS1_P6__halfPKfiiiiiiii.has_dyn_sized_stack, 0
	.set _Z19_skinny_gemm_kernelILi3ELi5ELi3ELi32ELi4EEvPKhS1_P6__halfPKfiiiiiiii.has_recursion, 0
	.set _Z19_skinny_gemm_kernelILi3ELi5ELi3ELi32ELi4EEvPKhS1_P6__halfPKfiiiiiiii.has_indirect_call, 0
	.section	.AMDGPU.csdata,"",@progbits
; Kernel info:
; codeLenInByte = 16884
; TotalNumSgprs: 106
; NumVgprs: 128
; NumAgprs: 0
; TotalNumVgprs: 128
; ScratchSize: 92
; MemoryBound: 0
; FloatMode: 240
; IeeeMode: 1
; LDSByteSize: 49248 bytes/workgroup (compile time only)
; SGPRBlocks: 13
; VGPRBlocks: 15
; NumSGPRsForWavesPerEU: 106
; NumVGPRsForWavesPerEU: 128
; AccumOffset: 128
; Occupancy: 4
; WaveLimiterHint : 0
; COMPUTE_PGM_RSRC2:SCRATCH_EN: 1
; COMPUTE_PGM_RSRC2:USER_SGPR: 2
; COMPUTE_PGM_RSRC2:TRAP_HANDLER: 0
; COMPUTE_PGM_RSRC2:TGID_X_EN: 1
; COMPUTE_PGM_RSRC2:TGID_Y_EN: 0
; COMPUTE_PGM_RSRC2:TGID_Z_EN: 0
; COMPUTE_PGM_RSRC2:TIDIG_COMP_CNT: 0
; COMPUTE_PGM_RSRC3_GFX90A:ACCUM_OFFSET: 31
; COMPUTE_PGM_RSRC3_GFX90A:TG_SPLIT: 0
	.section	.text._Z19_skinny_gemm_kernelILi3ELi6ELi1ELi16ELi4EEvPKhS1_P6__halfPKfiiiiiiii,"axG",@progbits,_Z19_skinny_gemm_kernelILi3ELi6ELi1ELi16ELi4EEvPKhS1_P6__halfPKfiiiiiiii,comdat
	.protected	_Z19_skinny_gemm_kernelILi3ELi6ELi1ELi16ELi4EEvPKhS1_P6__halfPKfiiiiiiii ; -- Begin function _Z19_skinny_gemm_kernelILi3ELi6ELi1ELi16ELi4EEvPKhS1_P6__halfPKfiiiiiiii
	.globl	_Z19_skinny_gemm_kernelILi3ELi6ELi1ELi16ELi4EEvPKhS1_P6__halfPKfiiiiiiii
	.p2align	8
	.type	_Z19_skinny_gemm_kernelILi3ELi6ELi1ELi16ELi4EEvPKhS1_P6__halfPKfiiiiiiii,@function
_Z19_skinny_gemm_kernelILi3ELi6ELi1ELi16ELi4EEvPKhS1_P6__halfPKfiiiiiiii: ; @_Z19_skinny_gemm_kernelILi3ELi6ELi1ELi16ELi4EEvPKhS1_P6__halfPKfiiiiiiii
; %bb.0:
	v_cmp_gt_u32_e32 vcc, 9, v0
	v_lshlrev_b32_e32 v1, 2, v0
	s_and_saveexec_b64 s[4:5], vcc
; %bb.1:
	v_mov_b32_e32 v2, 0
	ds_write_b32 v1, v2 offset:18432
; %bb.2:
	s_or_b64 exec, exec, s[4:5]
	s_load_dwordx8 s[20:27], s[0:1], 0x20
	s_mov_b32 s58, 0x2aaaaaab
	s_waitcnt lgkmcnt(0)
	s_barrier
	s_add_i32 s3, s20, 47
	s_mul_hi_i32 s3, s3, 0x2aaaaaab
	s_lshr_b32 s4, s3, 31
	s_ashr_i32 s33, s3, 3
	s_add_i32 s3, s21, 0x5f
	s_mul_hi_i32 s3, s3, 0x2aaaaaab
	s_add_i32 s33, s33, s4
	s_lshr_b32 s4, s3, 31
	s_ashr_i32 s56, s3, 4
	s_add_i32 s56, s56, s4
	s_mul_i32 s3, s56, s33
	s_mul_i32 s3, s3, s24
	s_add_i32 s4, s3, 0x12f
	s_mul_hi_i32 s4, s4, 0x6bca1af3
	s_lshr_b32 s5, s4, 31
	s_ashr_i32 s4, s4, 7
	s_add_i32 s4, s4, s5
	s_add_i32 s5, s2, 1
	s_mul_i32 s5, s4, s5
	v_cvt_f64_i32_e32 v[2:3], s3
	v_cvt_f64_u32_e32 v[4:5], s5
	v_min_f64 v[2:3], v[2:3], v[4:5]
	v_cvt_i32_f64_e32 v73, v[2:3]
	s_mul_i32 s57, s4, s2
	v_cmp_ge_i32_e32 vcc, s57, v73
	s_cbranch_vccnz .LBB306_67
; %bb.3:
	v_lshrrev_b32_e32 v2, 6, v0
	s_add_i32 s4, s26, s25
	s_load_dwordx8 s[36:43], s[0:1], 0x0
	v_cmp_le_i32_e64 s[0:1], s4, v2
	v_mov_b32_e32 v3, s25
	v_cmp_le_i32_e64 s[2:3], s25, v2
	v_mov_b32_e32 v4, s26
	v_cndmask_b32_e64 v4, 0, v4, s[0:1]
	v_cndmask_b32_e64 v3, 0, v3, s[2:3]
	s_abs_i32 s5, s24
	v_add_u32_e32 v3, v3, v4
	v_cvt_f32_u32_e32 v4, s5
	v_sub_u32_e32 v86, v2, v3
	s_ashr_i32 s6, s22, 31
	s_lshr_b32 s6, s6, 25
	v_rcp_iflag_f32_e32 v3, v4
	s_sub_i32 s9, 0, s5
	s_add_i32 s6, s22, s6
	s_ashr_i32 s6, s6, 7
	v_mul_f32_e32 v3, 0x4f7ffffe, v3
	v_cvt_u32_f32_e32 v3, v3
	s_abs_i32 s8, s6
	s_xor_b32 s7, s6, s24
	s_ashr_i32 s7, s7, 31
	v_readfirstlane_b32 s10, v3
	s_mul_i32 s9, s9, s10
	s_mul_hi_u32 s9, s10, s9
	s_add_i32 s10, s10, s9
	s_mul_hi_u32 s9, s8, s10
	s_mul_i32 s10, s9, s5
	s_sub_i32 s8, s8, s10
	s_add_i32 s10, s9, 1
	s_sub_i32 s11, s8, s5
	s_cmp_ge_u32 s8, s5
	s_cselect_b32 s9, s10, s9
	s_cselect_b32 s8, s11, s8
	s_add_i32 s10, s9, 1
	s_cmp_ge_u32 s8, s5
	s_cselect_b32 s5, s10, s9
	s_xor_b32 s5, s5, s7
	s_sub_i32 s59, s5, s7
	s_add_i32 s24, s24, -1
	s_mul_i32 s5, s59, s24
	s_add_i32 s4, s4, s27
	s_sub_i32 s60, s6, s5
	v_cmp_gt_i32_e64 s[4:5], s4, v2
	v_lshlrev_b32_e32 v2, 1, v0
	v_lshlrev_b32_e32 v3, 4, v0
	v_and_b32_e32 v1, 60, v1
	v_and_b32_e32 v2, 64, v2
	v_and_b32_e32 v4, 0x100, v3
	v_or3_b32 v115, v1, v2, v4
	v_and_b32_e32 v1, 1, v0
	v_lshrrev_b32_e32 v4, 2, v0
	v_and_b32_e32 v72, 14, v0
	v_and_or_b32 v118, v4, 12, v1
	v_mad_u64_u32 v[74:75], s[6:7], s21, v118, v[72:73]
	s_lshl_b32 s6, s21, 4
	s_nop 0
	v_add_u32_e32 v4, s6, v74
	s_abs_i32 s62, s33
	v_ashrrev_i32_e32 v5, 31, v4
	v_and_b32_e32 v80, 48, v3
	v_cvt_f32_u32_e32 v3, s62
	scratch_store_dwordx2 off, v[4:5], off  ; 8-byte Folded Spill
	v_add_u32_e32 v4, s6, v4
	v_lshlrev_b32_e32 v2, 1, v1
	v_ashrrev_i32_e32 v5, 31, v4
	v_sub_u32_e32 v2, v0, v2
	v_bitop3_b32 v116, v0, 1, v0 bitop3:0xc
	v_bitop3_b32 v117, v0, 3, 1 bitop3:0x6c
	scratch_store_dwordx2 off, v[4:5], off offset:8 ; 8-byte Folded Spill
	v_bfe_u32 v119, v0, 2, 4
	v_and_b32_e32 v1, 60, v0
	v_lshlrev_b32_e32 v4, 8, v0
	v_lshlrev_b32_e32 v0, 6, v0
	v_and_b32_e32 v4, 0x200, v4
	v_rcp_iflag_f32_e32 v3, v3
	v_and_b32_e32 v0, 64, v0
	s_abs_i32 s64, s56
	v_or3_b32 v120, v1, v4, v0
	v_cvt_f32_u32_e32 v1, s64
	v_mul_f32_e32 v0, 0x4f7ffffe, v3
	v_cvt_u32_f32_e32 v0, v0
	s_sub_i32 s6, 0, s62
	v_rcp_iflag_f32_e32 v1, v1
	v_add_u32_e32 v2, 1, v2
	v_readfirstlane_b32 s7, v0
	s_mul_i32 s6, s6, s7
	v_mul_f32_e32 v0, 0x4f7ffffe, v1
	v_cvt_u32_f32_e32 v0, v0
	s_mul_hi_u32 s6, s7, s6
	s_add_i32 s66, s7, s6
	s_sub_i32 s6, 0, s64
	v_readfirstlane_b32 s7, v0
	v_mbcnt_lo_u32_b32 v0, -1, 0
	v_and_b32_e32 v2, 63, v2
	s_mul_i32 s6, s6, s7
	v_mbcnt_hi_u32_b32 v0, -1, v0
	v_mul_lo_u32 v82, s23, v119
	s_mul_hi_u32 s6, s7, s6
	v_and_or_b32 v0, v0, 64, v2
	v_cndmask_b32_e64 v114, 0, 1, s[0:1]
	s_movk_i32 s61, 0x3000
	s_ashr_i32 s29, s21, 31
	s_mov_b32 s28, s21
	v_ashrrev_i32_e32 v75, 31, v74
	v_ashrrev_i32_e32 v83, 31, v82
	v_mov_b32_e32 v81, 0
	s_lshl_b32 s63, s23, 4
	s_ashr_i32 s65, s33, 31
	s_ashr_i32 s67, s56, 31
	s_add_i32 s68, s7, s6
	s_movk_i32 s69, 0x1800
	s_mov_b64 s[30:31], 0x60
	s_mov_b64 s[34:35], 0x80
	;; [unrolled: 1-line block ×3, first 2 shown]
	s_mov_b32 s70, 0x55555556
	v_lshlrev_b32_e32 v121, 2, v0
	v_mov_b32_e32 v122, v86
	s_branch .LBB306_7
.LBB306_4:                              ;   in Loop: Header=BB306_7 Depth=1
	s_or_b64 exec, exec, s[10:11]
.LBB306_5:                              ;   in Loop: Header=BB306_7 Depth=1
	s_or_b64 exec, exec, s[8:9]
	v_subrev_u32_e32 v122, s74, v122
.LBB306_6:                              ;   in Loop: Header=BB306_7 Depth=1
	s_or_b64 exec, exec, s[6:7]
	s_add_i32 s57, s57, 1
	v_cmp_ge_i32_e32 vcc, s57, v73
	s_cbranch_vccnz .LBB306_67
.LBB306_7:                              ; =>This Loop Header: Depth=1
                                        ;     Child Loop BB306_13 Depth 2
                                        ;       Child Loop BB306_15 Depth 3
                                        ;       Child Loop BB306_18 Depth 3
                                        ;       Child Loop BB306_21 Depth 3
                                        ;       Child Loop BB306_24 Depth 3
                                        ;       Child Loop BB306_27 Depth 3
                                        ;       Child Loop BB306_30 Depth 3
                                        ;       Child Loop BB306_33 Depth 3
                                        ;       Child Loop BB306_36 Depth 3
                                        ;       Child Loop BB306_39 Depth 3
                                        ;     Child Loop BB306_54 Depth 2
                                        ;       Child Loop BB306_56 Depth 3
                                        ;     Child Loop BB306_64 Depth 2
                                        ;       Child Loop BB306_66 Depth 3
	s_abs_i32 s7, s57
	s_mul_hi_u32 s8, s7, s66
	s_mul_i32 s9, s8, s62
	s_ashr_i32 s6, s57, 31
	s_sub_i32 s7, s7, s9
	s_xor_b32 s6, s6, s65
	s_add_i32 s9, s8, 1
	s_sub_i32 s10, s7, s62
	s_cmp_ge_u32 s7, s62
	s_cselect_b32 s8, s9, s8
	s_cselect_b32 s7, s10, s7
	s_add_i32 s9, s8, 1
	s_cmp_ge_u32 s7, s62
	s_cselect_b32 s7, s9, s8
	s_xor_b32 s7, s7, s6
	s_sub_i32 s6, s7, s6
	s_abs_i32 s8, s6
	s_mul_hi_u32 s9, s8, s68
	s_mul_i32 s7, s6, s33
	s_mul_i32 s10, s9, s64
	s_sub_i32 s71, s57, s7
	s_ashr_i32 s7, s6, 31
	s_sub_i32 s8, s8, s10
	s_xor_b32 s7, s7, s67
	s_add_i32 s10, s9, 1
	s_sub_i32 s11, s8, s64
	s_cmp_ge_u32 s8, s64
	s_cselect_b32 s9, s10, s9
	s_cselect_b32 s8, s11, s8
	s_add_i32 s10, s9, 1
	s_cmp_ge_u32 s8, s64
	s_cselect_b32 s8, s10, s9
	s_xor_b32 s8, s8, s7
	s_sub_i32 s7, s8, s7
	s_mul_i32 s8, s7, s59
	s_lshl_b32 s72, s8, 7
	s_mul_i32 s71, s71, 48
	s_cmp_eq_u32 s7, s24
	s_cselect_b32 s74, s60, s59
	s_sub_i32 s8, s71, s20
	s_add_i32 s8, s8, 48
	s_max_i32 s73, s8, 0
	s_and_saveexec_b64 s[8:9], s[2:3]
	s_xor_b64 s[46:47], exec, s[8:9]
	s_cbranch_execz .LBB306_60
; %bb.8:                                ;   in Loop: Header=BB306_7 Depth=1
	s_mul_i32 s7, s7, s56
	s_sub_i32 s6, s6, s7
	s_mulk_i32 s6, 0x60
	s_sub_i32 s49, s6, s21
	s_addk_i32 s49, 0x60
	s_max_i32 s7, s49, 0
	s_sub_i32 s48, s6, s7
	s_and_saveexec_b64 s[6:7], s[0:1]
	s_xor_b64 s[50:51], exec, s[6:7]
	s_cbranch_execz .LBB306_50
; %bb.9:                                ;   in Loop: Header=BB306_7 Depth=1
	s_and_saveexec_b64 s[52:53], s[4:5]
	s_cbranch_execz .LBB306_49
; %bb.10:                               ;   in Loop: Header=BB306_7 Depth=1
	s_waitcnt lgkmcnt(0)
	global_load_dword v123, v81, s[42:43]
	v_mov_b32_e32 v71, 0
	v_cmp_gt_i32_e32 vcc, s74, v122
	v_mov_b32_e32 v70, v71
	v_mov_b32_e32 v69, v71
	;; [unrolled: 1-line block ×71, first 2 shown]
	s_and_saveexec_b64 s[6:7], vcc
	s_cbranch_execz .LBB306_41
; %bb.11:                               ;   in Loop: Header=BB306_7 Depth=1
	v_mov_b32_e32 v12, 0
	s_mov_b64 s[8:9], 0
	v_mov_b32_e32 v13, v12
	v_mov_b32_e32 v14, v12
	;; [unrolled: 1-line block ×71, first 2 shown]
	s_branch .LBB306_13
.LBB306_12:                             ;   in Loop: Header=BB306_13 Depth=2
	s_or_b64 exec, exec, s[10:11]
	v_add_u32_e32 v78, 0x2800, v108
	ds_read2_b32 v[76:77], v78 offset1:32
	ds_read2_b32 v[78:79], v78 offset0:128 offset1:160
	v_add_u32_e32 v108, 0x2c00, v108
	v_add_u32_e32 v122, s27, v122
	s_waitcnt lgkmcnt(1)
	v_mfma_f32_16x16x32_fp8_fp8 v[48:51], v[84:85], v[76:77], v[48:51]
	ds_read2_b32 v[84:85], v108 offset1:32
	v_mfma_f32_16x16x32_fp8_fp8 v[24:27], v[92:93], v[76:77], v[24:27]
	v_mfma_f32_16x16x32_fp8_fp8 v[12:15], v[102:103], v[76:77], v[12:15]
	v_add_u32_e32 v76, 2, v114
	s_waitcnt lgkmcnt(1)
	v_mfma_f32_16x16x32_fp8_fp8 v[48:51], v[86:87], v[78:79], v[48:51]
	v_add_u32_e32 v86, s27, v124
	v_cmp_lt_i32_e32 vcc, 0, v86
	v_mfma_f32_16x16x32_fp8_fp8 v[24:27], v[94:95], v[78:79], v[24:27]
	s_nop 0
	v_cndmask_b32_e32 v114, v114, v76, vcc
	v_cmp_le_i32_e32 vcc, s74, v122
	s_or_b64 s[8:9], vcc, s[8:9]
	v_mfma_f32_16x16x32_fp8_fp8 v[12:15], v[104:105], v[78:79], v[12:15]
	s_waitcnt lgkmcnt(0)
	v_mfma_f32_16x16x32_fp8_fp8 v[48:51], v[88:89], v[84:85], v[48:51]
	ds_read2_b32 v[88:89], v108 offset0:128 offset1:160
	;;#ASMSTART
	s_waitcnt lgkmcnt(0)
	;;#ASMEND
	ds_write_b32 v125, v126 offset:18464
	v_mfma_f32_16x16x32_fp8_fp8 v[24:27], v[96:97], v[84:85], v[24:27]
	v_mfma_f32_16x16x32_fp8_fp8 v[12:15], v[106:107], v[84:85], v[12:15]
	s_waitcnt lgkmcnt(1)
	v_mfma_f32_16x16x32_fp8_fp8 v[48:51], v[90:91], v[88:89], v[48:51]
	v_mfma_f32_16x16x32_fp8_fp8 v[24:27], v[98:99], v[88:89], v[24:27]
	;; [unrolled: 1-line block ×3, first 2 shown]
	s_andn2_b64 exec, exec, s[8:9]
	s_cbranch_execz .LBB306_40
.LBB306_13:                             ;   Parent Loop BB306_7 Depth=1
                                        ; =>  This Loop Header: Depth=2
                                        ;       Child Loop BB306_15 Depth 3
                                        ;       Child Loop BB306_18 Depth 3
	;; [unrolled: 1-line block ×9, first 2 shown]
	v_cmp_lt_i32_e32 vcc, 0, v86
	s_nop 1
	v_subbrev_co_u32_e32 v124, vcc, 0, v86, vcc
	v_mul_lo_u32 v125, v124, 24
	ds_read_b32 v76, v125 offset:18444
	s_waitcnt lgkmcnt(0)
	v_cmp_ne_u32_e32 vcc, v76, v114
	s_and_saveexec_b64 s[10:11], vcc
	s_cbranch_execz .LBB306_16
; %bb.14:                               ;   in Loop: Header=BB306_13 Depth=2
	s_mov_b64 s[12:13], 0
.LBB306_15:                             ;   Parent Loop BB306_7 Depth=1
                                        ;     Parent Loop BB306_13 Depth=2
                                        ; =>    This Inner Loop Header: Depth=3
	;;#ASMSTART
	s_sleep 0
	;;#ASMEND
	ds_read_b32 v76, v125 offset:18444
	s_waitcnt lgkmcnt(0)
	v_cmp_eq_u32_e32 vcc, v76, v114
	s_or_b64 s[12:13], vcc, s[12:13]
	s_andn2_b64 exec, exec, s[12:13]
	s_cbranch_execnz .LBB306_15
.LBB306_16:                             ;   in Loop: Header=BB306_13 Depth=2
	s_or_b64 exec, exec, s[10:11]
	v_mul_lo_u32 v127, v124, s61
	v_or_b32_e32 v76, v115, v127
	ds_read2_b32 v[100:101], v76 offset1:32
	ds_read2_b32 v[108:109], v76 offset0:128 offset1:160
	v_add_u32_e32 v76, 0x400, v76
	v_add_u32_e32 v126, 1, v114
	ds_read2_b32 v[112:113], v76 offset1:32
	ds_read2_b32 v[110:111], v76 offset0:128 offset1:160
	;;#ASMSTART
	s_waitcnt lgkmcnt(0)
	;;#ASMEND
	ds_write_b32 v125, v126 offset:18444
	v_mul_lo_u32 v78, v124, 12
	ds_read_b32 v76, v78 offset:18432
	s_waitcnt lgkmcnt(0)
	v_cmp_ne_u32_e32 vcc, v76, v114
	s_and_saveexec_b64 s[10:11], vcc
	s_cbranch_execz .LBB306_19
; %bb.17:                               ;   in Loop: Header=BB306_13 Depth=2
	s_mov_b64 s[12:13], 0
.LBB306_18:                             ;   Parent Loop BB306_7 Depth=1
                                        ;     Parent Loop BB306_13 Depth=2
                                        ; =>    This Inner Loop Header: Depth=3
	;;#ASMSTART
	s_sleep 0
	;;#ASMEND
	ds_read_b32 v76, v78 offset:18432
	s_waitcnt lgkmcnt(0)
	v_cmp_eq_u32_e32 vcc, v76, v114
	s_or_b64 s[12:13], vcc, s[12:13]
	s_andn2_b64 exec, exec, s[12:13]
	s_cbranch_execnz .LBB306_18
.LBB306_19:                             ;   in Loop: Header=BB306_13 Depth=2
	s_or_b64 exec, exec, s[10:11]
	v_mul_lo_u32 v76, v124, s69
	v_or_b32_e32 v77, 0x3000, v115
	v_add_u32_e32 v79, v77, v76
	ds_read2_b32 v[84:85], v79 offset1:32
	ds_read2_b32 v[86:87], v79 offset0:128 offset1:160
	v_add_u32_e32 v76, 0x400, v79
	ds_read2_b32 v[88:89], v76 offset1:32
	ds_read2_b32 v[90:91], v76 offset0:128 offset1:160
	ds_read_b32 v76, v78 offset:18436
	ds_write_b32 v78, v126 offset:18432
	s_waitcnt lgkmcnt(5)
	v_mfma_f32_16x16x32_fp8_fp8 v[68:71], v[84:85], v[100:101], v[68:71]
	s_waitcnt lgkmcnt(1)
	v_cmp_ne_u32_e32 vcc, v76, v114
	v_mfma_f32_16x16x32_fp8_fp8 v[68:71], v[86:87], v[108:109], v[68:71]
	v_mfma_f32_16x16x32_fp8_fp8 v[68:71], v[88:89], v[112:113], v[68:71]
	;; [unrolled: 1-line block ×3, first 2 shown]
	s_and_saveexec_b64 s[10:11], vcc
	s_cbranch_execz .LBB306_22
; %bb.20:                               ;   in Loop: Header=BB306_13 Depth=2
	s_mov_b64 s[12:13], 0
.LBB306_21:                             ;   Parent Loop BB306_7 Depth=1
                                        ;     Parent Loop BB306_13 Depth=2
                                        ; =>    This Inner Loop Header: Depth=3
	;;#ASMSTART
	s_sleep 0
	;;#ASMEND
	ds_read_b32 v76, v78 offset:18436
	s_waitcnt lgkmcnt(0)
	v_cmp_eq_u32_e32 vcc, v76, v114
	s_or_b64 s[12:13], vcc, s[12:13]
	s_andn2_b64 exec, exec, s[12:13]
	s_cbranch_execnz .LBB306_21
.LBB306_22:                             ;   in Loop: Header=BB306_13 Depth=2
	s_or_b64 exec, exec, s[10:11]
	v_add_u32_e32 v76, 0x800, v79
	ds_read2_b32 v[92:93], v76 offset1:32
	ds_read2_b32 v[94:95], v76 offset0:128 offset1:160
	v_add_u32_e32 v76, 0xc00, v79
	ds_read2_b32 v[96:97], v76 offset1:32
	ds_read2_b32 v[98:99], v76 offset0:128 offset1:160
	ds_read_b32 v76, v78 offset:18440
	s_waitcnt lgkmcnt(4)
	v_mfma_f32_16x16x32_fp8_fp8 v[44:47], v[92:93], v[100:101], v[44:47]
	ds_write_b32 v78, v126 offset:18436
	s_waitcnt lgkmcnt(1)
	v_cmp_ne_u32_e32 vcc, v76, v114
	v_mfma_f32_16x16x32_fp8_fp8 v[44:47], v[94:95], v[108:109], v[44:47]
	v_mfma_f32_16x16x32_fp8_fp8 v[44:47], v[96:97], v[112:113], v[44:47]
	;; [unrolled: 1-line block ×3, first 2 shown]
	s_and_saveexec_b64 s[10:11], vcc
	s_cbranch_execz .LBB306_25
; %bb.23:                               ;   in Loop: Header=BB306_13 Depth=2
	s_mov_b64 s[12:13], 0
.LBB306_24:                             ;   Parent Loop BB306_7 Depth=1
                                        ;     Parent Loop BB306_13 Depth=2
                                        ; =>    This Inner Loop Header: Depth=3
	;;#ASMSTART
	s_sleep 0
	;;#ASMEND
	ds_read_b32 v76, v78 offset:18440
	s_waitcnt lgkmcnt(0)
	v_cmp_eq_u32_e32 vcc, v76, v114
	s_or_b64 s[12:13], vcc, s[12:13]
	s_andn2_b64 exec, exec, s[12:13]
	s_cbranch_execnz .LBB306_24
.LBB306_25:                             ;   in Loop: Header=BB306_13 Depth=2
	s_or_b64 exec, exec, s[10:11]
	v_add_u32_e32 v76, 0x1000, v79
	ds_read2_b32 v[102:103], v76 offset1:32
	ds_read2_b32 v[104:105], v76 offset0:128 offset1:160
	v_add_u32_e32 v76, 0x1400, v79
	ds_read2_b32 v[106:107], v76 offset1:32
	ds_write_b32 v78, v126 offset:18440
	s_waitcnt lgkmcnt(3)
	v_mfma_f32_16x16x32_fp8_fp8 v[20:23], v[102:103], v[100:101], v[20:23]
	ds_read2_b32 v[100:101], v76 offset0:128 offset1:160
	ds_read_b32 v76, v125 offset:18448
	s_waitcnt lgkmcnt(0)
	v_cmp_ne_u32_e32 vcc, v76, v114
	v_mfma_f32_16x16x32_fp8_fp8 v[20:23], v[104:105], v[108:109], v[20:23]
	v_mfma_f32_16x16x32_fp8_fp8 v[20:23], v[106:107], v[112:113], v[20:23]
	;; [unrolled: 1-line block ×3, first 2 shown]
	s_and_saveexec_b64 s[10:11], vcc
	s_cbranch_execz .LBB306_28
; %bb.26:                               ;   in Loop: Header=BB306_13 Depth=2
	s_mov_b64 s[12:13], 0
.LBB306_27:                             ;   Parent Loop BB306_7 Depth=1
                                        ;     Parent Loop BB306_13 Depth=2
                                        ; =>    This Inner Loop Header: Depth=3
	;;#ASMSTART
	s_sleep 0
	;;#ASMEND
	ds_read_b32 v76, v125 offset:18448
	s_waitcnt lgkmcnt(0)
	v_cmp_eq_u32_e32 vcc, v76, v114
	s_or_b64 s[12:13], vcc, s[12:13]
	s_andn2_b64 exec, exec, s[12:13]
	s_cbranch_execnz .LBB306_27
.LBB306_28:                             ;   in Loop: Header=BB306_13 Depth=2
	s_or_b64 exec, exec, s[10:11]
	v_add_u32_e32 v108, v115, v127
	v_add_u32_e32 v76, 0x800, v108
	ds_read2_b32 v[78:79], v76 offset1:32
	ds_read2_b32 v[110:111], v76 offset0:128 offset1:160
	v_add_u32_e32 v76, 0xc00, v108
	ds_read2_b32 v[112:113], v76 offset1:32
	ds_read2_b32 v[76:77], v76 offset0:128 offset1:160
	s_waitcnt lgkmcnt(3)
	v_mfma_f32_16x16x32_fp8_fp8 v[64:67], v[84:85], v[78:79], v[64:67]
	;;#ASMSTART
	s_waitcnt lgkmcnt(0)
	;;#ASMEND
	ds_write_b32 v125, v126 offset:18448
	v_mfma_f32_16x16x32_fp8_fp8 v[40:43], v[92:93], v[78:79], v[40:43]
	v_mfma_f32_16x16x32_fp8_fp8 v[16:19], v[102:103], v[78:79], v[16:19]
	ds_read_b32 v78, v125 offset:18452
	s_waitcnt lgkmcnt(0)
	v_cmp_ne_u32_e32 vcc, v78, v114
	v_mfma_f32_16x16x32_fp8_fp8 v[64:67], v[86:87], v[110:111], v[64:67]
	v_mfma_f32_16x16x32_fp8_fp8 v[40:43], v[94:95], v[110:111], v[40:43]
	v_mfma_f32_16x16x32_fp8_fp8 v[16:19], v[104:105], v[110:111], v[16:19]
	v_mfma_f32_16x16x32_fp8_fp8 v[64:67], v[88:89], v[112:113], v[64:67]
	v_mfma_f32_16x16x32_fp8_fp8 v[40:43], v[96:97], v[112:113], v[40:43]
	v_mfma_f32_16x16x32_fp8_fp8 v[16:19], v[106:107], v[112:113], v[16:19]
	v_mfma_f32_16x16x32_fp8_fp8 v[64:67], v[90:91], v[76:77], v[64:67]
	v_mfma_f32_16x16x32_fp8_fp8 v[40:43], v[98:99], v[76:77], v[40:43]
	v_mfma_f32_16x16x32_fp8_fp8 v[16:19], v[100:101], v[76:77], v[16:19]
	s_and_saveexec_b64 s[10:11], vcc
	s_cbranch_execz .LBB306_31
; %bb.29:                               ;   in Loop: Header=BB306_13 Depth=2
	s_mov_b64 s[12:13], 0
.LBB306_30:                             ;   Parent Loop BB306_7 Depth=1
                                        ;     Parent Loop BB306_13 Depth=2
                                        ; =>    This Inner Loop Header: Depth=3
	;;#ASMSTART
	s_sleep 0
	;;#ASMEND
	ds_read_b32 v76, v125 offset:18452
	s_waitcnt lgkmcnt(0)
	v_cmp_eq_u32_e32 vcc, v76, v114
	s_or_b64 s[12:13], vcc, s[12:13]
	s_andn2_b64 exec, exec, s[12:13]
	s_cbranch_execnz .LBB306_30
.LBB306_31:                             ;   in Loop: Header=BB306_13 Depth=2
	s_or_b64 exec, exec, s[10:11]
	v_add_u32_e32 v78, 0x1000, v108
	ds_read2_b32 v[76:77], v78 offset1:32
	ds_read2_b32 v[78:79], v78 offset0:128 offset1:160
	v_add_u32_e32 v109, 0x1400, v108
	ds_read2_b32 v[110:111], v109 offset1:32
	ds_read2_b32 v[112:113], v109 offset0:128 offset1:160
	s_waitcnt lgkmcnt(3)
	v_mfma_f32_16x16x32_fp8_fp8 v[60:63], v[84:85], v[76:77], v[60:63]
	;;#ASMSTART
	s_waitcnt lgkmcnt(0)
	;;#ASMEND
	ds_write_b32 v125, v126 offset:18452
	v_mfma_f32_16x16x32_fp8_fp8 v[36:39], v[92:93], v[76:77], v[36:39]
	v_mfma_f32_16x16x32_fp8_fp8 v[8:11], v[102:103], v[76:77], v[8:11]
	ds_read_b32 v76, v125 offset:18456
	s_waitcnt lgkmcnt(0)
	v_cmp_ne_u32_e32 vcc, v76, v114
	v_mfma_f32_16x16x32_fp8_fp8 v[60:63], v[86:87], v[78:79], v[60:63]
	v_mfma_f32_16x16x32_fp8_fp8 v[36:39], v[94:95], v[78:79], v[36:39]
	v_mfma_f32_16x16x32_fp8_fp8 v[8:11], v[104:105], v[78:79], v[8:11]
	v_mfma_f32_16x16x32_fp8_fp8 v[60:63], v[88:89], v[110:111], v[60:63]
	v_mfma_f32_16x16x32_fp8_fp8 v[36:39], v[96:97], v[110:111], v[36:39]
	v_mfma_f32_16x16x32_fp8_fp8 v[8:11], v[106:107], v[110:111], v[8:11]
	v_mfma_f32_16x16x32_fp8_fp8 v[60:63], v[90:91], v[112:113], v[60:63]
	v_mfma_f32_16x16x32_fp8_fp8 v[36:39], v[98:99], v[112:113], v[36:39]
	v_mfma_f32_16x16x32_fp8_fp8 v[8:11], v[100:101], v[112:113], v[8:11]
	s_and_saveexec_b64 s[10:11], vcc
	s_cbranch_execz .LBB306_34
; %bb.32:                               ;   in Loop: Header=BB306_13 Depth=2
	s_mov_b64 s[12:13], 0
.LBB306_33:                             ;   Parent Loop BB306_7 Depth=1
                                        ;     Parent Loop BB306_13 Depth=2
                                        ; =>    This Inner Loop Header: Depth=3
	;;#ASMSTART
	s_sleep 0
	;;#ASMEND
	ds_read_b32 v76, v125 offset:18456
	s_waitcnt lgkmcnt(0)
	v_cmp_eq_u32_e32 vcc, v76, v114
	s_or_b64 s[12:13], vcc, s[12:13]
	s_andn2_b64 exec, exec, s[12:13]
	s_cbranch_execnz .LBB306_33
.LBB306_34:                             ;   in Loop: Header=BB306_13 Depth=2
	s_or_b64 exec, exec, s[10:11]
	;; [unrolled: 44-line block ×3, first 2 shown]
	v_add_u32_e32 v78, 0x2000, v108
	ds_read2_b32 v[76:77], v78 offset1:32
	ds_read2_b32 v[78:79], v78 offset0:128 offset1:160
	v_add_u32_e32 v109, 0x2400, v108
	ds_read2_b32 v[110:111], v109 offset1:32
	ds_read2_b32 v[112:113], v109 offset0:128 offset1:160
	s_waitcnt lgkmcnt(3)
	v_mfma_f32_16x16x32_fp8_fp8 v[52:55], v[84:85], v[76:77], v[52:55]
	;;#ASMSTART
	s_waitcnt lgkmcnt(0)
	;;#ASMEND
	ds_write_b32 v125, v126 offset:18460
	v_mfma_f32_16x16x32_fp8_fp8 v[28:31], v[92:93], v[76:77], v[28:31]
	v_mfma_f32_16x16x32_fp8_fp8 v[0:3], v[102:103], v[76:77], v[0:3]
	ds_read_b32 v76, v125 offset:18464
	s_waitcnt lgkmcnt(0)
	v_cmp_ne_u32_e32 vcc, v76, v114
	v_mfma_f32_16x16x32_fp8_fp8 v[52:55], v[86:87], v[78:79], v[52:55]
	v_mfma_f32_16x16x32_fp8_fp8 v[28:31], v[94:95], v[78:79], v[28:31]
	;; [unrolled: 1-line block ×9, first 2 shown]
	s_and_saveexec_b64 s[10:11], vcc
	s_cbranch_execz .LBB306_12
; %bb.38:                               ;   in Loop: Header=BB306_13 Depth=2
	s_mov_b64 s[12:13], 0
.LBB306_39:                             ;   Parent Loop BB306_7 Depth=1
                                        ;     Parent Loop BB306_13 Depth=2
                                        ; =>    This Inner Loop Header: Depth=3
	;;#ASMSTART
	s_sleep 0
	;;#ASMEND
	ds_read_b32 v76, v125 offset:18464
	s_waitcnt lgkmcnt(0)
	v_cmp_eq_u32_e32 vcc, v76, v114
	s_or_b64 s[12:13], vcc, s[12:13]
	s_andn2_b64 exec, exec, s[12:13]
	s_cbranch_execnz .LBB306_39
	s_branch .LBB306_12
.LBB306_40:                             ;   in Loop: Header=BB306_7 Depth=1
	s_or_b64 exec, exec, s[8:9]
.LBB306_41:                             ;   in Loop: Header=BB306_7 Depth=1
	s_or_b64 exec, exec, s[6:7]
	v_cmp_le_i32_e32 vcc, s49, v72
	v_cmp_eq_u32_e64 s[12:13], 1, v116
	v_cmp_eq_u32_e64 s[6:7], 3, v116
	s_waitcnt vmcnt(0)
	v_cndmask_b32_e32 v84, 0, v123, vcc
	v_pk_mul_f32 v[68:69], v[84:85], v[68:69] op_sel_hi:[0,1]
	v_pk_mul_f32 v[76:77], v[84:85], v[70:71] op_sel_hi:[0,1]
	v_cndmask_b32_e64 v70, v68, v69, s[12:13]
	v_cmp_eq_u32_e32 vcc, 2, v116
	v_cmp_eq_u32_e64 s[8:9], 0, v116
	v_cmp_eq_u32_e64 s[10:11], 1, v117
	v_cndmask_b32_e32 v70, v70, v76, vcc
	v_cndmask_b32_e64 v70, v70, v77, s[6:7]
	ds_bpermute_b32 v78, v121, v70
	v_cmp_eq_u32_e64 s[16:17], 3, v117
	s_waitcnt lgkmcnt(0)
	v_cndmask_b32_e64 v85, v68, v78, s[8:9]
	v_or_b32_e32 v68, 16, v72
	v_cmp_le_i32_e64 s[14:15], s49, v68
	v_cndmask_b32_e64 v69, v69, v78, s[12:13]
	v_cndmask_b32_e64 v70, v77, v78, s[6:7]
	;; [unrolled: 1-line block ×3, first 2 shown]
	v_pk_mul_f32 v[64:65], v[68:69], v[64:65] op_sel_hi:[0,1]
	v_cndmask_b32_e32 v71, v76, v78, vcc
	v_pk_mul_f32 v[76:77], v[68:69], v[66:67] op_sel_hi:[0,1]
	v_cndmask_b32_e64 v66, v64, v65, s[12:13]
	v_cndmask_b32_e32 v66, v66, v76, vcc
	v_cndmask_b32_e64 v66, v66, v77, s[6:7]
	ds_bpermute_b32 v79, v121, v66
	v_cndmask_b32_e64 v78, v85, v69, s[10:11]
	v_cmp_eq_u32_e64 s[14:15], 2, v117
	s_waitcnt lgkmcnt(0)
	v_cndmask_b32_e64 v89, v64, v79, s[8:9]
	v_or_b32_e32 v64, 32, v72
	v_cmp_le_i32_e64 s[18:19], s49, v64
	v_cndmask_b32_e64 v65, v65, v79, s[12:13]
	v_cndmask_b32_e64 v66, v78, v71, s[14:15]
	;; [unrolled: 1-line block ×3, first 2 shown]
	v_pk_mul_f32 v[60:61], v[64:65], v[60:61] op_sel_hi:[0,1]
	v_cndmask_b32_e64 v67, v77, v79, s[6:7]
	v_cndmask_b32_e32 v78, v76, v79, vcc
	v_pk_mul_f32 v[76:77], v[64:65], v[62:63] op_sel_hi:[0,1]
	v_cndmask_b32_e64 v62, v60, v61, s[12:13]
	v_cndmask_b32_e32 v62, v62, v76, vcc
	v_cndmask_b32_e64 v62, v62, v77, s[6:7]
	ds_bpermute_b32 v87, v121, v62
	v_cndmask_b32_e64 v62, v89, v65, s[10:11]
	v_cndmask_b32_e64 v62, v62, v78, s[14:15]
	;; [unrolled: 1-line block ×4, first 2 shown]
	s_waitcnt lgkmcnt(0)
	v_cndmask_b32_e64 v92, v60, v87, s[8:9]
	v_or_b32_e32 v60, 48, v72
	v_cmp_le_i32_e64 s[18:19], s49, v60
	v_cndmask_b32_e64 v61, v61, v87, s[12:13]
	v_cndmask_b32_e64 v63, v77, v87, s[6:7]
	;; [unrolled: 1-line block ×3, first 2 shown]
	v_pk_mul_f32 v[56:57], v[60:61], v[56:57] op_sel_hi:[0,1]
	v_cndmask_b32_e32 v79, v76, v87, vcc
	v_pk_mul_f32 v[76:77], v[60:61], v[58:59] op_sel_hi:[0,1]
	v_cndmask_b32_e64 v58, v56, v57, s[12:13]
	v_cndmask_b32_e32 v58, v58, v76, vcc
	v_cndmask_b32_e64 v58, v58, v77, s[6:7]
	ds_bpermute_b32 v88, v121, v58
	v_cndmask_b32_e64 v58, v92, v61, s[10:11]
	v_cndmask_b32_e64 v58, v58, v79, s[14:15]
	;; [unrolled: 1-line block ×3, first 2 shown]
	ds_bpermute_b32 v66, v121, v66
	s_waitcnt lgkmcnt(1)
	v_cndmask_b32_e64 v93, v56, v88, s[8:9]
	v_or_b32_e32 v56, 64, v72
	v_cmp_le_i32_e64 s[18:19], s49, v56
	v_cndmask_b32_e64 v57, v57, v88, s[12:13]
	v_cndmask_b32_e64 v59, v77, v88, s[6:7]
	v_cndmask_b32_e64 v56, 0, v123, s[18:19]
	v_pk_mul_f32 v[52:53], v[56:57], v[52:53] op_sel_hi:[0,1]
	v_cndmask_b32_e32 v87, v76, v88, vcc
	v_pk_mul_f32 v[76:77], v[56:57], v[54:55] op_sel_hi:[0,1]
	v_cndmask_b32_e64 v54, v52, v53, s[12:13]
	v_cndmask_b32_e32 v54, v54, v76, vcc
	v_cndmask_b32_e64 v54, v54, v77, s[6:7]
	ds_bpermute_b32 v90, v121, v54
	v_cndmask_b32_e64 v54, v93, v57, s[10:11]
	v_cndmask_b32_e64 v54, v54, v87, s[14:15]
	;; [unrolled: 1-line block ×3, first 2 shown]
	ds_bpermute_b32 v62, v121, v62
	s_waitcnt lgkmcnt(1)
	v_cndmask_b32_e64 v95, v52, v90, s[8:9]
	v_or_b32_e32 v52, 0x50, v72
	v_cmp_le_i32_e64 s[18:19], s49, v52
	v_cndmask_b32_e64 v55, v77, v90, s[6:7]
	v_cndmask_b32_e32 v88, v76, v90, vcc
	v_cndmask_b32_e64 v52, 0, v123, s[18:19]
	v_pk_mul_f32 v[96:97], v[52:53], v[48:49] op_sel_hi:[0,1]
	v_pk_mul_f32 v[76:77], v[52:53], v[50:51] op_sel_hi:[0,1]
	v_cndmask_b32_e64 v48, v96, v97, s[12:13]
	v_cndmask_b32_e32 v48, v48, v76, vcc
	v_cndmask_b32_e64 v48, v48, v77, s[6:7]
	ds_bpermute_b32 v49, v121, v48
	v_cndmask_b32_e64 v94, v53, v90, s[12:13]
	v_cndmask_b32_e64 v48, v95, v94, s[10:11]
	;; [unrolled: 1-line block ×4, first 2 shown]
	s_waitcnt lgkmcnt(0)
	v_cndmask_b32_e32 v51, v76, v49, vcc
	v_cmp_ne_u32_e32 vcc, 0, v116
	ds_bpermute_b32 v90, v121, v48
	v_cndmask_b32_e64 v50, v77, v49, s[6:7]
	v_cndmask_b32_e32 v48, v97, v49, vcc
	v_cndmask_b32_e64 v49, v96, v49, s[8:9]
	v_cndmask_b32_e64 v53, v49, v48, s[10:11]
	;; [unrolled: 1-line block ×4, first 2 shown]
	ds_bpermute_b32 v58, v121, v58
	ds_bpermute_b32 v54, v121, v54
	;; [unrolled: 1-line block ×3, first 2 shown]
	v_add_u32_e32 v53, s73, v118
	v_cmp_gt_u32_e32 vcc, 48, v53
	s_and_saveexec_b64 s[18:19], vcc
	s_cbranch_execz .LBB306_48
; %bb.42:                               ;   in Loop: Header=BB306_7 Depth=1
	v_cmp_eq_u32_e64 s[8:9], 1, v117
	v_cmp_eq_u32_e64 s[10:11], 0, v117
	v_cmp_eq_u32_e32 vcc, 3, v117
	v_cndmask_b32_e64 v69, v69, v66, s[8:9]
	v_cndmask_b32_e64 v76, v85, v66, s[10:11]
	;; [unrolled: 1-line block ×3, first 2 shown]
	s_waitcnt lgkmcnt(2)
	v_cndmask_b32_e64 v61, v61, v58, s[8:9]
	v_cndmask_b32_e64 v85, v92, v58, s[10:11]
	s_waitcnt lgkmcnt(1)
	v_cndmask_b32_e64 v57, v57, v54, s[8:9]
	v_cndmask_b32_e64 v92, v94, v90, s[8:9]
	s_waitcnt lgkmcnt(0)
	v_cndmask_b32_e64 v94, v48, v91, s[8:9]
	s_mul_i32 s8, s71, s21
	s_ashr_i32 s9, s8, 31
	s_lshl_b64 s[8:9], s[8:9], 1
	v_cndmask_b32_e64 v77, v89, v62, s[10:11]
	v_cndmask_b32_e64 v89, v93, v54, s[10:11]
	;; [unrolled: 1-line block ×4, first 2 shown]
	s_add_u32 s10, s40, s8
	s_addc_u32 s11, s41, s9
	s_ashr_i32 s49, s48, 31
	v_cvt_f16_f32_e32 v76, v76
	v_cvt_f16_f32_sdwa v69, v69 dst_sel:WORD_1 dst_unused:UNUSED_PAD src0_sel:DWORD
	v_cvt_f16_f32_e32 v96, v77
	v_cvt_f16_f32_sdwa v65, v65 dst_sel:WORD_1 dst_unused:UNUSED_PAD src0_sel:DWORD
	s_lshl_b64 s[8:9], s[48:49], 1
	s_add_u32 s54, s10, s8
	s_addc_u32 s55, s11, s9
	v_lshl_add_u64 v[48:49], v[74:75], 1, s[54:55]
	v_or_b32_e32 v69, v69, v76
	v_or_b32_e32 v65, v65, v96
	;;#ASMSTART
	global_atomic_pk_add_f16 v[48:49], v69, off
	
	;;#ASMEND
	v_lshl_add_u64 v[76:77], v[48:49], 0, 32
	;;#ASMSTART
	global_atomic_pk_add_f16 v[76:77], v65, off
	
	;;#ASMEND
	v_cvt_f16_f32_e32 v65, v85
	v_cvt_f16_f32_sdwa v61, v61 dst_sel:WORD_1 dst_unused:UNUSED_PAD src0_sel:DWORD
	v_cvt_f16_f32_e32 v69, v89
	v_cvt_f16_f32_sdwa v57, v57 dst_sel:WORD_1 dst_unused:UNUSED_PAD src0_sel:DWORD
	v_lshl_add_u64 v[76:77], v[48:49], 0, 64
	v_or_b32_e32 v61, v61, v65
	;;#ASMSTART
	global_atomic_pk_add_f16 v[76:77], v61, off
	
	;;#ASMEND
	v_or_b32_e32 v57, v57, v69
	v_lshl_add_u64 v[76:77], v[48:49], 0, s[30:31]
	;;#ASMSTART
	global_atomic_pk_add_f16 v[76:77], v57, off
	
	;;#ASMEND
	v_cvt_f16_f32_e32 v57, v93
	v_cvt_f16_f32_sdwa v61, v92 dst_sel:WORD_1 dst_unused:UNUSED_PAD src0_sel:DWORD
	v_cvt_f16_f32_e32 v65, v95
	v_cvt_f16_f32_sdwa v69, v94 dst_sel:WORD_1 dst_unused:UNUSED_PAD src0_sel:DWORD
	v_cmp_eq_u32_e64 s[6:7], 2, v117
	v_lshl_add_u64 v[76:77], v[48:49], 0, s[34:35]
	v_or_b32_e32 v57, v61, v57
	v_cmp_gt_u32_e64 s[8:9], 46, v53
	;;#ASMSTART
	global_atomic_pk_add_f16 v[76:77], v57, off
	
	;;#ASMEND
	v_lshl_add_u64 v[76:77], v[48:49], 0, s[44:45]
	v_or_b32_e32 v57, v69, v65
	;;#ASMSTART
	global_atomic_pk_add_f16 v[76:77], v57, off
	
	;;#ASMEND
	s_and_b64 exec, exec, s[8:9]
	s_cbranch_execz .LBB306_48
; %bb.43:                               ;   in Loop: Header=BB306_7 Depth=1
	v_cndmask_b32_e32 v70, v70, v66, vcc
	v_cndmask_b32_e64 v66, v71, v66, s[6:7]
	v_cvt_f16_f32_e32 v66, v66
	v_cvt_f16_f32_sdwa v70, v70 dst_sel:WORD_1 dst_unused:UNUSED_PAD src0_sel:DWORD
	v_cndmask_b32_e32 v63, v63, v58, vcc
	v_cndmask_b32_e64 v58, v79, v58, s[6:7]
	v_cndmask_b32_e32 v67, v67, v62, vcc
	v_cndmask_b32_e64 v62, v78, v62, s[6:7]
	v_cvt_f16_f32_e32 v58, v58
	v_cvt_f16_f32_sdwa v63, v63 dst_sel:WORD_1 dst_unused:UNUSED_PAD src0_sel:DWORD
	v_cndmask_b32_e32 v76, v50, v91, vcc
	v_or_b32_e32 v50, v70, v66
	v_cvt_f16_f32_e32 v62, v62
	v_cvt_f16_f32_sdwa v66, v67 dst_sel:WORD_1 dst_unused:UNUSED_PAD src0_sel:DWORD
	v_lshl_add_u64 v[48:49], s[28:29], 2, v[48:49]
	v_cndmask_b32_e32 v59, v59, v54, vcc
	v_cndmask_b32_e64 v54, v87, v54, s[6:7]
	v_cndmask_b32_e64 v77, v51, v91, s[6:7]
	;;#ASMSTART
	global_atomic_pk_add_f16 v[48:49], v50, off
	
	;;#ASMEND
	v_lshl_add_u64 v[50:51], v[48:49], 0, 32
	v_or_b32_e32 v58, v63, v58
	v_cndmask_b32_e32 v55, v55, v90, vcc
	v_cndmask_b32_e64 v71, v88, v90, s[6:7]
	v_or_b32_e32 v62, v66, v62
	;;#ASMSTART
	global_atomic_pk_add_f16 v[50:51], v62, off
	
	;;#ASMEND
	v_lshl_add_u64 v[50:51], v[48:49], 0, 64
	;;#ASMSTART
	global_atomic_pk_add_f16 v[50:51], v58, off
	
	;;#ASMEND
	v_cvt_f16_f32_e32 v54, v54
	v_cvt_f16_f32_sdwa v58, v59 dst_sel:WORD_1 dst_unused:UNUSED_PAD src0_sel:DWORD
	v_cvt_f16_f32_e32 v59, v71
	v_cvt_f16_f32_sdwa v55, v55 dst_sel:WORD_1 dst_unused:UNUSED_PAD src0_sel:DWORD
	v_mov_b32_e32 v85, v84
	v_or_b32_e32 v54, v58, v54
	v_lshl_add_u64 v[50:51], v[48:49], 0, s[30:31]
	;;#ASMSTART
	global_atomic_pk_add_f16 v[50:51], v54, off
	
	;;#ASMEND
	v_or_b32_e32 v62, v55, v59
	v_mov_b32_e32 v54, v84
	v_mov_b32_e32 v55, v84
	v_pk_mul_f32 v[58:59], v[84:85], v[44:45]
	v_cmp_eq_u32_e64 s[8:9], 1, v116
	v_pk_mul_f32 v[54:55], v[54:55], v[46:47]
	v_cmp_eq_u32_e32 vcc, 2, v116
	v_cndmask_b32_e64 v44, v58, v59, s[8:9]
	v_cmp_eq_u32_e64 s[6:7], 3, v116
	v_cndmask_b32_e32 v44, v44, v54, vcc
	v_lshl_add_u64 v[50:51], v[48:49], 0, s[34:35]
	v_cndmask_b32_e64 v44, v44, v55, s[6:7]
	v_mov_b32_e32 v69, v68
	ds_bpermute_b32 v63, v121, v44
	;;#ASMSTART
	global_atomic_pk_add_f16 v[50:51], v62, off
	
	;;#ASMEND
	v_mov_b32_e32 v50, v68
	v_mov_b32_e32 v51, v68
	v_pk_mul_f32 v[42:43], v[50:51], v[42:43]
	v_pk_mul_f32 v[50:51], v[68:69], v[40:41]
	s_waitcnt lgkmcnt(0)
	v_cndmask_b32_e64 v46, v55, v63, s[6:7]
	v_cndmask_b32_e64 v40, v50, v51, s[8:9]
	v_cndmask_b32_e32 v40, v40, v42, vcc
	v_cndmask_b32_e64 v40, v40, v43, s[6:7]
	ds_bpermute_b32 v55, v121, v40
	v_cmp_eq_u32_e64 s[10:11], 0, v116
	v_lshl_add_u64 v[44:45], v[48:49], 0, s[44:45]
	v_cndmask_b32_e64 v48, v59, v63, s[8:9]
	v_cndmask_b32_e64 v49, v58, v63, s[10:11]
	v_cmp_eq_u32_e64 s[12:13], 1, v117
	v_cndmask_b32_e32 v47, v54, v63, vcc
	v_cmp_eq_u32_e64 s[14:15], 2, v117
	v_cndmask_b32_e64 v54, v49, v48, s[12:13]
	v_mov_b32_e32 v65, v64
	v_cndmask_b32_e64 v40, v54, v47, s[14:15]
	s_waitcnt lgkmcnt(0)
	v_cndmask_b32_e64 v41, v43, v55, s[6:7]
	v_cndmask_b32_e32 v42, v42, v55, vcc
	v_cndmask_b32_e64 v43, v51, v55, s[8:9]
	v_cndmask_b32_e64 v50, v50, v55, s[10:11]
	v_mov_b32_e32 v54, v64
	v_mov_b32_e32 v55, v64
	v_pk_mul_f32 v[38:39], v[54:55], v[38:39]
	v_pk_mul_f32 v[54:55], v[64:65], v[36:37]
	v_mov_b32_e32 v61, v60
	v_cndmask_b32_e64 v36, v54, v55, s[8:9]
	v_cndmask_b32_e32 v36, v36, v38, vcc
	v_cndmask_b32_e64 v36, v36, v39, s[6:7]
	ds_bpermute_b32 v51, v121, v36
	v_pk_mul_f32 v[58:59], v[60:61], v[32:33]
	v_mov_b32_e32 v57, v56
	v_cndmask_b32_e64 v32, v58, v59, s[8:9]
	v_pk_mul_f32 v[62:63], v[56:57], v[28:29]
	s_waitcnt lgkmcnt(0)
	v_cndmask_b32_e64 v37, v39, v51, s[6:7]
	v_cndmask_b32_e32 v38, v38, v51, vcc
	v_cndmask_b32_e64 v39, v55, v51, s[8:9]
	v_cndmask_b32_e64 v51, v54, v51, s[10:11]
	v_mov_b32_e32 v54, v60
	v_mov_b32_e32 v55, v60
	v_pk_mul_f32 v[34:35], v[54:55], v[34:35]
	v_cndmask_b32_e64 v28, v62, v63, s[8:9]
	v_cndmask_b32_e32 v32, v32, v34, vcc
	v_cndmask_b32_e64 v32, v32, v35, s[6:7]
	ds_bpermute_b32 v55, v121, v32
	v_mov_b32_e32 v53, v52
	v_pk_mul_f32 v[66:67], v[52:53], v[24:25]
	v_cmp_eq_u32_e64 s[16:17], 3, v117
	v_cndmask_b32_e64 v24, v66, v67, s[8:9]
	s_waitcnt lgkmcnt(0)
	v_cndmask_b32_e64 v33, v35, v55, s[6:7]
	v_cndmask_b32_e32 v34, v34, v55, vcc
	v_cndmask_b32_e64 v54, v59, v55, s[8:9]
	v_cndmask_b32_e64 v55, v58, v55, s[10:11]
	v_mov_b32_e32 v58, v56
	v_mov_b32_e32 v59, v56
	v_pk_mul_f32 v[30:31], v[58:59], v[30:31]
	v_cndmask_b32_e64 v36, v50, v43, s[12:13]
	v_cndmask_b32_e32 v28, v28, v30, vcc
	v_cndmask_b32_e64 v28, v28, v31, s[6:7]
	ds_bpermute_b32 v35, v121, v28
	v_cndmask_b32_e64 v32, v51, v39, s[12:13]
	v_cndmask_b32_e64 v28, v55, v54, s[12:13]
	v_cvt_f16_f32_e32 v70, v77
	v_cvt_f16_f32_sdwa v71, v76 dst_sel:WORD_1 dst_unused:UNUSED_PAD src0_sel:DWORD
	s_waitcnt lgkmcnt(0)
	v_cndmask_b32_e64 v58, v63, v35, s[8:9]
	v_cndmask_b32_e64 v59, v62, v35, s[10:11]
	v_mov_b32_e32 v62, v52
	v_mov_b32_e32 v63, v52
	v_pk_mul_f32 v[62:63], v[62:63], v[26:27]
	v_cndmask_b32_e32 v30, v30, v35, vcc
	v_cndmask_b32_e32 v24, v24, v62, vcc
	v_cndmask_b32_e64 v24, v24, v63, s[6:7]
	ds_bpermute_b32 v25, v121, v24
	v_cndmask_b32_e64 v24, v59, v58, s[12:13]
	v_cndmask_b32_e64 v29, v31, v35, s[6:7]
	;; [unrolled: 1-line block ×4, first 2 shown]
	s_waitcnt lgkmcnt(0)
	v_cndmask_b32_e32 v27, v62, v25, vcc
	v_cmp_ne_u32_e32 vcc, 0, v116
	ds_bpermute_b32 v31, v121, v24
	v_cndmask_b32_e64 v26, v63, v25, s[6:7]
	v_cndmask_b32_e32 v24, v67, v25, vcc
	v_cndmask_b32_e64 v25, v66, v25, s[10:11]
	v_cndmask_b32_e64 v35, v25, v24, s[12:13]
	;; [unrolled: 1-line block ×11, first 2 shown]
	ds_bpermute_b32 v40, v121, v40
	ds_bpermute_b32 v36, v121, v36
	;; [unrolled: 1-line block ×5, first 2 shown]
	v_or_b32_e32 v62, v71, v70
	;;#ASMSTART
	global_atomic_pk_add_f16 v[44:45], v62, off
	
	;;#ASMEND
	v_or_b32_e32 v44, 16, v118
	v_add_u32_e32 v44, s73, v44
	v_cmp_gt_u32_e32 vcc, 48, v44
	s_and_b64 exec, exec, vcc
	s_cbranch_execz .LBB306_48
; %bb.44:                               ;   in Loop: Header=BB306_7 Depth=1
	v_cmp_eq_u32_e64 s[8:9], 1, v117
	v_cmp_eq_u32_e64 s[10:11], 0, v117
	v_cmp_eq_u32_e32 vcc, 3, v117
	s_waitcnt lgkmcnt(4)
	v_cndmask_b32_e64 v45, v48, v40, s[8:9]
	v_cndmask_b32_e64 v48, v49, v40, s[10:11]
	s_waitcnt lgkmcnt(3)
	v_cndmask_b32_e64 v49, v50, v36, s[10:11]
	s_waitcnt lgkmcnt(2)
	v_cndmask_b32_e64 v50, v51, v32, s[10:11]
	s_waitcnt lgkmcnt(1)
	v_cndmask_b32_e64 v51, v54, v28, s[8:9]
	v_cndmask_b32_e64 v54, v55, v28, s[10:11]
	;; [unrolled: 1-line block ×4, first 2 shown]
	s_waitcnt lgkmcnt(0)
	v_cndmask_b32_e64 v59, v24, v35, s[8:9]
	v_cndmask_b32_e64 v62, v25, v35, s[10:11]
	scratch_load_dwordx2 v[24:25], off, off ; 8-byte Folded Reload
	v_cndmask_b32_e64 v43, v43, v36, s[8:9]
	v_cvt_f16_f32_e32 v63, v49
	v_cvt_f16_f32_sdwa v43, v43 dst_sel:WORD_1 dst_unused:UNUSED_PAD src0_sel:DWORD
	v_cvt_f16_f32_e32 v48, v48
	v_cvt_f16_f32_sdwa v45, v45 dst_sel:WORD_1 dst_unused:UNUSED_PAD src0_sel:DWORD
	v_cndmask_b32_e64 v39, v39, v32, s[8:9]
	v_or_b32_e32 v43, v43, v63
	v_cvt_f16_f32_sdwa v39, v39 dst_sel:WORD_1 dst_unused:UNUSED_PAD src0_sel:DWORD
	v_or_b32_e32 v45, v45, v48
	v_cmp_eq_u32_e64 s[6:7], 2, v117
	v_cmp_gt_u32_e64 s[8:9], 46, v44
	s_waitcnt vmcnt(0)
	v_lshl_add_u64 v[24:25], v[24:25], 1, s[54:55]
	;;#ASMSTART
	global_atomic_pk_add_f16 v[24:25], v45, off
	
	;;#ASMEND
	v_lshl_add_u64 v[48:49], v[24:25], 0, 32
	;;#ASMSTART
	global_atomic_pk_add_f16 v[48:49], v43, off
	
	;;#ASMEND
	v_cvt_f16_f32_e32 v43, v50
	v_cvt_f16_f32_e32 v45, v54
	v_cvt_f16_f32_sdwa v50, v51 dst_sel:WORD_1 dst_unused:UNUSED_PAD src0_sel:DWORD
	v_lshl_add_u64 v[48:49], v[24:25], 0, 64
	v_or_b32_e32 v39, v39, v43
	;;#ASMSTART
	global_atomic_pk_add_f16 v[48:49], v39, off
	
	;;#ASMEND
	v_or_b32_e32 v39, v50, v45
	v_lshl_add_u64 v[48:49], v[24:25], 0, s[30:31]
	;;#ASMSTART
	global_atomic_pk_add_f16 v[48:49], v39, off
	
	;;#ASMEND
	v_cvt_f16_f32_e32 v39, v58
	v_cvt_f16_f32_sdwa v43, v55 dst_sel:WORD_1 dst_unused:UNUSED_PAD src0_sel:DWORD
	v_cvt_f16_f32_e32 v45, v62
	v_cvt_f16_f32_sdwa v50, v59 dst_sel:WORD_1 dst_unused:UNUSED_PAD src0_sel:DWORD
	v_lshl_add_u64 v[48:49], v[24:25], 0, s[34:35]
	v_or_b32_e32 v39, v43, v39
	;;#ASMSTART
	global_atomic_pk_add_f16 v[48:49], v39, off
	
	;;#ASMEND
	v_lshl_add_u64 v[48:49], v[24:25], 0, s[44:45]
	v_or_b32_e32 v39, v50, v45
	;;#ASMSTART
	global_atomic_pk_add_f16 v[48:49], v39, off
	
	;;#ASMEND
	s_and_b64 exec, exec, s[8:9]
	s_cbranch_execz .LBB306_48
; %bb.45:                               ;   in Loop: Header=BB306_7 Depth=1
	v_cndmask_b32_e32 v39, v46, v40, vcc
	v_cndmask_b32_e64 v40, v47, v40, s[6:7]
	v_cndmask_b32_e32 v33, v33, v28, vcc
	v_cndmask_b32_e64 v28, v34, v28, s[6:7]
	;; [unrolled: 2-line block ×3, first 2 shown]
	v_cvt_f16_f32_e32 v31, v40
	v_cvt_f16_f32_sdwa v34, v39 dst_sel:WORD_1 dst_unused:UNUSED_PAD src0_sel:DWORD
	v_cndmask_b32_e32 v41, v41, v36, vcc
	v_cndmask_b32_e64 v36, v42, v36, s[6:7]
	v_cndmask_b32_e32 v37, v37, v32, vcc
	v_cndmask_b32_e64 v32, v38, v32, s[6:7]
	v_cndmask_b32_e32 v38, v26, v35, vcc
	v_or_b32_e32 v26, v34, v31
	v_cvt_f16_f32_e32 v31, v36
	v_cvt_f16_f32_sdwa v34, v41 dst_sel:WORD_1 dst_unused:UNUSED_PAD src0_sel:DWORD
	v_cvt_f16_f32_e32 v32, v32
	v_cvt_f16_f32_sdwa v36, v37 dst_sel:WORD_1 dst_unused:UNUSED_PAD src0_sel:DWORD
	v_lshl_add_u64 v[24:25], s[28:29], 2, v[24:25]
	v_or_b32_e32 v31, v34, v31
	v_cndmask_b32_e64 v35, v27, v35, s[6:7]
	;;#ASMSTART
	global_atomic_pk_add_f16 v[24:25], v26, off
	
	;;#ASMEND
	v_lshl_add_u64 v[26:27], v[24:25], 0, 32
	;;#ASMSTART
	global_atomic_pk_add_f16 v[26:27], v31, off
	
	;;#ASMEND
	v_or_b32_e32 v31, v36, v32
	v_lshl_add_u64 v[26:27], v[24:25], 0, 64
	;;#ASMSTART
	global_atomic_pk_add_f16 v[26:27], v31, off
	
	;;#ASMEND
	v_cvt_f16_f32_e32 v28, v28
	v_cvt_f16_f32_sdwa v31, v33 dst_sel:WORD_1 dst_unused:UNUSED_PAD src0_sel:DWORD
	v_cvt_f16_f32_e32 v30, v30
	v_cvt_f16_f32_sdwa v29, v29 dst_sel:WORD_1 dst_unused:UNUSED_PAD src0_sel:DWORD
	v_lshl_add_u64 v[26:27], v[24:25], 0, s[30:31]
	v_or_b32_e32 v28, v31, v28
	;;#ASMSTART
	global_atomic_pk_add_f16 v[26:27], v28, off
	
	;;#ASMEND
	v_or_b32_e32 v32, v29, v30
	v_mov_b32_e32 v28, v84
	v_mov_b32_e32 v29, v84
	v_pk_mul_f32 v[30:31], v[84:85], v[20:21]
	v_cmp_eq_u32_e64 s[8:9], 1, v116
	v_pk_mul_f32 v[28:29], v[28:29], v[22:23]
	v_cmp_eq_u32_e32 vcc, 2, v116
	v_cndmask_b32_e64 v20, v30, v31, s[8:9]
	v_cmp_eq_u32_e64 s[6:7], 3, v116
	v_cndmask_b32_e32 v20, v20, v28, vcc
	v_lshl_add_u64 v[26:27], v[24:25], 0, s[34:35]
	v_cndmask_b32_e64 v20, v20, v29, s[6:7]
	ds_bpermute_b32 v33, v121, v20
	;;#ASMSTART
	global_atomic_pk_add_f16 v[26:27], v32, off
	
	;;#ASMEND
	v_mov_b32_e32 v26, v68
	v_mov_b32_e32 v27, v68
	v_pk_mul_f32 v[18:19], v[26:27], v[18:19]
	v_pk_mul_f32 v[26:27], v[68:69], v[16:17]
	s_waitcnt lgkmcnt(0)
	v_cndmask_b32_e64 v22, v29, v33, s[6:7]
	v_cndmask_b32_e64 v16, v26, v27, s[8:9]
	v_cndmask_b32_e32 v16, v16, v18, vcc
	v_cndmask_b32_e64 v16, v16, v19, s[6:7]
	ds_bpermute_b32 v29, v121, v16
	v_cmp_eq_u32_e64 s[10:11], 0, v116
	v_lshl_add_u64 v[20:21], v[24:25], 0, s[44:45]
	v_cndmask_b32_e64 v24, v31, v33, s[8:9]
	v_cndmask_b32_e64 v25, v30, v33, s[10:11]
	v_cmp_eq_u32_e64 s[12:13], 1, v117
	v_cndmask_b32_e32 v23, v28, v33, vcc
	v_cmp_eq_u32_e64 s[14:15], 2, v117
	v_cndmask_b32_e64 v28, v25, v24, s[12:13]
	s_waitcnt lgkmcnt(0)
	v_cndmask_b32_e64 v17, v19, v29, s[6:7]
	v_cndmask_b32_e64 v16, v28, v23, s[14:15]
	v_cndmask_b32_e32 v18, v18, v29, vcc
	v_cndmask_b32_e64 v19, v27, v29, s[8:9]
	v_cndmask_b32_e64 v26, v26, v29, s[10:11]
	v_mov_b32_e32 v28, v64
	v_mov_b32_e32 v29, v64
	v_pk_mul_f32 v[10:11], v[28:29], v[10:11]
	v_pk_mul_f32 v[28:29], v[64:65], v[8:9]
	;; [unrolled: 1-line block ×3, first 2 shown]
	v_cndmask_b32_e64 v8, v28, v29, s[8:9]
	v_cndmask_b32_e32 v8, v8, v10, vcc
	v_cndmask_b32_e64 v8, v8, v11, s[6:7]
	ds_bpermute_b32 v27, v121, v8
	v_cndmask_b32_e64 v4, v30, v31, s[8:9]
	v_pk_mul_f32 v[32:33], v[56:57], v[0:1]
	v_cmp_eq_u32_e64 s[16:17], 3, v117
	v_cndmask_b32_e64 v0, v32, v33, s[8:9]
	s_waitcnt lgkmcnt(0)
	v_cndmask_b32_e64 v9, v11, v27, s[6:7]
	v_cndmask_b32_e32 v10, v10, v27, vcc
	v_cndmask_b32_e64 v11, v29, v27, s[8:9]
	v_cndmask_b32_e64 v27, v28, v27, s[10:11]
	v_mov_b32_e32 v28, v60
	v_mov_b32_e32 v29, v60
	v_pk_mul_f32 v[6:7], v[28:29], v[6:7]
	v_cndmask_b32_e64 v8, v26, v19, s[12:13]
	v_cndmask_b32_e32 v4, v4, v6, vcc
	v_cndmask_b32_e64 v4, v4, v7, s[6:7]
	ds_bpermute_b32 v29, v121, v4
	v_cndmask_b32_e64 v4, v27, v11, s[12:13]
	v_cvt_f16_f32_e32 v34, v35
	v_cvt_f16_f32_sdwa v35, v38 dst_sel:WORD_1 dst_unused:UNUSED_PAD src0_sel:DWORD
	v_cndmask_b32_e64 v8, v8, v18, s[14:15]
	s_waitcnt lgkmcnt(0)
	v_cndmask_b32_e64 v5, v7, v29, s[6:7]
	v_cndmask_b32_e32 v6, v6, v29, vcc
	v_cndmask_b32_e64 v28, v31, v29, s[8:9]
	v_cndmask_b32_e64 v29, v30, v29, s[10:11]
	v_mov_b32_e32 v30, v56
	v_mov_b32_e32 v31, v56
	v_pk_mul_f32 v[30:31], v[30:31], v[2:3]
	v_cndmask_b32_e64 v4, v4, v10, s[14:15]
	v_cndmask_b32_e32 v0, v0, v30, vcc
	v_cndmask_b32_e64 v0, v0, v31, s[6:7]
	ds_bpermute_b32 v1, v121, v0
	v_cndmask_b32_e64 v0, v29, v28, s[12:13]
	v_cndmask_b32_e64 v0, v0, v6, s[14:15]
	;; [unrolled: 1-line block ×3, first 2 shown]
	ds_bpermute_b32 v2, v121, v0
	s_waitcnt lgkmcnt(1)
	v_cndmask_b32_e64 v3, v31, v1, s[6:7]
	v_cndmask_b32_e32 v7, v30, v1, vcc
	v_cndmask_b32_e64 v0, v33, v1, s[8:9]
	v_cndmask_b32_e64 v1, v32, v1, s[10:11]
	v_mov_b32_e32 v30, v52
	v_mov_b32_e32 v31, v52
	v_pk_mul_f32 v[32:33], v[52:53], v[12:13]
	v_pk_mul_f32 v[14:15], v[30:31], v[14:15]
	v_cndmask_b32_e64 v12, v32, v33, s[8:9]
	v_cndmask_b32_e32 v12, v12, v14, vcc
	v_cndmask_b32_e64 v12, v12, v15, s[6:7]
	ds_bpermute_b32 v31, v121, v12
	v_cndmask_b32_e64 v12, v1, v0, s[12:13]
	v_cndmask_b32_e64 v12, v12, v7, s[14:15]
	;; [unrolled: 1-line block ×4, first 2 shown]
	s_waitcnt lgkmcnt(0)
	v_cndmask_b32_e32 v14, v14, v31, vcc
	v_cmp_ne_u32_e32 vcc, 0, v116
	v_cndmask_b32_e64 v13, v15, v31, s[6:7]
	v_cndmask_b32_e64 v4, v4, v9, s[16:17]
	v_cndmask_b32_e32 v30, v33, v31, vcc
	v_cndmask_b32_e64 v31, v32, v31, s[10:11]
	v_cndmask_b32_e64 v15, v31, v30, s[12:13]
	v_cndmask_b32_e64 v15, v15, v14, s[14:15]
	v_cndmask_b32_e64 v12, v12, v3, s[16:17]
	v_cndmask_b32_e64 v15, v15, v13, s[16:17]
	ds_bpermute_b32 v16, v121, v16
	ds_bpermute_b32 v8, v121, v8
	;; [unrolled: 1-line block ×5, first 2 shown]
	v_or_b32_e32 v32, v35, v34
	;;#ASMSTART
	global_atomic_pk_add_f16 v[20:21], v32, off
	
	;;#ASMEND
	v_or_b32_e32 v20, 32, v118
	v_add_u32_e32 v20, s73, v20
	v_cmp_gt_u32_e32 vcc, 48, v20
	s_and_b64 exec, exec, vcc
	s_cbranch_execz .LBB306_48
; %bb.46:                               ;   in Loop: Header=BB306_7 Depth=1
	v_cmp_eq_u32_e64 s[8:9], 1, v117
	v_cmp_eq_u32_e64 s[10:11], 0, v117
	v_cmp_eq_u32_e32 vcc, 3, v117
	s_waitcnt lgkmcnt(4)
	v_cndmask_b32_e64 v21, v24, v16, s[8:9]
	v_cndmask_b32_e64 v24, v25, v16, s[10:11]
	s_waitcnt lgkmcnt(3)
	v_cndmask_b32_e64 v25, v26, v8, s[10:11]
	s_waitcnt lgkmcnt(2)
	v_cndmask_b32_e64 v26, v27, v4, s[10:11]
	v_cndmask_b32_e64 v27, v28, v2, s[8:9]
	;; [unrolled: 1-line block ×3, first 2 shown]
	s_waitcnt lgkmcnt(1)
	v_cndmask_b32_e64 v29, v0, v12, s[8:9]
	v_cndmask_b32_e64 v32, v1, v12, s[10:11]
	scratch_load_dwordx2 v[0:1], off, off offset:8 ; 8-byte Folded Reload
	v_cndmask_b32_e64 v19, v19, v8, s[8:9]
	v_cvt_f16_f32_e32 v33, v25
	v_cvt_f16_f32_sdwa v19, v19 dst_sel:WORD_1 dst_unused:UNUSED_PAD src0_sel:DWORD
	v_cvt_f16_f32_e32 v24, v24
	v_cvt_f16_f32_sdwa v21, v21 dst_sel:WORD_1 dst_unused:UNUSED_PAD src0_sel:DWORD
	v_cndmask_b32_e64 v11, v11, v4, s[8:9]
	v_or_b32_e32 v19, v19, v33
	v_cvt_f16_f32_sdwa v11, v11 dst_sel:WORD_1 dst_unused:UNUSED_PAD src0_sel:DWORD
	v_or_b32_e32 v21, v21, v24
	s_waitcnt lgkmcnt(0)
	v_cndmask_b32_e64 v30, v30, v15, s[8:9]
	v_cndmask_b32_e64 v31, v31, v15, s[10:11]
	v_cmp_eq_u32_e64 s[6:7], 2, v117
	v_cmp_gt_u32_e64 s[8:9], 46, v20
	s_waitcnt vmcnt(0)
	v_lshl_add_u64 v[0:1], v[0:1], 1, s[54:55]
	;;#ASMSTART
	global_atomic_pk_add_f16 v[0:1], v21, off
	
	;;#ASMEND
	v_lshl_add_u64 v[24:25], v[0:1], 0, 32
	;;#ASMSTART
	global_atomic_pk_add_f16 v[24:25], v19, off
	
	;;#ASMEND
	v_cvt_f16_f32_e32 v19, v26
	v_cvt_f16_f32_e32 v21, v28
	v_cvt_f16_f32_sdwa v26, v27 dst_sel:WORD_1 dst_unused:UNUSED_PAD src0_sel:DWORD
	v_lshl_add_u64 v[24:25], v[0:1], 0, 64
	v_or_b32_e32 v11, v11, v19
	;;#ASMSTART
	global_atomic_pk_add_f16 v[24:25], v11, off
	
	;;#ASMEND
	v_or_b32_e32 v11, v26, v21
	v_lshl_add_u64 v[24:25], v[0:1], 0, s[30:31]
	;;#ASMSTART
	global_atomic_pk_add_f16 v[24:25], v11, off
	
	;;#ASMEND
	v_cvt_f16_f32_e32 v11, v32
	v_cvt_f16_f32_sdwa v19, v29 dst_sel:WORD_1 dst_unused:UNUSED_PAD src0_sel:DWORD
	v_cvt_f16_f32_e32 v21, v31
	v_cvt_f16_f32_sdwa v26, v30 dst_sel:WORD_1 dst_unused:UNUSED_PAD src0_sel:DWORD
	v_lshl_add_u64 v[24:25], v[0:1], 0, s[34:35]
	v_or_b32_e32 v11, v19, v11
	;;#ASMSTART
	global_atomic_pk_add_f16 v[24:25], v11, off
	
	;;#ASMEND
	v_lshl_add_u64 v[24:25], v[0:1], 0, s[44:45]
	v_or_b32_e32 v11, v26, v21
	;;#ASMSTART
	global_atomic_pk_add_f16 v[24:25], v11, off
	
	;;#ASMEND
	s_and_b64 exec, exec, s[8:9]
	s_cbranch_execz .LBB306_48
; %bb.47:                               ;   in Loop: Header=BB306_7 Depth=1
	v_cndmask_b32_e32 v11, v22, v16, vcc
	v_cndmask_b32_e64 v16, v23, v16, s[6:7]
	v_cndmask_b32_e32 v17, v17, v8, vcc
	v_cndmask_b32_e64 v8, v18, v8, s[6:7]
	v_cndmask_b32_e32 v9, v9, v4, vcc
	v_cndmask_b32_e64 v4, v10, v4, s[6:7]
	v_cndmask_b32_e32 v5, v5, v2, vcc
	v_cndmask_b32_e64 v6, v6, v2, s[6:7]
	v_cndmask_b32_e32 v10, v3, v12, vcc
	v_cvt_f16_f32_e32 v2, v16
	v_cvt_f16_f32_sdwa v3, v11 dst_sel:WORD_1 dst_unused:UNUSED_PAD src0_sel:DWORD
	v_cvt_f16_f32_e32 v8, v8
	v_cvt_f16_f32_sdwa v11, v17 dst_sel:WORD_1 dst_unused:UNUSED_PAD src0_sel:DWORD
	v_lshl_add_u64 v[0:1], s[28:29], 2, v[0:1]
	v_or_b32_e32 v2, v3, v2
	;;#ASMSTART
	global_atomic_pk_add_f16 v[0:1], v2, off
	
	;;#ASMEND
	v_or_b32_e32 v8, v11, v8
	v_lshl_add_u64 v[2:3], v[0:1], 0, 32
	;;#ASMSTART
	global_atomic_pk_add_f16 v[2:3], v8, off
	
	;;#ASMEND
	v_cvt_f16_f32_e32 v4, v4
	v_cvt_f16_f32_sdwa v8, v9 dst_sel:WORD_1 dst_unused:UNUSED_PAD src0_sel:DWORD
	v_cvt_f16_f32_e32 v6, v6
	v_cvt_f16_f32_sdwa v5, v5 dst_sel:WORD_1 dst_unused:UNUSED_PAD src0_sel:DWORD
	v_cndmask_b32_e64 v7, v7, v12, s[6:7]
	v_or_b32_e32 v4, v8, v4
	v_cndmask_b32_e32 v12, v13, v15, vcc
	v_cndmask_b32_e64 v13, v14, v15, s[6:7]
	v_lshl_add_u64 v[2:3], v[0:1], 0, 64
	;;#ASMSTART
	global_atomic_pk_add_f16 v[2:3], v4, off
	
	;;#ASMEND
	v_or_b32_e32 v4, v5, v6
	v_lshl_add_u64 v[2:3], v[0:1], 0, s[30:31]
	;;#ASMSTART
	global_atomic_pk_add_f16 v[2:3], v4, off
	
	;;#ASMEND
	v_cvt_f16_f32_e32 v4, v7
	v_cvt_f16_f32_sdwa v5, v10 dst_sel:WORD_1 dst_unused:UNUSED_PAD src0_sel:DWORD
	v_cvt_f16_f32_e32 v6, v13
	v_cvt_f16_f32_sdwa v7, v12 dst_sel:WORD_1 dst_unused:UNUSED_PAD src0_sel:DWORD
	v_lshl_add_u64 v[2:3], v[0:1], 0, s[34:35]
	v_or_b32_e32 v4, v5, v4
	;;#ASMSTART
	global_atomic_pk_add_f16 v[2:3], v4, off
	
	;;#ASMEND
	v_lshl_add_u64 v[0:1], v[0:1], 0, s[44:45]
	v_or_b32_e32 v2, v7, v6
	;;#ASMSTART
	global_atomic_pk_add_f16 v[0:1], v2, off
	
	;;#ASMEND
.LBB306_48:                             ;   in Loop: Header=BB306_7 Depth=1
	s_or_b64 exec, exec, s[18:19]
	v_subrev_u32_e32 v122, s74, v122
.LBB306_49:                             ;   in Loop: Header=BB306_7 Depth=1
	s_or_b64 exec, exec, s[52:53]
.LBB306_50:                             ;   in Loop: Header=BB306_7 Depth=1
	s_andn2_saveexec_b64 s[6:7], s[50:51]
	s_cbranch_execz .LBB306_59
; %bb.51:                               ;   in Loop: Header=BB306_7 Depth=1
	s_mul_i32 s16, s74, 6
	v_cmp_gt_i32_e32 vcc, s16, v122
	s_and_saveexec_b64 s[8:9], vcc
	s_cbranch_execz .LBB306_58
; %bb.52:                               ;   in Loop: Header=BB306_7 Depth=1
	s_mul_i32 s10, s48, s23
	s_ashr_i32 s11, s10, 31
	s_waitcnt lgkmcnt(0)
	s_add_u32 s10, s38, s10
	s_addc_u32 s11, s39, s11
	s_ashr_i32 s12, s72, 31
	s_add_u32 s10, s10, s72
	s_addc_u32 s11, s11, s12
	v_lshl_add_u64 v[0:1], s[10:11], 0, v[82:83]
	v_lshl_add_u64 v[8:9], v[0:1], 0, v[80:81]
	s_mov_b64 s[10:11], 0
	s_branch .LBB306_54
.LBB306_53:                             ;   in Loop: Header=BB306_54 Depth=2
	s_or_b64 exec, exec, s[12:13]
	v_lshl_or_b32 v12, v10, 11, v120
	;;#ASMSTART
	s_waitcnt vmcnt(1)
	;;#ASMEND
	ds_write2_b32 v12, v4, v5 offset1:32
	ds_write2_b32 v12, v6, v7 offset0:64 offset1:96
	v_add_u32_e32 v4, 0x400, v12
	v_add_u32_e32 v122, s26, v122
	;;#ASMSTART
	s_waitcnt vmcnt(0)
	;;#ASMEND
	ds_write2_b32 v4, v0, v1 offset1:32
	ds_write2_b32 v4, v2, v3 offset0:64 offset1:96
	v_add_u32_e32 v0, 1, v114
	v_add_u32_e32 v86, s26, v10
	v_cmp_le_i32_e32 vcc, s16, v122
	ds_write_b32 v11, v0 offset:12
	v_add_u32_e32 v0, 2, v114
	s_or_b64 s[10:11], vcc, s[10:11]
	v_cmp_lt_i32_e32 vcc, 5, v86
	s_nop 1
	v_cndmask_b32_e32 v114, v114, v0, vcc
	s_andn2_b64 exec, exec, s[10:11]
	s_cbranch_execz .LBB306_57
.LBB306_54:                             ;   Parent Loop BB306_7 Depth=1
                                        ; =>  This Loop Header: Depth=2
                                        ;       Child Loop BB306_56 Depth 3
	v_cmp_gt_i32_e32 vcc, 6, v86
	s_nop 1
	v_cndmask_b32_e64 v0, -6, 0, vcc
	v_add_u32_e32 v10, v0, v86
	v_mul_hi_i32 v0, v122, s58
	v_lshrrev_b32_e32 v1, 31, v0
	v_add_u32_e32 v0, v0, v1
	v_mul_lo_u32 v1, v0, 6
	v_sub_u32_e32 v2, v122, v1
	v_lshlrev_b32_e32 v0, 7, v0
	v_ashrrev_i32_e32 v1, 31, v0
	v_mul_lo_u32 v2, s63, v2
	v_lshl_add_u64 v[0:1], v[8:9], 0, v[0:1]
	v_ashrrev_i32_e32 v3, 31, v2
	v_lshl_add_u64 v[0:1], v[0:1], 0, v[2:3]
	v_lshlrev_b32_e32 v11, 2, v10
	;;#ASMSTART
	global_load_dwordx4 v[4:7], v[0:1], off offset:0   sc0 sc1 nt  
	global_load_dwordx4 v[0:3], v[0:1], off offset:64  sc0 sc1 nt  
	
	;;#ASMEND
	ds_read_b32 v12, v11 offset:18444
	v_add_u32_e32 v11, 0x4800, v11
	s_waitcnt lgkmcnt(0)
	v_cmp_ne_u32_e32 vcc, v12, v114
	s_and_saveexec_b64 s[12:13], vcc
	s_cbranch_execz .LBB306_53
; %bb.55:                               ;   in Loop: Header=BB306_54 Depth=2
	s_mov_b64 s[14:15], 0
.LBB306_56:                             ;   Parent Loop BB306_7 Depth=1
                                        ;     Parent Loop BB306_54 Depth=2
                                        ; =>    This Inner Loop Header: Depth=3
	;;#ASMSTART
	s_sleep 0
	;;#ASMEND
	ds_read_b32 v12, v11 offset:12
	s_waitcnt lgkmcnt(0)
	v_cmp_eq_u32_e32 vcc, v12, v114
	s_or_b64 s[14:15], vcc, s[14:15]
	s_andn2_b64 exec, exec, s[14:15]
	s_cbranch_execnz .LBB306_56
	s_branch .LBB306_53
.LBB306_57:                             ;   in Loop: Header=BB306_7 Depth=1
	s_or_b64 exec, exec, s[10:11]
.LBB306_58:                             ;   in Loop: Header=BB306_7 Depth=1
	s_or_b64 exec, exec, s[8:9]
	v_subrev_u32_e32 v122, s16, v122
.LBB306_59:                             ;   in Loop: Header=BB306_7 Depth=1
	s_or_b64 exec, exec, s[6:7]
.LBB306_60:                             ;   in Loop: Header=BB306_7 Depth=1
	s_andn2_saveexec_b64 s[6:7], s[46:47]
	s_cbranch_execz .LBB306_6
; %bb.61:                               ;   in Loop: Header=BB306_7 Depth=1
	s_mul_i32 s74, s74, 3
	v_cmp_gt_i32_e32 vcc, s74, v122
	s_and_saveexec_b64 s[8:9], vcc
	s_cbranch_execz .LBB306_5
; %bb.62:                               ;   in Loop: Header=BB306_7 Depth=1
	s_mul_i32 s71, s71, s22
	s_ashr_i32 s10, s71, 31
	s_waitcnt lgkmcnt(0)
	s_add_u32 s11, s36, s71
	v_add_u32_e32 v2, s73, v119
	s_addc_u32 s12, s37, s10
	s_ashr_i32 s13, s72, 31
	v_mul_lo_u32 v0, s22, v119
	v_cmp_gt_u32_e32 vcc, 48, v2
	s_add_u32 s10, s11, s72
	s_addc_u32 s11, s12, s13
	v_cndmask_b32_e32 v0, 0, v0, vcc
	v_ashrrev_i32_e32 v1, 31, v0
	v_lshl_add_u64 v[0:1], s[10:11], 0, v[0:1]
	v_lshl_add_u64 v[8:9], v[0:1], 0, v[80:81]
	v_sub_u32_e32 v10, 47, v2
	s_mov_b64 s[10:11], 0
	s_branch .LBB306_64
.LBB306_63:                             ;   in Loop: Header=BB306_64 Depth=2
	s_or_b64 exec, exec, s[12:13]
	v_or_b32_e32 v13, 0x3000, v120
	v_lshl_add_u32 v13, v11, 11, v13
	;;#ASMSTART
	s_waitcnt vmcnt(1)
	;;#ASMEND
	ds_write2_b32 v13, v4, v5 offset1:32
	ds_write2_b32 v13, v6, v7 offset0:64 offset1:96
	v_add_u32_e32 v4, 0x400, v13
	v_add_u32_e32 v122, s25, v122
	;;#ASMSTART
	s_waitcnt vmcnt(0)
	;;#ASMEND
	ds_write2_b32 v4, v0, v1 offset1:32
	ds_write2_b32 v4, v2, v3 offset0:64 offset1:96
	v_add_u32_e32 v0, 1, v114
	v_add_u32_e32 v86, s25, v11
	v_cmp_le_i32_e32 vcc, s74, v122
	ds_write_b32 v12, v0
	v_add_u32_e32 v0, 2, v114
	s_or_b64 s[10:11], vcc, s[10:11]
	v_cmp_lt_i32_e32 vcc, 2, v86
	s_nop 1
	v_cndmask_b32_e32 v114, v114, v0, vcc
	s_andn2_b64 exec, exec, s[10:11]
	s_cbranch_execz .LBB306_4
.LBB306_64:                             ;   Parent Loop BB306_7 Depth=1
                                        ; =>  This Loop Header: Depth=2
                                        ;       Child Loop BB306_66 Depth 3
	v_cmp_gt_i32_e32 vcc, 3, v86
	s_nop 1
	v_cndmask_b32_e64 v0, -3, 0, vcc
	v_add_u32_e32 v11, v0, v86
	v_mul_hi_i32 v0, v122, s70
	v_lshrrev_b32_e32 v1, 31, v0
	v_add_u32_e32 v0, v0, v1
	v_lshl_add_u32 v1, v0, 1, v0
	v_sub_u32_e32 v1, v122, v1
	v_lshlrev_b32_e32 v1, 4, v1
	v_cmp_le_i32_e32 vcc, v1, v10
	v_lshlrev_b32_e32 v0, 7, v0
	v_lshlrev_b32_e32 v12, 2, v11
	v_cndmask_b32_e32 v2, 0, v1, vcc
	v_ashrrev_i32_e32 v1, 31, v0
	v_mul_lo_u32 v2, v2, s22
	v_lshl_add_u64 v[0:1], v[8:9], 0, v[0:1]
	v_ashrrev_i32_e32 v3, 31, v2
	v_lshl_add_u64 v[0:1], v[0:1], 0, v[2:3]
	;;#ASMSTART
	global_load_dwordx4 v[4:7], v[0:1], off offset:0   
	global_load_dwordx4 v[0:3], v[0:1], off offset:64  
	
	;;#ASMEND
	ds_read_b32 v13, v12 offset:18432
	v_add_u32_e32 v12, 0x4800, v12
	s_waitcnt lgkmcnt(0)
	v_cmp_ne_u32_e32 vcc, v13, v114
	s_and_saveexec_b64 s[12:13], vcc
	s_cbranch_execz .LBB306_63
; %bb.65:                               ;   in Loop: Header=BB306_64 Depth=2
	s_mov_b64 s[14:15], 0
.LBB306_66:                             ;   Parent Loop BB306_7 Depth=1
                                        ;     Parent Loop BB306_64 Depth=2
                                        ; =>    This Inner Loop Header: Depth=3
	;;#ASMSTART
	s_sleep 0
	;;#ASMEND
	ds_read_b32 v13, v12
	s_waitcnt lgkmcnt(0)
	v_cmp_eq_u32_e32 vcc, v13, v114
	s_or_b64 s[14:15], vcc, s[14:15]
	s_andn2_b64 exec, exec, s[14:15]
	s_cbranch_execnz .LBB306_66
	s_branch .LBB306_63
.LBB306_67:
	s_endpgm
	.section	.rodata,"a",@progbits
	.p2align	6, 0x0
	.amdhsa_kernel _Z19_skinny_gemm_kernelILi3ELi6ELi1ELi16ELi4EEvPKhS1_P6__halfPKfiiiiiiii
		.amdhsa_group_segment_fixed_size 18468
		.amdhsa_private_segment_fixed_size 20
		.amdhsa_kernarg_size 64
		.amdhsa_user_sgpr_count 2
		.amdhsa_user_sgpr_dispatch_ptr 0
		.amdhsa_user_sgpr_queue_ptr 0
		.amdhsa_user_sgpr_kernarg_segment_ptr 1
		.amdhsa_user_sgpr_dispatch_id 0
		.amdhsa_user_sgpr_kernarg_preload_length 0
		.amdhsa_user_sgpr_kernarg_preload_offset 0
		.amdhsa_user_sgpr_private_segment_size 0
		.amdhsa_uses_dynamic_stack 0
		.amdhsa_enable_private_segment 1
		.amdhsa_system_sgpr_workgroup_id_x 1
		.amdhsa_system_sgpr_workgroup_id_y 0
		.amdhsa_system_sgpr_workgroup_id_z 0
		.amdhsa_system_sgpr_workgroup_info 0
		.amdhsa_system_vgpr_workitem_id 0
		.amdhsa_next_free_vgpr 128
		.amdhsa_next_free_sgpr 75
		.amdhsa_accum_offset 128
		.amdhsa_reserve_vcc 1
		.amdhsa_float_round_mode_32 0
		.amdhsa_float_round_mode_16_64 0
		.amdhsa_float_denorm_mode_32 3
		.amdhsa_float_denorm_mode_16_64 3
		.amdhsa_dx10_clamp 1
		.amdhsa_ieee_mode 1
		.amdhsa_fp16_overflow 0
		.amdhsa_tg_split 0
		.amdhsa_exception_fp_ieee_invalid_op 0
		.amdhsa_exception_fp_denorm_src 0
		.amdhsa_exception_fp_ieee_div_zero 0
		.amdhsa_exception_fp_ieee_overflow 0
		.amdhsa_exception_fp_ieee_underflow 0
		.amdhsa_exception_fp_ieee_inexact 0
		.amdhsa_exception_int_div_zero 0
	.end_amdhsa_kernel
	.section	.text._Z19_skinny_gemm_kernelILi3ELi6ELi1ELi16ELi4EEvPKhS1_P6__halfPKfiiiiiiii,"axG",@progbits,_Z19_skinny_gemm_kernelILi3ELi6ELi1ELi16ELi4EEvPKhS1_P6__halfPKfiiiiiiii,comdat
.Lfunc_end306:
	.size	_Z19_skinny_gemm_kernelILi3ELi6ELi1ELi16ELi4EEvPKhS1_P6__halfPKfiiiiiiii, .Lfunc_end306-_Z19_skinny_gemm_kernelILi3ELi6ELi1ELi16ELi4EEvPKhS1_P6__halfPKfiiiiiiii
                                        ; -- End function
	.set _Z19_skinny_gemm_kernelILi3ELi6ELi1ELi16ELi4EEvPKhS1_P6__halfPKfiiiiiiii.num_vgpr, 128
	.set _Z19_skinny_gemm_kernelILi3ELi6ELi1ELi16ELi4EEvPKhS1_P6__halfPKfiiiiiiii.num_agpr, 0
	.set _Z19_skinny_gemm_kernelILi3ELi6ELi1ELi16ELi4EEvPKhS1_P6__halfPKfiiiiiiii.numbered_sgpr, 75
	.set _Z19_skinny_gemm_kernelILi3ELi6ELi1ELi16ELi4EEvPKhS1_P6__halfPKfiiiiiiii.num_named_barrier, 0
	.set _Z19_skinny_gemm_kernelILi3ELi6ELi1ELi16ELi4EEvPKhS1_P6__halfPKfiiiiiiii.private_seg_size, 20
	.set _Z19_skinny_gemm_kernelILi3ELi6ELi1ELi16ELi4EEvPKhS1_P6__halfPKfiiiiiiii.uses_vcc, 1
	.set _Z19_skinny_gemm_kernelILi3ELi6ELi1ELi16ELi4EEvPKhS1_P6__halfPKfiiiiiiii.uses_flat_scratch, 0
	.set _Z19_skinny_gemm_kernelILi3ELi6ELi1ELi16ELi4EEvPKhS1_P6__halfPKfiiiiiiii.has_dyn_sized_stack, 0
	.set _Z19_skinny_gemm_kernelILi3ELi6ELi1ELi16ELi4EEvPKhS1_P6__halfPKfiiiiiiii.has_recursion, 0
	.set _Z19_skinny_gemm_kernelILi3ELi6ELi1ELi16ELi4EEvPKhS1_P6__halfPKfiiiiiiii.has_indirect_call, 0
	.section	.AMDGPU.csdata,"",@progbits
; Kernel info:
; codeLenInByte = 9152
; TotalNumSgprs: 81
; NumVgprs: 128
; NumAgprs: 0
; TotalNumVgprs: 128
; ScratchSize: 20
; MemoryBound: 0
; FloatMode: 240
; IeeeMode: 1
; LDSByteSize: 18468 bytes/workgroup (compile time only)
; SGPRBlocks: 10
; VGPRBlocks: 15
; NumSGPRsForWavesPerEU: 81
; NumVGPRsForWavesPerEU: 128
; AccumOffset: 128
; Occupancy: 4
; WaveLimiterHint : 0
; COMPUTE_PGM_RSRC2:SCRATCH_EN: 1
; COMPUTE_PGM_RSRC2:USER_SGPR: 2
; COMPUTE_PGM_RSRC2:TRAP_HANDLER: 0
; COMPUTE_PGM_RSRC2:TGID_X_EN: 1
; COMPUTE_PGM_RSRC2:TGID_Y_EN: 0
; COMPUTE_PGM_RSRC2:TGID_Z_EN: 0
; COMPUTE_PGM_RSRC2:TIDIG_COMP_CNT: 0
; COMPUTE_PGM_RSRC3_GFX90A:ACCUM_OFFSET: 31
; COMPUTE_PGM_RSRC3_GFX90A:TG_SPLIT: 0
	.section	.text._Z19_skinny_gemm_kernelILi3ELi6ELi1ELi16ELi8EEvPKhS1_P6__halfPKfiiiiiiii,"axG",@progbits,_Z19_skinny_gemm_kernelILi3ELi6ELi1ELi16ELi8EEvPKhS1_P6__halfPKfiiiiiiii,comdat
	.protected	_Z19_skinny_gemm_kernelILi3ELi6ELi1ELi16ELi8EEvPKhS1_P6__halfPKfiiiiiiii ; -- Begin function _Z19_skinny_gemm_kernelILi3ELi6ELi1ELi16ELi8EEvPKhS1_P6__halfPKfiiiiiiii
	.globl	_Z19_skinny_gemm_kernelILi3ELi6ELi1ELi16ELi8EEvPKhS1_P6__halfPKfiiiiiiii
	.p2align	8
	.type	_Z19_skinny_gemm_kernelILi3ELi6ELi1ELi16ELi8EEvPKhS1_P6__halfPKfiiiiiiii,@function
_Z19_skinny_gemm_kernelILi3ELi6ELi1ELi16ELi8EEvPKhS1_P6__halfPKfiiiiiiii: ; @_Z19_skinny_gemm_kernelILi3ELi6ELi1ELi16ELi8EEvPKhS1_P6__halfPKfiiiiiiii
; %bb.0:
	v_cmp_gt_u32_e32 vcc, 9, v0
	v_lshlrev_b32_e32 v1, 2, v0
	s_and_saveexec_b64 s[4:5], vcc
; %bb.1:
	v_mov_b32_e32 v2, 0
	ds_write_b32 v1, v2 offset:36864
; %bb.2:
	s_or_b64 exec, exec, s[4:5]
	s_load_dwordx8 s[20:27], s[0:1], 0x20
	s_mov_b32 s58, 0x2aaaaaab
	s_waitcnt lgkmcnt(0)
	s_barrier
	s_add_i32 s3, s20, 47
	s_mul_hi_i32 s3, s3, 0x2aaaaaab
	s_lshr_b32 s4, s3, 31
	s_ashr_i32 s33, s3, 3
	s_add_i32 s3, s21, 0x5f
	s_mul_hi_i32 s3, s3, 0x2aaaaaab
	s_add_i32 s33, s33, s4
	s_lshr_b32 s4, s3, 31
	s_ashr_i32 s56, s3, 4
	s_add_i32 s56, s56, s4
	s_mul_i32 s3, s56, s33
	s_mul_i32 s3, s3, s24
	s_add_i32 s4, s3, 0x12f
	s_mul_hi_i32 s4, s4, 0x6bca1af3
	s_lshr_b32 s5, s4, 31
	s_ashr_i32 s4, s4, 7
	s_add_i32 s4, s4, s5
	s_add_i32 s5, s2, 1
	s_mul_i32 s5, s4, s5
	v_cvt_f64_i32_e32 v[2:3], s3
	v_cvt_f64_u32_e32 v[4:5], s5
	v_min_f64 v[2:3], v[2:3], v[4:5]
	v_cvt_i32_f64_e32 v25, v[2:3]
	s_mul_i32 s57, s4, s2
	v_cmp_ge_i32_e32 vcc, s57, v25
	s_cbranch_vccnz .LBB307_67
; %bb.3:
	v_lshrrev_b32_e32 v2, 6, v0
	s_add_i32 s4, s26, s25
	s_load_dwordx8 s[36:43], s[0:1], 0x0
	v_cmp_le_i32_e64 s[0:1], s4, v2
	v_mov_b32_e32 v3, s25
	v_cmp_le_i32_e64 s[2:3], s25, v2
	v_mov_b32_e32 v4, s26
	v_cndmask_b32_e64 v4, 0, v4, s[0:1]
	v_cndmask_b32_e64 v3, 0, v3, s[2:3]
	s_abs_i32 s5, s24
	v_add_u32_e32 v3, v3, v4
	v_cvt_f32_u32_e32 v4, s5
	v_sub_u32_e32 v21, v2, v3
	s_ashr_i32 s6, s22, 31
	s_lshr_b32 s6, s6, 24
	v_rcp_iflag_f32_e32 v3, v4
	s_sub_i32 s9, 0, s5
	s_add_i32 s6, s22, s6
	s_ashr_i32 s6, s6, 8
	v_mul_f32_e32 v3, 0x4f7ffffe, v3
	v_cvt_u32_f32_e32 v3, v3
	s_abs_i32 s8, s6
	s_xor_b32 s7, s6, s24
	s_ashr_i32 s7, s7, 31
	v_readfirstlane_b32 s10, v3
	s_mul_i32 s9, s9, s10
	s_mul_hi_u32 s9, s10, s9
	s_add_i32 s10, s10, s9
	s_mul_hi_u32 s9, s8, s10
	s_mul_i32 s10, s9, s5
	s_sub_i32 s8, s8, s10
	s_add_i32 s10, s9, 1
	s_sub_i32 s11, s8, s5
	s_cmp_ge_u32 s8, s5
	s_cselect_b32 s9, s10, s9
	s_cselect_b32 s8, s11, s8
	s_add_i32 s10, s9, 1
	s_cmp_ge_u32 s8, s5
	s_cselect_b32 s5, s10, s9
	s_xor_b32 s5, s5, s7
	s_sub_i32 s59, s5, s7
	s_add_i32 s24, s24, -1
	s_mul_i32 s5, s59, s24
	s_add_i32 s4, s4, s27
	s_sub_i32 s60, s6, s5
	v_cmp_gt_i32_e64 s[4:5], s4, v2
	v_lshlrev_b32_e32 v2, 1, v0
	v_lshlrev_b32_e32 v3, 4, v0
	v_and_b32_e32 v1, 60, v1
	v_and_b32_e32 v2, 64, v2
	;; [unrolled: 1-line block ×3, first 2 shown]
	v_or3_b32 v84, v1, v2, v4
	v_and_b32_e32 v6, 14, v0
	v_and_b32_e32 v1, 1, v0
	v_lshrrev_b32_e32 v4, 2, v0
	v_lshlrev_b32_e32 v2, 1, v1
	v_bitop3_b32 v5, v0, 1, v0 bitop3:0xc
	v_and_or_b32 v1, v4, 12, v1
	v_mov_b32_e32 v4, v6
	scratch_store_dword off, v5, off offset:96 ; 4-byte Folded Spill
	scratch_store_dwordx2 off, v[4:5], off offset:112 ; 8-byte Folded Spill
	scratch_store_dword off, v1, off offset:100 ; 4-byte Folded Spill
	v_mad_u64_u32 v[4:5], s[6:7], s21, v1, v[6:7]
	v_ashrrev_i32_e32 v5, 31, v4
	s_lshl_b32 s6, s21, 4
	scratch_store_dwordx2 off, v[4:5], off offset:136 ; 8-byte Folded Spill
	v_add_u32_e32 v4, s6, v4
	v_ashrrev_i32_e32 v5, 31, v4
	scratch_store_dwordx2 off, v[4:5], off offset:144 ; 8-byte Folded Spill
	v_add_u32_e32 v4, s6, v4
	s_abs_i32 s62, s33
	v_ashrrev_i32_e32 v5, 31, v4
	v_and_b32_e32 v26, 48, v3
	v_bfe_u32 v38, v0, 2, 4
	v_cvt_f32_u32_e32 v3, s62
	scratch_store_dwordx2 off, v[4:5], off offset:152 ; 8-byte Folded Spill
	v_mul_lo_u32 v4, s23, v38
	v_ashrrev_i32_e32 v5, 31, v4
	v_sub_u32_e32 v2, v0, v2
	v_bitop3_b32 v33, v0, 3, 1 bitop3:0x6c
	scratch_store_dwordx2 off, v[4:5], off offset:128 ; 8-byte Folded Spill
	v_and_b32_e32 v1, 60, v0
	v_lshlrev_b32_e32 v4, 8, v0
	v_lshlrev_b32_e32 v0, 6, v0
	v_and_b32_e32 v4, 0x200, v4
	v_rcp_iflag_f32_e32 v3, v3
	v_and_b32_e32 v0, 64, v0
	s_abs_i32 s64, s56
	v_or3_b32 v19, v1, v4, v0
	v_cvt_f32_u32_e32 v1, s64
	v_mul_f32_e32 v0, 0x4f7ffffe, v3
	v_cvt_u32_f32_e32 v0, v0
	s_sub_i32 s6, 0, s62
	v_rcp_iflag_f32_e32 v1, v1
	v_add_u32_e32 v2, 1, v2
	v_readfirstlane_b32 s7, v0
	s_mul_i32 s6, s6, s7
	v_mul_f32_e32 v0, 0x4f7ffffe, v1
	v_cvt_u32_f32_e32 v0, v0
	s_mul_hi_u32 s6, s7, s6
	s_add_i32 s66, s7, s6
	s_sub_i32 s6, 0, s64
	v_readfirstlane_b32 s7, v0
	v_mbcnt_lo_u32_b32 v0, -1, 0
	v_and_b32_e32 v2, 63, v2
	s_mul_i32 s6, s6, s7
	v_mbcnt_hi_u32_b32 v0, -1, v0
	s_mul_hi_u32 s6, s7, s6
	v_and_or_b32 v0, v0, 64, v2
	v_cndmask_b32_e64 v18, 0, 1, s[0:1]
	s_movk_i32 s61, 0x6000
	s_ashr_i32 s29, s21, 31
	s_mov_b32 s28, s21
	v_mov_b32_e32 v27, 0
	s_lshl_b32 s63, s23, 4
	s_ashr_i32 s65, s33, 31
	s_ashr_i32 s67, s56, 31
	s_add_i32 s68, s7, s6
	s_movk_i32 s69, 0x3000
	s_mov_b64 s[30:31], 0x60
	s_mov_b64 s[34:35], 0x80
	;; [unrolled: 1-line block ×3, first 2 shown]
	s_mov_b32 s70, 0x55555556
	v_lshlrev_b32_e32 v0, 2, v0
	v_mov_b32_e32 v20, v21
	scratch_store_dword off, v0, off offset:104 ; 4-byte Folded Spill
	scratch_store_dword off, v25, off offset:108 ; 4-byte Folded Spill
	scratch_store_dwordx2 off, v[26:27], off offset:120 ; 8-byte Folded Spill
	s_branch .LBB307_7
.LBB307_4:                              ;   in Loop: Header=BB307_7 Depth=1
	s_or_b64 exec, exec, s[10:11]
.LBB307_5:                              ;   in Loop: Header=BB307_7 Depth=1
	s_or_b64 exec, exec, s[8:9]
	v_subrev_u32_e32 v20, s74, v20
.LBB307_6:                              ;   in Loop: Header=BB307_7 Depth=1
	s_or_b64 exec, exec, s[6:7]
	s_add_i32 s57, s57, 1
	s_waitcnt vmcnt(1)
	v_cmp_ge_i32_e32 vcc, s57, v25
	s_cbranch_vccnz .LBB307_67
.LBB307_7:                              ; =>This Loop Header: Depth=1
                                        ;     Child Loop BB307_13 Depth 2
                                        ;       Child Loop BB307_15 Depth 3
                                        ;       Child Loop BB307_18 Depth 3
	;; [unrolled: 1-line block ×9, first 2 shown]
                                        ;     Child Loop BB307_54 Depth 2
                                        ;       Child Loop BB307_56 Depth 3
                                        ;     Child Loop BB307_64 Depth 2
                                        ;       Child Loop BB307_66 Depth 3
	s_abs_i32 s7, s57
	s_mul_hi_u32 s8, s7, s66
	s_mul_i32 s9, s8, s62
	s_ashr_i32 s6, s57, 31
	s_sub_i32 s7, s7, s9
	s_xor_b32 s6, s6, s65
	s_add_i32 s9, s8, 1
	s_sub_i32 s10, s7, s62
	s_cmp_ge_u32 s7, s62
	s_cselect_b32 s8, s9, s8
	s_cselect_b32 s7, s10, s7
	s_add_i32 s9, s8, 1
	s_cmp_ge_u32 s7, s62
	s_cselect_b32 s7, s9, s8
	s_xor_b32 s7, s7, s6
	s_sub_i32 s6, s7, s6
	s_abs_i32 s8, s6
	s_mul_hi_u32 s9, s8, s68
	s_mul_i32 s7, s6, s33
	s_mul_i32 s10, s9, s64
	s_sub_i32 s71, s57, s7
	s_ashr_i32 s7, s6, 31
	s_sub_i32 s8, s8, s10
	s_xor_b32 s7, s7, s67
	s_add_i32 s10, s9, 1
	s_sub_i32 s11, s8, s64
	s_cmp_ge_u32 s8, s64
	s_cselect_b32 s9, s10, s9
	s_cselect_b32 s8, s11, s8
	s_add_i32 s10, s9, 1
	s_cmp_ge_u32 s8, s64
	s_cselect_b32 s8, s10, s9
	s_xor_b32 s8, s8, s7
	s_sub_i32 s7, s8, s7
	s_mul_i32 s8, s7, s59
	s_lshl_b32 s72, s8, 8
	s_mul_i32 s71, s71, 48
	s_cmp_eq_u32 s7, s24
	s_cselect_b32 s74, s60, s59
	s_sub_i32 s8, s71, s20
	s_add_i32 s8, s8, 48
	s_max_i32 s73, s8, 0
	s_and_saveexec_b64 s[8:9], s[2:3]
	s_xor_b64 s[46:47], exec, s[8:9]
	s_cbranch_execz .LBB307_60
; %bb.8:                                ;   in Loop: Header=BB307_7 Depth=1
	s_mul_i32 s7, s7, s56
	s_sub_i32 s6, s6, s7
	s_mulk_i32 s6, 0x60
	s_sub_i32 s49, s6, s21
	s_addk_i32 s49, 0x60
	s_max_i32 s7, s49, 0
	s_sub_i32 s48, s6, s7
	s_and_saveexec_b64 s[6:7], s[0:1]
	s_xor_b64 s[50:51], exec, s[6:7]
	s_cbranch_execz .LBB307_50
; %bb.9:                                ;   in Loop: Header=BB307_7 Depth=1
	s_and_saveexec_b64 s[52:53], s[4:5]
	s_cbranch_execz .LBB307_49
; %bb.10:                               ;   in Loop: Header=BB307_7 Depth=1
	s_waitcnt vmcnt(0) lgkmcnt(0)
	global_load_dword v39, v27, s[42:43]
	v_mov_b32_e32 v71, 0
	v_cmp_gt_i32_e32 vcc, s74, v20
	v_mov_b32_e32 v70, v71
	v_mov_b32_e32 v69, v71
	;; [unrolled: 1-line block ×51, first 2 shown]
	scratch_store_dwordx4 off, v[0:3], off offset:32 ; 16-byte Folded Spill
	scratch_store_dwordx4 off, v[0:3], off offset:16 ; 16-byte Folded Spill
	scratch_store_dwordx4 off, v[0:3], off  ; 16-byte Folded Spill
	scratch_store_dwordx4 off, v[4:7], off offset:80 ; 16-byte Folded Spill
	scratch_store_dwordx4 off, v[4:7], off offset:64 ; 16-byte Folded Spill
	;; [unrolled: 1-line block ×3, first 2 shown]
	s_and_saveexec_b64 s[6:7], vcc
	s_cbranch_execz .LBB307_41
; %bb.11:                               ;   in Loop: Header=BB307_7 Depth=1
	v_mov_b32_e32 v12, 0
	s_mov_b64 s[8:9], 0
	v_mov_b32_e32 v13, v12
	v_mov_b32_e32 v14, v12
	;; [unrolled: 1-line block ×51, first 2 shown]
	scratch_store_dwordx4 off, v[0:3], off offset:48 ; 16-byte Folded Spill
	scratch_store_dwordx4 off, v[0:3], off offset:64 ; 16-byte Folded Spill
	;; [unrolled: 1-line block ×3, first 2 shown]
	scratch_store_dwordx4 off, v[4:7], off  ; 16-byte Folded Spill
	scratch_store_dwordx4 off, v[4:7], off offset:16 ; 16-byte Folded Spill
	scratch_store_dwordx4 off, v[4:7], off offset:32 ; 16-byte Folded Spill
	s_branch .LBB307_13
.LBB307_12:                             ;   in Loop: Header=BB307_13 Depth=2
	s_or_b64 exec, exec, s[10:11]
	v_add_u32_e32 v6, 0x5000, v22
	ds_read2_b32 v[4:5], v6 offset1:32
	ds_read2_b32 v[6:7], v6 offset0:128 offset1:160
	v_add_u32_e32 v16, 0x5400, v22
	ds_read2_b32 v[28:29], v16 offset1:32
	ds_read2_b32 v[30:31], v16 offset0:128 offset1:160
	s_waitcnt lgkmcnt(3)
	v_mfma_f32_16x16x32_fp8_fp8 v[8:11], v[98:99], v[4:5], v[48:51]
	v_add_u32_e32 v16, 0x5800, v22
	ds_read2_b32 v[72:73], v16 offset1:32
	ds_read2_b32 v[74:75], v16 offset0:128 offset1:160
	s_waitcnt lgkmcnt(4)
	v_mfma_f32_16x16x32_fp8_fp8 v[8:11], v[94:95], v[6:7], v[8:11]
	;; [unrolled: 5-line block ×3, first 2 shown]
	;;#ASMSTART
	s_waitcnt lgkmcnt(0)
	;;#ASMEND
	ds_write_b32 v21, v23 offset:36896
	v_add_u32_e32 v21, s27, v17
	s_waitcnt lgkmcnt(5)
	v_mfma_f32_16x16x32_fp8_fp8 v[8:11], v[90:91], v[30:31], v[8:11]
	v_cmp_lt_i32_e32 vcc, 0, v21
	v_add_u32_e32 v20, s27, v20
	s_waitcnt lgkmcnt(4)
	v_mfma_f32_16x16x32_fp8_fp8 v[8:11], v[92:93], v[72:73], v[8:11]
	s_waitcnt lgkmcnt(3)
	v_mfma_f32_16x16x32_fp8_fp8 v[8:11], v[86:87], v[74:75], v[8:11]
	;; [unrolled: 2-line block ×4, first 2 shown]
	v_mov_b32_e32 v84, v32
	v_mfma_f32_16x16x32_fp8_fp8 v[8:11], v[100:101], v[4:5], v[24:27]
	v_mfma_f32_16x16x32_fp8_fp8 v[8:11], v[102:103], v[6:7], v[8:11]
	;; [unrolled: 1-line block ×9, first 2 shown]
	v_add_u32_e32 v4, 2, v18
	v_cndmask_b32_e32 v18, v18, v4, vcc
	v_cmp_le_i32_e32 vcc, s74, v20
	v_mfma_f32_16x16x32_fp8_fp8 v[8:11], v[120:121], v[6:7], v[8:11]
	s_or_b64 s[8:9], vcc, s[8:9]
	v_mfma_f32_16x16x32_fp8_fp8 v[8:11], v[124:125], v[28:29], v[8:11]
	v_mfma_f32_16x16x32_fp8_fp8 v[8:11], v[126:127], v[30:31], v[8:11]
	v_mov_b64_e32 v[126:127], v[36:37]
	v_mov_b64_e32 v[124:125], v[34:35]
	v_mfma_f32_16x16x32_fp8_fp8 v[8:11], v[78:79], v[72:73], v[8:11]
	v_mfma_f32_16x16x32_fp8_fp8 v[8:11], v[76:77], v[74:75], v[8:11]
	;; [unrolled: 1-line block ×4, first 2 shown]
	s_andn2_b64 exec, exec, s[8:9]
	s_cbranch_execz .LBB307_40
.LBB307_13:                             ;   Parent Loop BB307_7 Depth=1
                                        ; =>  This Loop Header: Depth=2
                                        ;       Child Loop BB307_15 Depth 3
                                        ;       Child Loop BB307_18 Depth 3
	;; [unrolled: 1-line block ×9, first 2 shown]
	v_cmp_lt_i32_e32 vcc, 0, v21
	s_nop 1
	v_subbrev_co_u32_e32 v17, vcc, 0, v21, vcc
	v_mul_lo_u32 v21, v17, 24
	ds_read_b32 v4, v21 offset:36876
	s_waitcnt lgkmcnt(0)
	v_cmp_ne_u32_e32 vcc, v4, v18
	s_and_saveexec_b64 s[10:11], vcc
	s_cbranch_execz .LBB307_16
; %bb.14:                               ;   in Loop: Header=BB307_13 Depth=2
	s_mov_b64 s[12:13], 0
.LBB307_15:                             ;   Parent Loop BB307_7 Depth=1
                                        ;     Parent Loop BB307_13 Depth=2
                                        ; =>    This Inner Loop Header: Depth=3
	;;#ASMSTART
	s_sleep 0
	;;#ASMEND
	ds_read_b32 v4, v21 offset:36876
	s_waitcnt lgkmcnt(0)
	v_cmp_eq_u32_e32 vcc, v4, v18
	s_or_b64 s[12:13], vcc, s[12:13]
	s_andn2_b64 exec, exec, s[12:13]
	s_cbranch_execnz .LBB307_15
.LBB307_16:                             ;   in Loop: Header=BB307_13 Depth=2
	s_or_b64 exec, exec, s[10:11]
	v_mul_lo_u32 v4, v17, s61
	v_or_b32_e32 v22, v84, v4
	v_add_u32_e32 v4, 0x400, v22
	ds_read2_b32 v[76:77], v22 offset1:32
	ds_read2_b32 v[78:79], v22 offset0:128 offset1:160
	ds_read2_b32 v[116:117], v4 offset1:32
	ds_read2_b32 v[122:123], v4 offset0:128 offset1:160
	v_add_u32_e32 v4, 0x800, v22
	ds_read2_b32 v[74:75], v4 offset1:32
	ds_read2_b32 v[82:83], v4 offset0:128 offset1:160
	v_add_u32_e32 v4, 0xc00, v22
	v_add_u32_e32 v23, 1, v18
	ds_read2_b32 v[72:73], v4 offset1:32
	ds_read2_b32 v[80:81], v4 offset0:128 offset1:160
	;;#ASMSTART
	s_waitcnt lgkmcnt(0)
	;;#ASMEND
	ds_write_b32 v21, v23 offset:36876
	v_mul_lo_u32 v16, v17, 12
	ds_read_b32 v4, v16 offset:36864
	s_waitcnt lgkmcnt(0)
	v_cmp_ne_u32_e32 vcc, v4, v18
	s_and_saveexec_b64 s[10:11], vcc
	s_cbranch_execz .LBB307_19
; %bb.17:                               ;   in Loop: Header=BB307_13 Depth=2
	s_mov_b64 s[12:13], 0
.LBB307_18:                             ;   Parent Loop BB307_7 Depth=1
                                        ;     Parent Loop BB307_13 Depth=2
                                        ; =>    This Inner Loop Header: Depth=3
	;;#ASMSTART
	s_sleep 0
	;;#ASMEND
	ds_read_b32 v4, v16 offset:36864
	s_waitcnt lgkmcnt(0)
	v_cmp_eq_u32_e32 vcc, v4, v18
	s_or_b64 s[12:13], vcc, s[12:13]
	s_andn2_b64 exec, exec, s[12:13]
	s_cbranch_execnz .LBB307_18
.LBB307_19:                             ;   in Loop: Header=BB307_13 Depth=2
	s_or_b64 exec, exec, s[10:11]
	v_mul_lo_u32 v4, v17, s69
	v_or_b32_e32 v5, 0x6000, v84
	v_add_u32_e32 v8, v5, v4
	ds_read2_b32 v[98:99], v8 offset1:32
	ds_read2_b32 v[94:95], v8 offset0:128 offset1:160
	v_add_u32_e32 v4, 0x400, v8
	ds_read2_b32 v[96:97], v4 offset1:32
	ds_read2_b32 v[90:91], v4 offset0:128 offset1:160
	s_waitcnt lgkmcnt(3)
	v_mfma_f32_16x16x32_fp8_fp8 v[68:71], v[98:99], v[76:77], v[68:71]
	v_add_u32_e32 v4, 0x800, v8
	ds_read2_b32 v[92:93], v4 offset1:32
	ds_read2_b32 v[86:87], v4 offset0:128 offset1:160
	v_add_u32_e32 v4, 0xc00, v8
	s_waitcnt lgkmcnt(4)
	v_mfma_f32_16x16x32_fp8_fp8 v[68:71], v[94:95], v[78:79], v[68:71]
	v_mov_b32_e32 v32, v84
	ds_read2_b32 v[88:89], v4 offset1:32
	ds_read2_b32 v[84:85], v4 offset0:128 offset1:160
	ds_read_b32 v4, v16 offset:36868
	s_waitcnt lgkmcnt(6)
	v_mfma_f32_16x16x32_fp8_fp8 v[68:71], v[96:97], v[116:117], v[68:71]
	ds_write_b32 v16, v23 offset:36864
	s_waitcnt lgkmcnt(1)
	v_cmp_ne_u32_e32 vcc, v4, v18
	v_mfma_f32_16x16x32_fp8_fp8 v[68:71], v[90:91], v[122:123], v[68:71]
	v_mfma_f32_16x16x32_fp8_fp8 v[68:71], v[92:93], v[74:75], v[68:71]
	;; [unrolled: 1-line block ×5, first 2 shown]
	s_and_saveexec_b64 s[10:11], vcc
	s_cbranch_execz .LBB307_22
; %bb.20:                               ;   in Loop: Header=BB307_13 Depth=2
	s_mov_b64 s[12:13], 0
.LBB307_21:                             ;   Parent Loop BB307_7 Depth=1
                                        ;     Parent Loop BB307_13 Depth=2
                                        ; =>    This Inner Loop Header: Depth=3
	;;#ASMSTART
	s_sleep 0
	;;#ASMEND
	ds_read_b32 v4, v16 offset:36868
	s_waitcnt lgkmcnt(0)
	v_cmp_eq_u32_e32 vcc, v4, v18
	s_or_b64 s[12:13], vcc, s[12:13]
	s_andn2_b64 exec, exec, s[12:13]
	s_cbranch_execnz .LBB307_21
.LBB307_22:                             ;   in Loop: Header=BB307_13 Depth=2
	s_or_b64 exec, exec, s[10:11]
	v_add_u32_e32 v4, 0x1000, v8
	ds_read2_b32 v[100:101], v4 offset1:32
	ds_read2_b32 v[102:103], v4 offset0:128 offset1:160
	v_add_u32_e32 v4, 0x1400, v8
	ds_read2_b32 v[104:105], v4 offset1:32
	ds_read2_b32 v[106:107], v4 offset0:128 offset1:160
	v_add_u32_e32 v4, 0x1800, v8
	s_waitcnt lgkmcnt(3)
	v_mfma_f32_16x16x32_fp8_fp8 v[44:47], v[100:101], v[76:77], v[44:47]
	ds_read2_b32 v[108:109], v4 offset1:32
	ds_read2_b32 v[110:111], v4 offset0:128 offset1:160
	v_add_u32_e32 v4, 0x1c00, v8
	ds_read2_b32 v[112:113], v4 offset1:32
	ds_read2_b32 v[114:115], v4 offset0:128 offset1:160
	s_waitcnt lgkmcnt(6)
	v_mfma_f32_16x16x32_fp8_fp8 v[44:47], v[102:103], v[78:79], v[44:47]
	ds_read_b32 v4, v16 offset:36872
	ds_write_b32 v16, v23 offset:36868
	s_waitcnt lgkmcnt(1)
	v_cmp_ne_u32_e32 vcc, v4, v18
	v_mfma_f32_16x16x32_fp8_fp8 v[44:47], v[104:105], v[116:117], v[44:47]
	v_mfma_f32_16x16x32_fp8_fp8 v[44:47], v[106:107], v[122:123], v[44:47]
	;; [unrolled: 1-line block ×6, first 2 shown]
	s_and_saveexec_b64 s[10:11], vcc
	s_cbranch_execz .LBB307_25
; %bb.23:                               ;   in Loop: Header=BB307_13 Depth=2
	s_mov_b64 s[12:13], 0
.LBB307_24:                             ;   Parent Loop BB307_7 Depth=1
                                        ;     Parent Loop BB307_13 Depth=2
                                        ; =>    This Inner Loop Header: Depth=3
	;;#ASMSTART
	s_sleep 0
	;;#ASMEND
	ds_read_b32 v4, v16 offset:36872
	s_waitcnt lgkmcnt(0)
	v_cmp_eq_u32_e32 vcc, v4, v18
	s_or_b64 s[12:13], vcc, s[12:13]
	s_andn2_b64 exec, exec, s[12:13]
	s_cbranch_execnz .LBB307_24
.LBB307_25:                             ;   in Loop: Header=BB307_13 Depth=2
	s_or_b64 exec, exec, s[10:11]
	v_add_u32_e32 v4, 0x2000, v8
	ds_read2_b32 v[118:119], v4 offset1:32
	ds_read2_b32 v[120:121], v4 offset0:128 offset1:160
	v_add_u32_e32 v9, 0x2400, v8
	ds_write_b32 v16, v23 offset:36872
	s_waitcnt lgkmcnt(2)
	v_mfma_f32_16x16x32_fp8_fp8 v[4:7], v[118:119], v[76:77], v[124:127]
	s_nop 2
	ds_read2_b32 v[124:125], v9 offset1:32
	ds_read2_b32 v[126:127], v9 offset0:128 offset1:160
	s_waitcnt lgkmcnt(3)
	v_mfma_f32_16x16x32_fp8_fp8 v[4:7], v[120:121], v[78:79], v[4:7]
	v_add_u32_e32 v9, 0x2800, v8
	ds_read2_b32 v[78:79], v9 offset1:32
	ds_read2_b32 v[76:77], v9 offset0:128 offset1:160
	s_waitcnt lgkmcnt(3)
	v_mfma_f32_16x16x32_fp8_fp8 v[4:7], v[124:125], v[116:117], v[4:7]
	v_add_u32_e32 v8, 0x2c00, v8
	ds_read2_b32 v[116:117], v8 offset0:128 offset1:160
	s_waitcnt lgkmcnt(3)
	v_mfma_f32_16x16x32_fp8_fp8 v[4:7], v[126:127], v[122:123], v[4:7]
	ds_read2_b32 v[122:123], v8 offset1:32
	ds_read_b32 v8, v21 offset:36880
	s_waitcnt lgkmcnt(0)
	v_cmp_ne_u32_e32 vcc, v8, v18
	v_mfma_f32_16x16x32_fp8_fp8 v[4:7], v[78:79], v[74:75], v[4:7]
	v_mfma_f32_16x16x32_fp8_fp8 v[4:7], v[76:77], v[82:83], v[4:7]
	;; [unrolled: 1-line block ×4, first 2 shown]
	s_and_saveexec_b64 s[10:11], vcc
	s_cbranch_execz .LBB307_28
; %bb.26:                               ;   in Loop: Header=BB307_13 Depth=2
	s_mov_b64 s[12:13], 0
.LBB307_27:                             ;   Parent Loop BB307_7 Depth=1
                                        ;     Parent Loop BB307_13 Depth=2
                                        ; =>    This Inner Loop Header: Depth=3
	;;#ASMSTART
	s_sleep 0
	;;#ASMEND
	s_nop 3
	ds_read_b32 v4, v21 offset:36880
	s_waitcnt lgkmcnt(0)
	v_cmp_eq_u32_e32 vcc, v4, v18
	s_or_b64 s[12:13], vcc, s[12:13]
	s_andn2_b64 exec, exec, s[12:13]
	s_cbranch_execnz .LBB307_27
.LBB307_28:                             ;   in Loop: Header=BB307_13 Depth=2
	s_or_b64 exec, exec, s[10:11]
	v_add_u32_e32 v4, 0x1000, v22
	ds_read2_b32 v[72:73], v4 offset1:32
	ds_read2_b32 v[74:75], v4 offset0:128 offset1:160
	v_add_u32_e32 v4, 0x1400, v22
	ds_read2_b32 v[80:81], v4 offset1:32
	ds_read2_b32 v[82:83], v4 offset0:128 offset1:160
	s_waitcnt lgkmcnt(3)
	v_mfma_f32_16x16x32_fp8_fp8 v[8:11], v[98:99], v[72:73], v[64:67]
	v_add_u32_e32 v6, 0x1800, v22
	ds_read2_b32 v[4:5], v6 offset1:32
	ds_read2_b32 v[6:7], v6 offset0:128 offset1:160
	s_waitcnt lgkmcnt(4)
	v_mfma_f32_16x16x32_fp8_fp8 v[8:11], v[94:95], v[74:75], v[8:11]
	;; [unrolled: 5-line block ×3, first 2 shown]
	;;#ASMSTART
	s_waitcnt lgkmcnt(0)
	;;#ASMEND
	ds_write_b32 v21, v23 offset:36880
	s_waitcnt lgkmcnt(5)
	v_mfma_f32_16x16x32_fp8_fp8 v[8:11], v[90:91], v[82:83], v[8:11]
	s_waitcnt lgkmcnt(4)
	v_mfma_f32_16x16x32_fp8_fp8 v[8:11], v[92:93], v[4:5], v[8:11]
	s_waitcnt lgkmcnt(3)
	v_mfma_f32_16x16x32_fp8_fp8 v[8:11], v[86:87], v[6:7], v[8:11]
	s_waitcnt lgkmcnt(2)
	v_mfma_f32_16x16x32_fp8_fp8 v[8:11], v[88:89], v[28:29], v[8:11]
	s_waitcnt lgkmcnt(1)
	v_mfma_f32_16x16x32_fp8_fp8 v[64:67], v[84:85], v[30:31], v[8:11]
	v_mfma_f32_16x16x32_fp8_fp8 v[8:11], v[100:101], v[72:73], v[40:43]
	v_mfma_f32_16x16x32_fp8_fp8 v[0:3], v[118:119], v[72:73], v[0:3]
	;; [unrolled: 1-line block ×10, first 2 shown]
	ds_read_b32 v4, v21 offset:36884
	s_waitcnt lgkmcnt(0)
	v_cmp_ne_u32_e32 vcc, v4, v18
	v_mfma_f32_16x16x32_fp8_fp8 v[8:11], v[110:111], v[6:7], v[8:11]
	v_mfma_f32_16x16x32_fp8_fp8 v[0:3], v[76:77], v[6:7], v[0:3]
	;; [unrolled: 1-line block ×6, first 2 shown]
	s_and_saveexec_b64 s[10:11], vcc
	s_cbranch_execz .LBB307_31
; %bb.29:                               ;   in Loop: Header=BB307_13 Depth=2
	s_mov_b64 s[12:13], 0
.LBB307_30:                             ;   Parent Loop BB307_7 Depth=1
                                        ;     Parent Loop BB307_13 Depth=2
                                        ; =>    This Inner Loop Header: Depth=3
	;;#ASMSTART
	s_sleep 0
	;;#ASMEND
	ds_read_b32 v4, v21 offset:36884
	s_waitcnt lgkmcnt(0)
	v_cmp_eq_u32_e32 vcc, v4, v18
	s_or_b64 s[12:13], vcc, s[12:13]
	s_andn2_b64 exec, exec, s[12:13]
	s_cbranch_execnz .LBB307_30
.LBB307_31:                             ;   in Loop: Header=BB307_13 Depth=2
	s_or_b64 exec, exec, s[10:11]
	v_add_u32_e32 v6, 0x2000, v22
	ds_read2_b32 v[4:5], v6 offset1:32
	ds_read2_b32 v[6:7], v6 offset0:128 offset1:160
	v_add_u32_e32 v16, 0x2400, v22
	ds_read2_b32 v[28:29], v16 offset1:32
	ds_read2_b32 v[30:31], v16 offset0:128 offset1:160
	s_waitcnt lgkmcnt(3)
	v_mfma_f32_16x16x32_fp8_fp8 v[8:11], v[98:99], v[4:5], v[60:63]
	v_add_u32_e32 v16, 0x2800, v22
	ds_read2_b32 v[72:73], v16 offset1:32
	ds_read2_b32 v[74:75], v16 offset0:128 offset1:160
	s_waitcnt lgkmcnt(4)
	v_mfma_f32_16x16x32_fp8_fp8 v[8:11], v[94:95], v[6:7], v[8:11]
	;; [unrolled: 5-line block ×3, first 2 shown]
	s_waitcnt lgkmcnt(4)
	v_mfma_f32_16x16x32_fp8_fp8 v[8:11], v[90:91], v[30:31], v[8:11]
	s_waitcnt lgkmcnt(3)
	v_mfma_f32_16x16x32_fp8_fp8 v[8:11], v[92:93], v[72:73], v[8:11]
	;; [unrolled: 2-line block ×5, first 2 shown]
	s_nop 5
	scratch_load_dwordx4 v[8:11], off, off offset:32 ; 16-byte Folded Reload
	s_waitcnt vmcnt(0)
	v_mfma_f32_16x16x32_fp8_fp8 v[8:11], v[100:101], v[4:5], v[8:11]
	v_mfma_f32_16x16x32_fp8_fp8 v[8:11], v[102:103], v[6:7], v[8:11]
	v_mfma_f32_16x16x32_fp8_fp8 v[8:11], v[104:105], v[28:29], v[8:11]
	v_mfma_f32_16x16x32_fp8_fp8 v[8:11], v[106:107], v[30:31], v[8:11]
	v_mfma_f32_16x16x32_fp8_fp8 v[8:11], v[108:109], v[72:73], v[8:11]
	v_mfma_f32_16x16x32_fp8_fp8 v[8:11], v[110:111], v[74:75], v[8:11]
	v_mfma_f32_16x16x32_fp8_fp8 v[8:11], v[112:113], v[80:81], v[8:11]
	v_mfma_f32_16x16x32_fp8_fp8 v[8:11], v[114:115], v[82:83], v[8:11]
	s_nop 7
	scratch_store_dwordx4 off, v[8:11], off offset:32 ; 16-byte Folded Spill
	scratch_load_dwordx4 v[8:11], off, off offset:80 ; 16-byte Folded Reload
	;;#ASMSTART
	s_waitcnt lgkmcnt(0)
	;;#ASMEND
	ds_write_b32 v21, v23 offset:36884
	s_waitcnt vmcnt(0)
	v_mfma_f32_16x16x32_fp8_fp8 v[8:11], v[118:119], v[4:5], v[8:11]
	ds_read_b32 v4, v21 offset:36888
	s_waitcnt lgkmcnt(0)
	v_cmp_ne_u32_e32 vcc, v4, v18
	v_mfma_f32_16x16x32_fp8_fp8 v[8:11], v[120:121], v[6:7], v[8:11]
	v_mfma_f32_16x16x32_fp8_fp8 v[8:11], v[124:125], v[28:29], v[8:11]
	;; [unrolled: 1-line block ×7, first 2 shown]
	s_nop 7
	scratch_store_dwordx4 off, v[4:7], off offset:80 ; 16-byte Folded Spill
	s_and_saveexec_b64 s[10:11], vcc
	s_cbranch_execz .LBB307_34
; %bb.32:                               ;   in Loop: Header=BB307_13 Depth=2
	s_mov_b64 s[12:13], 0
.LBB307_33:                             ;   Parent Loop BB307_7 Depth=1
                                        ;     Parent Loop BB307_13 Depth=2
                                        ; =>    This Inner Loop Header: Depth=3
	;;#ASMSTART
	s_sleep 0
	;;#ASMEND
	ds_read_b32 v4, v21 offset:36888
	s_waitcnt lgkmcnt(0)
	v_cmp_eq_u32_e32 vcc, v4, v18
	s_or_b64 s[12:13], vcc, s[12:13]
	s_andn2_b64 exec, exec, s[12:13]
	s_cbranch_execnz .LBB307_33
.LBB307_34:                             ;   in Loop: Header=BB307_13 Depth=2
	s_or_b64 exec, exec, s[10:11]
	v_add_u32_e32 v6, 0x3000, v22
	ds_read2_b32 v[4:5], v6 offset1:32
	ds_read2_b32 v[6:7], v6 offset0:128 offset1:160
	v_add_u32_e32 v16, 0x3400, v22
	ds_read2_b32 v[28:29], v16 offset1:32
	ds_read2_b32 v[30:31], v16 offset0:128 offset1:160
	s_waitcnt lgkmcnt(3)
	v_mfma_f32_16x16x32_fp8_fp8 v[8:11], v[98:99], v[4:5], v[56:59]
	v_add_u32_e32 v16, 0x3800, v22
	ds_read2_b32 v[72:73], v16 offset1:32
	ds_read2_b32 v[74:75], v16 offset0:128 offset1:160
	s_waitcnt lgkmcnt(4)
	v_mfma_f32_16x16x32_fp8_fp8 v[8:11], v[94:95], v[6:7], v[8:11]
	;; [unrolled: 5-line block ×3, first 2 shown]
	s_waitcnt lgkmcnt(4)
	v_mfma_f32_16x16x32_fp8_fp8 v[8:11], v[90:91], v[30:31], v[8:11]
	s_waitcnt lgkmcnt(3)
	v_mfma_f32_16x16x32_fp8_fp8 v[8:11], v[92:93], v[72:73], v[8:11]
	;; [unrolled: 2-line block ×5, first 2 shown]
	s_nop 5
	scratch_load_dwordx4 v[8:11], off, off offset:16 ; 16-byte Folded Reload
	s_waitcnt vmcnt(0)
	v_mfma_f32_16x16x32_fp8_fp8 v[8:11], v[100:101], v[4:5], v[8:11]
	v_mfma_f32_16x16x32_fp8_fp8 v[8:11], v[102:103], v[6:7], v[8:11]
	;; [unrolled: 1-line block ×8, first 2 shown]
	s_nop 7
	scratch_store_dwordx4 off, v[8:11], off offset:16 ; 16-byte Folded Spill
	scratch_load_dwordx4 v[8:11], off, off offset:64 ; 16-byte Folded Reload
	;;#ASMSTART
	s_waitcnt lgkmcnt(0)
	;;#ASMEND
	ds_write_b32 v21, v23 offset:36888
	s_waitcnt vmcnt(0)
	v_mfma_f32_16x16x32_fp8_fp8 v[8:11], v[118:119], v[4:5], v[8:11]
	ds_read_b32 v4, v21 offset:36892
	s_waitcnt lgkmcnt(0)
	v_cmp_ne_u32_e32 vcc, v4, v18
	v_mfma_f32_16x16x32_fp8_fp8 v[8:11], v[120:121], v[6:7], v[8:11]
	v_mfma_f32_16x16x32_fp8_fp8 v[8:11], v[124:125], v[28:29], v[8:11]
	;; [unrolled: 1-line block ×7, first 2 shown]
	s_nop 7
	scratch_store_dwordx4 off, v[4:7], off offset:64 ; 16-byte Folded Spill
	s_and_saveexec_b64 s[10:11], vcc
	s_cbranch_execz .LBB307_37
; %bb.35:                               ;   in Loop: Header=BB307_13 Depth=2
	s_mov_b64 s[12:13], 0
.LBB307_36:                             ;   Parent Loop BB307_7 Depth=1
                                        ;     Parent Loop BB307_13 Depth=2
                                        ; =>    This Inner Loop Header: Depth=3
	;;#ASMSTART
	s_sleep 0
	;;#ASMEND
	ds_read_b32 v4, v21 offset:36892
	s_waitcnt lgkmcnt(0)
	v_cmp_eq_u32_e32 vcc, v4, v18
	s_or_b64 s[12:13], vcc, s[12:13]
	s_andn2_b64 exec, exec, s[12:13]
	s_cbranch_execnz .LBB307_36
.LBB307_37:                             ;   in Loop: Header=BB307_13 Depth=2
	s_or_b64 exec, exec, s[10:11]
	v_add_u32_e32 v6, 0x4000, v22
	ds_read2_b32 v[4:5], v6 offset1:32
	ds_read2_b32 v[6:7], v6 offset0:128 offset1:160
	v_add_u32_e32 v16, 0x4400, v22
	ds_read2_b32 v[28:29], v16 offset1:32
	ds_read2_b32 v[30:31], v16 offset0:128 offset1:160
	s_waitcnt lgkmcnt(3)
	v_mfma_f32_16x16x32_fp8_fp8 v[8:11], v[98:99], v[4:5], v[52:55]
	v_add_u32_e32 v16, 0x4800, v22
	ds_read2_b32 v[72:73], v16 offset1:32
	ds_read2_b32 v[74:75], v16 offset0:128 offset1:160
	s_waitcnt lgkmcnt(4)
	v_mfma_f32_16x16x32_fp8_fp8 v[8:11], v[94:95], v[6:7], v[8:11]
	;; [unrolled: 5-line block ×3, first 2 shown]
	s_waitcnt lgkmcnt(4)
	v_mfma_f32_16x16x32_fp8_fp8 v[8:11], v[90:91], v[30:31], v[8:11]
	s_waitcnt lgkmcnt(3)
	v_mfma_f32_16x16x32_fp8_fp8 v[8:11], v[92:93], v[72:73], v[8:11]
	;; [unrolled: 2-line block ×5, first 2 shown]
	s_nop 5
	scratch_load_dwordx4 v[8:11], off, off  ; 16-byte Folded Reload
	s_waitcnt vmcnt(0)
	v_mfma_f32_16x16x32_fp8_fp8 v[8:11], v[100:101], v[4:5], v[8:11]
	v_mfma_f32_16x16x32_fp8_fp8 v[8:11], v[102:103], v[6:7], v[8:11]
	;; [unrolled: 1-line block ×8, first 2 shown]
	s_nop 7
	scratch_store_dwordx4 off, v[8:11], off ; 16-byte Folded Spill
	scratch_load_dwordx4 v[8:11], off, off offset:48 ; 16-byte Folded Reload
	;;#ASMSTART
	s_waitcnt lgkmcnt(0)
	;;#ASMEND
	ds_write_b32 v21, v23 offset:36892
	s_waitcnt vmcnt(0)
	v_mfma_f32_16x16x32_fp8_fp8 v[8:11], v[118:119], v[4:5], v[8:11]
	ds_read_b32 v4, v21 offset:36896
	s_waitcnt lgkmcnt(0)
	v_cmp_ne_u32_e32 vcc, v4, v18
	v_mfma_f32_16x16x32_fp8_fp8 v[8:11], v[120:121], v[6:7], v[8:11]
	v_mfma_f32_16x16x32_fp8_fp8 v[8:11], v[124:125], v[28:29], v[8:11]
	v_mfma_f32_16x16x32_fp8_fp8 v[8:11], v[126:127], v[30:31], v[8:11]
	v_mfma_f32_16x16x32_fp8_fp8 v[8:11], v[78:79], v[72:73], v[8:11]
	v_mfma_f32_16x16x32_fp8_fp8 v[8:11], v[76:77], v[74:75], v[8:11]
	v_mfma_f32_16x16x32_fp8_fp8 v[8:11], v[122:123], v[80:81], v[8:11]
	v_mfma_f32_16x16x32_fp8_fp8 v[4:7], v[116:117], v[82:83], v[8:11]
	s_nop 7
	scratch_store_dwordx4 off, v[4:7], off offset:48 ; 16-byte Folded Spill
	s_and_saveexec_b64 s[10:11], vcc
	s_cbranch_execz .LBB307_12
; %bb.38:                               ;   in Loop: Header=BB307_13 Depth=2
	s_mov_b64 s[12:13], 0
.LBB307_39:                             ;   Parent Loop BB307_7 Depth=1
                                        ;     Parent Loop BB307_13 Depth=2
                                        ; =>    This Inner Loop Header: Depth=3
	;;#ASMSTART
	s_sleep 0
	;;#ASMEND
	ds_read_b32 v4, v21 offset:36896
	s_waitcnt lgkmcnt(0)
	v_cmp_eq_u32_e32 vcc, v4, v18
	s_or_b64 s[12:13], vcc, s[12:13]
	s_andn2_b64 exec, exec, s[12:13]
	s_cbranch_execnz .LBB307_39
	s_branch .LBB307_12
.LBB307_40:                             ;   in Loop: Header=BB307_7 Depth=1
	s_or_b64 exec, exec, s[8:9]
.LBB307_41:                             ;   in Loop: Header=BB307_7 Depth=1
	s_or_b64 exec, exec, s[6:7]
	scratch_load_dwordx2 v[30:31], off, off offset:112 ; 8-byte Folded Reload
	scratch_load_dword v31, off, off offset:96 ; 4-byte Folded Reload
	scratch_load_dword v32, off, off offset:104 ; 4-byte Folded Reload
	v_cmp_eq_u32_e64 s[10:11], 1, v33
	v_cmp_eq_u32_e64 s[16:17], 3, v33
	v_mov_b32_e32 v79, v38
	s_waitcnt vmcnt(2)
	v_cmp_le_i32_e32 vcc, s49, v30
	s_nop 1
	v_cndmask_b32_e32 v76, 0, v39, vcc
	v_pk_mul_f32 v[6:7], v[76:77], v[68:69] op_sel_hi:[0,1]
	s_waitcnt vmcnt(1)
	v_cmp_eq_u32_e64 s[12:13], 1, v31
	v_pk_mul_f32 v[4:5], v[76:77], v[70:71] op_sel_hi:[0,1]
	v_cmp_eq_u32_e32 vcc, 2, v31
	v_cndmask_b32_e64 v8, v6, v7, s[12:13]
	v_cmp_eq_u32_e64 s[6:7], 3, v31
	v_cndmask_b32_e32 v8, v8, v4, vcc
	v_cmp_eq_u32_e64 s[8:9], 0, v31
	v_cndmask_b32_e64 v8, v8, v5, s[6:7]
	s_waitcnt vmcnt(0)
	ds_bpermute_b32 v10, v32, v8
	s_waitcnt lgkmcnt(0)
	v_cndmask_b32_e32 v9, v4, v10, vcc
	v_or_b32_e32 v4, 16, v30
	v_cmp_le_i32_e64 s[14:15], s49, v4
	v_cndmask_b32_e64 v69, v7, v10, s[12:13]
	v_cndmask_b32_e64 v70, v6, v10, s[8:9]
	;; [unrolled: 1-line block ×3, first 2 shown]
	v_pk_mul_f32 v[6:7], v[68:69], v[64:65] op_sel_hi:[0,1]
	v_cndmask_b32_e64 v8, v5, v10, s[6:7]
	v_pk_mul_f32 v[4:5], v[68:69], v[66:67] op_sel_hi:[0,1]
	v_cndmask_b32_e64 v11, v6, v7, s[12:13]
	v_cndmask_b32_e32 v11, v11, v4, vcc
	v_cndmask_b32_e64 v11, v11, v5, s[6:7]
	ds_bpermute_b32 v17, v32, v11
	v_cmp_eq_u32_e64 s[14:15], 2, v33
	v_cndmask_b32_e64 v10, v70, v69, s[10:11]
	s_waitcnt lgkmcnt(0)
	v_cndmask_b32_e32 v16, v4, v17, vcc
	v_or_b32_e32 v4, 32, v30
	v_cmp_le_i32_e64 s[18:19], s49, v4
	v_cndmask_b32_e64 v65, v7, v17, s[12:13]
	v_cndmask_b32_e64 v66, v6, v17, s[8:9]
	;; [unrolled: 1-line block ×3, first 2 shown]
	v_pk_mul_f32 v[6:7], v[64:65], v[60:61] op_sel_hi:[0,1]
	v_cndmask_b32_e64 v11, v5, v17, s[6:7]
	v_pk_mul_f32 v[4:5], v[64:65], v[62:63] op_sel_hi:[0,1]
	v_cndmask_b32_e64 v17, v6, v7, s[12:13]
	v_cndmask_b32_e32 v17, v17, v4, vcc
	v_cndmask_b32_e64 v17, v17, v5, s[6:7]
	ds_bpermute_b32 v28, v32, v17
	v_cndmask_b32_e64 v17, v66, v65, s[10:11]
	v_cndmask_b32_e64 v10, v10, v9, s[14:15]
	;; [unrolled: 1-line block ×4, first 2 shown]
	s_waitcnt lgkmcnt(0)
	v_cndmask_b32_e32 v23, v4, v28, vcc
	v_or_b32_e32 v4, 48, v30
	v_cmp_le_i32_e64 s[18:19], s49, v4
	v_cndmask_b32_e64 v61, v7, v28, s[12:13]
	v_cndmask_b32_e64 v72, v6, v28, s[8:9]
	;; [unrolled: 1-line block ×3, first 2 shown]
	v_pk_mul_f32 v[6:7], v[60:61], v[56:57] op_sel_hi:[0,1]
	v_cndmask_b32_e64 v22, v5, v28, s[6:7]
	v_pk_mul_f32 v[4:5], v[60:61], v[58:59] op_sel_hi:[0,1]
	v_cndmask_b32_e64 v28, v6, v7, s[12:13]
	v_cndmask_b32_e32 v28, v28, v4, vcc
	v_cndmask_b32_e64 v28, v28, v5, s[6:7]
	ds_bpermute_b32 v28, v32, v28
	v_cndmask_b32_e64 v29, v72, v61, s[10:11]
	v_cndmask_b32_e64 v29, v29, v23, s[14:15]
	;; [unrolled: 1-line block ×3, first 2 shown]
	ds_bpermute_b32 v58, v32, v29
	s_waitcnt lgkmcnt(1)
	v_cndmask_b32_e32 v62, v4, v28, vcc
	v_or_b32_e32 v4, 64, v30
	v_cmp_le_i32_e64 s[18:19], s49, v4
	v_cndmask_b32_e64 v57, v7, v28, s[12:13]
	v_cndmask_b32_e64 v73, v6, v28, s[8:9]
	;; [unrolled: 1-line block ×3, first 2 shown]
	v_pk_mul_f32 v[6:7], v[56:57], v[52:53] op_sel_hi:[0,1]
	v_cndmask_b32_e64 v59, v5, v28, s[6:7]
	v_pk_mul_f32 v[4:5], v[56:57], v[54:55] op_sel_hi:[0,1]
	v_cndmask_b32_e64 v28, v6, v7, s[12:13]
	v_cndmask_b32_e32 v28, v28, v4, vcc
	v_cndmask_b32_e64 v28, v28, v5, s[6:7]
	ds_bpermute_b32 v28, v32, v28
	v_cndmask_b32_e64 v29, v73, v57, s[10:11]
	v_cndmask_b32_e64 v29, v29, v62, s[14:15]
	;; [unrolled: 1-line block ×3, first 2 shown]
	ds_bpermute_b32 v54, v32, v29
	s_waitcnt lgkmcnt(1)
	v_cndmask_b32_e32 v63, v4, v28, vcc
	v_or_b32_e32 v4, 0x50, v30
	v_cmp_le_i32_e64 s[18:19], s49, v4
	v_cndmask_b32_e64 v74, v7, v28, s[12:13]
	v_cndmask_b32_e64 v75, v6, v28, s[8:9]
	;; [unrolled: 1-line block ×3, first 2 shown]
	v_pk_mul_f32 v[6:7], v[52:53], v[48:49] op_sel_hi:[0,1]
	v_cndmask_b32_e64 v55, v5, v28, s[6:7]
	v_pk_mul_f32 v[4:5], v[52:53], v[50:51] op_sel_hi:[0,1]
	v_cndmask_b32_e64 v28, v6, v7, s[12:13]
	v_cndmask_b32_e32 v28, v28, v4, vcc
	v_cndmask_b32_e64 v28, v28, v5, s[6:7]
	ds_bpermute_b32 v28, v32, v28
	v_cndmask_b32_e64 v29, v75, v74, s[10:11]
	v_cndmask_b32_e64 v29, v29, v63, s[14:15]
	;; [unrolled: 1-line block ×4, first 2 shown]
	s_waitcnt lgkmcnt(0)
	v_cndmask_b32_e32 v51, v4, v28, vcc
	v_cmp_ne_u32_e32 vcc, 0, v31
	v_cndmask_b32_e64 v49, v6, v28, s[8:9]
	v_cndmask_b32_e64 v50, v5, v28, s[6:7]
	v_cndmask_b32_e32 v48, v7, v28, vcc
	v_cndmask_b32_e64 v4, v49, v48, s[10:11]
	v_cndmask_b32_e64 v4, v4, v51, s[14:15]
	v_cndmask_b32_e64 v4, v4, v50, s[16:17]
	ds_bpermute_b32 v71, v32, v4
	scratch_load_dword v4, off, off offset:100 ; 4-byte Folded Reload
	ds_bpermute_b32 v10, v32, v10
	ds_bpermute_b32 v17, v32, v17
	ds_bpermute_b32 v67, v32, v29
	s_waitcnt vmcnt(0)
	v_add_u32_e32 v53, s73, v4
	v_cmp_gt_u32_e32 vcc, 48, v53
	s_mov_b64 s[18:19], exec
	s_and_b64 s[6:7], s[18:19], vcc
	v_mov_b32_e32 v78, v33
	s_mov_b64 exec, s[6:7]
	s_cbranch_execz .LBB307_48
; %bb.42:                               ;   in Loop: Header=BB307_7 Depth=1
	scratch_load_dwordx2 v[32:33], off, off offset:136 ; 8-byte Folded Reload
	v_cmp_eq_u32_e64 s[8:9], 1, v78
	v_cmp_eq_u32_e64 s[10:11], 0, v78
	v_cmp_eq_u32_e32 vcc, 3, v78
	s_waitcnt lgkmcnt(2)
	v_cndmask_b32_e64 v4, v69, v10, s[8:9]
	s_waitcnt lgkmcnt(1)
	v_cndmask_b32_e64 v6, v65, v17, s[8:9]
	v_cndmask_b32_e64 v28, v61, v58, s[8:9]
	;; [unrolled: 1-line block ×3, first 2 shown]
	s_waitcnt lgkmcnt(0)
	v_cndmask_b32_e64 v57, v74, v67, s[8:9]
	v_cndmask_b32_e64 v65, v48, v71, s[8:9]
	s_mul_i32 s8, s71, s21
	s_ashr_i32 s9, s8, 31
	s_lshl_b64 s[8:9], s[8:9], 1
	v_cndmask_b32_e64 v5, v70, v10, s[10:11]
	v_cndmask_b32_e64 v7, v66, v17, s[10:11]
	;; [unrolled: 1-line block ×6, first 2 shown]
	s_add_u32 s10, s40, s8
	s_addc_u32 s11, s41, s9
	s_ashr_i32 s49, s48, 31
	v_cvt_f16_f32_e32 v5, v5
	v_cvt_f16_f32_sdwa v4, v4 dst_sel:WORD_1 dst_unused:UNUSED_PAD src0_sel:DWORD
	v_cvt_f16_f32_e32 v7, v7
	v_cvt_f16_f32_sdwa v6, v6 dst_sel:WORD_1 dst_unused:UNUSED_PAD src0_sel:DWORD
	s_lshl_b64 s[8:9], s[48:49], 1
	s_add_u32 s54, s10, s8
	s_addc_u32 s55, s11, s9
	v_or_b32_e32 v4, v4, v5
	v_or_b32_e32 v6, v6, v7
	v_cvt_f16_f32_sdwa v7, v28 dst_sel:WORD_1 dst_unused:UNUSED_PAD src0_sel:DWORD
	v_cvt_f16_f32_e32 v28, v31
	v_cmp_eq_u32_e64 s[6:7], 2, v78
	v_cmp_gt_u32_e64 s[8:9], 46, v53
	s_waitcnt vmcnt(0)
	v_lshl_add_u64 v[48:49], v[32:33], 1, s[54:55]
	;;#ASMSTART
	global_atomic_pk_add_f16 v[48:49], v4, off
	
	;;#ASMEND
	v_lshl_add_u64 v[4:5], v[48:49], 0, 32
	;;#ASMSTART
	global_atomic_pk_add_f16 v[4:5], v6, off
	
	;;#ASMEND
	v_cvt_f16_f32_e32 v6, v29
	v_cvt_f16_f32_sdwa v29, v30 dst_sel:WORD_1 dst_unused:UNUSED_PAD src0_sel:DWORD
	v_lshl_add_u64 v[4:5], v[48:49], 0, 64
	v_or_b32_e32 v6, v7, v6
	;;#ASMSTART
	global_atomic_pk_add_f16 v[4:5], v6, off
	
	;;#ASMEND
	v_or_b32_e32 v6, v29, v28
	v_lshl_add_u64 v[4:5], v[48:49], 0, s[30:31]
	;;#ASMSTART
	global_atomic_pk_add_f16 v[4:5], v6, off
	
	;;#ASMEND
	v_cvt_f16_f32_e32 v6, v61
	v_cvt_f16_f32_sdwa v7, v57 dst_sel:WORD_1 dst_unused:UNUSED_PAD src0_sel:DWORD
	v_cvt_f16_f32_e32 v28, v66
	v_cvt_f16_f32_sdwa v29, v65 dst_sel:WORD_1 dst_unused:UNUSED_PAD src0_sel:DWORD
	v_lshl_add_u64 v[4:5], v[48:49], 0, s[34:35]
	v_or_b32_e32 v6, v7, v6
	;;#ASMSTART
	global_atomic_pk_add_f16 v[4:5], v6, off
	
	;;#ASMEND
	v_lshl_add_u64 v[4:5], v[48:49], 0, s[44:45]
	v_or_b32_e32 v6, v29, v28
	;;#ASMSTART
	global_atomic_pk_add_f16 v[4:5], v6, off
	
	;;#ASMEND
	s_and_b64 exec, exec, s[8:9]
	s_cbranch_execz .LBB307_48
; %bb.43:                               ;   in Loop: Header=BB307_7 Depth=1
	v_cndmask_b32_e32 v4, v8, v10, vcc
	v_cndmask_b32_e64 v5, v9, v10, s[6:7]
	v_cndmask_b32_e32 v8, v22, v58, vcc
	v_cndmask_b32_e64 v9, v23, v58, s[6:7]
	v_cvt_f16_f32_e32 v22, v5
	v_cvt_f16_f32_sdwa v23, v4 dst_sel:WORD_1 dst_unused:UNUSED_PAD src0_sel:DWORD
	v_cndmask_b32_e32 v6, v11, v17, vcc
	v_cndmask_b32_e64 v7, v16, v17, s[6:7]
	v_cvt_f16_f32_e32 v9, v9
	v_or_b32_e32 v22, v23, v22
	v_cvt_f16_f32_sdwa v8, v8 dst_sel:WORD_1 dst_unused:UNUSED_PAD src0_sel:DWORD
	v_lshl_add_u64 v[4:5], s[28:29], 2, v[48:49]
	;;#ASMSTART
	global_atomic_pk_add_f16 v[4:5], v22, off
	
	;;#ASMEND
	v_cvt_f16_f32_e32 v22, v7
	v_cvt_f16_f32_sdwa v23, v6 dst_sel:WORD_1 dst_unused:UNUSED_PAD src0_sel:DWORD
	v_cndmask_b32_e32 v10, v59, v54, vcc
	v_cndmask_b32_e64 v11, v62, v54, s[6:7]
	v_lshl_add_u64 v[6:7], v[4:5], 0, 32
	v_or_b32_e32 v8, v8, v9
	v_or_b32_e32 v22, v23, v22
	;;#ASMSTART
	global_atomic_pk_add_f16 v[6:7], v22, off
	
	;;#ASMEND
	v_lshl_add_u64 v[6:7], v[4:5], 0, 64
	;;#ASMSTART
	global_atomic_pk_add_f16 v[6:7], v8, off
	
	;;#ASMEND
	v_cvt_f16_f32_e32 v8, v11
	v_cvt_f16_f32_sdwa v9, v10 dst_sel:WORD_1 dst_unused:UNUSED_PAD src0_sel:DWORD
	v_lshl_add_u64 v[6:7], v[4:5], 0, s[30:31]
	v_cndmask_b32_e64 v29, v51, v71, s[6:7]
	v_cndmask_b32_e32 v16, v55, v67, vcc
	v_or_b32_e32 v8, v9, v8
	;;#ASMSTART
	global_atomic_pk_add_f16 v[6:7], v8, off
	
	;;#ASMEND
	scratch_load_dword v35, off, off offset:96 ; 4-byte Folded Reload
	scratch_load_dword v51, off, off offset:104 ; 4-byte Folded Reload
	v_cndmask_b32_e64 v17, v63, v67, s[6:7]
	v_cvt_f16_f32_e32 v10, v17
	v_cvt_f16_f32_sdwa v11, v16 dst_sel:WORD_1 dst_unused:UNUSED_PAD src0_sel:DWORD
	v_cndmask_b32_e32 v28, v50, v71, vcc
	v_lshl_add_u64 v[6:7], v[4:5], 0, s[34:35]
	v_cvt_f16_f32_e32 v49, v29
	v_or_b32_e32 v22, v11, v10
	;;#ASMSTART
	global_atomic_pk_add_f16 v[6:7], v22, off
	
	;;#ASMEND
	v_cvt_f16_f32_sdwa v50, v28 dst_sel:WORD_1 dst_unused:UNUSED_PAD src0_sel:DWORD
	scratch_load_dwordx4 v[28:31], off, off offset:32 ; 16-byte Folded Reload
	v_mov_b32_e32 v77, v76
	v_mov_b32_e32 v8, v76
	;; [unrolled: 1-line block ×3, first 2 shown]
	v_pk_mul_f32 v[16:17], v[76:77], v[44:45]
	v_pk_mul_f32 v[10:11], v[8:9], v[46:47]
	v_mov_b32_e32 v69, v68
	v_lshl_add_u64 v[44:45], v[4:5], 0, s[44:45]
	v_mov_b32_e32 v4, v68
	v_mov_b32_e32 v5, v68
	v_pk_mul_f32 v[6:7], v[68:69], v[40:41]
	v_pk_mul_f32 v[4:5], v[4:5], v[42:43]
	v_mov_b32_e32 v65, v64
	v_mov_b32_e32 v61, v60
	v_cmp_eq_u32_e64 s[12:13], 1, v78
	v_cmp_eq_u32_e64 s[14:15], 2, v78
	;; [unrolled: 1-line block ×3, first 2 shown]
	v_mov_b32_e32 v57, v56
	v_mov_b32_e32 v53, v52
	s_waitcnt vmcnt(2)
	v_cmp_eq_u32_e64 s[8:9], 1, v35
	s_nop 1
	v_cndmask_b32_e64 v8, v16, v17, s[8:9]
	v_cmp_eq_u32_e32 vcc, 2, v35
	v_cmp_eq_u32_e64 s[6:7], 3, v35
	v_cmp_eq_u32_e64 s[10:11], 0, v35
	v_cndmask_b32_e32 v8, v8, v10, vcc
	v_cndmask_b32_e64 v8, v8, v11, s[6:7]
	s_waitcnt vmcnt(1)
	ds_bpermute_b32 v23, v51, v8
	s_waitcnt lgkmcnt(0)
	v_cndmask_b32_e64 v8, v11, v23, s[6:7]
	v_cndmask_b32_e64 v11, v6, v7, s[8:9]
	v_cndmask_b32_e32 v11, v11, v4, vcc
	v_cndmask_b32_e64 v11, v11, v5, s[6:7]
	v_cndmask_b32_e64 v46, v17, v23, s[8:9]
	ds_bpermute_b32 v17, v51, v11
	v_cndmask_b32_e64 v47, v16, v23, s[10:11]
	v_cndmask_b32_e32 v9, v10, v23, vcc
	v_cndmask_b32_e64 v10, v47, v46, s[12:13]
	v_cndmask_b32_e64 v10, v10, v9, s[14:15]
	s_waitcnt lgkmcnt(0)
	v_cndmask_b32_e64 v11, v5, v17, s[6:7]
	v_cndmask_b32_e32 v16, v4, v17, vcc
	v_cndmask_b32_e64 v40, v7, v17, s[8:9]
	v_cndmask_b32_e64 v41, v6, v17, s[10:11]
	v_mov_b32_e32 v4, v64
	v_mov_b32_e32 v5, v64
	s_waitcnt vmcnt(0)
	v_pk_mul_f32 v[6:7], v[64:65], v[28:29]
	v_pk_mul_f32 v[4:5], v[4:5], v[30:31]
	v_cndmask_b32_e64 v17, v6, v7, s[8:9]
	v_cndmask_b32_e32 v17, v17, v4, vcc
	v_cndmask_b32_e64 v17, v17, v5, s[6:7]
	ds_bpermute_b32 v28, v51, v17
	v_cndmask_b32_e64 v17, v41, v40, s[12:13]
	v_cndmask_b32_e64 v17, v17, v16, s[14:15]
	;; [unrolled: 1-line block ×4, first 2 shown]
	s_waitcnt lgkmcnt(0)
	v_cndmask_b32_e64 v22, v5, v28, s[6:7]
	v_cndmask_b32_e32 v23, v4, v28, vcc
	v_cndmask_b32_e64 v36, v7, v28, s[8:9]
	v_cndmask_b32_e64 v37, v6, v28, s[10:11]
	scratch_load_dwordx4 v[28:31], off, off offset:16 ; 16-byte Folded Reload
	v_mov_b32_e32 v4, v60
	v_mov_b32_e32 v5, v60
	ds_bpermute_b32 v10, v51, v10
	ds_bpermute_b32 v17, v51, v17
	s_waitcnt vmcnt(0)
	v_pk_mul_f32 v[6:7], v[60:61], v[28:29]
	v_pk_mul_f32 v[4:5], v[4:5], v[30:31]
	v_cndmask_b32_e64 v28, v6, v7, s[8:9]
	v_cndmask_b32_e32 v28, v28, v4, vcc
	v_cndmask_b32_e64 v28, v28, v5, s[6:7]
	ds_bpermute_b32 v28, v51, v28
	v_cndmask_b32_e64 v29, v37, v36, s[12:13]
	v_cndmask_b32_e64 v29, v29, v23, s[14:15]
	;; [unrolled: 1-line block ×3, first 2 shown]
	ds_bpermute_b32 v32, v51, v29
	s_waitcnt lgkmcnt(1)
	v_cndmask_b32_e64 v33, v5, v28, s[6:7]
	v_cndmask_b32_e32 v34, v4, v28, vcc
	v_cndmask_b32_e64 v38, v7, v28, s[8:9]
	v_cndmask_b32_e64 v39, v6, v28, s[10:11]
	scratch_load_dwordx4 v[28:31], off, off ; 16-byte Folded Reload
	v_mov_b32_e32 v4, v56
	v_mov_b32_e32 v5, v56
	s_waitcnt vmcnt(0)
	v_pk_mul_f32 v[6:7], v[56:57], v[28:29]
	v_pk_mul_f32 v[4:5], v[4:5], v[30:31]
	v_cndmask_b32_e64 v28, v6, v7, s[8:9]
	v_cndmask_b32_e32 v28, v28, v4, vcc
	v_cndmask_b32_e64 v28, v28, v5, s[6:7]
	ds_bpermute_b32 v31, v51, v28
	v_cndmask_b32_e64 v28, v39, v38, s[12:13]
	v_cndmask_b32_e64 v28, v28, v34, s[14:15]
	;; [unrolled: 1-line block ×3, first 2 shown]
	ds_bpermute_b32 v28, v51, v28
	s_waitcnt lgkmcnt(1)
	v_cndmask_b32_e64 v29, v5, v31, s[6:7]
	v_cndmask_b32_e32 v30, v4, v31, vcc
	v_cndmask_b32_e64 v43, v7, v31, s[8:9]
	v_cndmask_b32_e64 v48, v6, v31, s[10:11]
	v_mov_b32_e32 v4, v52
	v_mov_b32_e32 v5, v52
	v_pk_mul_f32 v[6:7], v[52:53], v[24:25]
	v_pk_mul_f32 v[4:5], v[4:5], v[26:27]
	v_cndmask_b32_e64 v24, v6, v7, s[8:9]
	v_cndmask_b32_e32 v24, v24, v4, vcc
	v_cndmask_b32_e64 v24, v24, v5, s[6:7]
	ds_bpermute_b32 v25, v51, v24
	v_cndmask_b32_e64 v24, v48, v43, s[12:13]
	v_cndmask_b32_e64 v24, v24, v30, s[14:15]
	;; [unrolled: 1-line block ×3, first 2 shown]
	ds_bpermute_b32 v31, v51, v24
	s_waitcnt lgkmcnt(1)
	v_cndmask_b32_e32 v27, v4, v25, vcc
	v_cmp_ne_u32_e32 vcc, 0, v35
	v_cndmask_b32_e64 v26, v5, v25, s[6:7]
	s_nop 0
	v_cndmask_b32_e32 v24, v7, v25, vcc
	v_cndmask_b32_e64 v25, v6, v25, s[10:11]
	v_cndmask_b32_e64 v4, v25, v24, s[12:13]
	;; [unrolled: 1-line block ×4, first 2 shown]
	ds_bpermute_b32 v35, v51, v4
	v_or_b32_e32 v4, v50, v49
	;;#ASMSTART
	global_atomic_pk_add_f16 v[44:45], v4, off
	
	;;#ASMEND
	scratch_load_dword v4, off, off offset:100 ; 4-byte Folded Reload
	s_waitcnt vmcnt(0)
	v_or_b32_e32 v4, 16, v4
	v_add_u32_e32 v42, s73, v4
	v_cmp_gt_u32_e32 vcc, 48, v42
	s_and_b64 exec, exec, vcc
	s_cbranch_execz .LBB307_48
; %bb.44:                               ;   in Loop: Header=BB307_7 Depth=1
	v_cmp_eq_u32_e64 s[8:9], 1, v78
	v_cmp_eq_u32_e64 s[10:11], 0, v78
	v_cmp_eq_u32_e32 vcc, 3, v78
	v_cndmask_b32_e64 v6, v40, v17, s[8:9]
	s_waitcnt lgkmcnt(1)
	v_cndmask_b32_e64 v40, v43, v31, s[8:9]
	s_waitcnt lgkmcnt(0)
	v_cndmask_b32_e64 v43, v24, v35, s[8:9]
	v_cndmask_b32_e64 v44, v25, v35, s[10:11]
	scratch_load_dwordx2 v[24:25], off, off offset:144 ; 8-byte Folded Reload
	v_cndmask_b32_e64 v4, v46, v10, s[8:9]
	v_cndmask_b32_e64 v5, v47, v10, s[10:11]
	;; [unrolled: 1-line block ×3, first 2 shown]
	v_cvt_f16_f32_e32 v5, v5
	v_cvt_f16_f32_sdwa v4, v4 dst_sel:WORD_1 dst_unused:UNUSED_PAD src0_sel:DWORD
	v_cvt_f16_f32_e32 v7, v7
	v_cvt_f16_f32_sdwa v6, v6 dst_sel:WORD_1 dst_unused:UNUSED_PAD src0_sel:DWORD
	v_cndmask_b32_e64 v36, v36, v32, s[8:9]
	v_cndmask_b32_e64 v37, v37, v32, s[10:11]
	v_or_b32_e32 v4, v4, v5
	v_or_b32_e32 v6, v6, v7
	v_cndmask_b32_e64 v38, v38, v28, s[8:9]
	v_cndmask_b32_e64 v39, v39, v28, s[10:11]
	v_cvt_f16_f32_sdwa v7, v36 dst_sel:WORD_1 dst_unused:UNUSED_PAD src0_sel:DWORD
	v_cvt_f16_f32_e32 v36, v39
	v_cndmask_b32_e64 v41, v48, v31, s[10:11]
	v_cmp_eq_u32_e64 s[6:7], 2, v78
	v_cmp_gt_u32_e64 s[8:9], 46, v42
	s_waitcnt vmcnt(0)
	v_lshl_add_u64 v[24:25], v[24:25], 1, s[54:55]
	;;#ASMSTART
	global_atomic_pk_add_f16 v[24:25], v4, off
	
	;;#ASMEND
	v_lshl_add_u64 v[4:5], v[24:25], 0, 32
	;;#ASMSTART
	global_atomic_pk_add_f16 v[4:5], v6, off
	
	;;#ASMEND
	v_cvt_f16_f32_e32 v6, v37
	v_cvt_f16_f32_sdwa v37, v38 dst_sel:WORD_1 dst_unused:UNUSED_PAD src0_sel:DWORD
	v_lshl_add_u64 v[4:5], v[24:25], 0, 64
	v_or_b32_e32 v6, v7, v6
	;;#ASMSTART
	global_atomic_pk_add_f16 v[4:5], v6, off
	
	;;#ASMEND
	v_or_b32_e32 v6, v37, v36
	v_lshl_add_u64 v[4:5], v[24:25], 0, s[30:31]
	;;#ASMSTART
	global_atomic_pk_add_f16 v[4:5], v6, off
	
	;;#ASMEND
	v_cvt_f16_f32_e32 v6, v41
	v_cvt_f16_f32_sdwa v7, v40 dst_sel:WORD_1 dst_unused:UNUSED_PAD src0_sel:DWORD
	v_cvt_f16_f32_e32 v36, v44
	v_cvt_f16_f32_sdwa v37, v43 dst_sel:WORD_1 dst_unused:UNUSED_PAD src0_sel:DWORD
	v_lshl_add_u64 v[4:5], v[24:25], 0, s[34:35]
	v_or_b32_e32 v6, v7, v6
	;;#ASMSTART
	global_atomic_pk_add_f16 v[4:5], v6, off
	
	;;#ASMEND
	v_lshl_add_u64 v[4:5], v[24:25], 0, s[44:45]
	v_or_b32_e32 v6, v37, v36
	;;#ASMSTART
	global_atomic_pk_add_f16 v[4:5], v6, off
	
	;;#ASMEND
	s_and_b64 exec, exec, s[8:9]
	s_cbranch_execz .LBB307_48
; %bb.45:                               ;   in Loop: Header=BB307_7 Depth=1
	v_cndmask_b32_e32 v4, v8, v10, vcc
	v_cndmask_b32_e64 v5, v9, v10, s[6:7]
	v_cndmask_b32_e32 v8, v22, v32, vcc
	v_cndmask_b32_e64 v9, v23, v32, s[6:7]
	v_cvt_f16_f32_e32 v22, v5
	v_cvt_f16_f32_sdwa v23, v4 dst_sel:WORD_1 dst_unused:UNUSED_PAD src0_sel:DWORD
	v_cndmask_b32_e32 v6, v11, v17, vcc
	v_cndmask_b32_e64 v7, v16, v17, s[6:7]
	v_cvt_f16_f32_e32 v9, v9
	v_or_b32_e32 v22, v23, v22
	v_cvt_f16_f32_sdwa v8, v8 dst_sel:WORD_1 dst_unused:UNUSED_PAD src0_sel:DWORD
	v_lshl_add_u64 v[4:5], s[28:29], 2, v[24:25]
	;;#ASMSTART
	global_atomic_pk_add_f16 v[4:5], v22, off
	
	;;#ASMEND
	v_cvt_f16_f32_e32 v22, v7
	v_cvt_f16_f32_sdwa v23, v6 dst_sel:WORD_1 dst_unused:UNUSED_PAD src0_sel:DWORD
	v_cndmask_b32_e32 v10, v33, v28, vcc
	v_cndmask_b32_e64 v11, v34, v28, s[6:7]
	v_lshl_add_u64 v[6:7], v[4:5], 0, 32
	v_or_b32_e32 v8, v8, v9
	v_or_b32_e32 v22, v23, v22
	;;#ASMSTART
	global_atomic_pk_add_f16 v[6:7], v22, off
	
	;;#ASMEND
	v_lshl_add_u64 v[6:7], v[4:5], 0, 64
	;;#ASMSTART
	global_atomic_pk_add_f16 v[6:7], v8, off
	
	;;#ASMEND
	v_cvt_f16_f32_e32 v8, v11
	v_cvt_f16_f32_sdwa v9, v10 dst_sel:WORD_1 dst_unused:UNUSED_PAD src0_sel:DWORD
	v_lshl_add_u64 v[6:7], v[4:5], 0, s[30:31]
	v_cndmask_b32_e32 v16, v29, v31, vcc
	v_cndmask_b32_e64 v17, v30, v31, s[6:7]
	v_or_b32_e32 v8, v9, v8
	;;#ASMSTART
	global_atomic_pk_add_f16 v[6:7], v8, off
	
	;;#ASMEND
	scratch_load_dword v40, off, off offset:96 ; 4-byte Folded Reload
	scratch_load_dword v41, off, off offset:104 ; 4-byte Folded Reload
	v_cvt_f16_f32_e32 v10, v17
	v_cvt_f16_f32_sdwa v11, v16 dst_sel:WORD_1 dst_unused:UNUSED_PAD src0_sel:DWORD
	v_cndmask_b32_e32 v26, v26, v35, vcc
	v_cndmask_b32_e64 v27, v27, v35, s[6:7]
	v_lshl_add_u64 v[6:7], v[4:5], 0, s[34:35]
	v_or_b32_e32 v16, v11, v10
	;;#ASMSTART
	global_atomic_pk_add_f16 v[6:7], v16, off
	
	;;#ASMEND
	v_cvt_f16_f32_e32 v38, v27
	v_cvt_f16_f32_sdwa v39, v26 dst_sel:WORD_1 dst_unused:UNUSED_PAD src0_sel:DWORD
	scratch_load_dwordx4 v[24:27], off, off offset:80 ; 16-byte Folded Reload
	scratch_load_dwordx4 v[30:33], off, off offset:64 ; 16-byte Folded Reload
	scratch_load_dwordx4 v[34:37], off, off offset:48 ; 16-byte Folded Reload
	v_mov_b32_e32 v8, v76
	v_mov_b32_e32 v9, v76
	v_pk_mul_f32 v[10:11], v[76:77], v[124:125]
	v_pk_mul_f32 v[8:9], v[8:9], v[126:127]
	v_cmp_eq_u32_e64 s[12:13], 1, v78
	v_cmp_eq_u32_e64 s[14:15], 2, v78
	;; [unrolled: 1-line block ×3, first 2 shown]
	v_lshl_add_u64 v[4:5], v[4:5], 0, s[44:45]
	s_waitcnt vmcnt(4)
	v_cmp_eq_u32_e64 s[8:9], 1, v40
	s_nop 1
	v_cndmask_b32_e64 v17, v10, v11, s[8:9]
	v_cmp_eq_u32_e32 vcc, 2, v40
	v_cmp_eq_u32_e64 s[6:7], 3, v40
	v_cmp_eq_u32_e64 s[10:11], 0, v40
	v_cndmask_b32_e32 v17, v17, v8, vcc
	v_cndmask_b32_e64 v17, v17, v9, s[6:7]
	s_waitcnt vmcnt(3)
	ds_bpermute_b32 v17, v41, v17
	s_waitcnt vmcnt(2)
	v_pk_mul_f32 v[24:25], v[64:65], v[24:25]
	s_waitcnt lgkmcnt(0)
	v_cndmask_b32_e64 v6, v9, v17, s[6:7]
	v_cndmask_b32_e32 v7, v8, v17, vcc
	v_cndmask_b32_e64 v16, v11, v17, s[8:9]
	v_cndmask_b32_e64 v17, v10, v17, s[10:11]
	v_mov_b32_e32 v8, v68
	v_mov_b32_e32 v9, v68
	v_pk_mul_f32 v[10:11], v[68:69], v[0:1]
	v_pk_mul_f32 v[8:9], v[8:9], v[2:3]
	v_cndmask_b32_e64 v0, v10, v11, s[8:9]
	v_cndmask_b32_e32 v0, v0, v8, vcc
	v_cndmask_b32_e64 v0, v0, v9, s[6:7]
	ds_bpermute_b32 v1, v41, v0
	v_cndmask_b32_e64 v22, v17, v16, s[12:13]
	v_cndmask_b32_e64 v0, v22, v7, s[14:15]
	v_cndmask_b32_e64 v0, v0, v6, s[16:17]
	ds_bpermute_b32 v2, v41, v0
	s_waitcnt lgkmcnt(1)
	v_cndmask_b32_e64 v3, v9, v1, s[6:7]
	v_cndmask_b32_e32 v8, v8, v1, vcc
	v_cndmask_b32_e64 v0, v11, v1, s[8:9]
	v_cndmask_b32_e64 v1, v10, v1, s[10:11]
	v_mov_b32_e32 v10, v64
	v_mov_b32_e32 v11, v64
	v_pk_mul_f32 v[22:23], v[10:11], v[26:27]
	v_cndmask_b32_e64 v9, v24, v25, s[8:9]
	v_cndmask_b32_e32 v9, v9, v22, vcc
	v_cndmask_b32_e64 v9, v9, v23, s[6:7]
	ds_bpermute_b32 v26, v41, v9
	s_waitcnt vmcnt(0)
	v_pk_mul_f32 v[34:35], v[56:57], v[34:35]
	v_cndmask_b32_e64 v9, v1, v0, s[12:13]
	v_cndmask_b32_e64 v9, v9, v8, s[14:15]
	;; [unrolled: 1-line block ×3, first 2 shown]
	s_waitcnt lgkmcnt(0)
	v_cndmask_b32_e64 v10, v23, v26, s[6:7]
	v_cndmask_b32_e32 v11, v22, v26, vcc
	v_cndmask_b32_e64 v28, v25, v26, s[8:9]
	v_cndmask_b32_e64 v29, v24, v26, s[10:11]
	v_mov_b32_e32 v22, v60
	v_mov_b32_e32 v23, v60
	v_pk_mul_f32 v[26:27], v[60:61], v[30:31]
	v_pk_mul_f32 v[24:25], v[22:23], v[32:33]
	v_cndmask_b32_e64 v22, v26, v27, s[8:9]
	v_cndmask_b32_e32 v22, v22, v24, vcc
	v_cndmask_b32_e64 v22, v22, v25, s[6:7]
	ds_bpermute_b32 v31, v41, v22
	v_cndmask_b32_e64 v22, v29, v28, s[12:13]
	v_cndmask_b32_e64 v22, v22, v11, s[14:15]
	;; [unrolled: 1-line block ×3, first 2 shown]
	ds_bpermute_b32 v9, v41, v9
	s_waitcnt lgkmcnt(1)
	v_cndmask_b32_e64 v23, v25, v31, s[6:7]
	v_cndmask_b32_e32 v24, v24, v31, vcc
	v_cndmask_b32_e64 v30, v27, v31, s[8:9]
	v_cndmask_b32_e64 v31, v26, v31, s[10:11]
	v_mov_b32_e32 v26, v56
	v_mov_b32_e32 v27, v56
	v_pk_mul_f32 v[32:33], v[26:27], v[36:37]
	v_cndmask_b32_e64 v25, v34, v35, s[8:9]
	v_cndmask_b32_e32 v25, v25, v32, vcc
	v_cndmask_b32_e64 v25, v25, v33, s[6:7]
	ds_bpermute_b32 v36, v41, v25
	v_cndmask_b32_e64 v25, v31, v30, s[12:13]
	v_cndmask_b32_e64 v25, v25, v24, s[14:15]
	v_cndmask_b32_e64 v25, v25, v23, s[16:17]
	ds_bpermute_b32 v22, v41, v22
	s_waitcnt lgkmcnt(1)
	v_cndmask_b32_e64 v26, v33, v36, s[6:7]
	v_cndmask_b32_e32 v27, v32, v36, vcc
	v_cndmask_b32_e64 v32, v35, v36, s[8:9]
	v_cndmask_b32_e64 v33, v34, v36, s[10:11]
	v_mov_b32_e32 v34, v52
	v_mov_b32_e32 v35, v52
	v_pk_mul_f32 v[36:37], v[52:53], v[12:13]
	v_pk_mul_f32 v[14:15], v[34:35], v[14:15]
	v_cndmask_b32_e64 v12, v36, v37, s[8:9]
	v_cndmask_b32_e32 v12, v12, v14, vcc
	v_cndmask_b32_e64 v12, v12, v15, s[6:7]
	ds_bpermute_b32 v35, v41, v12
	v_cndmask_b32_e64 v12, v33, v32, s[12:13]
	v_cndmask_b32_e64 v12, v12, v27, s[14:15]
	;; [unrolled: 1-line block ×3, first 2 shown]
	ds_bpermute_b32 v25, v41, v25
	s_waitcnt lgkmcnt(1)
	v_cndmask_b32_e32 v14, v14, v35, vcc
	v_cmp_ne_u32_e32 vcc, 0, v40
	v_cndmask_b32_e64 v13, v15, v35, s[6:7]
	ds_bpermute_b32 v12, v41, v12
	v_cndmask_b32_e32 v34, v37, v35, vcc
	v_cndmask_b32_e64 v35, v36, v35, s[10:11]
	v_or_b32_e32 v36, v39, v38
	;;#ASMSTART
	global_atomic_pk_add_f16 v[4:5], v36, off
	
	;;#ASMEND
	scratch_load_dword v4, off, off offset:100 ; 4-byte Folded Reload
	v_cndmask_b32_e64 v15, v35, v34, s[12:13]
	v_cndmask_b32_e64 v15, v15, v14, s[14:15]
	;; [unrolled: 1-line block ×3, first 2 shown]
	ds_bpermute_b32 v15, v41, v15
	s_waitcnt vmcnt(0)
	v_or_b32_e32 v4, 32, v4
	v_add_u32_e32 v4, s73, v4
	v_cmp_gt_u32_e32 vcc, 48, v4
	s_and_b64 exec, exec, vcc
	s_cbranch_execz .LBB307_48
; %bb.46:                               ;   in Loop: Header=BB307_7 Depth=1
	v_cmp_eq_u32_e64 s[8:9], 1, v78
	v_cmp_eq_u32_e64 s[10:11], 0, v78
	v_cmp_eq_u32_e32 vcc, 3, v78
	v_cndmask_b32_e64 v5, v16, v2, s[8:9]
	v_cndmask_b32_e64 v16, v17, v2, s[10:11]
	;; [unrolled: 1-line block ×4, first 2 shown]
	scratch_load_dwordx2 v[0:1], off, off offset:152 ; 8-byte Folded Reload
	v_cvt_f16_f32_e32 v16, v16
	v_cvt_f16_f32_sdwa v5, v5 dst_sel:WORD_1 dst_unused:UNUSED_PAD src0_sel:DWORD
	v_cvt_f16_f32_e32 v36, v36
	v_cvt_f16_f32_sdwa v37, v17 dst_sel:WORD_1 dst_unused:UNUSED_PAD src0_sel:DWORD
	v_cndmask_b32_e64 v28, v28, v22, s[8:9]
	v_or_b32_e32 v5, v5, v16
	v_cndmask_b32_e64 v29, v29, v22, s[10:11]
	s_waitcnt lgkmcnt(2)
	v_cndmask_b32_e64 v30, v30, v25, s[8:9]
	v_cndmask_b32_e64 v31, v31, v25, s[10:11]
	v_cvt_f16_f32_sdwa v28, v28 dst_sel:WORD_1 dst_unused:UNUSED_PAD src0_sel:DWORD
	v_cvt_f16_f32_sdwa v30, v30 dst_sel:WORD_1 dst_unused:UNUSED_PAD src0_sel:DWORD
	s_waitcnt lgkmcnt(1)
	v_cndmask_b32_e64 v32, v32, v12, s[8:9]
	v_cndmask_b32_e64 v33, v33, v12, s[10:11]
	s_waitcnt lgkmcnt(0)
	v_cndmask_b32_e64 v34, v34, v15, s[8:9]
	v_cndmask_b32_e64 v35, v35, v15, s[10:11]
	v_cmp_eq_u32_e64 s[6:7], 2, v78
	v_cmp_gt_u32_e64 s[8:9], 46, v4
	s_waitcnt vmcnt(0)
	v_lshl_add_u64 v[0:1], v[0:1], 1, s[54:55]
	;;#ASMSTART
	global_atomic_pk_add_f16 v[0:1], v5, off
	
	;;#ASMEND
	v_or_b32_e32 v5, v37, v36
	v_lshl_add_u64 v[16:17], v[0:1], 0, 32
	;;#ASMSTART
	global_atomic_pk_add_f16 v[16:17], v5, off
	
	;;#ASMEND
	v_cvt_f16_f32_e32 v5, v29
	v_cvt_f16_f32_e32 v29, v31
	v_lshl_add_u64 v[16:17], v[0:1], 0, 64
	v_or_b32_e32 v5, v28, v5
	;;#ASMSTART
	global_atomic_pk_add_f16 v[16:17], v5, off
	
	;;#ASMEND
	v_or_b32_e32 v5, v30, v29
	v_lshl_add_u64 v[16:17], v[0:1], 0, s[30:31]
	;;#ASMSTART
	global_atomic_pk_add_f16 v[16:17], v5, off
	
	;;#ASMEND
	v_cvt_f16_f32_e32 v5, v33
	v_cvt_f16_f32_sdwa v28, v32 dst_sel:WORD_1 dst_unused:UNUSED_PAD src0_sel:DWORD
	v_cvt_f16_f32_e32 v29, v35
	v_cvt_f16_f32_sdwa v30, v34 dst_sel:WORD_1 dst_unused:UNUSED_PAD src0_sel:DWORD
	v_lshl_add_u64 v[16:17], v[0:1], 0, s[34:35]
	v_or_b32_e32 v5, v28, v5
	;;#ASMSTART
	global_atomic_pk_add_f16 v[16:17], v5, off
	
	;;#ASMEND
	v_lshl_add_u64 v[16:17], v[0:1], 0, s[44:45]
	v_or_b32_e32 v5, v30, v29
	;;#ASMSTART
	global_atomic_pk_add_f16 v[16:17], v5, off
	
	;;#ASMEND
	s_and_b64 exec, exec, s[8:9]
	s_cbranch_execz .LBB307_48
; %bb.47:                               ;   in Loop: Header=BB307_7 Depth=1
	v_cndmask_b32_e32 v4, v6, v2, vcc
	v_cndmask_b32_e64 v2, v7, v2, s[6:7]
	v_cndmask_b32_e32 v3, v3, v9, vcc
	v_cndmask_b32_e64 v5, v8, v9, s[6:7]
	;; [unrolled: 2-line block ×5, first 2 shown]
	v_cvt_f16_f32_e32 v2, v2
	v_cvt_f16_f32_sdwa v4, v4 dst_sel:WORD_1 dst_unused:UNUSED_PAD src0_sel:DWORD
	v_cvt_f16_f32_e32 v5, v5
	v_cvt_f16_f32_sdwa v14, v3 dst_sel:WORD_1 dst_unused:UNUSED_PAD src0_sel:DWORD
	v_lshl_add_u64 v[0:1], s[28:29], 2, v[0:1]
	v_or_b32_e32 v2, v4, v2
	v_cndmask_b32_e32 v8, v23, v25, vcc
	v_or_b32_e32 v4, v14, v5
	v_cndmask_b32_e64 v9, v24, v25, s[6:7]
	;;#ASMSTART
	global_atomic_pk_add_f16 v[0:1], v2, off
	
	;;#ASMEND
	v_lshl_add_u64 v[2:3], v[0:1], 0, 32
	;;#ASMSTART
	global_atomic_pk_add_f16 v[2:3], v4, off
	
	;;#ASMEND
	v_cvt_f16_f32_e32 v4, v7
	v_cvt_f16_f32_sdwa v5, v6 dst_sel:WORD_1 dst_unused:UNUSED_PAD src0_sel:DWORD
	v_cvt_f16_f32_e32 v6, v9
	v_cvt_f16_f32_sdwa v7, v8 dst_sel:WORD_1 dst_unused:UNUSED_PAD src0_sel:DWORD
	v_lshl_add_u64 v[2:3], v[0:1], 0, 64
	v_or_b32_e32 v4, v5, v4
	;;#ASMSTART
	global_atomic_pk_add_f16 v[2:3], v4, off
	
	;;#ASMEND
	v_or_b32_e32 v4, v7, v6
	v_lshl_add_u64 v[2:3], v[0:1], 0, s[30:31]
	;;#ASMSTART
	global_atomic_pk_add_f16 v[2:3], v4, off
	
	;;#ASMEND
	v_cvt_f16_f32_e32 v4, v11
	v_cvt_f16_f32_sdwa v5, v10 dst_sel:WORD_1 dst_unused:UNUSED_PAD src0_sel:DWORD
	v_cvt_f16_f32_e32 v6, v13
	v_cvt_f16_f32_sdwa v7, v12 dst_sel:WORD_1 dst_unused:UNUSED_PAD src0_sel:DWORD
	v_lshl_add_u64 v[2:3], v[0:1], 0, s[34:35]
	v_or_b32_e32 v4, v5, v4
	;;#ASMSTART
	global_atomic_pk_add_f16 v[2:3], v4, off
	
	;;#ASMEND
	v_lshl_add_u64 v[0:1], v[0:1], 0, s[44:45]
	v_or_b32_e32 v2, v7, v6
	;;#ASMSTART
	global_atomic_pk_add_f16 v[0:1], v2, off
	
	;;#ASMEND
.LBB307_48:                             ;   in Loop: Header=BB307_7 Depth=1
	s_or_b64 exec, exec, s[18:19]
	s_waitcnt lgkmcnt(2)
	scratch_load_dword v25, off, off offset:108 ; 4-byte Folded Reload
	scratch_load_dwordx2 v[26:27], off, off offset:120 ; 8-byte Folded Reload
	v_subrev_u32_e32 v20, s74, v20
	v_mov_b32_e32 v33, v78
	v_mov_b32_e32 v38, v79
.LBB307_49:                             ;   in Loop: Header=BB307_7 Depth=1
	s_or_b64 exec, exec, s[52:53]
.LBB307_50:                             ;   in Loop: Header=BB307_7 Depth=1
	s_andn2_saveexec_b64 s[6:7], s[50:51]
	s_cbranch_execz .LBB307_59
; %bb.51:                               ;   in Loop: Header=BB307_7 Depth=1
	s_mul_i32 s16, s74, 6
	v_cmp_gt_i32_e32 vcc, s16, v20
	s_and_saveexec_b64 s[8:9], vcc
	s_cbranch_execz .LBB307_58
; %bb.52:                               ;   in Loop: Header=BB307_7 Depth=1
	scratch_load_dwordx2 v[0:1], off, off offset:128 ; 8-byte Folded Reload
	s_mul_i32 s10, s48, s23
	s_ashr_i32 s11, s10, 31
	s_waitcnt lgkmcnt(0)
	s_add_u32 s10, s38, s10
	s_addc_u32 s11, s39, s11
	s_ashr_i32 s12, s72, 31
	s_add_u32 s10, s10, s72
	s_addc_u32 s11, s11, s12
	s_waitcnt vmcnt(0)
	v_lshl_add_u64 v[0:1], s[10:11], 0, v[0:1]
	v_lshl_add_u64 v[16:17], v[0:1], 0, v[26:27]
	s_mov_b64 s[10:11], 0
	s_branch .LBB307_54
.LBB307_53:                             ;   in Loop: Header=BB307_54 Depth=2
	s_or_b64 exec, exec, s[12:13]
	v_lshl_or_b32 v23, v21, 12, v19
	;;#ASMSTART
	s_waitcnt vmcnt(3)
	;;#ASMEND
	ds_write2_b32 v23, v12, v13 offset1:32
	ds_write2_b32 v23, v14, v15 offset0:64 offset1:96
	v_add_u32_e32 v12, 0x400, v23
	;;#ASMSTART
	s_waitcnt vmcnt(2)
	;;#ASMEND
	ds_write2_b32 v12, v8, v9 offset1:32
	ds_write2_b32 v12, v10, v11 offset0:64 offset1:96
	v_add_u32_e32 v8, 0x800, v23
	;; [unrolled: 6-line block ×3, first 2 shown]
	v_add_u32_e32 v20, s26, v20
	;;#ASMSTART
	s_waitcnt vmcnt(0)
	;;#ASMEND
	ds_write2_b32 v4, v0, v1 offset1:32
	ds_write2_b32 v4, v2, v3 offset0:64 offset1:96
	v_add_u32_e32 v0, 1, v18
	v_add_u32_e32 v21, s26, v21
	v_cmp_le_i32_e32 vcc, s16, v20
	ds_write_b32 v22, v0 offset:12
	v_add_u32_e32 v0, 2, v18
	s_or_b64 s[10:11], vcc, s[10:11]
	v_cmp_lt_i32_e32 vcc, 5, v21
	s_nop 1
	v_cndmask_b32_e32 v18, v18, v0, vcc
	s_andn2_b64 exec, exec, s[10:11]
	s_cbranch_execz .LBB307_57
.LBB307_54:                             ;   Parent Loop BB307_7 Depth=1
                                        ; =>  This Loop Header: Depth=2
                                        ;       Child Loop BB307_56 Depth 3
	v_cmp_gt_i32_e32 vcc, 6, v21
	s_nop 1
	v_cndmask_b32_e64 v0, -6, 0, vcc
	v_add_u32_e32 v21, v0, v21
	v_mul_hi_i32 v0, v20, s58
	v_lshrrev_b32_e32 v1, 31, v0
	v_add_u32_e32 v0, v0, v1
	v_mul_lo_u32 v1, v0, 6
	v_sub_u32_e32 v2, v20, v1
	v_lshlrev_b32_e32 v0, 8, v0
	v_ashrrev_i32_e32 v1, 31, v0
	v_mul_lo_u32 v2, s63, v2
	v_lshl_add_u64 v[0:1], v[16:17], 0, v[0:1]
	v_ashrrev_i32_e32 v3, 31, v2
	v_lshl_add_u64 v[0:1], v[0:1], 0, v[2:3]
	v_lshlrev_b32_e32 v22, 2, v21
	;;#ASMSTART
	global_load_dwordx4 v[12:15], v[0:1], off offset:0    sc0 sc1 nt  
	global_load_dwordx4 v[8:11], v[0:1], off offset:64   sc0 sc1 nt  
	global_load_dwordx4 v[4:7], v[0:1], off offset:128  sc0 sc1 nt  
	global_load_dwordx4 v[0:3], v[0:1], off offset:192  sc0 sc1 nt  
	
	;;#ASMEND
	ds_read_b32 v23, v22 offset:36876
	v_add_u32_e32 v22, 0x9000, v22
	s_waitcnt lgkmcnt(0)
	v_cmp_ne_u32_e32 vcc, v23, v18
	s_and_saveexec_b64 s[12:13], vcc
	s_cbranch_execz .LBB307_53
; %bb.55:                               ;   in Loop: Header=BB307_54 Depth=2
	s_mov_b64 s[14:15], 0
.LBB307_56:                             ;   Parent Loop BB307_7 Depth=1
                                        ;     Parent Loop BB307_54 Depth=2
                                        ; =>    This Inner Loop Header: Depth=3
	;;#ASMSTART
	s_sleep 0
	;;#ASMEND
	ds_read_b32 v23, v22 offset:12
	s_waitcnt lgkmcnt(0)
	v_cmp_eq_u32_e32 vcc, v23, v18
	s_or_b64 s[14:15], vcc, s[14:15]
	s_andn2_b64 exec, exec, s[14:15]
	s_cbranch_execnz .LBB307_56
	s_branch .LBB307_53
.LBB307_57:                             ;   in Loop: Header=BB307_7 Depth=1
	s_or_b64 exec, exec, s[10:11]
.LBB307_58:                             ;   in Loop: Header=BB307_7 Depth=1
	s_or_b64 exec, exec, s[8:9]
	v_subrev_u32_e32 v20, s16, v20
.LBB307_59:                             ;   in Loop: Header=BB307_7 Depth=1
	s_or_b64 exec, exec, s[6:7]
.LBB307_60:                             ;   in Loop: Header=BB307_7 Depth=1
	s_andn2_saveexec_b64 s[6:7], s[46:47]
	s_cbranch_execz .LBB307_6
; %bb.61:                               ;   in Loop: Header=BB307_7 Depth=1
	s_mul_i32 s74, s74, 3
	v_cmp_gt_i32_e32 vcc, s74, v20
	s_and_saveexec_b64 s[8:9], vcc
	s_cbranch_execz .LBB307_5
; %bb.62:                               ;   in Loop: Header=BB307_7 Depth=1
	s_mul_i32 s71, s71, s22
	s_ashr_i32 s10, s71, 31
	s_waitcnt lgkmcnt(0)
	s_add_u32 s11, s36, s71
	v_add_u32_e32 v2, s73, v38
	s_addc_u32 s12, s37, s10
	s_ashr_i32 s13, s72, 31
	v_mul_lo_u32 v0, s22, v38
	v_cmp_gt_u32_e32 vcc, 48, v2
	s_add_u32 s10, s11, s72
	s_addc_u32 s11, s12, s13
	v_cndmask_b32_e32 v0, 0, v0, vcc
	v_ashrrev_i32_e32 v1, 31, v0
	v_lshl_add_u64 v[0:1], s[10:11], 0, v[0:1]
	s_waitcnt vmcnt(0)
	v_lshl_add_u64 v[16:17], v[0:1], 0, v[26:27]
	v_sub_u32_e32 v22, 47, v2
	s_mov_b64 s[10:11], 0
	s_branch .LBB307_64
.LBB307_63:                             ;   in Loop: Header=BB307_64 Depth=2
	s_or_b64 exec, exec, s[12:13]
	v_or_b32_e32 v24, 0x6000, v19
	v_lshl_add_u32 v24, v21, 12, v24
	;;#ASMSTART
	s_waitcnt vmcnt(3)
	;;#ASMEND
	ds_write2_b32 v24, v12, v13 offset1:32
	ds_write2_b32 v24, v14, v15 offset0:64 offset1:96
	v_add_u32_e32 v12, 0x400, v24
	;;#ASMSTART
	s_waitcnt vmcnt(2)
	;;#ASMEND
	ds_write2_b32 v12, v8, v9 offset1:32
	ds_write2_b32 v12, v10, v11 offset0:64 offset1:96
	v_add_u32_e32 v8, 0x800, v24
	;; [unrolled: 6-line block ×3, first 2 shown]
	v_add_u32_e32 v20, s25, v20
	;;#ASMSTART
	s_waitcnt vmcnt(0)
	;;#ASMEND
	ds_write2_b32 v4, v0, v1 offset1:32
	ds_write2_b32 v4, v2, v3 offset0:64 offset1:96
	v_add_u32_e32 v0, 1, v18
	v_add_u32_e32 v21, s25, v21
	v_cmp_le_i32_e32 vcc, s74, v20
	ds_write_b32 v23, v0
	v_add_u32_e32 v0, 2, v18
	s_or_b64 s[10:11], vcc, s[10:11]
	v_cmp_lt_i32_e32 vcc, 2, v21
	s_nop 1
	v_cndmask_b32_e32 v18, v18, v0, vcc
	s_andn2_b64 exec, exec, s[10:11]
	s_cbranch_execz .LBB307_4
.LBB307_64:                             ;   Parent Loop BB307_7 Depth=1
                                        ; =>  This Loop Header: Depth=2
                                        ;       Child Loop BB307_66 Depth 3
	v_cmp_gt_i32_e32 vcc, 3, v21
	s_nop 1
	v_cndmask_b32_e64 v0, -3, 0, vcc
	v_add_u32_e32 v21, v0, v21
	v_mul_hi_i32 v0, v20, s70
	v_lshrrev_b32_e32 v1, 31, v0
	v_add_u32_e32 v0, v0, v1
	v_lshl_add_u32 v1, v0, 1, v0
	v_sub_u32_e32 v1, v20, v1
	v_lshlrev_b32_e32 v1, 4, v1
	v_cmp_le_i32_e32 vcc, v1, v22
	v_lshlrev_b32_e32 v0, 8, v0
	v_lshlrev_b32_e32 v23, 2, v21
	v_cndmask_b32_e32 v2, 0, v1, vcc
	v_ashrrev_i32_e32 v1, 31, v0
	v_mul_lo_u32 v2, v2, s22
	v_lshl_add_u64 v[0:1], v[16:17], 0, v[0:1]
	v_ashrrev_i32_e32 v3, 31, v2
	v_lshl_add_u64 v[0:1], v[0:1], 0, v[2:3]
	;;#ASMSTART
	global_load_dwordx4 v[12:15], v[0:1], off offset:0    
	global_load_dwordx4 v[8:11], v[0:1], off offset:64   
	;; [unrolled: 1-line block ×4, first 2 shown]
	
	;;#ASMEND
	ds_read_b32 v24, v23 offset:36864
	v_add_u32_e32 v23, 0x9000, v23
	s_waitcnt lgkmcnt(0)
	v_cmp_ne_u32_e32 vcc, v24, v18
	s_and_saveexec_b64 s[12:13], vcc
	s_cbranch_execz .LBB307_63
; %bb.65:                               ;   in Loop: Header=BB307_64 Depth=2
	s_mov_b64 s[14:15], 0
.LBB307_66:                             ;   Parent Loop BB307_7 Depth=1
                                        ;     Parent Loop BB307_64 Depth=2
                                        ; =>    This Inner Loop Header: Depth=3
	;;#ASMSTART
	s_sleep 0
	;;#ASMEND
	ds_read_b32 v24, v23
	s_waitcnt lgkmcnt(0)
	v_cmp_eq_u32_e32 vcc, v24, v18
	s_or_b64 s[14:15], vcc, s[14:15]
	s_andn2_b64 exec, exec, s[14:15]
	s_cbranch_execnz .LBB307_66
	s_branch .LBB307_63
.LBB307_67:
	s_endpgm
	.section	.rodata,"a",@progbits
	.p2align	6, 0x0
	.amdhsa_kernel _Z19_skinny_gemm_kernelILi3ELi6ELi1ELi16ELi8EEvPKhS1_P6__halfPKfiiiiiiii
		.amdhsa_group_segment_fixed_size 36900
		.amdhsa_private_segment_fixed_size 164
		.amdhsa_kernarg_size 64
		.amdhsa_user_sgpr_count 2
		.amdhsa_user_sgpr_dispatch_ptr 0
		.amdhsa_user_sgpr_queue_ptr 0
		.amdhsa_user_sgpr_kernarg_segment_ptr 1
		.amdhsa_user_sgpr_dispatch_id 0
		.amdhsa_user_sgpr_kernarg_preload_length 0
		.amdhsa_user_sgpr_kernarg_preload_offset 0
		.amdhsa_user_sgpr_private_segment_size 0
		.amdhsa_uses_dynamic_stack 0
		.amdhsa_enable_private_segment 1
		.amdhsa_system_sgpr_workgroup_id_x 1
		.amdhsa_system_sgpr_workgroup_id_y 0
		.amdhsa_system_sgpr_workgroup_id_z 0
		.amdhsa_system_sgpr_workgroup_info 0
		.amdhsa_system_vgpr_workitem_id 0
		.amdhsa_next_free_vgpr 128
		.amdhsa_next_free_sgpr 75
		.amdhsa_accum_offset 128
		.amdhsa_reserve_vcc 1
		.amdhsa_float_round_mode_32 0
		.amdhsa_float_round_mode_16_64 0
		.amdhsa_float_denorm_mode_32 3
		.amdhsa_float_denorm_mode_16_64 3
		.amdhsa_dx10_clamp 1
		.amdhsa_ieee_mode 1
		.amdhsa_fp16_overflow 0
		.amdhsa_tg_split 0
		.amdhsa_exception_fp_ieee_invalid_op 0
		.amdhsa_exception_fp_denorm_src 0
		.amdhsa_exception_fp_ieee_div_zero 0
		.amdhsa_exception_fp_ieee_overflow 0
		.amdhsa_exception_fp_ieee_underflow 0
		.amdhsa_exception_fp_ieee_inexact 0
		.amdhsa_exception_int_div_zero 0
	.end_amdhsa_kernel
	.section	.text._Z19_skinny_gemm_kernelILi3ELi6ELi1ELi16ELi8EEvPKhS1_P6__halfPKfiiiiiiii,"axG",@progbits,_Z19_skinny_gemm_kernelILi3ELi6ELi1ELi16ELi8EEvPKhS1_P6__halfPKfiiiiiiii,comdat
.Lfunc_end307:
	.size	_Z19_skinny_gemm_kernelILi3ELi6ELi1ELi16ELi8EEvPKhS1_P6__halfPKfiiiiiiii, .Lfunc_end307-_Z19_skinny_gemm_kernelILi3ELi6ELi1ELi16ELi8EEvPKhS1_P6__halfPKfiiiiiiii
                                        ; -- End function
	.set _Z19_skinny_gemm_kernelILi3ELi6ELi1ELi16ELi8EEvPKhS1_P6__halfPKfiiiiiiii.num_vgpr, 128
	.set _Z19_skinny_gemm_kernelILi3ELi6ELi1ELi16ELi8EEvPKhS1_P6__halfPKfiiiiiiii.num_agpr, 0
	.set _Z19_skinny_gemm_kernelILi3ELi6ELi1ELi16ELi8EEvPKhS1_P6__halfPKfiiiiiiii.numbered_sgpr, 75
	.set _Z19_skinny_gemm_kernelILi3ELi6ELi1ELi16ELi8EEvPKhS1_P6__halfPKfiiiiiiii.num_named_barrier, 0
	.set _Z19_skinny_gemm_kernelILi3ELi6ELi1ELi16ELi8EEvPKhS1_P6__halfPKfiiiiiiii.private_seg_size, 164
	.set _Z19_skinny_gemm_kernelILi3ELi6ELi1ELi16ELi8EEvPKhS1_P6__halfPKfiiiiiiii.uses_vcc, 1
	.set _Z19_skinny_gemm_kernelILi3ELi6ELi1ELi16ELi8EEvPKhS1_P6__halfPKfiiiiiiii.uses_flat_scratch, 0
	.set _Z19_skinny_gemm_kernelILi3ELi6ELi1ELi16ELi8EEvPKhS1_P6__halfPKfiiiiiiii.has_dyn_sized_stack, 0
	.set _Z19_skinny_gemm_kernelILi3ELi6ELi1ELi16ELi8EEvPKhS1_P6__halfPKfiiiiiiii.has_recursion, 0
	.set _Z19_skinny_gemm_kernelILi3ELi6ELi1ELi16ELi8EEvPKhS1_P6__halfPKfiiiiiiii.has_indirect_call, 0
	.section	.AMDGPU.csdata,"",@progbits
; Kernel info:
; codeLenInByte = 10964
; TotalNumSgprs: 81
; NumVgprs: 128
; NumAgprs: 0
; TotalNumVgprs: 128
; ScratchSize: 164
; MemoryBound: 0
; FloatMode: 240
; IeeeMode: 1
; LDSByteSize: 36900 bytes/workgroup (compile time only)
; SGPRBlocks: 10
; VGPRBlocks: 15
; NumSGPRsForWavesPerEU: 81
; NumVGPRsForWavesPerEU: 128
; AccumOffset: 128
; Occupancy: 4
; WaveLimiterHint : 0
; COMPUTE_PGM_RSRC2:SCRATCH_EN: 1
; COMPUTE_PGM_RSRC2:USER_SGPR: 2
; COMPUTE_PGM_RSRC2:TRAP_HANDLER: 0
; COMPUTE_PGM_RSRC2:TGID_X_EN: 1
; COMPUTE_PGM_RSRC2:TGID_Y_EN: 0
; COMPUTE_PGM_RSRC2:TGID_Z_EN: 0
; COMPUTE_PGM_RSRC2:TIDIG_COMP_CNT: 0
; COMPUTE_PGM_RSRC3_GFX90A:ACCUM_OFFSET: 31
; COMPUTE_PGM_RSRC3_GFX90A:TG_SPLIT: 0
	.section	.text._Z19_skinny_gemm_kernelILi3ELi6ELi1ELi32ELi4EEvPKhS1_P6__halfPKfiiiiiiii,"axG",@progbits,_Z19_skinny_gemm_kernelILi3ELi6ELi1ELi32ELi4EEvPKhS1_P6__halfPKfiiiiiiii,comdat
	.protected	_Z19_skinny_gemm_kernelILi3ELi6ELi1ELi32ELi4EEvPKhS1_P6__halfPKfiiiiiiii ; -- Begin function _Z19_skinny_gemm_kernelILi3ELi6ELi1ELi32ELi4EEvPKhS1_P6__halfPKfiiiiiiii
	.globl	_Z19_skinny_gemm_kernelILi3ELi6ELi1ELi32ELi4EEvPKhS1_P6__halfPKfiiiiiiii
	.p2align	8
	.type	_Z19_skinny_gemm_kernelILi3ELi6ELi1ELi32ELi4EEvPKhS1_P6__halfPKfiiiiiiii,@function
_Z19_skinny_gemm_kernelILi3ELi6ELi1ELi32ELi4EEvPKhS1_P6__halfPKfiiiiiiii: ; @_Z19_skinny_gemm_kernelILi3ELi6ELi1ELi32ELi4EEvPKhS1_P6__halfPKfiiiiiiii
; %bb.0:
	v_cmp_gt_u32_e32 vcc, 9, v0
	s_and_saveexec_b64 s[4:5], vcc
; %bb.1:
	v_lshlrev_b32_e32 v1, 2, v0
	v_mov_b32_e32 v2, 0
	ds_write_b32 v1, v2 offset:18432
; %bb.2:
	s_or_b64 exec, exec, s[4:5]
	s_load_dwordx8 s[52:59], s[0:1], 0x20
	s_waitcnt lgkmcnt(0)
	s_barrier
	s_add_i32 s3, s52, 0x5f
	s_mul_hi_i32 s3, s3, 0x2aaaaaab
	s_add_i32 s4, s53, 0xbf
	s_lshr_b32 s5, s3, 31
	s_ashr_i32 s3, s3, 4
	s_add_i32 s11, s3, s5
	s_mul_hi_i32 s3, s4, 0x2aaaaaab
	s_lshr_b32 s4, s3, 31
	s_ashr_i32 s3, s3, 5
	s_add_i32 s12, s3, s4
	s_mul_i32 s3, s12, s11
	s_mul_i32 s3, s3, s56
	s_add_i32 s4, s3, 0x12f
	s_mul_hi_i32 s4, s4, 0x6bca1af3
	s_lshr_b32 s5, s4, 31
	s_ashr_i32 s4, s4, 7
	s_add_i32 s4, s4, s5
	s_add_i32 s5, s2, 1
	s_mul_i32 s5, s4, s5
	v_cvt_f64_i32_e32 v[2:3], s3
	v_cvt_f64_u32_e32 v[4:5], s5
	v_min_f64 v[2:3], v[2:3], v[4:5]
	v_cvt_i32_f64_e32 v14, v[2:3]
	s_mul_i32 s33, s4, s2
	v_cmp_ge_i32_e32 vcc, s33, v14
	s_cbranch_vccnz .LBB308_58
; %bb.3:
	s_load_dwordx8 s[16:23], s[0:1], 0x0
	v_lshrrev_b32_e32 v1, 6, v0
	s_add_i32 s0, s58, s57
	v_cmp_le_i32_e64 s[14:15], s0, v1
	v_mov_b32_e32 v2, s57
	v_cmp_le_i32_e64 s[24:25], s57, v1
	v_mov_b32_e32 v3, s58
	v_cndmask_b32_e64 v3, 0, v3, s[14:15]
	v_cndmask_b32_e64 v2, 0, v2, s[24:25]
	s_abs_i32 s1, s56
	v_add_u32_e32 v2, v2, v3
	v_cvt_f32_u32_e32 v3, s1
	v_sub_u32_e32 v104, v1, v2
	s_ashr_i32 s2, s54, 31
	s_lshr_b32 s2, s2, 26
	v_rcp_iflag_f32_e32 v2, v3
	s_sub_i32 s5, 0, s1
	s_add_i32 s2, s54, s2
	s_ashr_i32 s2, s2, 6
	v_mul_f32_e32 v2, 0x4f7ffffe, v2
	v_cvt_u32_f32_e32 v2, v2
	s_abs_i32 s4, s2
	s_xor_b32 s3, s2, s56
	s_ashr_i32 s3, s3, 31
	v_readfirstlane_b32 s6, v2
	s_mul_i32 s5, s5, s6
	s_mul_hi_u32 s5, s6, s5
	s_add_i32 s6, s6, s5
	s_mul_hi_u32 s5, s4, s6
	s_mul_i32 s6, s5, s1
	s_sub_i32 s4, s4, s6
	s_add_i32 s6, s5, 1
	s_sub_i32 s7, s4, s1
	s_cmp_ge_u32 s4, s1
	s_cselect_b32 s5, s6, s5
	s_cselect_b32 s4, s7, s4
	s_add_i32 s6, s5, 1
	s_cmp_ge_u32 s4, s1
	s_cselect_b32 s1, s6, s5
	s_add_i32 s0, s0, s59
	v_and_b32_e32 v100, 31, v0
	v_lshrrev_b32_e32 v2, 3, v0
	v_cmp_gt_i32_e64 s[28:29], s0, v1
	v_lshlrev_b32_e32 v1, 2, v100
	v_and_b32_e32 v3, 4, v2
	v_lshlrev_b32_e32 v2, 6, v3
	v_or_b32_e32 v4, 0x3000, v1
	v_and_b32_e32 v5, 1, v0
	v_or_b32_e32 v116, v4, v2
	v_or_b32_e32 v117, v1, v2
	v_lshlrev_b32_e32 v2, 1, v5
	v_sub_u32_e32 v2, v0, v2
	v_add_u32_e32 v2, 1, v2
	v_and_b32_e32 v6, 63, v2
	v_bitop3_b32 v2, v0, 1, v0 bitop3:0xc
	scratch_store_dword off, v2, off offset:48 ; 4-byte Folded Spill
	v_bitop3_b32 v2, v0, 3, 1 bitop3:0x6c
	scratch_store_dword off, v2, off offset:52 ; 4-byte Folded Spill
	v_bitop3_b32 v2, v0, 5, 1 bitop3:0x6c
	scratch_store_dword off, v2, off offset:56 ; 4-byte Folded Spill
	v_bitop3_b32 v2, v0, 7, 1 bitop3:0x6c
	scratch_store_dword off, v2, off offset:60 ; 4-byte Folded Spill
	v_bitop3_b32 v2, v0, 9, 1 bitop3:0x6c
	scratch_store_dword off, v2, off offset:64 ; 4-byte Folded Spill
	v_bitop3_b32 v2, v0, 11, 1 bitop3:0x6c
	v_lshrrev_b32_e32 v7, 1, v0
	s_abs_i32 s30, s11
                                        ; implicit-def: $vgpr126 : SGPR spill to VGPR lane
	scratch_store_dword off, v2, off offset:68 ; 4-byte Folded Spill
	v_bitop3_b32 v2, v0, 13, 1 bitop3:0x6c
	v_and_b32_e32 v16, 16, v7
	v_cvt_f32_u32_e32 v7, s30
	v_writelane_b32 v126, s11, 0
	scratch_store_dword off, v2, off offset:72 ; 4-byte Folded Spill
	v_bitop3_b32 v2, v0, 15, 1 bitop3:0x6c
	v_writelane_b32 v126, s12, 1
	scratch_store_dword off, v2, off offset:76 ; 4-byte Folded Spill
	v_and_b32_e32 v2, 30, v0
	v_lshlrev_b32_e32 v0, 4, v0
	s_waitcnt lgkmcnt(0)
	v_writelane_b32 v126, s16, 2
	v_and_b32_e32 v0, 0x200, v0
	v_or_b32_e32 v15, v1, v0
	v_writelane_b32 v126, s17, 3
	v_rcp_iflag_f32_e32 v1, v7
	v_writelane_b32 v126, s18, 4
	v_writelane_b32 v126, s19, 5
	;; [unrolled: 1-line block ×3, first 2 shown]
	s_abs_i32 s34, s12
	v_writelane_b32 v126, s21, 7
	v_or_b32_e32 v124, v4, v0
	v_mul_f32_e32 v0, 0x4f7ffffe, v1
	v_cvt_f32_u32_e32 v1, s34
	v_writelane_b32 v126, s22, 8
	v_writelane_b32 v126, s23, 9
	v_cndmask_b32_e64 v111, 0, 1, s[14:15]
	v_writelane_b32 v126, s14, 10
	s_xor_b32 s1, s1, s3
	v_cvt_u32_f32_e32 v0, v0
	v_writelane_b32 v126, s15, 11
	v_rcp_iflag_f32_e32 v1, v1
	v_writelane_b32 v126, s24, 12
	s_sub_i32 s13, s1, s3
	s_add_i32 s26, s56, -1
	v_writelane_b32 v126, s25, 13
	s_mul_i32 s1, s13, s26
	v_writelane_b32 v126, s13, 14
	s_sub_i32 s27, s2, s1
	v_writelane_b32 v126, s26, 15
	v_readfirstlane_b32 s1, v0
	v_mul_f32_e32 v0, 0x4f7ffffe, v1
	v_writelane_b32 v126, s27, 16
	v_cvt_u32_f32_e32 v0, v0
	v_writelane_b32 v126, s28, 17
	s_sub_i32 s0, 0, s30
	s_lshl_b32 s31, s55, 5
	v_writelane_b32 v126, s29, 18
	s_mul_i32 s0, s0, s1
	v_writelane_b32 v126, s30, 19
	s_mul_hi_u32 s0, s1, s0
	v_writelane_b32 v126, s31, 20
	s_ashr_i32 s35, s11, 31
	s_add_i32 s36, s1, s0
	s_sub_i32 s0, 0, s34
	v_readfirstlane_b32 s1, v0
	v_writelane_b32 v126, s34, 21
	s_mul_i32 s0, s0, s1
	v_writelane_b32 v126, s35, 22
	s_ashr_i32 s37, s12, 31
	s_mul_hi_u32 s0, s1, s0
	v_writelane_b32 v126, s36, 23
	s_add_i32 s38, s1, s0
	v_writelane_b32 v126, s37, 24
	v_writelane_b32 v126, s38, 25
	v_mul_lo_u32 v8, s55, v100
	v_writelane_b32 v126, s52, 26
	v_mbcnt_lo_u32_b32 v0, -1, 0
	v_mbcnt_hi_u32_b32 v0, -1, v0
	v_writelane_b32 v126, s53, 27
	v_writelane_b32 v126, s54, 28
	;; [unrolled: 1-line block ×5, first 2 shown]
	v_mov_b32_e32 v119, 0
	v_and_or_b32 v0, v0, 64, v6
	v_writelane_b32 v126, s58, 32
	v_ashrrev_i32_e32 v9, 31, v8
	v_mov_b32_e32 v17, v119
	v_lshlrev_b32_e32 v118, 1, v2
	v_lshlrev_b32_e32 v120, 2, v0
	v_mov_b32_e32 v101, v104
	v_writelane_b32 v126, s59, 33
	scratch_store_dwordx2 off, v[8:9], off offset:88 ; 8-byte Folded Spill
	v_or_b32_e32 v121, v5, v3
	scratch_store_dword off, v14, off offset:32 ; 4-byte Folded Spill
	scratch_store_dword off, v100, off offset:36 ; 4-byte Folded Spill
	;; [unrolled: 1-line block ×4, first 2 shown]
	scratch_store_dwordx2 off, v[16:17], off offset:80 ; 8-byte Folded Spill
	scratch_store_dword off, v15, off offset:96 ; 4-byte Folded Spill
	scratch_store_dword off, v121, off offset:100 ; 4-byte Folded Spill
	s_branch .LBB308_7
.LBB308_4:                              ;   in Loop: Header=BB308_7 Depth=1
	s_or_b64 exec, exec, s[4:5]
.LBB308_5:                              ;   in Loop: Header=BB308_7 Depth=1
	s_or_b64 exec, exec, s[2:3]
	v_subrev_u32_e32 v101, s10, v101
.LBB308_6:                              ;   in Loop: Header=BB308_7 Depth=1
	s_or_b64 exec, exec, s[0:1]
	s_add_i32 s33, s33, 1
	s_waitcnt vmcnt(3)
	v_cmp_ge_i32_e32 vcc, s33, v14
	s_cbranch_vccnz .LBB308_58
.LBB308_7:                              ; =>This Loop Header: Depth=1
                                        ;     Child Loop BB308_13 Depth 2
                                        ;       Child Loop BB308_15 Depth 3
                                        ;       Child Loop BB308_18 Depth 3
	;; [unrolled: 1-line block ×7, first 2 shown]
                                        ;     Child Loop BB308_37 Depth 2
                                        ;     Child Loop BB308_45 Depth 2
                                        ;       Child Loop BB308_47 Depth 3
                                        ;     Child Loop BB308_55 Depth 2
                                        ;       Child Loop BB308_57 Depth 3
	s_abs_i32 s1, s33
	s_mul_hi_u32 s2, s1, s36
	s_mul_i32 s3, s2, s30
	s_ashr_i32 s0, s33, 31
	s_sub_i32 s1, s1, s3
	s_xor_b32 s0, s0, s35
	s_add_i32 s3, s2, 1
	s_sub_i32 s4, s1, s30
	s_cmp_ge_u32 s1, s30
	s_cselect_b32 s2, s3, s2
	s_cselect_b32 s1, s4, s1
	s_add_i32 s3, s2, 1
	s_cmp_ge_u32 s1, s30
	s_cselect_b32 s1, s3, s2
	s_xor_b32 s1, s1, s0
	s_sub_i32 s0, s1, s0
	s_abs_i32 s2, s0
	s_mul_i32 s1, s0, s11
	s_mul_hi_u32 s3, s2, s38
	s_sub_i32 s1, s33, s1
	s_mul_i32 s4, s3, s34
	s_mul_i32 s39, s1, 0x60
	s_ashr_i32 s1, s0, 31
	s_sub_i32 s2, s2, s4
	s_xor_b32 s1, s1, s37
	s_add_i32 s4, s3, 1
	s_sub_i32 s5, s2, s34
	s_cmp_ge_u32 s2, s34
	s_cselect_b32 s3, s4, s3
	s_cselect_b32 s2, s5, s2
	s_add_i32 s4, s3, 1
	s_cmp_ge_u32 s2, s34
	s_cselect_b32 s2, s4, s3
	s_xor_b32 s2, s2, s1
	s_sub_i32 s1, s2, s1
	s_mul_i32 s2, s1, s13
	s_lshl_b32 s40, s2, 6
	s_cmp_eq_u32 s1, s26
	s_cselect_b32 s41, s27, s13
	s_sub_i32 s2, s39, s52
	s_addk_i32 s2, 0x60
	s_max_i32 s92, s2, 0
	s_and_saveexec_b64 s[2:3], s[24:25]
	s_xor_b64 s[42:43], exec, s[2:3]
	s_cbranch_execz .LBB308_51
; %bb.8:                                ;   in Loop: Header=BB308_7 Depth=1
	s_mul_i32 s1, s1, s12
	s_sub_i32 s0, s0, s1
	s_mulk_i32 s0, 0xc0
	s_sub_i32 s8, s0, s53
	s_addk_i32 s8, 0xc0
	s_max_i32 s1, s8, 0
	s_sub_i32 s44, s0, s1
	s_and_saveexec_b64 s[0:1], s[14:15]
	s_xor_b64 s[46:47], exec, s[0:1]
	s_cbranch_execz .LBB308_41
; %bb.9:                                ;   in Loop: Header=BB308_7 Depth=1
	s_and_saveexec_b64 s[48:49], s[28:29]
	s_cbranch_execz .LBB308_40
; %bb.10:                               ;   in Loop: Header=BB308_7 Depth=1
	global_load_dword v96, v119, s[22:23]
	v_mov_b32_e32 v95, 0
	v_cmp_gt_i32_e32 vcc, s41, v101
	v_mov_b32_e32 v94, v95
	v_mov_b32_e32 v93, v95
	;; [unrolled: 1-line block ×77, first 2 shown]
	s_waitcnt vmcnt(2)
	v_mov_b32_e32 v17, v95
	v_mov_b32_e32 v16, v95
	s_waitcnt vmcnt(1)
	v_mov_b32_e32 v15, v95
	v_mov_b32_e32 v14, v95
	;; [unrolled: 1-line block ×16, first 2 shown]
	s_and_saveexec_b64 s[0:1], vcc
	s_cbranch_execz .LBB308_35
; %bb.11:                               ;   in Loop: Header=BB308_7 Depth=1
	v_mov_b32_e32 v0, 0
	s_mov_b64 s[2:3], 0
	v_mov_b32_e32 v1, v0
	v_mov_b32_e32 v2, v0
	v_mov_b32_e32 v3, v0
	v_mov_b32_e32 v4, v0
	v_mov_b32_e32 v5, v0
	v_mov_b32_e32 v6, v0
	v_mov_b32_e32 v7, v0
	v_mov_b32_e32 v8, v0
	v_mov_b32_e32 v9, v0
	v_mov_b32_e32 v10, v0
	v_mov_b32_e32 v11, v0
	v_mov_b32_e32 v12, v0
	v_mov_b32_e32 v13, v0
	v_mov_b32_e32 v14, v0
	v_mov_b32_e32 v15, v0
	v_mov_b32_e32 v16, v0
	v_mov_b32_e32 v17, v0
	v_mov_b32_e32 v18, v0
	v_mov_b32_e32 v19, v0
	v_mov_b32_e32 v20, v0
	v_mov_b32_e32 v21, v0
	v_mov_b32_e32 v22, v0
	v_mov_b32_e32 v23, v0
	v_mov_b32_e32 v24, v0
	v_mov_b32_e32 v25, v0
	v_mov_b32_e32 v26, v0
	v_mov_b32_e32 v27, v0
	v_mov_b32_e32 v28, v0
	v_mov_b32_e32 v29, v0
	v_mov_b32_e32 v30, v0
	v_mov_b32_e32 v31, v0
	v_mov_b32_e32 v32, v0
	v_mov_b32_e32 v33, v0
	v_mov_b32_e32 v34, v0
	v_mov_b32_e32 v35, v0
	v_mov_b32_e32 v36, v0
	v_mov_b32_e32 v37, v0
	v_mov_b32_e32 v38, v0
	v_mov_b32_e32 v39, v0
	v_mov_b32_e32 v40, v0
	v_mov_b32_e32 v41, v0
	v_mov_b32_e32 v42, v0
	v_mov_b32_e32 v43, v0
	v_mov_b32_e32 v44, v0
	v_mov_b32_e32 v45, v0
	v_mov_b32_e32 v46, v0
	v_mov_b32_e32 v47, v0
	v_mov_b32_e32 v48, v0
	v_mov_b32_e32 v49, v0
	v_mov_b32_e32 v50, v0
	v_mov_b32_e32 v51, v0
	v_mov_b32_e32 v52, v0
	v_mov_b32_e32 v53, v0
	v_mov_b32_e32 v54, v0
	v_mov_b32_e32 v55, v0
	v_mov_b32_e32 v56, v0
	v_mov_b32_e32 v57, v0
	v_mov_b32_e32 v58, v0
	v_mov_b32_e32 v59, v0
	v_mov_b32_e32 v60, v0
	v_mov_b32_e32 v61, v0
	v_mov_b32_e32 v62, v0
	v_mov_b32_e32 v63, v0
	v_mov_b32_e32 v64, v0
	v_mov_b32_e32 v65, v0
	v_mov_b32_e32 v66, v0
	v_mov_b32_e32 v67, v0
	v_mov_b32_e32 v68, v0
	v_mov_b32_e32 v69, v0
	v_mov_b32_e32 v70, v0
	v_mov_b32_e32 v71, v0
	v_mov_b32_e32 v72, v0
	v_mov_b32_e32 v73, v0
	v_mov_b32_e32 v74, v0
	v_mov_b32_e32 v75, v0
	v_mov_b32_e32 v76, v0
	v_mov_b32_e32 v77, v0
	v_mov_b32_e32 v78, v0
	v_mov_b32_e32 v79, v0
	v_mov_b32_e32 v80, v0
	v_mov_b32_e32 v81, v0
	v_mov_b32_e32 v82, v0
	v_mov_b32_e32 v83, v0
	v_mov_b32_e32 v84, v0
	v_mov_b32_e32 v85, v0
	v_mov_b32_e32 v86, v0
	v_mov_b32_e32 v87, v0
	v_mov_b32_e32 v88, v0
	v_mov_b32_e32 v89, v0
	v_mov_b32_e32 v90, v0
	v_mov_b32_e32 v91, v0
	v_mov_b32_e32 v92, v0
	v_mov_b32_e32 v93, v0
	v_mov_b32_e32 v94, v0
	v_mov_b32_e32 v95, v0
	s_branch .LBB308_13
.LBB308_12:                             ;   in Loop: Header=BB308_13 Depth=2
	s_or_b64 exec, exec, s[4:5]
	v_add_u32_e32 v114, 0x2800, v110
	ds_read2_b32 v[112:113], v114 offset1:32
	v_add_u32_e32 v101, s59, v101
	s_waitcnt lgkmcnt(0)
	v_mfma_f32_32x32x16_fp8_fp8 v[0:15], v[108:109], v[112:113], v[0:15]
	ds_read2_b32 v[108:109], v114 offset0:128 offset1:160
	s_waitcnt lgkmcnt(0)
	v_mfma_f32_32x32x16_fp8_fp8 v[0:15], v[106:107], v[108:109], v[0:15]
	v_add_u32_e32 v108, 0x2c00, v110
	ds_read2_b32 v[106:107], v108 offset1:32
	ds_read2_b32 v[108:109], v108 offset0:128 offset1:160
	ds_write_b32 v98, v99 offset:18476
	s_waitcnt lgkmcnt(2)
	v_mfma_f32_32x32x16_fp8_fp8 v[0:15], v[104:105], v[106:107], v[0:15]
	v_add_u32_e32 v104, s59, v97
	v_add_u32_e32 v97, 2, v111
	v_cmp_lt_i32_e32 vcc, 0, v104
	s_nop 1
	v_cndmask_b32_e32 v111, v111, v97, vcc
	v_cmp_le_i32_e32 vcc, s41, v101
	s_waitcnt lgkmcnt(1)
	v_mfma_f32_32x32x16_fp8_fp8 v[0:15], v[102:103], v[108:109], v[0:15]
	s_or_b64 s[2:3], vcc, s[2:3]
	s_andn2_b64 exec, exec, s[2:3]
	s_cbranch_execz .LBB308_34
.LBB308_13:                             ;   Parent Loop BB308_7 Depth=1
                                        ; =>  This Loop Header: Depth=2
                                        ;       Child Loop BB308_15 Depth 3
                                        ;       Child Loop BB308_18 Depth 3
                                        ;       Child Loop BB308_21 Depth 3
                                        ;       Child Loop BB308_24 Depth 3
                                        ;       Child Loop BB308_27 Depth 3
                                        ;       Child Loop BB308_30 Depth 3
                                        ;       Child Loop BB308_33 Depth 3
	v_cmp_lt_i32_e32 vcc, 0, v104
	s_nop 1
	v_subbrev_co_u32_e32 v97, vcc, 0, v104, vcc
	v_mul_lo_u32 v98, v97, 48
	ds_read_b32 v99, v98 offset:18432
	s_waitcnt lgkmcnt(0)
	v_cmp_ne_u32_e32 vcc, v99, v111
	s_and_saveexec_b64 s[4:5], vcc
	s_cbranch_execz .LBB308_16
; %bb.14:                               ;   in Loop: Header=BB308_13 Depth=2
	s_mov_b64 s[6:7], 0
.LBB308_15:                             ;   Parent Loop BB308_7 Depth=1
                                        ;     Parent Loop BB308_13 Depth=2
                                        ; =>    This Inner Loop Header: Depth=3
	;;#ASMSTART
	s_sleep 0
	;;#ASMEND
	ds_read_b32 v99, v98 offset:18432
	s_waitcnt lgkmcnt(0)
	v_cmp_eq_u32_e32 vcc, v99, v111
	s_or_b64 s[6:7], vcc, s[6:7]
	s_andn2_b64 exec, exec, s[6:7]
	s_cbranch_execnz .LBB308_15
.LBB308_16:                             ;   in Loop: Header=BB308_13 Depth=2
	s_or_b64 exec, exec, s[4:5]
	v_lshl_add_u32 v99, v97, 11, v116
	ds_read2_b32 v[108:109], v99 offset1:32
	ds_read2_b32 v[106:107], v99 offset0:128 offset1:160
	v_add_u32_e32 v99, 0x400, v99
	ds_read2_b32 v[104:105], v99 offset1:32
	ds_read_b32 v110, v98 offset:18436
	ds_read2_b32 v[102:103], v99 offset0:128 offset1:160
	v_add_u32_e32 v99, 1, v111
	ds_write_b32 v98, v99 offset:18432
	s_waitcnt lgkmcnt(2)
	v_cmp_ne_u32_e32 vcc, v110, v111
	s_and_saveexec_b64 s[4:5], vcc
	s_cbranch_execz .LBB308_19
; %bb.17:                               ;   in Loop: Header=BB308_13 Depth=2
	s_mov_b64 s[6:7], 0
.LBB308_18:                             ;   Parent Loop BB308_7 Depth=1
                                        ;     Parent Loop BB308_13 Depth=2
                                        ; =>    This Inner Loop Header: Depth=3
	;;#ASMSTART
	s_sleep 0
	;;#ASMEND
	ds_read_b32 v110, v98 offset:18436
	s_waitcnt lgkmcnt(0)
	v_cmp_eq_u32_e32 vcc, v110, v111
	s_or_b64 s[6:7], vcc, s[6:7]
	s_andn2_b64 exec, exec, s[6:7]
	s_cbranch_execnz .LBB308_18
.LBB308_19:                             ;   in Loop: Header=BB308_13 Depth=2
	s_or_b64 exec, exec, s[4:5]
	s_movk_i32 s4, 0x3000
	v_mul_lo_u32 v110, v97, s4
	v_or_b32_e32 v114, v117, v110
	ds_read2_b32 v[112:113], v114 offset1:32
	ds_write_b32 v98, v99 offset:18436
	s_waitcnt lgkmcnt(1)
	v_mfma_f32_32x32x16_fp8_fp8 v[80:95], v[108:109], v[112:113], v[80:95]
	ds_read2_b32 v[112:113], v114 offset0:128 offset1:160
	v_add_u32_e32 v114, 0x400, v114
	s_waitcnt lgkmcnt(0)
	v_mfma_f32_32x32x16_fp8_fp8 v[80:95], v[106:107], v[112:113], v[80:95]
	ds_read2_b32 v[112:113], v114 offset1:32
	s_waitcnt lgkmcnt(0)
	v_mfma_f32_32x32x16_fp8_fp8 v[80:95], v[104:105], v[112:113], v[80:95]
	ds_read2_b32 v[112:113], v114 offset0:128 offset1:160
	ds_read_b32 v114, v98 offset:18444
	s_waitcnt lgkmcnt(0)
	v_cmp_ne_u32_e32 vcc, v114, v111
	v_mfma_f32_32x32x16_fp8_fp8 v[80:95], v[102:103], v[112:113], v[80:95]
	s_and_saveexec_b64 s[4:5], vcc
	s_cbranch_execz .LBB308_22
; %bb.20:                               ;   in Loop: Header=BB308_13 Depth=2
	s_mov_b64 s[6:7], 0
.LBB308_21:                             ;   Parent Loop BB308_7 Depth=1
                                        ;     Parent Loop BB308_13 Depth=2
                                        ; =>    This Inner Loop Header: Depth=3
	;;#ASMSTART
	s_sleep 0
	;;#ASMEND
	ds_read_b32 v112, v98 offset:18444
	s_waitcnt lgkmcnt(0)
	v_cmp_eq_u32_e32 vcc, v112, v111
	s_or_b64 s[6:7], vcc, s[6:7]
	s_andn2_b64 exec, exec, s[6:7]
	s_cbranch_execnz .LBB308_21
.LBB308_22:                             ;   in Loop: Header=BB308_13 Depth=2
	s_or_b64 exec, exec, s[4:5]
	v_add_u32_e32 v110, v117, v110
	v_add_u32_e32 v114, 0x800, v110
	ds_read2_b32 v[112:113], v114 offset1:32
	ds_write_b32 v98, v99 offset:18444
	s_waitcnt lgkmcnt(1)
	v_mfma_f32_32x32x16_fp8_fp8 v[64:79], v[108:109], v[112:113], v[64:79]
	ds_read2_b32 v[112:113], v114 offset0:128 offset1:160
	v_add_u32_e32 v114, 0xc00, v110
	s_waitcnt lgkmcnt(0)
	v_mfma_f32_32x32x16_fp8_fp8 v[64:79], v[106:107], v[112:113], v[64:79]
	ds_read2_b32 v[112:113], v114 offset1:32
	s_waitcnt lgkmcnt(0)
	v_mfma_f32_32x32x16_fp8_fp8 v[64:79], v[104:105], v[112:113], v[64:79]
	ds_read2_b32 v[112:113], v114 offset0:128 offset1:160
	ds_read_b32 v114, v98 offset:18452
	s_waitcnt lgkmcnt(0)
	v_cmp_ne_u32_e32 vcc, v114, v111
	v_mfma_f32_32x32x16_fp8_fp8 v[64:79], v[102:103], v[112:113], v[64:79]
	s_and_saveexec_b64 s[4:5], vcc
	s_cbranch_execz .LBB308_25
; %bb.23:                               ;   in Loop: Header=BB308_13 Depth=2
	s_mov_b64 s[6:7], 0
.LBB308_24:                             ;   Parent Loop BB308_7 Depth=1
                                        ;     Parent Loop BB308_13 Depth=2
                                        ; =>    This Inner Loop Header: Depth=3
	;;#ASMSTART
	s_sleep 0
	;;#ASMEND
	ds_read_b32 v112, v98 offset:18452
	s_waitcnt lgkmcnt(0)
	v_cmp_eq_u32_e32 vcc, v112, v111
	s_or_b64 s[6:7], vcc, s[6:7]
	s_andn2_b64 exec, exec, s[6:7]
	s_cbranch_execnz .LBB308_24
.LBB308_25:                             ;   in Loop: Header=BB308_13 Depth=2
	s_or_b64 exec, exec, s[4:5]
	v_add_u32_e32 v114, 0x1000, v110
	ds_read2_b32 v[112:113], v114 offset1:32
	s_waitcnt lgkmcnt(0)
	v_mfma_f32_32x32x16_fp8_fp8 v[48:63], v[108:109], v[112:113], v[48:63]
	ds_read2_b32 v[112:113], v114 offset0:128 offset1:160
	v_add_u32_e32 v114, 0x1400, v110
	s_waitcnt lgkmcnt(0)
	v_mfma_f32_32x32x16_fp8_fp8 v[48:63], v[106:107], v[112:113], v[48:63]
	ds_read2_b32 v[112:113], v114 offset1:32
	s_waitcnt lgkmcnt(0)
	v_mfma_f32_32x32x16_fp8_fp8 v[48:63], v[104:105], v[112:113], v[48:63]
	ds_read_b32 v115, v98 offset:18460
	ds_read2_b32 v[112:113], v114 offset0:128 offset1:160
	ds_write_b32 v98, v99 offset:18452
	s_waitcnt lgkmcnt(2)
	v_cmp_ne_u32_e32 vcc, v115, v111
	s_waitcnt lgkmcnt(1)
	v_mfma_f32_32x32x16_fp8_fp8 v[48:63], v[102:103], v[112:113], v[48:63]
	s_and_saveexec_b64 s[4:5], vcc
	s_cbranch_execz .LBB308_28
; %bb.26:                               ;   in Loop: Header=BB308_13 Depth=2
	s_mov_b64 s[6:7], 0
.LBB308_27:                             ;   Parent Loop BB308_7 Depth=1
                                        ;     Parent Loop BB308_13 Depth=2
                                        ; =>    This Inner Loop Header: Depth=3
	;;#ASMSTART
	s_sleep 0
	;;#ASMEND
	ds_read_b32 v112, v98 offset:18460
	s_waitcnt lgkmcnt(0)
	v_cmp_eq_u32_e32 vcc, v112, v111
	s_or_b64 s[6:7], vcc, s[6:7]
	s_andn2_b64 exec, exec, s[6:7]
	s_cbranch_execnz .LBB308_27
.LBB308_28:                             ;   in Loop: Header=BB308_13 Depth=2
	s_or_b64 exec, exec, s[4:5]
	v_add_u32_e32 v114, 0x1800, v110
	ds_read2_b32 v[112:113], v114 offset1:32
	s_waitcnt lgkmcnt(0)
	v_mfma_f32_32x32x16_fp8_fp8 v[32:47], v[108:109], v[112:113], v[32:47]
	ds_read2_b32 v[112:113], v114 offset0:128 offset1:160
	v_add_u32_e32 v114, 0x1c00, v110
	s_waitcnt lgkmcnt(0)
	v_mfma_f32_32x32x16_fp8_fp8 v[32:47], v[106:107], v[112:113], v[32:47]
	ds_read2_b32 v[112:113], v114 offset1:32
	s_waitcnt lgkmcnt(0)
	v_mfma_f32_32x32x16_fp8_fp8 v[32:47], v[104:105], v[112:113], v[32:47]
	ds_read_b32 v115, v98 offset:18468
	ds_read2_b32 v[112:113], v114 offset0:128 offset1:160
	ds_write_b32 v98, v99 offset:18460
	s_waitcnt lgkmcnt(2)
	v_cmp_ne_u32_e32 vcc, v115, v111
	s_waitcnt lgkmcnt(1)
	;; [unrolled: 36-line block ×3, first 2 shown]
	v_mfma_f32_32x32x16_fp8_fp8 v[16:31], v[102:103], v[112:113], v[16:31]
	s_and_saveexec_b64 s[4:5], vcc
	s_cbranch_execz .LBB308_12
; %bb.32:                               ;   in Loop: Header=BB308_13 Depth=2
	s_mov_b64 s[6:7], 0
.LBB308_33:                             ;   Parent Loop BB308_7 Depth=1
                                        ;     Parent Loop BB308_13 Depth=2
                                        ; =>    This Inner Loop Header: Depth=3
	;;#ASMSTART
	s_sleep 0
	;;#ASMEND
	ds_read_b32 v112, v98 offset:18476
	s_waitcnt lgkmcnt(0)
	v_cmp_eq_u32_e32 vcc, v112, v111
	s_or_b64 s[6:7], vcc, s[6:7]
	s_andn2_b64 exec, exec, s[6:7]
	s_cbranch_execnz .LBB308_33
	s_branch .LBB308_12
.LBB308_34:                             ;   in Loop: Header=BB308_7 Depth=1
	s_or_b64 exec, exec, s[2:3]
.LBB308_35:                             ;   in Loop: Header=BB308_7 Depth=1
	v_writelane_b32 v126, s48, 34
	s_nop 1
	v_writelane_b32 v126, s49, 35
	v_writelane_b32 v126, s46, 36
	s_nop 1
	v_writelane_b32 v126, s47, 37
	;; [unrolled: 3-line block ×4, first 2 shown]
	v_writelane_b32 v126, s41, 42
	v_writelane_b32 v126, s40, 43
	;; [unrolled: 1-line block ×3, first 2 shown]
	s_or_b64 exec, exec, s[0:1]
	v_cmp_le_i32_e32 vcc, s8, v100
	v_or_b32_e32 v97, 32, v100
	scratch_store_dwordx2 off, v[118:119], off ; 8-byte Folded Spill
	s_waitcnt vmcnt(1)
	v_cndmask_b32_e32 v98, 0, v96, vcc
	v_cmp_le_i32_e32 vcc, s8, v97
	v_or_b32_e32 v97, 64, v100
	v_pk_mul_f32 v[112:113], v[98:99], v[94:95] op_sel_hi:[0,1]
	v_pk_mul_f32 v[92:93], v[98:99], v[92:93] op_sel_hi:[0,1]
	;; [unrolled: 1-line block ×8, first 2 shown]
	v_cndmask_b32_e32 v98, 0, v96, vcc
	v_cmp_le_i32_e32 vcc, s8, v97
	v_or_b32_e32 v97, 0x60, v100
	v_pk_mul_f32 v[102:103], v[98:99], v[66:67] op_sel_hi:[0,1]
	v_cndmask_b32_e32 v66, 0, v96, vcc
	v_cmp_le_i32_e32 vcc, s8, v97
	v_or_b32_e32 v97, 0x80, v100
	v_pk_mul_f32 v[116:117], v[66:67], v[48:49] op_sel_hi:[0,1]
	v_cndmask_b32_e32 v48, 0, v96, vcc
	v_cmp_le_i32_e32 vcc, s8, v97
	v_or_b32_e32 v97, 0xa0, v100
	scratch_load_dword v100, off, off offset:48 ; 4-byte Folded Reload
	scratch_load_dword v118, off, off offset:56 ; 4-byte Folded Reload
	v_pk_mul_f32 v[46:47], v[48:49], v[46:47] op_sel_hi:[0,1]
	v_pk_mul_f32 v[44:45], v[48:49], v[44:45] op_sel_hi:[0,1]
	;; [unrolled: 1-line block ×8, first 2 shown]
	v_cndmask_b32_e32 v48, 0, v96, vcc
	v_cmp_le_i32_e32 vcc, s8, v97
	v_pk_mul_f32 v[30:31], v[48:49], v[30:31] op_sel_hi:[0,1]
	v_pk_mul_f32 v[28:29], v[48:49], v[28:29] op_sel_hi:[0,1]
	;; [unrolled: 1-line block ×8, first 2 shown]
	v_cndmask_b32_e32 v48, 0, v96, vcc
	v_pk_mul_f32 v[14:15], v[48:49], v[14:15] op_sel_hi:[0,1]
	v_pk_mul_f32 v[12:13], v[48:49], v[12:13] op_sel_hi:[0,1]
	;; [unrolled: 1-line block ×22, first 2 shown]
                                        ; implicit-def: $vgpr127 : SGPR spill to VGPR lane
	s_waitcnt vmcnt(1)
	v_cmp_eq_u32_e64 s[6:7], 1, v100
	s_nop 1
	v_cndmask_b32_e64 v48, v80, v81, s[6:7]
	v_cmp_eq_u32_e64 s[40:41], 2, v100
	v_cmp_eq_u32_e64 s[42:43], 3, v100
	v_cmp_eq_u32_e32 vcc, 4, v100
	v_cndmask_b32_e64 v48, v48, v82, s[40:41]
	v_cndmask_b32_e64 v48, v48, v83, s[42:43]
	v_cndmask_b32_e32 v48, v48, v84, vcc
	v_cmp_eq_u32_e64 s[0:1], 5, v100
	v_cmp_eq_u32_e64 s[2:3], 6, v100
	v_cmp_eq_u32_e64 s[30:31], 7, v100
	v_cndmask_b32_e64 v48, v48, v85, s[0:1]
	v_cndmask_b32_e64 v48, v48, v86, s[2:3]
	v_cndmask_b32_e64 v48, v48, v87, s[30:31]
	v_cmp_eq_u32_e64 s[26:27], 8, v100
	v_cmp_eq_u32_e64 s[24:25], 9, v100
	v_cmp_eq_u32_e64 s[22:23], 10, v100
	v_cndmask_b32_e64 v48, v48, v88, s[26:27]
	v_cndmask_b32_e64 v48, v48, v89, s[24:25]
	v_cndmask_b32_e64 v48, v48, v90, s[22:23]
	;; [unrolled: 6-line block ×3, first 2 shown]
	v_cmp_eq_u32_e64 s[12:13], 14, v100
	v_cmp_eq_u32_e64 s[10:11], 15, v100
	;; [unrolled: 1-line block ×3, first 2 shown]
	v_cndmask_b32_e64 v48, v48, v112, s[12:13]
	v_cndmask_b32_e64 v48, v48, v113, s[10:11]
	ds_bpermute_b32 v48, v120, v48
	s_waitcnt vmcnt(0)
	v_cmp_eq_u32_e64 s[44:45], 1, v118
	v_cmp_eq_u32_e64 s[8:9], 3, v118
	s_waitcnt lgkmcnt(0)
	v_cndmask_b32_e64 v75, v87, v48, s[30:31]
	scratch_load_dword v87, off, off offset:52 ; 4-byte Folded Reload
	v_cndmask_b32_e64 v81, v81, v48, s[6:7]
	v_cndmask_b32_e64 v80, v80, v48, s[46:47]
	;; [unrolled: 1-line block ×12, first 2 shown]
	v_cndmask_b32_e32 v84, v84, v48, vcc
	v_cndmask_b32_e64 v83, v83, v48, s[42:43]
	v_cndmask_b32_e64 v82, v82, v48, s[40:41]
	s_waitcnt vmcnt(0)
	v_cmp_eq_u32_e64 s[4:5], 1, v87
	s_nop 1
	v_cndmask_b32_e64 v48, v80, v81, s[4:5]
	v_cmp_eq_u32_e64 s[28:29], 2, v87
	v_cmp_eq_u32_e64 s[34:35], 3, v87
	v_cmp_eq_u32_e64 s[36:37], 4, v87
	v_cndmask_b32_e64 v48, v48, v82, s[28:29]
	v_cndmask_b32_e64 v48, v48, v83, s[34:35]
	v_cndmask_b32_e64 v48, v48, v84, s[36:37]
	v_cmp_eq_u32_e64 s[38:39], 5, v87
	v_cmp_eq_u32_e64 s[48:49], 6, v87
	v_cmp_eq_u32_e64 s[52:53], 7, v87
	v_cndmask_b32_e64 v48, v48, v85, s[38:39]
	v_cndmask_b32_e64 v48, v48, v77, s[48:49]
	v_cndmask_b32_e64 v48, v48, v75, s[52:53]
	v_cmp_eq_u32_e64 s[56:57], 8, v87
	v_cmp_eq_u32_e64 s[60:61], 9, v87
	v_cmp_eq_u32_e64 s[64:65], 10, v87
	v_cndmask_b32_e64 v48, v48, v74, s[56:57]
	v_cndmask_b32_e64 v48, v48, v69, s[60:61]
	v_cndmask_b32_e64 v48, v48, v68, s[64:65]
	v_cmp_eq_u32_e64 s[68:69], 11, v87
	v_cmp_eq_u32_e64 s[72:73], 12, v87
	v_cmp_eq_u32_e64 s[76:77], 13, v87
	v_cndmask_b32_e64 v48, v48, v67, s[68:69]
	v_cndmask_b32_e64 v48, v48, v66, s[72:73]
	v_cndmask_b32_e64 v48, v48, v51, s[76:77]
	v_cmp_eq_u32_e64 s[80:81], 14, v87
	v_cmp_eq_u32_e64 s[84:85], 15, v87
	v_cmp_eq_u32_e64 s[16:17], 0, v87
	v_cndmask_b32_e64 v48, v48, v50, s[80:81]
	v_cndmask_b32_e64 v48, v48, v49, s[84:85]
	ds_bpermute_b32 v86, v120, v48
	s_waitcnt lgkmcnt(0)
	v_cndmask_b32_e64 v121, v50, v86, s[80:81]
	v_cndmask_b32_e64 v50, v94, v95, s[6:7]
	;; [unrolled: 1-line block ×4, first 2 shown]
	v_cndmask_b32_e32 v50, v50, v114, vcc
	v_cndmask_b32_e64 v50, v50, v115, s[0:1]
	v_cndmask_b32_e64 v50, v50, v70, s[2:3]
	;; [unrolled: 1-line block ×13, first 2 shown]
	ds_bpermute_b32 v82, v120, v50
	v_cndmask_b32_e64 v76, v74, v86, s[56:57]
	v_cndmask_b32_e64 v74, v75, v86, s[52:53]
	;; [unrolled: 1-line block ×4, first 2 shown]
	s_waitcnt lgkmcnt(0)
	v_cndmask_b32_e64 v112, v70, v82, s[2:3]
	v_cndmask_b32_e64 v70, v116, v117, s[6:7]
	;; [unrolled: 1-line block ×4, first 2 shown]
	v_cndmask_b32_e32 v70, v70, v52, vcc
	v_cndmask_b32_e64 v70, v70, v53, s[0:1]
	v_cndmask_b32_e64 v70, v70, v54, s[2:3]
	;; [unrolled: 1-line block ×11, first 2 shown]
	ds_bpermute_b32 v70, v120, v70
	v_cndmask_b32_e64 v77, v107, v82, s[14:15]
	v_cndmask_b32_e64 v107, v108, v82, s[22:23]
	;; [unrolled: 1-line block ×4, first 2 shown]
	s_waitcnt lgkmcnt(0)
	v_cndmask_b32_e32 v96, v52, v70, vcc
	v_cndmask_b32_e64 v52, v32, v33, s[6:7]
	v_cndmask_b32_e64 v52, v52, v34, s[40:41]
	;; [unrolled: 1-line block ×3, first 2 shown]
	v_cndmask_b32_e32 v52, v52, v36, vcc
	v_cndmask_b32_e64 v52, v52, v37, s[0:1]
	v_cndmask_b32_e64 v52, v52, v38, s[2:3]
	;; [unrolled: 1-line block ×12, first 2 shown]
	ds_bpermute_b32 v59, v120, v52
	v_cndmask_b32_e64 v125, v67, v86, s[68:69]
	v_cndmask_b32_e64 v66, v68, v86, s[64:65]
	;; [unrolled: 1-line block ×4, first 2 shown]
	s_waitcnt lgkmcnt(0)
	v_cndmask_b32_e64 v73, v33, v59, s[6:7]
	scratch_load_dword v33, off, off offset:60 ; 4-byte Folded Reload
	v_cndmask_b32_e64 v69, v84, v86, s[36:37]
	v_cndmask_b32_e64 v48, v83, v86, s[34:35]
	;; [unrolled: 1-line block ×11, first 2 shown]
	v_cndmask_b32_e32 v114, v114, v82, vcc
	v_cndmask_b32_e64 v85, v103, v82, s[42:43]
	v_cndmask_b32_e64 v86, v102, v82, s[40:41]
	;; [unrolled: 1-line block ×8, first 2 shown]
	v_cndmask_b32_e32 v35, v35, v20, vcc
	v_cndmask_b32_e64 v35, v35, v21, s[0:1]
	v_cndmask_b32_e64 v35, v35, v22, s[2:3]
	;; [unrolled: 1-line block ×11, first 2 shown]
	ds_bpermute_b32 v35, v120, v35
	v_cndmask_b32_e64 v102, v117, v70, s[6:7]
	v_cndmask_b32_e64 v72, v32, v59, s[46:47]
	;; [unrolled: 1-line block ×4, first 2 shown]
	s_waitcnt lgkmcnt(0)
	v_cndmask_b32_e64 v80, v16, v35, s[46:47]
	v_cndmask_b32_e64 v16, v0, v1, s[6:7]
	v_cndmask_b32_e64 v16, v16, v2, s[40:41]
	v_cndmask_b32_e64 v16, v16, v3, s[42:43]
	v_cndmask_b32_e32 v16, v16, v4, vcc
	v_cndmask_b32_e64 v16, v16, v5, s[0:1]
	v_cndmask_b32_e64 v16, v16, v6, s[2:3]
	;; [unrolled: 1-line block ×11, first 2 shown]
	ds_bpermute_b32 v16, v120, v16
	v_cndmask_b32_e64 v17, v17, v35, s[6:7]
	v_cmp_eq_u32_e64 s[6:7], 2, v118
	scratch_store_dword off, v17, off offset:28 ; 4-byte Folded Spill
	v_cndmask_b32_e64 v47, v47, v59, s[10:11]
	v_cndmask_b32_e64 v17, v32, v49, s[6:7]
	;; [unrolled: 1-line block ×4, first 2 shown]
	s_waitcnt lgkmcnt(0)
	v_cndmask_b32_e64 v15, v15, v16, s[10:11]
	v_cmp_eq_u32_e64 s[10:11], 4, v118
	v_cndmask_b32_e64 v90, v62, v70, s[12:13]
	v_cndmask_b32_e64 v46, v46, v59, s[12:13]
	;; [unrolled: 1-line block ×6, first 2 shown]
	v_cmp_eq_u32_e64 s[12:13], 5, v118
	v_cndmask_b32_e64 v91, v61, v70, s[14:15]
	v_cndmask_b32_e64 v45, v45, v59, s[14:15]
	scratch_store_dword off, v37, off offset:8 ; 4-byte Folded Spill
	v_cndmask_b32_e64 v37, v29, v35, s[14:15]
	v_cndmask_b32_e64 v17, v17, v68, s[12:13]
	;; [unrolled: 1-line block ×3, first 2 shown]
	v_cmp_eq_u32_e64 s[14:15], 6, v118
	v_cndmask_b32_e64 v92, v60, v70, s[18:19]
	v_cndmask_b32_e64 v99, v64, v70, s[40:41]
	;; [unrolled: 1-line block ×7, first 2 shown]
	v_cmp_eq_u32_e64 s[18:19], 7, v118
	v_cndmask_b32_e64 v95, v57, v70, s[24:25]
	v_cndmask_b32_e64 v57, v43, v59, s[20:21]
	;; [unrolled: 1-line block ×5, first 2 shown]
	v_cmp_eq_u32_e64 s[20:21], 8, v118
	v_cndmask_b32_e64 v94, v58, v70, s[22:23]
	v_cndmask_b32_e64 v58, v42, v59, s[22:23]
	;; [unrolled: 1-line block ×5, first 2 shown]
	v_cmp_eq_u32_e64 s[22:23], 9, v118
	v_cndmask_b32_e64 v52, v41, v59, s[24:25]
	v_cndmask_b32_e64 v60, v40, v59, s[26:27]
	;; [unrolled: 1-line block ×3, first 2 shown]
	v_cndmask_b32_e32 v36, v36, v59, vcc
	v_cndmask_b32_e64 v81, v34, v59, s[40:41]
	v_cndmask_b32_e64 v59, v25, v35, s[24:25]
	;; [unrolled: 1-line block ×4, first 2 shown]
	v_cmp_eq_u32_e64 s[24:25], 10, v118
	v_cndmask_b32_e64 v56, v56, v70, s[26:27]
	v_cndmask_b32_e64 v61, v24, v35, s[26:27]
	;; [unrolled: 1-line block ×4, first 2 shown]
	v_cmp_eq_u32_e64 s[26:27], 11, v118
	v_cndmask_b32_e64 v55, v55, v70, s[30:31]
	v_cndmask_b32_e64 v103, v116, v70, s[46:47]
	;; [unrolled: 1-line block ×5, first 2 shown]
	v_cmp_eq_u32_e64 s[30:31], 12, v118
	v_cndmask_b32_e64 v54, v54, v70, s[2:3]
	v_cndmask_b32_e64 v63, v22, v35, s[2:3]
	;; [unrolled: 1-line block ×4, first 2 shown]
	v_cmp_eq_u32_e64 s[2:3], 13, v118
	v_cndmask_b32_e64 v53, v53, v70, s[0:1]
	v_cndmask_b32_e64 v97, v65, v70, s[42:43]
	;; [unrolled: 1-line block ×5, first 2 shown]
	v_cmp_eq_u32_e64 s[0:1], 14, v118
	v_cndmask_b32_e32 v20, v20, v35, vcc
	v_cndmask_b32_e32 v4, v4, v16, vcc
	v_cndmask_b32_e64 v6, v6, v121, s[0:1]
	v_cmp_eq_u32_e32 vcc, 15, v118
	v_cndmask_b32_e64 v19, v19, v35, s[42:43]
	v_cndmask_b32_e64 v18, v18, v35, s[40:41]
	v_cndmask_b32_e32 v6, v6, v98, vcc
	ds_bpermute_b32 v7, v120, v6
	v_cndmask_b32_e64 v6, v3, v16, s[42:43]
	v_cmp_eq_u32_e64 s[42:43], 0, v118
	s_waitcnt vmcnt(2)
	v_cmp_eq_u32_e64 s[58:59], 1, v33
	v_cndmask_b32_e64 v71, v0, v16, s[46:47]
	s_waitcnt lgkmcnt(0)
	v_cndmask_b32_e32 v8, v98, v7, vcc
	v_cndmask_b32_e64 v27, v51, v7, s[44:45]
	v_writelane_b32 v126, s42, 45
	v_cndmask_b32_e64 v98, v2, v16, s[40:41]
	v_cmp_ne_u32_e64 s[40:41], 0, v100
	v_cndmask_b32_e64 v32, v50, v7, s[42:43]
	v_cndmask_b32_e64 v26, v49, v7, s[6:7]
	;; [unrolled: 1-line block ×4, first 2 shown]
	v_cmp_eq_u32_e64 s[40:41], 2, v33
	v_cndmask_b32_e64 v25, v48, v7, s[8:9]
	v_cmp_eq_u32_e64 s[46:47], 3, v33
	v_cndmask_b32_e64 v0, v1, v26, s[40:41]
	v_cndmask_b32_e64 v24, v69, v7, s[10:11]
	;; [unrolled: 1-line block ×3, first 2 shown]
	v_cmp_eq_u32_e64 s[50:51], 4, v33
	v_cndmask_b32_e64 v23, v68, v7, s[12:13]
	v_cmp_eq_u32_e64 s[54:55], 5, v33
	v_cndmask_b32_e64 v0, v0, v24, s[50:51]
	v_cndmask_b32_e64 v22, v75, v7, s[14:15]
	;; [unrolled: 1-line block ×3, first 2 shown]
	v_cmp_eq_u32_e64 s[62:63], 6, v33
	v_cndmask_b32_e64 v21, v74, v7, s[18:19]
	v_cmp_eq_u32_e64 s[66:67], 7, v33
	v_cndmask_b32_e64 v0, v0, v22, s[62:63]
	scratch_store_dword off, v20, off offset:16 ; 4-byte Folded Spill
	v_cndmask_b32_e64 v20, v76, v7, s[20:21]
	v_cndmask_b32_e64 v0, v0, v21, s[66:67]
	v_cmp_eq_u32_e64 s[70:71], 8, v33
	scratch_store_dword off, v19, off offset:20 ; 4-byte Folded Spill
	v_cndmask_b32_e64 v19, v67, v7, s[22:23]
	v_cndmask_b32_e64 v0, v0, v20, s[70:71]
	v_cmp_eq_u32_e64 s[74:75], 9, v33
	scratch_store_dword off, v18, off offset:24 ; 4-byte Folded Spill
	v_cndmask_b32_e64 v18, v66, v7, s[24:25]
	v_cndmask_b32_e64 v0, v0, v19, s[74:75]
	v_cmp_eq_u32_e64 s[78:79], 10, v33
	v_cndmask_b32_e64 v17, v125, v7, s[26:27]
	v_cmp_eq_u32_e64 s[82:83], 11, v33
	v_cndmask_b32_e64 v0, v0, v18, s[78:79]
	v_cndmask_b32_e64 v11, v123, v7, s[30:31]
	;; [unrolled: 1-line block ×3, first 2 shown]
	v_cmp_eq_u32_e64 s[86:87], 12, v33
	v_cndmask_b32_e64 v10, v122, v7, s[2:3]
	s_mov_b64 s[96:97], s[40:41]
	v_cndmask_b32_e64 v0, v0, v11, s[86:87]
	v_cmp_eq_u32_e64 s[40:41], 13, v33
	v_cndmask_b32_e64 v9, v121, v7, s[0:1]
	v_writelane_b32 v126, s43, 46
	v_cndmask_b32_e64 v0, v0, v10, s[40:41]
	v_cmp_eq_u32_e64 s[42:43], 14, v33
	v_cmp_eq_u32_e64 s[98:99], 15, v33
	v_writelane_b32 v126, s96, 47
	v_cndmask_b32_e64 v0, v0, v9, s[42:43]
	v_cndmask_b32_e64 v0, v0, v8, s[98:99]
	ds_bpermute_b32 v16, v120, v0
	v_writelane_b32 v126, s97, 48
	scratch_store_dword off, v36, off offset:12 ; 4-byte Folded Spill
	s_waitcnt lgkmcnt(0)
	v_cndmask_b32_e64 v2, v9, v16, s[42:43]
	v_cndmask_b32_e64 v9, v17, v16, s[82:83]
	;; [unrolled: 1-line block ×4, first 2 shown]
	v_cmp_eq_u32_e64 s[96:97], 0, v33
	v_cndmask_b32_e64 v1, v8, v16, s[98:99]
	v_cndmask_b32_e64 v7, v10, v16, s[40:41]
	v_cndmask_b32_e64 v8, v11, v16, s[86:87]
	v_cndmask_b32_e64 v10, v18, v16, s[78:79]
	v_cndmask_b32_e64 v11, v19, v16, s[74:75]
	v_cndmask_b32_e64 v0, v20, v16, s[70:71]
	v_cndmask_b32_e64 v69, v21, v16, s[66:67]
	v_cndmask_b32_e64 v70, v22, v16, s[62:63]
	v_cndmask_b32_e64 v68, v23, v16, s[54:55]
	v_cndmask_b32_e64 v48, v24, v16, s[50:51]
	v_cndmask_b32_e64 v49, v25, v16, s[46:47]
	v_cndmask_b32_e64 v17, v17, v86, s[28:29]
	v_cndmask_b32_e64 v51, v27, v16, s[58:59]
	v_writelane_b32 v126, s96, 49
	v_cndmask_b32_e64 v17, v17, v85, s[34:35]
	v_cndmask_b32_e64 v17, v17, v114, s[36:37]
	;; [unrolled: 1-line block ×28, first 2 shown]
	ds_bpermute_b32 v18, v120, v17
	v_cndmask_b32_e64 v16, v16, v89, s[84:85]
	ds_bpermute_b32 v42, v120, v16
	v_writelane_b32 v126, s97, 50
	s_waitcnt lgkmcnt(1)
	v_cndmask_b32_e64 v121, v88, v18, s[16:17]
	scratch_load_dword v88, off, off offset:12 ; 4-byte Folded Reload
	s_waitcnt lgkmcnt(0)
	v_cndmask_b32_e64 v122, v89, v42, s[84:85]
	v_cndmask_b32_e64 v32, v90, v42, s[80:81]
	;; [unrolled: 1-line block ×5, first 2 shown]
	scratch_load_dword v89, off, off offset:28 ; 4-byte Folded Reload
	scratch_load_dword v90, off, off offset:24 ; 4-byte Folded Reload
	;; [unrolled: 1-line block ×5, first 2 shown]
	v_cndmask_b32_e64 v21, v53, v42, s[38:39]
	v_cndmask_b32_e64 v53, v72, v73, s[4:5]
	;; [unrolled: 1-line block ×29, first 2 shown]
	s_waitcnt vmcnt(5)
	v_cndmask_b32_e64 v53, v53, v88, s[36:37]
	s_waitcnt vmcnt(0)
	v_cndmask_b32_e64 v53, v53, v93, s[38:39]
	v_cndmask_b32_e64 v53, v53, v64, s[48:49]
	;; [unrolled: 1-line block ×11, first 2 shown]
	ds_bpermute_b32 v85, v120, v53
	v_cndmask_b32_e64 v53, v80, v89, s[4:5]
	v_cndmask_b32_e64 v53, v53, v90, s[28:29]
	;; [unrolled: 1-line block ×15, first 2 shown]
	ds_bpermute_b32 v86, v120, v53
	v_cndmask_b32_e64 v53, v71, v3, s[4:5]
	v_cndmask_b32_e64 v53, v53, v98, s[28:29]
	;; [unrolled: 1-line block ×15, first 2 shown]
	ds_bpermute_b32 v87, v120, v53
	s_waitcnt lgkmcnt(1)
	v_cndmask_b32_e64 v55, v37, v86, s[76:77]
	v_cndmask_b32_e64 v56, v38, v86, s[72:73]
	;; [unrolled: 1-line block ×4, first 2 shown]
	s_waitcnt lgkmcnt(0)
	v_cndmask_b32_e64 v107, v13, v87, s[76:77]
	scratch_load_dword v13, off, off offset:64 ; 4-byte Folded Reload
	v_cndmask_b32_e64 v114, v116, v87, s[52:53]
	v_cndmask_b32_e64 v64, v65, v86, s[38:39]
	;; [unrolled: 1-line block ×40, first 2 shown]
	v_readlane_b32 s84, v126, 45
	v_cndmask_b32_e64 v52, v52, v85, s[60:61]
	v_cndmask_b32_e64 v59, v59, v86, s[60:61]
	;; [unrolled: 1-line block ×3, first 2 shown]
	v_readlane_b32 s85, v126, 46
	s_waitcnt vmcnt(0)
	v_cmp_eq_u32_e64 s[38:39], 1, v13
	s_nop 1
	v_cndmask_b32_e64 v12, v74, v51, s[38:39]
	v_cmp_eq_u32_e64 s[28:29], 2, v13
	v_cmp_eq_u32_e64 s[48:49], 3, v13
	v_cmp_eq_u32_e64 s[52:53], 4, v13
	v_cndmask_b32_e64 v12, v12, v50, s[28:29]
	v_cndmask_b32_e64 v12, v12, v49, s[48:49]
	v_cndmask_b32_e64 v12, v12, v48, s[52:53]
	v_cmp_eq_u32_e64 s[56:57], 5, v13
	v_cmp_eq_u32_e64 s[64:65], 6, v13
	v_cmp_eq_u32_e64 s[68:69], 7, v13
	v_cndmask_b32_e64 v12, v12, v68, s[56:57]
	v_cndmask_b32_e64 v12, v12, v70, s[64:65]
	;; [unrolled: 6-line block ×5, first 2 shown]
	ds_bpermute_b32 v12, v120, v12
	s_waitcnt lgkmcnt(0)
	v_cndmask_b32_e64 v81, v1, v12, s[4:5]
	v_cndmask_b32_e64 v1, v42, v41, s[44:45]
	;; [unrolled: 1-line block ×15, first 2 shown]
	v_cndmask_b32_e32 v1, v1, v122, vcc
	ds_bpermute_b32 v1, v120, v1
	v_cndmask_b32_e64 v90, v0, v12, s[72:73]
	v_cndmask_b32_e64 v0, v121, v27, s[44:45]
	;; [unrolled: 1-line block ×4, first 2 shown]
	s_waitcnt lgkmcnt(0)
	v_cndmask_b32_e64 v14, v35, v1, s[30:31]
	scratch_load_dword v35, off, off offset:68 ; 4-byte Folded Reload
	v_cndmask_b32_e64 v0, v0, v43, s[10:11]
	v_cndmask_b32_e64 v0, v0, v24, s[12:13]
	;; [unrolled: 1-line block ×11, first 2 shown]
	v_cndmask_b32_e32 v0, v0, v75, vcc
	ds_bpermute_b32 v0, v120, v0
	v_cndmask_b32_e64 v87, v9, v12, s[36:37]
	v_cndmask_b32_e64 v88, v10, v12, s[80:81]
	;; [unrolled: 1-line block ×6, first 2 shown]
	s_waitcnt lgkmcnt(0)
	v_cndmask_b32_e32 v68, v75, v0, vcc
	v_cndmask_b32_e64 v69, v76, v0, s[0:1]
	v_cndmask_b32_e64 v70, v77, v0, s[2:3]
	;; [unrolled: 1-line block ×29, first 2 shown]
	v_cndmask_b32_e32 v0, v0, v47, vcc
	v_cndmask_b32_e64 v82, v2, v12, s[96:97]
	v_cndmask_b32_e64 v83, v7, v12, s[34:35]
	;; [unrolled: 1-line block ×8, first 2 shown]
	v_cndmask_b32_e32 v11, v122, v1, vcc
	v_cndmask_b32_e64 v12, v32, v1, s[0:1]
	v_cndmask_b32_e64 v13, v33, v1, s[2:3]
	v_cndmask_b32_e64 v15, v16, v1, s[26:27]
	v_cndmask_b32_e64 v16, v34, v1, s[24:25]
	v_cndmask_b32_e64 v17, v36, v1, s[22:23]
	v_cndmask_b32_e64 v18, v18, v1, s[20:21]
	v_cndmask_b32_e64 v19, v19, v1, s[18:19]
	v_cndmask_b32_e64 v20, v20, v1, s[14:15]
	v_cndmask_b32_e64 v21, v21, v1, s[12:13]
	v_cndmask_b32_e64 v22, v40, v1, s[10:11]
	v_cndmask_b32_e64 v23, v123, v1, s[8:9]
	v_cndmask_b32_e64 v24, v125, v1, s[6:7]
	v_cndmask_b32_e64 v25, v41, v1, s[44:45]
	v_cndmask_b32_e64 v26, v42, v1, s[84:85]
	ds_bpermute_b32 v1, v120, v0
	v_cndmask_b32_e64 v0, v3, v103, s[44:45]
	v_cndmask_b32_e64 v0, v0, v102, s[6:7]
	;; [unrolled: 1-line block ×14, first 2 shown]
	v_cndmask_b32_e32 v0, v0, v53, vcc
	ds_bpermute_b32 v32, v120, v0
	v_cndmask_b32_e64 v0, v6, v119, s[44:45]
	v_cndmask_b32_e64 v0, v0, v118, s[6:7]
	;; [unrolled: 1-line block ×14, first 2 shown]
	v_cndmask_b32_e32 v0, v0, v105, vcc
	ds_bpermute_b32 v33, v120, v0
	s_waitcnt lgkmcnt(2)
	v_cndmask_b32_e64 v28, v31, v1, s[0:1]
	s_waitcnt lgkmcnt(1)
	v_cndmask_b32_e64 v41, v54, v32, s[0:1]
	v_cndmask_b32_e32 v27, v47, v1, vcc
	v_cndmask_b32_e64 v29, v30, v1, s[2:3]
	s_waitcnt lgkmcnt(0)
	v_cndmask_b32_e64 v54, v106, v33, s[0:1]
	s_waitcnt vmcnt(0)
	v_cmp_eq_u32_e64 s[0:1], 1, v35
	v_cndmask_b32_e64 v42, v55, v32, s[2:3]
	v_cndmask_b32_e64 v55, v107, v33, s[2:3]
	;; [unrolled: 1-line block ×9, first 2 shown]
	s_mov_b64 s[2:3], s[84:85]
	v_cndmask_b32_e64 v34, v80, v86, s[0:1]
	s_mov_b64 s[10:11], s[0:1]
	v_cmp_eq_u32_e64 s[0:1], 2, v35
	v_cndmask_b32_e32 v40, v53, v32, vcc
	v_cndmask_b32_e64 v30, v44, v1, s[30:31]
	v_cndmask_b32_e64 v43, v56, v32, s[30:31]
	;; [unrolled: 1-line block ×20, first 2 shown]
	s_mov_b64 s[6:7], s[0:1]
	v_cmp_eq_u32_e64 s[0:1], 3, v35
	v_cndmask_b32_e64 v37, v37, v1, s[12:13]
	v_cndmask_b32_e64 v63, v116, v33, s[12:13]
	;; [unrolled: 1-line block ×3, first 2 shown]
	s_mov_b64 s[12:13], s[0:1]
	v_cmp_eq_u32_e64 s[0:1], 4, v35
	v_cndmask_b32_e64 v62, v115, v33, s[14:15]
	s_mov_b64 s[14:15], s[0:1]
	v_cndmask_b32_e64 v32, v32, v94, s[0:1]
	v_cmp_eq_u32_e64 s[0:1], 5, v35
	s_mov_b64 s[18:19], s[0:1]
	v_cndmask_b32_e64 v56, v108, v33, s[30:31]
	v_cndmask_b32_e64 v32, v32, v93, s[0:1]
	v_cmp_eq_u32_e64 s[0:1], 6, v35
	v_cndmask_b32_e64 v108, v60, v1, s[20:21]
	v_cndmask_b32_e64 v60, v113, v33, s[20:21]
	;; [unrolled: 1-line block ×3, first 2 shown]
	s_mov_b64 s[20:21], s[0:1]
	v_cmp_eq_u32_e64 s[0:1], 7, v35
	v_cndmask_b32_e64 v59, v112, v33, s[22:23]
	s_mov_b64 s[22:23], s[0:1]
	v_cndmask_b32_e64 v32, v32, v91, s[0:1]
	v_cmp_eq_u32_e64 s[0:1], 8, v35
	v_cndmask_b32_e64 v58, v110, v33, s[24:25]
	s_mov_b64 s[24:25], s[0:1]
	v_cndmask_b32_e64 v32, v32, v90, s[0:1]
	v_cmp_eq_u32_e64 s[0:1], 9, v35
	s_mov_b64 s[26:27], s[0:1]
	v_cndmask_b32_e64 v0, v98, v1, s[44:45]
	v_cndmask_b32_e64 v32, v32, v89, s[0:1]
	v_cmp_eq_u32_e64 s[0:1], 10, v35
	s_mov_b64 s[30:31], s[0:1]
	v_cndmask_b32_e64 v5, v119, v33, s[44:45]
	v_cndmask_b32_e64 v32, v32, v88, s[0:1]
	v_cmp_eq_u32_e64 s[0:1], 11, v35
	s_mov_b64 s[44:45], s[0:1]
	v_writelane_b32 v126, s44, 51
	v_cndmask_b32_e64 v32, v32, v87, s[0:1]
	v_cmp_eq_u32_e64 s[0:1], 12, v35
	v_writelane_b32 v126, s45, 52
	s_mov_b64 s[84:85], s[0:1]
	v_writelane_b32 v126, s84, 53
	v_cndmask_b32_e64 v32, v32, v84, s[0:1]
	v_cmp_eq_u32_e64 s[0:1], 13, v35
	v_writelane_b32 v126, s85, 54
	v_cndmask_b32_e64 v1, v96, v1, s[2:3]
	v_writelane_b32 v126, s0, 55
	v_cndmask_b32_e64 v6, v6, v33, s[2:3]
	v_cmp_eq_u32_e64 s[2:3], 14, v35
	v_writelane_b32 v126, s1, 56
	v_cndmask_b32_e64 v32, v32, v83, s[0:1]
	v_writelane_b32 v126, s2, 45
	v_cndmask_b32_e64 v65, v100, v33, s[8:9]
	v_cmp_eq_u32_e64 s[8:9], 15, v35
	v_writelane_b32 v126, s3, 46
	v_cndmask_b32_e64 v32, v32, v82, s[2:3]
	v_writelane_b32 v126, s8, 57
	v_cndmask_b32_e32 v53, v105, v33, vcc
	v_cndmask_b32_e64 v33, v10, v9, s[58:59]
	v_cndmask_b32_e64 v32, v32, v81, s[8:9]
	ds_bpermute_b32 v32, v120, v32
	v_writelane_b32 v126, s9, 58
	s_waitcnt lgkmcnt(0)
	v_cndmask_b32_e64 v82, v82, v32, s[2:3]
	v_readlane_b32 s2, v126, 47
	v_readlane_b32 s3, v126, 48
	v_cndmask_b32_e64 v83, v83, v32, s[0:1]
	v_cmp_eq_u32_e64 s[0:1], 0, v35
	v_cndmask_b32_e64 v33, v33, v67, s[2:3]
	v_cndmask_b32_e64 v33, v33, v66, s[46:47]
	;; [unrolled: 1-line block ×4, first 2 shown]
	v_writelane_b32 v126, s0, 59
	v_cndmask_b32_e64 v81, v81, v32, s[8:9]
	v_cndmask_b32_e64 v84, v84, v32, s[84:85]
	;; [unrolled: 1-line block ×14, first 2 shown]
	v_writelane_b32 v126, s1, 60
	v_cndmask_b32_e64 v80, v80, v32, s[0:1]
	v_cndmask_b32_e64 v32, v26, v25, s[58:59]
	s_mov_b64 s[0:1], s[2:3]
	v_cndmask_b32_e64 v33, v33, v76, s[66:67]
	v_cndmask_b32_e64 v32, v32, v24, s[0:1]
	;; [unrolled: 1-line block ×18, first 2 shown]
	ds_bpermute_b32 v33, v120, v33
	v_cndmask_b32_e64 v32, v32, v15, s[82:83]
	v_cndmask_b32_e64 v32, v32, v14, s[86:87]
	;; [unrolled: 1-line block ×5, first 2 shown]
	s_waitcnt lgkmcnt(0)
	v_cndmask_b32_e64 v123, v73, v33, s[78:79]
	ds_bpermute_b32 v73, v120, v32
	v_cndmask_b32_e64 v32, v9, v33, s[58:59]
	v_cndmask_b32_e64 v9, v1, v0, s[58:59]
	;; [unrolled: 1-line block ×4, first 2 shown]
	s_waitcnt lgkmcnt(0)
	v_cndmask_b32_e64 v36, v19, v73, s[66:67]
	scratch_load_dword v19, off, off offset:72 ; 4-byte Folded Reload
	v_cndmask_b32_e64 v9, v9, v38, s[50:51]
	v_cndmask_b32_e64 v9, v9, v37, s[54:55]
	;; [unrolled: 1-line block ×10, first 2 shown]
	v_readlane_b32 s2, v126, 49
	v_cndmask_b32_e64 v9, v9, v28, s[42:43]
	v_readlane_b32 s3, v126, 50
	v_cndmask_b32_e64 v9, v9, v27, s[98:99]
	v_cndmask_b32_e64 v68, v68, v33, s[98:99]
	v_cndmask_b32_e64 v69, v69, v33, s[42:43]
	v_cndmask_b32_e64 v70, v70, v33, s[40:41]
	v_cndmask_b32_e64 v71, v71, v33, s[86:87]
	v_cndmask_b32_e64 v72, v72, v33, s[82:83]
	v_cndmask_b32_e64 v125, v74, v33, s[74:75]
	v_cndmask_b32_e64 v75, v75, v33, s[70:71]
	v_cndmask_b32_e64 v76, v76, v33, s[66:67]
	v_cndmask_b32_e64 v77, v77, v33, s[62:63]
	v_cndmask_b32_e64 v78, v78, v33, s[54:55]
	v_cndmask_b32_e64 v79, v79, v33, s[50:51]
	v_cndmask_b32_e64 v66, v66, v33, s[46:47]
	v_cndmask_b32_e64 v67, v67, v33, s[0:1]
	v_cndmask_b32_e64 v10, v10, v33, s[2:3]
	v_cndmask_b32_e64 v33, v16, v73, s[78:79]
	ds_bpermute_b32 v16, v120, v9
	v_cndmask_b32_e64 v9, v3, v2, s[58:59]
	v_cndmask_b32_e64 v9, v9, v8, s[0:1]
	v_cndmask_b32_e64 v9, v9, v52, s[46:47]
	v_cndmask_b32_e64 v9, v9, v51, s[50:51]
	v_cndmask_b32_e64 v9, v9, v50, s[54:55]
	v_cndmask_b32_e64 v9, v9, v49, s[62:63]
	v_cndmask_b32_e64 v9, v9, v48, s[66:67]
	v_cndmask_b32_e64 v9, v9, v47, s[70:71]
	v_cndmask_b32_e64 v9, v9, v46, s[74:75]
	v_cndmask_b32_e64 v9, v9, v45, s[78:79]
	v_cndmask_b32_e64 v9, v9, v44, s[82:83]
	v_cndmask_b32_e64 v9, v9, v43, s[86:87]
	v_cndmask_b32_e64 v9, v9, v42, s[40:41]
	v_cndmask_b32_e64 v9, v9, v41, s[42:43]
	v_cndmask_b32_e64 v9, v9, v40, s[98:99]
	v_cndmask_b32_e64 v34, v17, v73, s[74:75]
	ds_bpermute_b32 v17, v120, v9
	;; [unrolled: 17-line block ×3, first 2 shown]
	v_cndmask_b32_e64 v24, v24, v73, s[0:1]
	s_waitcnt lgkmcnt(2)
	v_cndmask_b32_e64 v9, v7, v16, s[0:1]
	s_waitcnt lgkmcnt(1)
	v_cndmask_b32_e64 v8, v8, v17, s[0:1]
	v_cndmask_b32_e64 v7, v2, v17, s[58:59]
	s_waitcnt lgkmcnt(0)
	v_cndmask_b32_e64 v113, v56, v18, s[86:87]
	v_cndmask_b32_e64 v56, v109, v16, s[66:67]
	;; [unrolled: 1-line block ×4, first 2 shown]
	s_mov_b64 s[0:1], s[2:3]
	v_cndmask_b32_e64 v4, v0, v16, s[58:59]
	v_cndmask_b32_e64 v2, v1, v16, s[0:1]
	;; [unrolled: 1-line block ×6, first 2 shown]
	s_waitcnt vmcnt(0)
	v_cmp_eq_u32_e64 s[8:9], 1, v19
	v_cmp_eq_u32_e64 s[0:1], 2, v19
	v_cndmask_b32_e64 v122, v63, v18, s[54:55]
	v_cndmask_b32_e64 v0, v80, v86, s[8:9]
	;; [unrolled: 1-line block ×6, first 2 shown]
	s_mov_b64 s[50:51], s[0:1]
	v_cmp_eq_u32_e64 s[0:1], 3, v19
	v_cndmask_b32_e64 v21, v21, v73, s[54:55]
	v_cndmask_b32_e64 v117, v58, v18, s[78:79]
	;; [unrolled: 1-line block ×6, first 2 shown]
	s_mov_b64 s[54:55], s[0:1]
	v_cmp_eq_u32_e64 s[0:1], 4, v19
	v_cndmask_b32_e64 v25, v25, v73, s[58:59]
	v_cndmask_b32_e64 v5, v5, v18, s[58:59]
	;; [unrolled: 1-line block ×3, first 2 shown]
	s_mov_b64 s[58:59], s[0:1]
	v_cmp_eq_u32_e64 s[0:1], 5, v19
	v_cndmask_b32_e64 v20, v20, v73, s[62:63]
	v_cndmask_b32_e64 v116, v57, v18, s[82:83]
	v_cndmask_b32_e64 v119, v61, v18, s[66:67]
	v_cndmask_b32_e64 v57, v114, v16, s[62:63]
	v_cndmask_b32_e64 v61, v49, v17, s[62:63]
	v_cndmask_b32_e64 v0, v0, v93, s[0:1]
	s_mov_b64 s[62:63], s[0:1]
	v_cmp_eq_u32_e64 s[0:1], 6, v19
	s_mov_b64 s[66:67], s[0:1]
	v_cndmask_b32_e64 v112, v55, v18, s[40:41]
	v_cndmask_b32_e64 v0, v0, v92, s[0:1]
	v_cmp_eq_u32_e64 s[0:1], 7, v19
	v_cndmask_b32_e64 v55, v108, v16, s[70:71]
	v_cndmask_b32_e64 v108, v47, v17, s[70:71]
	v_cndmask_b32_e64 v118, v60, v18, s[70:71]
	v_cndmask_b32_e64 v0, v0, v91, s[0:1]
	s_mov_b64 s[70:71], s[0:1]
	v_cmp_eq_u32_e64 s[0:1], 8, v19
	v_cndmask_b32_e64 v110, v54, v18, s[42:43]
	v_cndmask_b32_e64 v54, v107, v16, s[74:75]
	v_cndmask_b32_e64 v107, v46, v17, s[74:75]
	v_cndmask_b32_e64 v0, v0, v90, s[0:1]
	s_mov_b64 s[74:75], s[0:1]
	v_cmp_eq_u32_e64 s[0:1], 9, v19
	v_cndmask_b32_e64 v99, v53, v18, s[98:99]
	v_cndmask_b32_e64 v53, v106, v16, s[78:79]
	v_cndmask_b32_e64 v106, v45, v17, s[78:79]
	v_cndmask_b32_e64 v0, v0, v89, s[0:1]
	s_mov_b64 s[78:79], s[0:1]
	v_cmp_eq_u32_e64 s[0:1], 10, v19
	v_cndmask_b32_e64 v15, v15, v73, s[82:83]
	v_cndmask_b32_e64 v31, v31, v16, s[82:83]
	v_cndmask_b32_e64 v105, v44, v17, s[82:83]
	v_cndmask_b32_e64 v0, v0, v88, s[0:1]
	s_mov_b64 s[82:83], s[0:1]
	v_cmp_eq_u32_e64 s[0:1], 11, v19
	s_mov_b64 s[84:85], s[0:1]
	v_cndmask_b32_e64 v14, v14, v73, s[86:87]
	v_cndmask_b32_e64 v0, v0, v87, s[0:1]
	v_cmp_eq_u32_e64 s[0:1], 12, v19
	v_cndmask_b32_e64 v30, v30, v16, s[86:87]
	v_cndmask_b32_e64 v103, v43, v17, s[86:87]
	;; [unrolled: 1-line block ×3, first 2 shown]
	s_mov_b64 s[86:87], s[0:1]
	v_cmp_eq_u32_e64 s[0:1], 13, v19
	v_cndmask_b32_e64 v11, v11, v73, s[98:99]
	v_cndmask_b32_e64 v27, v27, v16, s[98:99]
	;; [unrolled: 1-line block ×3, first 2 shown]
	v_writelane_b32 v126, s0, 47
	v_cmp_eq_u32_e64 s[98:99], 14, v19
	v_cndmask_b32_e64 v23, v23, v73, s[46:47]
	v_cndmask_b32_e64 v0, v0, v83, s[0:1]
	;; [unrolled: 1-line block ×5, first 2 shown]
	s_mov_b64 s[46:47], s[8:9]
	v_writelane_b32 v126, s1, 48
	v_cndmask_b32_e64 v0, v0, v82, s[98:99]
	v_cmp_eq_u32_e64 s[8:9], 15, v19
	v_cndmask_b32_e64 v28, v28, v16, s[42:43]
	v_cndmask_b32_e64 v29, v29, v16, s[40:41]
	v_writelane_b32 v126, s8, 49
	v_cndmask_b32_e64 v26, v26, v73, s[2:3]
	v_cndmask_b32_e64 v13, v13, v73, s[40:41]
	;; [unrolled: 1-line block ×3, first 2 shown]
	ds_bpermute_b32 v16, v120, v0
	v_cndmask_b32_e64 v0, v10, v32, s[38:39]
	v_cndmask_b32_e64 v0, v0, v67, s[28:29]
	v_cndmask_b32_e64 v0, v0, v66, s[48:49]
	v_cndmask_b32_e64 v0, v0, v79, s[52:53]
	v_cndmask_b32_e64 v0, v0, v78, s[56:57]
	v_cndmask_b32_e64 v0, v0, v77, s[64:65]
	v_cndmask_b32_e64 v0, v0, v76, s[68:69]
	v_cndmask_b32_e64 v0, v0, v75, s[72:73]
	v_cndmask_b32_e64 v0, v0, v125, s[76:77]
	v_cndmask_b32_e64 v0, v0, v123, s[80:81]
	v_cndmask_b32_e64 v0, v0, v72, s[36:37]
	v_cndmask_b32_e64 v0, v0, v71, s[16:17]
	v_cndmask_b32_e64 v0, v0, v70, s[34:35]
	v_cndmask_b32_e64 v0, v0, v69, s[96:97]
	v_writelane_b32 v126, s9, 50
	s_waitcnt lgkmcnt(0)
	v_cndmask_b32_e64 v83, v83, v16, s[0:1]
	v_cndmask_b32_e64 v0, v0, v68, s[4:5]
	v_cmp_eq_u32_e64 s[0:1], 0, v19
	v_cndmask_b32_e64 v81, v81, v16, s[8:9]
	v_cndmask_b32_e64 v82, v82, v16, s[98:99]
	;; [unrolled: 1-line block ×12, first 2 shown]
	ds_bpermute_b32 v37, v120, v0
	v_cndmask_b32_e64 v0, v85, v16, s[50:51]
	v_cndmask_b32_e64 v1, v86, v16, s[46:47]
	v_writelane_b32 v126, s0, 61
	v_cndmask_b32_e64 v12, v12, v73, s[42:43]
	v_cndmask_b32_e64 v102, v42, v17, s[40:41]
	;; [unrolled: 1-line block ×18, first 2 shown]
	ds_bpermute_b32 v49, v120, v16
	v_cndmask_b32_e64 v97, v41, v17, s[42:43]
	s_waitcnt lgkmcnt(1)
	v_cndmask_b32_e64 v18, v68, v37, s[4:5]
	v_cndmask_b32_e64 v74, v69, v37, s[96:97]
	v_cndmask_b32_e64 v69, v75, v37, s[72:73]
	s_waitcnt lgkmcnt(0)
	v_cndmask_b32_e64 v47, v11, v49, s[4:5]
	v_cndmask_b32_e64 v46, v12, v49, s[96:97]
	;; [unrolled: 1-line block ×32, first 2 shown]
	ds_bpermute_b32 v11, v120, v11
	ds_bpermute_b32 v12, v120, v12
	v_cndmask_b32_e64 v75, v10, v37, s[60:61]
	v_cndmask_b32_e64 v10, v2, v4, s[38:39]
	;; [unrolled: 1-line block ×3, first 2 shown]
	s_waitcnt lgkmcnt(1)
	v_cndmask_b32_e64 v68, v105, v11, s[36:37]
	s_waitcnt lgkmcnt(0)
	v_cndmask_b32_e64 v105, v119, v12, s[68:69]
	scratch_load_dword v119, off, off offset:76 ; 4-byte Folded Reload
	v_cndmask_b32_e64 v10, v10, v60, s[48:49]
	v_cndmask_b32_e64 v10, v10, v59, s[52:53]
	;; [unrolled: 1-line block ×13, first 2 shown]
	ds_bpermute_b32 v10, v120, v10
	v_cndmask_b32_e64 v45, v13, v49, s[34:35]
	v_cndmask_b32_e64 v13, v99, v12, s[4:5]
	;; [unrolled: 1-line block ×4, first 2 shown]
	scratch_store_dword off, v13, off offset:8 ; 4-byte Folded Spill
	v_cndmask_b32_e64 v13, v110, v12, s[96:97]
	v_cndmask_b32_e64 v110, v102, v11, s[34:35]
	s_waitcnt lgkmcnt(0)
	v_cndmask_b32_e64 v52, v31, v10, s[36:37]
	v_cndmask_b32_e64 v102, v116, v12, s[36:37]
	;; [unrolled: 1-line block ×58, first 2 shown]
	s_waitcnt vmcnt(1)
	v_cmp_eq_u32_e64 s[36:37], 1, v119
	v_cmp_eq_u32_e64 s[38:39], 2, v119
	v_cmp_eq_u32_e64 s[40:41], 3, v119
	v_cndmask_b32_e64 v2, v65, v1, s[36:37]
	v_cndmask_b32_e64 v2, v2, v0, s[38:39]
	v_cndmask_b32_e64 v2, v2, v114, s[40:41]
	v_cmp_eq_u32_e64 s[42:43], 4, v119
	v_cmp_eq_u32_e64 s[44:45], 5, v119
	v_cmp_eq_u32_e64 s[48:49], 6, v119
	v_cndmask_b32_e64 v2, v2, v94, s[42:43]
	v_cndmask_b32_e64 v2, v2, v93, s[44:45]
	v_cndmask_b32_e64 v2, v2, v92, s[48:49]
	v_cmp_eq_u32_e64 s[52:53], 7, v119
	v_cmp_eq_u32_e64 s[56:57], 8, v119
	v_cmp_eq_u32_e64 s[60:61], 9, v119
	v_cndmask_b32_e64 v2, v2, v91, s[52:53]
	v_cndmask_b32_e64 v2, v2, v90, s[56:57]
	v_cndmask_b32_e64 v2, v2, v89, s[60:61]
	v_cmp_eq_u32_e64 s[64:65], 10, v119
	v_cmp_eq_u32_e64 s[68:69], 11, v119
	v_cmp_eq_u32_e64 s[72:73], 12, v119
	v_cndmask_b32_e64 v2, v2, v88, s[64:65]
	v_cndmask_b32_e64 v2, v2, v87, s[68:69]
	v_cndmask_b32_e64 v2, v2, v84, s[72:73]
	v_cmp_eq_u32_e64 s[76:77], 13, v119
	v_cndmask_b32_e64 v53, v53, v10, s[80:81]
	v_cmp_eq_u32_e64 s[80:81], 14, v119
	v_cndmask_b32_e64 v2, v2, v83, s[76:77]
	v_cmp_eq_u32_e32 vcc, 15, v119
	v_cndmask_b32_e64 v2, v2, v82, s[80:81]
	v_cndmask_b32_e64 v51, v30, v10, s[16:17]
	v_cndmask_b32_e32 v2, v2, v81, vcc
	ds_bpermute_b32 v20, v120, v2
	s_mov_b64 s[16:17], s[10:11]
	s_mov_b64 s[8:9], s[6:7]
	v_cndmask_b32_e64 v61, v9, v10, s[28:29]
	v_cndmask_b32_e64 v77, v8, v11, s[28:29]
	s_waitcnt lgkmcnt(0)
	v_cndmask_b32_e64 v2, v0, v20, s[38:39]
	v_cndmask_b32_e64 v0, v75, v78, s[16:17]
	;; [unrolled: 1-line block ×3, first 2 shown]
	s_mov_b64 s[28:29], s[12:13]
	v_cndmask_b32_e64 v50, v29, v10, s[34:35]
	v_cndmask_b32_e64 v0, v0, v16, s[28:29]
	s_mov_b64 s[34:35], s[14:15]
	v_cndmask_b32_e64 v32, v28, v10, s[96:97]
	v_cndmask_b32_e64 v0, v0, v123, s[34:35]
	s_mov_b64 s[96:97], s[18:19]
	v_cndmask_b32_e64 v0, v0, v125, s[96:97]
	s_mov_b64 s[6:7], s[20:21]
	;; [unrolled: 2-line block ×4, first 2 shown]
	v_writelane_b32 v126, s1, 62
	v_cndmask_b32_e64 v0, v0, v69, s[12:13]
	s_mov_b64 s[14:15], s[26:27]
	v_cndmask_b32_e64 v0, v0, v70, s[14:15]
	s_mov_b64 s[18:19], s[30:31]
	v_readlane_b32 s20, v126, 51
	v_cndmask_b32_e64 v0, v0, v71, s[18:19]
	v_readlane_b32 s21, v126, 52
	v_readlane_b32 s22, v126, 53
	v_readlane_b32 s23, v126, 54
	v_cndmask_b32_e64 v0, v0, v72, s[20:21]
	v_readlane_b32 s88, v126, 55
	v_cndmask_b32_e64 v0, v0, v19, s[22:23]
	v_readlane_b32 s89, v126, 56
	v_readlane_b32 s26, v126, 45
	v_readlane_b32 s27, v126, 46
	v_cndmask_b32_e64 v0, v0, v73, s[88:89]
	v_readlane_b32 s30, v126, 57
	v_cndmask_b32_e64 v0, v0, v74, s[26:27]
	v_readlane_b32 s31, v126, 58
	v_readlane_b32 s2, v126, 59
	v_readlane_b32 s3, v126, 60
	v_cndmask_b32_e64 v0, v0, v18, s[30:31]
	ds_bpermute_b32 v0, v120, v0
	v_cndmask_b32_e64 v66, v27, v10, s[4:5]
	v_cndmask_b32_e64 v96, v96, v11, s[4:5]
	s_mov_b64 s[4:5], s[46:47]
	s_mov_b64 s[46:47], s[50:51]
	s_waitcnt lgkmcnt(0)
	v_cndmask_b32_e64 v18, v18, v0, s[30:31]
	v_cndmask_b32_e64 v21, v74, v0, s[26:27]
	;; [unrolled: 1-line block ×18, first 2 shown]
	s_mov_b64 s[50:51], s[54:55]
	v_cndmask_b32_e64 v69, v69, v16, s[50:51]
	s_mov_b64 s[54:55], s[58:59]
	v_cndmask_b32_e64 v69, v69, v30, s[54:55]
	;; [unrolled: 2-line block ×9, first 2 shown]
	s_mov_b64 s[84:85], s[86:87]
	v_readlane_b32 s86, v126, 47
	v_cndmask_b32_e64 v69, v69, v19, s[84:85]
	v_readlane_b32 s87, v126, 48
	v_readlane_b32 s0, v126, 49
	;; [unrolled: 1-line block ×3, first 2 shown]
	v_cndmask_b32_e64 v69, v69, v22, s[86:87]
	v_cndmask_b32_e64 v69, v69, v21, s[98:99]
	;; [unrolled: 1-line block ×3, first 2 shown]
	ds_bpermute_b32 v69, v120, v69
	s_mov_b64 s[24:25], s[18:19]
	s_mov_b64 s[18:19], s[10:11]
	v_readlane_b32 s10, v126, 61
	v_readlane_b32 s11, v126, 62
	s_waitcnt lgkmcnt(0)
	v_cndmask_b32_e64 v18, v18, v69, s[0:1]
	v_cndmask_b32_e64 v21, v21, v69, s[98:99]
	;; [unrolled: 1-line block ×30, first 2 shown]
	v_cndmask_b32_e32 v0, v0, v18, vcc
	ds_bpermute_b32 v78, v120, v0
	s_mov_b64 s[94:95], s[26:27]
	s_mov_b64 s[26:27], s[20:21]
	;; [unrolled: 1-line block ×4, first 2 shown]
	s_waitcnt lgkmcnt(0)
	v_cndmask_b32_e64 v28, v19, v78, s[72:73]
	v_cndmask_b32_e64 v19, v16, v78, s[40:41]
	;; [unrolled: 1-line block ×9, first 2 shown]
	s_mov_b64 s[90:91], s[30:31]
	s_mov_b64 s[30:31], s[22:23]
	;; [unrolled: 1-line block ×3, first 2 shown]
	v_cndmask_b32_e64 v16, v16, v42, s[20:21]
	v_cndmask_b32_e64 v16, v16, v41, s[22:23]
	v_cndmask_b32_e64 v16, v16, v40, s[24:25]
	v_cndmask_b32_e64 v16, v16, v39, s[26:27]
	v_cndmask_b32_e64 v16, v16, v38, s[30:31]
	v_cndmask_b32_e64 v16, v16, v45, s[88:89]
	s_mov_b64 s[14:15], s[94:95]
	v_cndmask_b32_e64 v16, v16, v46, s[14:15]
	s_mov_b64 s[94:95], s[90:91]
	v_cndmask_b32_e64 v16, v16, v47, s[94:95]
	ds_bpermute_b32 v16, v120, v16
	s_mov_b64 s[8:9], s[2:3]
	v_cmp_eq_u32_e64 s[0:1], 0, v119
	v_cndmask_b32_e64 v27, v23, v78, s[68:69]
	v_cndmask_b32_e64 v26, v24, v78, s[64:65]
	s_waitcnt lgkmcnt(0)
	v_cndmask_b32_e64 v47, v47, v16, s[94:95]
	v_cndmask_b32_e64 v46, v46, v16, s[14:15]
	;; [unrolled: 1-line block ×16, first 2 shown]
	s_mov_b64 s[2:3], s[4:5]
	v_cndmask_b32_e64 v49, v16, v33, s[2:3]
	v_cndmask_b32_e64 v49, v49, v34, s[46:47]
	;; [unrolled: 1-line block ×13, first 2 shown]
	v_readlane_b32 s4, v126, 49
	v_cndmask_b32_e64 v49, v49, v46, s[98:99]
	v_readlane_b32 s5, v126, 50
	s_mov_b64 s[14:15], s[6:7]
	s_mov_b64 s[6:7], s[10:11]
	v_cndmask_b32_e64 v49, v49, v47, s[4:5]
	ds_bpermute_b32 v49, v120, v49
	v_cndmask_b32_e64 v0, v65, v20, s[0:1]
	v_cndmask_b32_e64 v24, v70, v78, s[56:57]
	;; [unrolled: 1-line block ×3, first 2 shown]
	s_mov_b64 s[88:89], s[98:99]
	s_waitcnt lgkmcnt(0)
	v_cndmask_b32_e64 v47, v47, v49, s[4:5]
	v_cndmask_b32_e64 v46, v46, v49, s[98:99]
	;; [unrolled: 1-line block ×21, first 2 shown]
	s_mov_b64 s[98:99], s[86:87]
	s_mov_b64 s[86:87], s[84:85]
	;; [unrolled: 1-line block ×10, first 2 shown]
	v_cndmask_b32_e64 v16, v16, v71, s[48:49]
	s_mov_b64 s[54:55], s[52:53]
	v_cndmask_b32_e64 v16, v16, v70, s[54:55]
	v_cndmask_b32_e64 v16, v16, v65, s[56:57]
	;; [unrolled: 1-line block ×8, first 2 shown]
	v_cndmask_b32_e32 v15, v81, v20, vcc
	v_cndmask_b32_e32 v31, v18, v78, vcc
	v_writelane_b32 v126, vcc_lo, 63
	v_cndmask_b32_e64 v29, v22, v78, s[76:77]
	v_cndmask_b32_e64 v22, v72, v78, s[48:49]
	v_cndmask_b32_e32 v16, v16, v47, vcc
	ds_bpermute_b32 v72, v120, v16
	s_mov_b64 s[4:5], s[2:3]
	s_mov_b64 s[2:3], s[12:13]
	v_cndmask_b32_e64 v16, v69, v78, s[0:1]
	s_mov_b64 s[90:91], s[0:1]
	s_waitcnt lgkmcnt(0)
	v_cndmask_b32_e64 v42, v40, v72, s[64:65]
	v_cndmask_b32_e64 v40, v65, v72, s[56:57]
	;; [unrolled: 1-line block ×7, first 2 shown]
	s_mov_b64 s[0:1], s[14:15]
	v_cndmask_b32_e64 v65, v65, v57, s[0:1]
	s_mov_b64 s[10:11], s[18:19]
	v_cndmask_b32_e64 v65, v65, v56, s[10:11]
	;; [unrolled: 2-line block ×6, first 2 shown]
	s_mov_b64 s[22:23], s[30:31]
	v_readlane_b32 s24, v126, 55
	scratch_store_dword off, v13, off offset:12 ; 4-byte Folded Spill
	v_cndmask_b32_e64 v14, v82, v20, s[80:81]
	v_cndmask_b32_e64 v13, v83, v20, s[76:77]
	;; [unrolled: 1-line block ×19, first 2 shown]
	s_mov_b64 s[52:53], s[44:45]
	v_cndmask_b32_e64 v36, v36, v72, s[42:43]
	s_mov_b64 s[44:45], s[42:43]
	v_cndmask_b32_e64 v35, v35, v72, s[40:41]
	;; [unrolled: 2-line block ×5, first 2 shown]
	v_readlane_b32 s25, v126, 56
	v_readlane_b32 s36, v126, 45
	;; [unrolled: 1-line block ×3, first 2 shown]
	v_cndmask_b32_e64 v65, v65, v50, s[24:25]
	s_mov_b64 s[26:27], s[22:23]
	v_cndmask_b32_e64 v65, v65, v32, s[36:37]
	v_cndmask_b32_e64 v65, v65, v66, s[94:95]
	ds_bpermute_b32 v65, v120, v65
	v_cndmask_b32_e64 v25, v25, v78, s[60:61]
	v_cndmask_b32_e64 v44, v38, v72, s[72:73]
	;; [unrolled: 1-line block ×4, first 2 shown]
	s_waitcnt lgkmcnt(0)
	v_cndmask_b32_e64 v62, v62, v65, s[16:17]
	v_cndmask_b32_e64 v63, v63, v65, s[8:9]
	;; [unrolled: 1-line block ×28, first 2 shown]
	s_mov_b64 s[22:23], s[18:19]
	s_mov_b64 s[18:19], s[12:13]
	s_mov_b64 s[12:13], s[0:1]
	s_mov_b64 s[0:1], s[8:9]
	v_cndmask_b32_e64 v65, v65, v50, s[98:99]
	v_readlane_b32 s8, v126, 49
	v_cndmask_b32_e64 v65, v65, v32, s[88:89]
	v_readlane_b32 s9, v126, 50
	v_cndmask_b32_e64 v38, v71, v72, s[48:49]
	v_writelane_b32 v127, vcc_hi, 0
	v_cndmask_b32_e64 v65, v65, v66, s[8:9]
	ds_bpermute_b32 v65, v120, v65
	v_cndmask_b32_e32 v47, v47, v72, vcc
	v_cndmask_b32_e64 v46, v46, v72, s[80:81]
	s_mov_b64 vcc, s[80:81]
	v_cndmask_b32_e64 v45, v45, v72, s[76:77]
	s_waitcnt lgkmcnt(0)
	v_cndmask_b32_e64 v66, v66, v65, s[8:9]
	v_cndmask_b32_e64 v69, v32, v65, s[88:89]
	;; [unrolled: 1-line block ×22, first 2 shown]
	s_mov_b64 s[80:81], s[76:77]
	s_mov_b64 s[76:77], s[72:73]
	;; [unrolled: 1-line block ×4, first 2 shown]
	v_cndmask_b32_e64 v41, v41, v72, s[60:61]
	s_mov_b64 s[64:65], s[60:61]
	s_mov_b64 s[60:61], s[56:57]
	v_cndmask_b32_e64 v32, v32, v70, s[54:55]
	v_cndmask_b32_e64 v32, v32, v55, s[60:61]
	;; [unrolled: 1-line block ×7, first 2 shown]
	v_readlane_b32 s56, v126, 63
	v_cndmask_b32_e32 v32, v32, v69, vcc
	v_readlane_b32 s57, v127, 0
	s_mov_b64 s[30:31], s[24:25]
	s_mov_b64 s[24:25], s[20:21]
	v_cndmask_b32_e64 v32, v32, v66, s[56:57]
	ds_bpermute_b32 v82, v120, v32
	s_mov_b64 s[20:21], s[14:15]
	s_mov_b64 s[14:15], s[10:11]
	s_mov_b64 s[10:11], s[2:3]
	s_mov_b64 s[2:3], s[6:7]
	s_waitcnt lgkmcnt(0)
	v_cndmask_b32_e64 v63, v66, v82, s[56:57]
	v_cndmask_b32_e64 v66, v79, v48, s[16:17]
	;; [unrolled: 1-line block ×5, first 2 shown]
	s_mov_b64 s[6:7], s[90:91]
	s_mov_b64 s[90:91], s[56:57]
	v_cndmask_b32_e64 v66, v66, v121, s[96:97]
	s_mov_b64 s[56:57], s[12:13]
	v_cndmask_b32_e64 v66, v66, v80, s[56:57]
	;; [unrolled: 2-line block ×10, first 2 shown]
	v_cndmask_b32_e64 v66, v66, v96, s[94:95]
	ds_bpermute_b32 v66, v120, v66
	v_writelane_b32 v127, s6, 1
	v_cndmask_b32_e32 v62, v69, v82, vcc
	v_cndmask_b32_e64 v61, v50, v82, s[80:81]
	v_writelane_b32 v127, s7, 2
	v_cndmask_b32_e64 v32, v49, v72, s[6:7]
	v_cndmask_b32_e64 v60, v51, v82, s[76:77]
	;; [unrolled: 1-line block ×13, first 2 shown]
	s_waitcnt lgkmcnt(0)
	v_cndmask_b32_e64 v69, v96, v66, s[94:95]
	v_cndmask_b32_e64 v70, v95, v66, s[30:31]
	v_cndmask_b32_e64 v71, v110, v66, s[26:27]
	v_cndmask_b32_e64 v67, v67, v66, s[24:25]
	v_cndmask_b32_e64 v68, v68, v66, s[22:23]
	v_cndmask_b32_e64 v72, v116, v66, s[20:21]
	v_cndmask_b32_e64 v73, v117, v66, s[18:19]
	v_cndmask_b32_e64 v74, v100, v66, s[14:15]
	v_cndmask_b32_e64 v75, v118, v66, s[12:13]
	v_cndmask_b32_e64 v78, v80, v66, s[56:57]
	v_cndmask_b32_e64 v80, v121, v66, s[96:97]
	v_cndmask_b32_e64 v81, v122, v66, s[34:35]
	v_cndmask_b32_e64 v76, v76, v66, s[28:29]
	v_cndmask_b32_e64 v77, v77, v66, s[10:11]
	v_cndmask_b32_e64 v48, v48, v66, s[16:17]
	v_cndmask_b32_e64 v66, v79, v66, s[0:1]
	v_writelane_b32 v127, s4, 3
	s_mov_b64 s[0:1], s[88:89]
	scratch_load_dwordx2 v[118:119], off, off ; 8-byte Folded Reload
	v_writelane_b32 v127, s5, 4
	v_cndmask_b32_e64 v79, v66, v48, s[4:5]
	v_writelane_b32 v127, s46, 5
	v_readlane_b32 s36, v126, 23
	v_readlane_b32 s37, v126, 24
	v_cndmask_b32_e64 v79, v79, v77, s[46:47]
	v_cndmask_b32_e64 v79, v79, v76, s[50:51]
	;; [unrolled: 1-line block ×14, first 2 shown]
	ds_bpermute_b32 v79, v120, v79
	v_writelane_b32 v127, s47, 6
	s_waitcnt lgkmcnt(0)
	v_cndmask_b32_e64 v86, v80, v79, s[62:63]
	v_cndmask_b32_e64 v90, v48, v79, s[4:5]
	;; [unrolled: 1-line block ×10, first 2 shown]
	s_mov_b64 s[46:47], s[52:53]
	v_cndmask_b32_e64 v85, v78, v79, s[66:67]
	v_cndmask_b32_e64 v48, v48, v86, s[46:47]
	;; [unrolled: 1-line block ×19, first 2 shown]
	v_cndmask_b32_e32 v48, v48, v70, vcc
	v_cndmask_b32_e64 v48, v48, v69, s[90:91]
	ds_bpermute_b32 v81, v120, v48
	v_cndmask_b32_e64 v48, v65, v82, s[6:7]
	v_cndmask_b32_e64 v82, v115, v109, s[16:17]
	;; [unrolled: 1-line block ×4, first 2 shown]
	s_waitcnt lgkmcnt(0)
	v_cndmask_b32_e64 v77, v71, v81, s[80:81]
	v_cndmask_b32_e64 v71, v84, v81, s[54:55]
	scratch_load_dword v84, off, off offset:12 ; 4-byte Folded Reload
	v_cndmask_b32_e64 v74, v72, v81, s[68:69]
	v_cndmask_b32_e64 v72, v83, v81, s[60:61]
	scratch_load_dword v83, off, off offset:8 ; 4-byte Folded Reload
	scratch_load_dword v116, off, off offset:40 ; 4-byte Folded Reload
	;; [unrolled: 1-line block ×4, first 2 shown]
	v_cndmask_b32_e64 v82, v82, v108, s[34:35]
	v_cndmask_b32_e64 v82, v82, v107, s[96:97]
	;; [unrolled: 1-line block ×11, first 2 shown]
	v_cndmask_b32_e32 v78, v70, v81, vcc
	v_cndmask_b32_e64 v76, v67, v81, s[76:77]
	v_cndmask_b32_e64 v75, v68, v81, s[72:73]
	;; [unrolled: 1-line block ×8, first 2 shown]
	s_mov_b64 s[52:53], s[60:61]
	s_mov_b64 s[60:61], s[38:39]
	v_readlane_b32 s39, v126, 44
	v_cndmask_b32_e64 v73, v73, v81, s[64:65]
	s_mov_b32 s6, 0
	s_mov_b32 s7, 0
	v_readlane_b32 s38, v126, 25
	s_waitcnt vmcnt(4)
	v_cndmask_b32_e64 v82, v82, v84, s[30:31]
	s_waitcnt vmcnt(3)
	v_cndmask_b32_e64 v82, v82, v83, s[94:95]
	ds_bpermute_b32 v82, v120, v82
	s_waitcnt lgkmcnt(0)
	v_cndmask_b32_e64 v95, v98, v82, s[10:11]
	v_readlane_b32 s10, v126, 59
	v_cndmask_b32_e64 v91, v105, v82, s[12:13]
	v_readlane_b32 s11, v126, 60
	v_readlane_b32 s12, v127, 3
	v_cndmask_b32_e64 v83, v83, v82, s[94:95]
	v_cndmask_b32_e64 v84, v84, v82, s[30:31]
	;; [unrolled: 1-line block ×14, first 2 shown]
	v_readlane_b32 s13, v127, 4
	v_readlane_b32 s10, v127, 5
	;; [unrolled: 1-line block ×3, first 2 shown]
	v_cndmask_b32_e64 v97, v82, v96, s[12:13]
	v_readlane_b32 s16, v126, 2
	v_cndmask_b32_e64 v97, v97, v95, s[10:11]
	v_cndmask_b32_e64 v97, v97, v64, s[50:51]
	;; [unrolled: 1-line block ×14, first 2 shown]
	ds_bpermute_b32 v97, v120, v97
	v_readlane_b32 s20, v126, 6
	v_readlane_b32 s21, v126, 7
	;; [unrolled: 1-line block ×4, first 2 shown]
	s_waitcnt lgkmcnt(0)
	v_cndmask_b32_e64 v83, v83, v97, s[8:9]
	v_cndmask_b32_e64 v84, v84, v97, s[0:1]
	v_cndmask_b32_e64 v85, v85, v97, s[98:99]
	v_cndmask_b32_e64 v86, v86, v97, s[86:87]
	v_cndmask_b32_e64 v87, v87, v97, s[84:85]
	v_cndmask_b32_e64 v88, v88, v97, s[82:83]
	v_cndmask_b32_e64 v89, v89, v97, s[78:79]
	v_cndmask_b32_e64 v98, v90, v97, s[74:75]
	v_cndmask_b32_e64 v99, v91, v97, s[70:71]
	v_cndmask_b32_e64 v102, v92, v97, s[66:67]
	v_cndmask_b32_e64 v103, v93, v97, s[62:63]
	v_cndmask_b32_e64 v105, v94, v97, s[58:59]
	v_cndmask_b32_e64 v106, v64, v97, s[50:51]
	v_cndmask_b32_e64 v107, v95, v97, s[10:11]
	v_cndmask_b32_e64 v96, v96, v97, s[12:13]
	v_cndmask_b32_e64 v97, v82, v97, s[2:3]
	v_cndmask_b32_e64 v64, v97, v96, s[60:61]
	v_cndmask_b32_e64 v64, v64, v107, s[40:41]
	v_cndmask_b32_e64 v64, v64, v106, s[42:43]
	v_cndmask_b32_e64 v64, v64, v105, s[44:45]
	v_cndmask_b32_e64 v64, v64, v103, s[46:47]
	v_cndmask_b32_e64 v64, v64, v102, s[48:49]
	v_cndmask_b32_e64 v64, v64, v99, s[54:55]
	v_cndmask_b32_e64 v64, v64, v98, s[52:53]
	v_cndmask_b32_e64 v64, v64, v89, s[64:65]
	v_cndmask_b32_e64 v64, v64, v88, s[68:69]
	v_cndmask_b32_e64 v64, v64, v87, s[72:73]
	v_cndmask_b32_e64 v64, v64, v86, s[76:77]
	v_cndmask_b32_e64 v64, v64, v85, s[80:81]
	v_cndmask_b32_e32 v64, v64, v84, vcc
	v_cndmask_b32_e64 v64, v64, v83, s[90:91]
	ds_bpermute_b32 v108, v120, v64
	v_readlane_b32 s8, v127, 1
	v_readlane_b32 s9, v127, 2
	;; [unrolled: 1-line block ×4, first 2 shown]
	s_waitcnt lgkmcnt(0)
	v_cndmask_b32_e64 v91, v87, v108, s[72:73]
	v_cndmask_b32_e64 v90, v88, v108, s[68:69]
	;; [unrolled: 1-line block ×4, first 2 shown]
	v_readlane_b32 s52, v126, 26
	v_readlane_b32 s53, v126, 27
	s_mul_i32 s0, s39, s53
	s_ashr_i32 s1, s0, 31
	v_cndmask_b32_e32 v94, v84, v108, vcc
	v_cndmask_b32_e64 v84, v105, v108, s[44:45]
	s_lshl_b64 s[0:1], s[0:1], 1
	v_readlane_b32 s44, v126, 38
	s_add_u32 s2, s20, s0
	v_readlane_b32 s45, v126, 39
	s_addc_u32 s3, s21, s1
	s_ashr_i32 s45, s44, 31
	s_lshl_b64 s[0:1], s[44:45], 1
	s_add_u32 s0, s2, s0
	v_cndmask_b32_e64 v95, v83, v108, s[90:91]
	v_cndmask_b32_e64 v93, v85, v108, s[80:81]
	;; [unrolled: 1-line block ×7, first 2 shown]
	s_addc_u32 s1, s3, s1
	v_readlane_b32 s41, v126, 42
	v_readlane_b32 s42, v126, 40
	;; [unrolled: 1-line block ×4, first 2 shown]
	v_cndmask_b32_e64 v64, v80, v81, s[8:9]
	v_cndmask_b32_e64 v89, v89, v108, s[64:65]
	v_readlane_b32 s54, v126, 28
	v_readlane_b32 s55, v126, 29
	;; [unrolled: 1-line block ×9, first 2 shown]
	v_subrev_u32_e32 v101, s41, v101
	v_cndmask_b32_e64 v81, v96, v108, s[60:61]
	v_cndmask_b32_e64 v80, v97, v108, s[8:9]
	v_lshl_add_u64 v[102:103], s[0:1], 0, v[118:119]
	s_mov_b64 s[0:1], 0
	v_readlane_b32 s11, v126, 0
	v_readlane_b32 s12, v126, 1
	;; [unrolled: 1-line block ×17, first 2 shown]
                                        ; implicit-def: $sgpr2_sgpr3
	s_branch .LBB308_37
.LBB308_36:                             ;   in Loop: Header=BB308_37 Depth=2
	s_or_b64 exec, exec, s[4:5]
	s_and_b64 s[4:5], exec, s[2:3]
	s_or_b64 s[0:1], s[4:5], s[0:1]
	s_andn2_b64 exec, exec, s[0:1]
	s_cbranch_execz .LBB308_39
.LBB308_37:                             ;   Parent Loop BB308_7 Depth=1
                                        ; =>  This Inner Loop Header: Depth=2
	s_and_b32 s4, s7, 2
	s_and_b32 s5, s6, 24
	s_or_b32 s4, s5, s4
	s_waitcnt vmcnt(0)
	v_or_b32_e32 v96, s4, v121
	v_add_u32_e32 v97, s92, v96
	v_cmp_gt_u32_e32 vcc, 32, v97
	s_or_b64 s[2:3], s[2:3], exec
	s_and_saveexec_b64 s[4:5], vcc
	s_cbranch_execz .LBB308_36
; %bb.38:                               ;   in Loop: Header=BB308_37 Depth=2
	s_add_i32 s10, s7, 1
	s_set_gpr_idx_on s7, gpr_idx(SRC0)
	v_mov_b32_e32 v97, v0
	s_set_gpr_idx_off
	v_cvt_f16_f32_e32 v98, v97
	s_set_gpr_idx_on s10, gpr_idx(SRC0)
	v_mov_b32_e32 v97, v0
	s_set_gpr_idx_off
	v_cvt_f16_f32_sdwa v99, v97 dst_sel:WORD_1 dst_unused:UNUSED_PAD src0_sel:DWORD
	v_mul_lo_u32 v96, v96, s53
	v_ashrrev_i32_e32 v97, 31, v96
	v_lshl_add_u64 v[96:97], v[96:97], 1, v[102:103]
	v_or_b32_e32 v98, v99, v98
	;;#ASMSTART
	global_atomic_pk_add_f16 v[96:97], v98, off
	
	;;#ASMEND
	s_set_gpr_idx_on s7, gpr_idx(SRC0)
	v_mov_b32_e32 v98, v16
	s_set_gpr_idx_off
	v_cvt_f16_f32_e32 v105, v98
	s_set_gpr_idx_on s10, gpr_idx(SRC0)
	v_mov_b32_e32 v98, v16
	s_set_gpr_idx_off
	v_cvt_f16_f32_sdwa v106, v98 dst_sel:WORD_1 dst_unused:UNUSED_PAD src0_sel:DWORD
	v_lshl_add_u64 v[98:99], v[96:97], 0, 64
	s_mov_b64 s[8:9], 0x80
	s_add_i32 s6, s6, 4
	v_or_b32_e32 v105, v106, v105
	;;#ASMSTART
	global_atomic_pk_add_f16 v[98:99], v105, off
	
	;;#ASMEND
	s_set_gpr_idx_on s7, gpr_idx(SRC0)
	v_mov_b32_e32 v98, v32
	s_set_gpr_idx_off
	v_cvt_f16_f32_e32 v105, v98
	s_set_gpr_idx_on s10, gpr_idx(SRC0)
	v_mov_b32_e32 v98, v32
	s_set_gpr_idx_off
	v_cvt_f16_f32_sdwa v106, v98 dst_sel:WORD_1 dst_unused:UNUSED_PAD src0_sel:DWORD
	v_lshl_add_u64 v[98:99], v[96:97], 0, s[8:9]
	s_mov_b64 s[8:9], 0xc0
	v_or_b32_e32 v105, v106, v105
	;;#ASMSTART
	global_atomic_pk_add_f16 v[98:99], v105, off
	
	;;#ASMEND
	s_set_gpr_idx_on s7, gpr_idx(SRC0)
	v_mov_b32_e32 v98, v48
	s_set_gpr_idx_off
	v_cvt_f16_f32_e32 v105, v98
	s_set_gpr_idx_on s10, gpr_idx(SRC0)
	v_mov_b32_e32 v98, v48
	s_set_gpr_idx_off
	v_cvt_f16_f32_sdwa v106, v98 dst_sel:WORD_1 dst_unused:UNUSED_PAD src0_sel:DWORD
	v_lshl_add_u64 v[98:99], v[96:97], 0, s[8:9]
	s_mov_b64 s[8:9], 0x100
	;; [unrolled: 15-line block ×3, first 2 shown]
	v_lshl_add_u64 v[96:97], v[96:97], 0, s[8:9]
	v_or_b32_e32 v105, v106, v105
	;;#ASMSTART
	global_atomic_pk_add_f16 v[98:99], v105, off
	
	;;#ASMEND
	s_set_gpr_idx_on s7, gpr_idx(SRC0)
	v_mov_b32_e32 v98, v80
	s_set_gpr_idx_off
	v_cvt_f16_f32_e32 v98, v98
	s_set_gpr_idx_on s10, gpr_idx(SRC0)
	v_mov_b32_e32 v99, v80
	s_set_gpr_idx_off
	s_add_i32 s7, s7, 2
	v_cvt_f16_f32_sdwa v99, v99 dst_sel:WORD_1 dst_unused:UNUSED_PAD src0_sel:DWORD
	s_cmp_eq_u32 s7, 16
	s_cselect_b64 s[8:9], -1, 0
	s_andn2_b64 s[2:3], s[2:3], exec
	s_and_b64 s[8:9], s[8:9], exec
	s_or_b64 s[2:3], s[2:3], s[8:9]
	v_or_b32_e32 v98, v99, v98
	;;#ASMSTART
	global_atomic_pk_add_f16 v[96:97], v98, off
	
	;;#ASMEND
	s_branch .LBB308_36
.LBB308_39:                             ;   in Loop: Header=BB308_7 Depth=1
	s_or_b64 exec, exec, s[0:1]
	scratch_load_dword v14, off, off offset:32 ; 4-byte Folded Reload
	scratch_load_dword v100, off, off offset:36 ; 4-byte Folded Reload
	scratch_load_dwordx2 v[16:17], off, off offset:80 ; 8-byte Folded Reload
	scratch_load_dword v15, off, off offset:96 ; 4-byte Folded Reload
.LBB308_40:                             ;   in Loop: Header=BB308_7 Depth=1
	s_or_b64 exec, exec, s[48:49]
.LBB308_41:                             ;   in Loop: Header=BB308_7 Depth=1
	s_andn2_saveexec_b64 s[0:1], s[46:47]
	s_cbranch_execz .LBB308_50
; %bb.42:                               ;   in Loop: Header=BB308_7 Depth=1
	s_mul_i32 s10, s41, 6
	v_cmp_gt_i32_e32 vcc, s10, v101
	s_and_saveexec_b64 s[2:3], vcc
	s_cbranch_execz .LBB308_49
; %bb.43:                               ;   in Loop: Header=BB308_7 Depth=1
	scratch_load_dwordx2 v[0:1], off, off offset:88 ; 8-byte Folded Reload
	s_mul_i32 s4, s44, s55
	s_ashr_i32 s5, s4, 31
	s_add_u32 s4, s18, s4
	s_addc_u32 s5, s19, s5
	s_ashr_i32 s6, s40, 31
	s_add_u32 s4, s4, s40
	s_addc_u32 s5, s5, s6
	s_waitcnt vmcnt(0)
	v_lshl_add_u64 v[0:1], s[4:5], 0, v[0:1]
	v_lshl_add_u64 v[8:9], v[0:1], 0, v[16:17]
	s_mov_b64 s[4:5], 0
	s_branch .LBB308_45
.LBB308_44:                             ;   in Loop: Header=BB308_45 Depth=2
	s_or_b64 exec, exec, s[6:7]
	v_lshl_or_b32 v12, v10, 11, v15
	;;#ASMSTART
	s_waitcnt vmcnt(1)
	;;#ASMEND
	ds_write2_b32 v12, v4, v5 offset1:32
	ds_write2_b32 v12, v6, v7 offset0:64 offset1:96
	v_add_u32_e32 v4, 0x400, v12
	v_add_u32_e32 v101, s58, v101
	;;#ASMSTART
	s_waitcnt vmcnt(0)
	;;#ASMEND
	ds_write2_b32 v4, v0, v1 offset1:32
	ds_write2_b32 v4, v2, v3 offset0:64 offset1:96
	v_add_u32_e32 v0, 1, v111
	v_add_u32_e32 v104, s58, v10
	v_cmp_le_i32_e32 vcc, s10, v101
	ds_write_b32 v11, v0 offset:12
	v_add_u32_e32 v0, 2, v111
	s_or_b64 s[4:5], vcc, s[4:5]
	v_cmp_lt_i32_e32 vcc, 5, v104
	s_nop 1
	v_cndmask_b32_e32 v111, v111, v0, vcc
	s_andn2_b64 exec, exec, s[4:5]
	s_cbranch_execz .LBB308_48
.LBB308_45:                             ;   Parent Loop BB308_7 Depth=1
                                        ; =>  This Loop Header: Depth=2
                                        ;       Child Loop BB308_47 Depth 3
	v_cmp_gt_i32_e32 vcc, 6, v104
	s_mov_b32 s6, 0x2aaaaaab
	s_nop 0
	v_cndmask_b32_e64 v0, -6, 0, vcc
	v_add_u32_e32 v10, v0, v104
	v_mul_hi_i32 v0, v101, s6
	v_lshrrev_b32_e32 v1, 31, v0
	v_add_u32_e32 v0, v0, v1
	v_mul_lo_u32 v1, v0, 6
	v_sub_u32_e32 v2, v101, v1
	v_lshlrev_b32_e32 v0, 6, v0
	v_ashrrev_i32_e32 v1, 31, v0
	v_mul_lo_u32 v2, s31, v2
	v_lshl_add_u64 v[0:1], v[8:9], 0, v[0:1]
	v_ashrrev_i32_e32 v3, 31, v2
	v_lshl_add_u64 v[0:1], v[0:1], 0, v[2:3]
	v_lshlrev_b32_e32 v11, 2, v10
	;;#ASMSTART
	global_load_dwordx4 v[4:7], v[0:1], off offset:0   sc0 sc1 nt  
	global_load_dwordx4 v[0:3], v[0:1], off offset:32  sc0 sc1 nt  
	
	;;#ASMEND
	ds_read_b32 v12, v11 offset:18444
	v_add_u32_e32 v11, 0x4800, v11
	s_waitcnt lgkmcnt(0)
	v_cmp_ne_u32_e32 vcc, v12, v111
	s_and_saveexec_b64 s[6:7], vcc
	s_cbranch_execz .LBB308_44
; %bb.46:                               ;   in Loop: Header=BB308_45 Depth=2
	s_mov_b64 s[8:9], 0
.LBB308_47:                             ;   Parent Loop BB308_7 Depth=1
                                        ;     Parent Loop BB308_45 Depth=2
                                        ; =>    This Inner Loop Header: Depth=3
	;;#ASMSTART
	s_sleep 0
	;;#ASMEND
	ds_read_b32 v12, v11 offset:12
	s_waitcnt lgkmcnt(0)
	v_cmp_eq_u32_e32 vcc, v12, v111
	s_or_b64 s[8:9], vcc, s[8:9]
	s_andn2_b64 exec, exec, s[8:9]
	s_cbranch_execnz .LBB308_47
	s_branch .LBB308_44
.LBB308_48:                             ;   in Loop: Header=BB308_7 Depth=1
	s_or_b64 exec, exec, s[4:5]
.LBB308_49:                             ;   in Loop: Header=BB308_7 Depth=1
	s_or_b64 exec, exec, s[2:3]
	v_subrev_u32_e32 v101, s10, v101
.LBB308_50:                             ;   in Loop: Header=BB308_7 Depth=1
	s_or_b64 exec, exec, s[0:1]
.LBB308_51:                             ;   in Loop: Header=BB308_7 Depth=1
	s_andn2_saveexec_b64 s[0:1], s[42:43]
	s_cbranch_execz .LBB308_6
; %bb.52:                               ;   in Loop: Header=BB308_7 Depth=1
	s_mul_i32 s10, s41, 3
	v_cmp_gt_i32_e32 vcc, s10, v101
	s_and_saveexec_b64 s[2:3], vcc
	s_cbranch_execz .LBB308_5
; %bb.53:                               ;   in Loop: Header=BB308_7 Depth=1
	s_mul_i32 s4, s39, s54
	s_ashr_i32 s5, s4, 31
	s_add_u32 s4, s16, s4
	s_addc_u32 s5, s17, s5
	s_ashr_i32 s6, s40, 31
	s_add_u32 s4, s4, s40
	s_addc_u32 s5, s5, s6
	s_waitcnt vmcnt(2)
	v_add_u32_e32 v2, s92, v100
	s_movk_i32 s6, 0x60
	v_mul_lo_u32 v0, s54, v100
	v_cmp_gt_u32_e32 vcc, s6, v2
	v_sub_u32_e32 v10, 0x5f, v2
	s_nop 0
	v_cndmask_b32_e32 v0, 0, v0, vcc
	v_ashrrev_i32_e32 v1, 31, v0
	v_lshl_add_u64 v[0:1], s[4:5], 0, v[0:1]
	s_waitcnt vmcnt(1)
	v_lshl_add_u64 v[8:9], v[0:1], 0, v[16:17]
	s_mov_b64 s[4:5], 0
	s_branch .LBB308_55
.LBB308_54:                             ;   in Loop: Header=BB308_55 Depth=2
	s_or_b64 exec, exec, s[6:7]
	v_lshl_add_u32 v13, v11, 11, v124
	;;#ASMSTART
	s_waitcnt vmcnt(1)
	;;#ASMEND
	ds_write2_b32 v13, v4, v5 offset1:32
	ds_write2_b32 v13, v6, v7 offset0:64 offset1:96
	v_add_u32_e32 v4, 0x400, v13
	v_add_u32_e32 v101, s57, v101
	;;#ASMSTART
	s_waitcnt vmcnt(0)
	;;#ASMEND
	ds_write2_b32 v4, v0, v1 offset1:32
	ds_write2_b32 v4, v2, v3 offset0:64 offset1:96
	v_add_u32_e32 v0, 1, v111
	v_add_u32_e32 v104, s57, v11
	v_cmp_le_i32_e32 vcc, s10, v101
	ds_write_b32 v12, v0
	v_add_u32_e32 v0, 2, v111
	s_or_b64 s[4:5], vcc, s[4:5]
	v_cmp_lt_i32_e32 vcc, 2, v104
	s_nop 1
	v_cndmask_b32_e32 v111, v111, v0, vcc
	s_andn2_b64 exec, exec, s[4:5]
	s_cbranch_execz .LBB308_4
.LBB308_55:                             ;   Parent Loop BB308_7 Depth=1
                                        ; =>  This Loop Header: Depth=2
                                        ;       Child Loop BB308_57 Depth 3
	v_cmp_gt_i32_e32 vcc, 3, v104
	s_mov_b32 s6, 0x55555556
	s_nop 0
	v_cndmask_b32_e64 v0, -3, 0, vcc
	v_add_u32_e32 v11, v0, v104
	v_mul_hi_i32 v0, v101, s6
	v_lshrrev_b32_e32 v1, 31, v0
	v_add_u32_e32 v0, v0, v1
	v_lshl_add_u32 v1, v0, 1, v0
	v_sub_u32_e32 v1, v101, v1
	v_lshlrev_b32_e32 v1, 5, v1
	v_cmp_le_i32_e32 vcc, v1, v10
	v_lshlrev_b32_e32 v0, 6, v0
	v_lshlrev_b32_e32 v12, 2, v11
	v_cndmask_b32_e32 v2, 0, v1, vcc
	v_ashrrev_i32_e32 v1, 31, v0
	v_mul_lo_u32 v2, v2, s54
	v_lshl_add_u64 v[0:1], v[8:9], 0, v[0:1]
	v_ashrrev_i32_e32 v3, 31, v2
	v_lshl_add_u64 v[0:1], v[0:1], 0, v[2:3]
	;;#ASMSTART
	global_load_dwordx4 v[4:7], v[0:1], off offset:0   
	global_load_dwordx4 v[0:3], v[0:1], off offset:32  
	
	;;#ASMEND
	ds_read_b32 v13, v12 offset:18432
	v_add_u32_e32 v12, 0x4800, v12
	s_waitcnt lgkmcnt(0)
	v_cmp_ne_u32_e32 vcc, v13, v111
	s_and_saveexec_b64 s[6:7], vcc
	s_cbranch_execz .LBB308_54
; %bb.56:                               ;   in Loop: Header=BB308_55 Depth=2
	s_mov_b64 s[8:9], 0
.LBB308_57:                             ;   Parent Loop BB308_7 Depth=1
                                        ;     Parent Loop BB308_55 Depth=2
                                        ; =>    This Inner Loop Header: Depth=3
	;;#ASMSTART
	s_sleep 0
	;;#ASMEND
	ds_read_b32 v13, v12
	s_waitcnt lgkmcnt(0)
	v_cmp_eq_u32_e32 vcc, v13, v111
	s_or_b64 s[8:9], vcc, s[8:9]
	s_andn2_b64 exec, exec, s[8:9]
	s_cbranch_execnz .LBB308_57
	s_branch .LBB308_54
.LBB308_58:
	s_endpgm
	.section	.rodata,"a",@progbits
	.p2align	6, 0x0
	.amdhsa_kernel _Z19_skinny_gemm_kernelILi3ELi6ELi1ELi32ELi4EEvPKhS1_P6__halfPKfiiiiiiii
		.amdhsa_group_segment_fixed_size 18468
		.amdhsa_private_segment_fixed_size 108
		.amdhsa_kernarg_size 64
		.amdhsa_user_sgpr_count 2
		.amdhsa_user_sgpr_dispatch_ptr 0
		.amdhsa_user_sgpr_queue_ptr 0
		.amdhsa_user_sgpr_kernarg_segment_ptr 1
		.amdhsa_user_sgpr_dispatch_id 0
		.amdhsa_user_sgpr_kernarg_preload_length 0
		.amdhsa_user_sgpr_kernarg_preload_offset 0
		.amdhsa_user_sgpr_private_segment_size 0
		.amdhsa_uses_dynamic_stack 0
		.amdhsa_enable_private_segment 1
		.amdhsa_system_sgpr_workgroup_id_x 1
		.amdhsa_system_sgpr_workgroup_id_y 0
		.amdhsa_system_sgpr_workgroup_id_z 0
		.amdhsa_system_sgpr_workgroup_info 0
		.amdhsa_system_vgpr_workitem_id 0
		.amdhsa_next_free_vgpr 128
		.amdhsa_next_free_sgpr 100
		.amdhsa_accum_offset 128
		.amdhsa_reserve_vcc 1
		.amdhsa_float_round_mode_32 0
		.amdhsa_float_round_mode_16_64 0
		.amdhsa_float_denorm_mode_32 3
		.amdhsa_float_denorm_mode_16_64 3
		.amdhsa_dx10_clamp 1
		.amdhsa_ieee_mode 1
		.amdhsa_fp16_overflow 0
		.amdhsa_tg_split 0
		.amdhsa_exception_fp_ieee_invalid_op 0
		.amdhsa_exception_fp_denorm_src 0
		.amdhsa_exception_fp_ieee_div_zero 0
		.amdhsa_exception_fp_ieee_overflow 0
		.amdhsa_exception_fp_ieee_underflow 0
		.amdhsa_exception_fp_ieee_inexact 0
		.amdhsa_exception_int_div_zero 0
	.end_amdhsa_kernel
	.section	.text._Z19_skinny_gemm_kernelILi3ELi6ELi1ELi32ELi4EEvPKhS1_P6__halfPKfiiiiiiii,"axG",@progbits,_Z19_skinny_gemm_kernelILi3ELi6ELi1ELi32ELi4EEvPKhS1_P6__halfPKfiiiiiiii,comdat
.Lfunc_end308:
	.size	_Z19_skinny_gemm_kernelILi3ELi6ELi1ELi32ELi4EEvPKhS1_P6__halfPKfiiiiiiii, .Lfunc_end308-_Z19_skinny_gemm_kernelILi3ELi6ELi1ELi32ELi4EEvPKhS1_P6__halfPKfiiiiiiii
                                        ; -- End function
	.set _Z19_skinny_gemm_kernelILi3ELi6ELi1ELi32ELi4EEvPKhS1_P6__halfPKfiiiiiiii.num_vgpr, 128
	.set _Z19_skinny_gemm_kernelILi3ELi6ELi1ELi32ELi4EEvPKhS1_P6__halfPKfiiiiiiii.num_agpr, 0
	.set _Z19_skinny_gemm_kernelILi3ELi6ELi1ELi32ELi4EEvPKhS1_P6__halfPKfiiiiiiii.numbered_sgpr, 100
	.set _Z19_skinny_gemm_kernelILi3ELi6ELi1ELi32ELi4EEvPKhS1_P6__halfPKfiiiiiiii.num_named_barrier, 0
	.set _Z19_skinny_gemm_kernelILi3ELi6ELi1ELi32ELi4EEvPKhS1_P6__halfPKfiiiiiiii.private_seg_size, 108
	.set _Z19_skinny_gemm_kernelILi3ELi6ELi1ELi32ELi4EEvPKhS1_P6__halfPKfiiiiiiii.uses_vcc, 1
	.set _Z19_skinny_gemm_kernelILi3ELi6ELi1ELi32ELi4EEvPKhS1_P6__halfPKfiiiiiiii.uses_flat_scratch, 0
	.set _Z19_skinny_gemm_kernelILi3ELi6ELi1ELi32ELi4EEvPKhS1_P6__halfPKfiiiiiiii.has_dyn_sized_stack, 0
	.set _Z19_skinny_gemm_kernelILi3ELi6ELi1ELi32ELi4EEvPKhS1_P6__halfPKfiiiiiiii.has_recursion, 0
	.set _Z19_skinny_gemm_kernelILi3ELi6ELi1ELi32ELi4EEvPKhS1_P6__halfPKfiiiiiiii.has_indirect_call, 0
	.section	.AMDGPU.csdata,"",@progbits
; Kernel info:
; codeLenInByte = 20712
; TotalNumSgprs: 106
; NumVgprs: 128
; NumAgprs: 0
; TotalNumVgprs: 128
; ScratchSize: 108
; MemoryBound: 0
; FloatMode: 240
; IeeeMode: 1
; LDSByteSize: 18468 bytes/workgroup (compile time only)
; SGPRBlocks: 13
; VGPRBlocks: 15
; NumSGPRsForWavesPerEU: 106
; NumVGPRsForWavesPerEU: 128
; AccumOffset: 128
; Occupancy: 4
; WaveLimiterHint : 0
; COMPUTE_PGM_RSRC2:SCRATCH_EN: 1
; COMPUTE_PGM_RSRC2:USER_SGPR: 2
; COMPUTE_PGM_RSRC2:TRAP_HANDLER: 0
; COMPUTE_PGM_RSRC2:TGID_X_EN: 1
; COMPUTE_PGM_RSRC2:TGID_Y_EN: 0
; COMPUTE_PGM_RSRC2:TGID_Z_EN: 0
; COMPUTE_PGM_RSRC2:TIDIG_COMP_CNT: 0
; COMPUTE_PGM_RSRC3_GFX90A:ACCUM_OFFSET: 31
; COMPUTE_PGM_RSRC3_GFX90A:TG_SPLIT: 0
	.section	.text._Z19_skinny_gemm_kernelILi3ELi6ELi1ELi32ELi8EEvPKhS1_P6__halfPKfiiiiiiii,"axG",@progbits,_Z19_skinny_gemm_kernelILi3ELi6ELi1ELi32ELi8EEvPKhS1_P6__halfPKfiiiiiiii,comdat
	.protected	_Z19_skinny_gemm_kernelILi3ELi6ELi1ELi32ELi8EEvPKhS1_P6__halfPKfiiiiiiii ; -- Begin function _Z19_skinny_gemm_kernelILi3ELi6ELi1ELi32ELi8EEvPKhS1_P6__halfPKfiiiiiiii
	.globl	_Z19_skinny_gemm_kernelILi3ELi6ELi1ELi32ELi8EEvPKhS1_P6__halfPKfiiiiiiii
	.p2align	8
	.type	_Z19_skinny_gemm_kernelILi3ELi6ELi1ELi32ELi8EEvPKhS1_P6__halfPKfiiiiiiii,@function
_Z19_skinny_gemm_kernelILi3ELi6ELi1ELi32ELi8EEvPKhS1_P6__halfPKfiiiiiiii: ; @_Z19_skinny_gemm_kernelILi3ELi6ELi1ELi32ELi8EEvPKhS1_P6__halfPKfiiiiiiii
; %bb.0:
	v_cmp_gt_u32_e32 vcc, 9, v0
	s_and_saveexec_b64 s[4:5], vcc
; %bb.1:
	v_lshlrev_b32_e32 v1, 2, v0
	v_mov_b32_e32 v2, 0
	ds_write_b32 v1, v2 offset:36864
; %bb.2:
	s_or_b64 exec, exec, s[4:5]
	s_load_dwordx8 s[52:59], s[0:1], 0x20
	s_waitcnt lgkmcnt(0)
	s_barrier
	s_add_i32 s3, s52, 0x5f
	s_mul_hi_i32 s3, s3, 0x2aaaaaab
	s_add_i32 s4, s53, 0xbf
	s_lshr_b32 s5, s3, 31
	s_ashr_i32 s3, s3, 4
	s_add_i32 s11, s3, s5
	s_mul_hi_i32 s3, s4, 0x2aaaaaab
	s_lshr_b32 s4, s3, 31
	s_ashr_i32 s3, s3, 5
	s_add_i32 s12, s3, s4
	s_mul_i32 s3, s12, s11
	s_mul_i32 s3, s3, s56
	s_add_i32 s4, s3, 0x12f
	s_mul_hi_i32 s4, s4, 0x6bca1af3
	s_lshr_b32 s5, s4, 31
	s_ashr_i32 s4, s4, 7
	s_add_i32 s4, s4, s5
	s_add_i32 s5, s2, 1
	s_mul_i32 s5, s4, s5
	v_cvt_f64_i32_e32 v[2:3], s3
	v_cvt_f64_u32_e32 v[4:5], s5
	v_min_f64 v[2:3], v[2:3], v[4:5]
	v_cvt_i32_f64_e32 v22, v[2:3]
	s_mul_i32 s33, s4, s2
	v_cmp_ge_i32_e32 vcc, s33, v22
	s_cbranch_vccnz .LBB309_58
; %bb.3:
	s_load_dwordx8 s[16:23], s[0:1], 0x0
	v_lshrrev_b32_e32 v1, 6, v0
	s_add_i32 s0, s58, s57
	v_cmp_le_i32_e64 s[14:15], s0, v1
	v_mov_b32_e32 v2, s57
	v_cmp_le_i32_e64 s[24:25], s57, v1
	v_mov_b32_e32 v3, s58
	v_cndmask_b32_e64 v3, 0, v3, s[14:15]
	v_cndmask_b32_e64 v2, 0, v2, s[24:25]
	s_abs_i32 s1, s56
	v_add_u32_e32 v2, v2, v3
	v_cvt_f32_u32_e32 v3, s1
	v_sub_u32_e32 v104, v1, v2
	s_ashr_i32 s2, s54, 31
	s_lshr_b32 s2, s2, 25
	v_rcp_iflag_f32_e32 v2, v3
	s_sub_i32 s5, 0, s1
	s_add_i32 s2, s54, s2
	s_ashr_i32 s2, s2, 7
	v_mul_f32_e32 v2, 0x4f7ffffe, v2
	v_cvt_u32_f32_e32 v2, v2
	s_abs_i32 s4, s2
	s_xor_b32 s3, s2, s56
	s_ashr_i32 s3, s3, 31
	v_readfirstlane_b32 s6, v2
	s_mul_i32 s5, s5, s6
	s_mul_hi_u32 s5, s6, s5
	s_add_i32 s6, s6, s5
	s_mul_hi_u32 s5, s4, s6
	s_mul_i32 s6, s5, s1
	s_sub_i32 s4, s4, s6
	s_add_i32 s6, s5, 1
	s_sub_i32 s7, s4, s1
	s_cmp_ge_u32 s4, s1
	s_cselect_b32 s5, s6, s5
	s_cselect_b32 s4, s7, s4
	s_add_i32 s6, s5, 1
	s_cmp_ge_u32 s4, s1
	s_cselect_b32 s1, s6, s5
	s_add_i32 s0, s0, s59
	v_and_b32_e32 v121, 31, v0
	v_lshrrev_b32_e32 v2, 3, v0
	v_cmp_gt_i32_e64 s[28:29], s0, v1
	v_lshlrev_b32_e32 v1, 2, v121
	v_and_b32_e32 v3, 4, v2
	v_lshlrev_b32_e32 v2, 6, v3
	v_or_b32_e32 v4, 0x6000, v1
	v_or_b32_e32 v123, v4, v2
	v_or_b32_e32 v2, v1, v2
	v_and_b32_e32 v5, 1, v0
	scratch_store_dword off, v2, off        ; 4-byte Folded Spill
	v_lshlrev_b32_e32 v2, 1, v5
	v_sub_u32_e32 v2, v0, v2
	v_add_u32_e32 v2, 1, v2
	v_and_b32_e32 v6, 63, v2
	v_bitop3_b32 v2, v0, 1, v0 bitop3:0xc
	scratch_store_dword off, v2, off offset:40 ; 4-byte Folded Spill
	v_bitop3_b32 v2, v0, 3, 1 bitop3:0x6c
	scratch_store_dword off, v2, off offset:44 ; 4-byte Folded Spill
	;; [unrolled: 2-line block ×5, first 2 shown]
	v_bitop3_b32 v2, v0, 11, 1 bitop3:0x6c
	v_lshrrev_b32_e32 v7, 1, v0
	s_abs_i32 s30, s11
                                        ; implicit-def: $vgpr126 : SGPR spill to VGPR lane
	scratch_store_dword off, v2, off offset:60 ; 4-byte Folded Spill
	v_bitop3_b32 v2, v0, 13, 1 bitop3:0x6c
	v_and_b32_e32 v24, 16, v7
	v_cvt_f32_u32_e32 v7, s30
	v_writelane_b32 v126, s11, 0
	scratch_store_dword off, v2, off offset:64 ; 4-byte Folded Spill
	v_bitop3_b32 v2, v0, 15, 1 bitop3:0x6c
	v_writelane_b32 v126, s12, 1
	scratch_store_dword off, v2, off offset:68 ; 4-byte Folded Spill
	v_and_b32_e32 v2, 30, v0
	v_lshlrev_b32_e32 v0, 4, v0
	s_waitcnt lgkmcnt(0)
	v_writelane_b32 v126, s16, 2
	v_and_b32_e32 v0, 0x200, v0
	v_or_b32_e32 v23, v1, v0
	v_writelane_b32 v126, s17, 3
	v_rcp_iflag_f32_e32 v1, v7
	v_writelane_b32 v126, s18, 4
	v_writelane_b32 v126, s19, 5
	;; [unrolled: 1-line block ×3, first 2 shown]
	s_abs_i32 s34, s12
	v_writelane_b32 v126, s21, 7
	v_or_b32_e32 v118, v4, v0
	v_mul_f32_e32 v0, 0x4f7ffffe, v1
	v_cvt_f32_u32_e32 v1, s34
	v_writelane_b32 v126, s22, 8
	v_writelane_b32 v126, s23, 9
	v_cndmask_b32_e64 v119, 0, 1, s[14:15]
	v_writelane_b32 v126, s14, 10
	s_xor_b32 s1, s1, s3
	v_cvt_u32_f32_e32 v0, v0
	v_writelane_b32 v126, s15, 11
	v_rcp_iflag_f32_e32 v1, v1
	v_writelane_b32 v126, s24, 12
	s_sub_i32 s13, s1, s3
	s_add_i32 s26, s56, -1
	v_writelane_b32 v126, s25, 13
	s_mul_i32 s1, s13, s26
	v_writelane_b32 v126, s13, 14
	s_sub_i32 s27, s2, s1
	v_writelane_b32 v126, s26, 15
	v_readfirstlane_b32 s1, v0
	v_mul_f32_e32 v0, 0x4f7ffffe, v1
	v_writelane_b32 v126, s27, 16
	v_cvt_u32_f32_e32 v0, v0
	v_writelane_b32 v126, s28, 17
	s_sub_i32 s0, 0, s30
	s_lshl_b32 s31, s55, 5
	v_writelane_b32 v126, s29, 18
	s_mul_i32 s0, s0, s1
	v_writelane_b32 v126, s30, 19
	s_mul_hi_u32 s0, s1, s0
	v_writelane_b32 v126, s31, 20
	s_ashr_i32 s35, s11, 31
	s_add_i32 s36, s1, s0
	s_sub_i32 s0, 0, s34
	v_readfirstlane_b32 s1, v0
	v_writelane_b32 v126, s34, 21
	s_mul_i32 s0, s0, s1
	v_writelane_b32 v126, s35, 22
	s_ashr_i32 s37, s12, 31
	s_mul_hi_u32 s0, s1, s0
	v_writelane_b32 v126, s36, 23
	s_add_i32 s38, s1, s0
	v_writelane_b32 v126, s37, 24
	v_writelane_b32 v126, s38, 25
	v_mul_lo_u32 v8, s55, v121
	v_writelane_b32 v126, s52, 26
	v_mbcnt_lo_u32_b32 v0, -1, 0
	v_mbcnt_hi_u32_b32 v0, -1, v0
	v_writelane_b32 v126, s53, 27
	v_writelane_b32 v126, s54, 28
	;; [unrolled: 1-line block ×5, first 2 shown]
	v_mov_b32_e32 v107, 0
	v_and_or_b32 v0, v0, 64, v6
	v_writelane_b32 v126, s58, 32
	v_ashrrev_i32_e32 v9, 31, v8
	v_mov_b32_e32 v25, v107
	v_lshlrev_b32_e32 v106, 1, v2
	v_lshlrev_b32_e32 v0, 2, v0
	v_mov_b32_e32 v122, v104
	v_writelane_b32 v126, s59, 33
	scratch_store_dwordx2 off, v[8:9], off offset:80 ; 8-byte Folded Spill
	v_or_b32_e32 v97, v5, v3
	scratch_store_dword off, v0, off offset:96 ; 4-byte Folded Spill
	scratch_store_dword off, v22, off offset:28 ; 4-byte Folded Spill
	;; [unrolled: 1-line block ×4, first 2 shown]
	scratch_store_dwordx2 off, v[24:25], off offset:72 ; 8-byte Folded Spill
	scratch_store_dword off, v23, off offset:88 ; 4-byte Folded Spill
	scratch_store_dword off, v97, off offset:92 ; 4-byte Folded Spill
	s_branch .LBB309_7
.LBB309_4:                              ;   in Loop: Header=BB309_7 Depth=1
	s_or_b64 exec, exec, s[4:5]
.LBB309_5:                              ;   in Loop: Header=BB309_7 Depth=1
	s_or_b64 exec, exec, s[2:3]
	v_subrev_u32_e32 v122, s10, v122
.LBB309_6:                              ;   in Loop: Header=BB309_7 Depth=1
	s_or_b64 exec, exec, s[0:1]
	s_add_i32 s33, s33, 1
	s_waitcnt vmcnt(3)
	v_cmp_ge_i32_e32 vcc, s33, v22
	s_cbranch_vccnz .LBB309_58
.LBB309_7:                              ; =>This Loop Header: Depth=1
                                        ;     Child Loop BB309_13 Depth 2
                                        ;       Child Loop BB309_15 Depth 3
                                        ;       Child Loop BB309_18 Depth 3
	;; [unrolled: 1-line block ×7, first 2 shown]
                                        ;     Child Loop BB309_37 Depth 2
                                        ;     Child Loop BB309_45 Depth 2
                                        ;       Child Loop BB309_47 Depth 3
                                        ;     Child Loop BB309_55 Depth 2
                                        ;       Child Loop BB309_57 Depth 3
	s_abs_i32 s1, s33
	s_mul_hi_u32 s2, s1, s36
	s_mul_i32 s3, s2, s30
	s_ashr_i32 s0, s33, 31
	s_sub_i32 s1, s1, s3
	s_xor_b32 s0, s0, s35
	s_add_i32 s3, s2, 1
	s_sub_i32 s4, s1, s30
	s_cmp_ge_u32 s1, s30
	s_cselect_b32 s2, s3, s2
	s_cselect_b32 s1, s4, s1
	s_add_i32 s3, s2, 1
	s_cmp_ge_u32 s1, s30
	s_cselect_b32 s1, s3, s2
	s_xor_b32 s1, s1, s0
	s_sub_i32 s0, s1, s0
	s_abs_i32 s2, s0
	s_mul_i32 s1, s0, s11
	s_mul_hi_u32 s3, s2, s38
	s_sub_i32 s1, s33, s1
	s_mul_i32 s4, s3, s34
	s_mul_i32 s39, s1, 0x60
	s_ashr_i32 s1, s0, 31
	s_sub_i32 s2, s2, s4
	s_xor_b32 s1, s1, s37
	s_add_i32 s4, s3, 1
	s_sub_i32 s5, s2, s34
	s_cmp_ge_u32 s2, s34
	s_cselect_b32 s3, s4, s3
	s_cselect_b32 s2, s5, s2
	s_add_i32 s4, s3, 1
	s_cmp_ge_u32 s2, s34
	s_cselect_b32 s2, s4, s3
	s_xor_b32 s2, s2, s1
	s_sub_i32 s1, s2, s1
	s_mul_i32 s2, s1, s13
	s_lshl_b32 s40, s2, 7
	s_cmp_eq_u32 s1, s26
	s_cselect_b32 s41, s27, s13
	s_sub_i32 s2, s39, s52
	s_addk_i32 s2, 0x60
	s_max_i32 s92, s2, 0
	s_and_saveexec_b64 s[2:3], s[24:25]
	s_xor_b64 s[42:43], exec, s[2:3]
	s_cbranch_execz .LBB309_51
; %bb.8:                                ;   in Loop: Header=BB309_7 Depth=1
	s_mul_i32 s1, s1, s12
	s_sub_i32 s0, s0, s1
	s_mulk_i32 s0, 0xc0
	s_sub_i32 s8, s0, s53
	s_addk_i32 s8, 0xc0
	s_max_i32 s1, s8, 0
	s_sub_i32 s44, s0, s1
	s_and_saveexec_b64 s[0:1], s[14:15]
	s_xor_b64 s[46:47], exec, s[0:1]
	s_cbranch_execz .LBB309_41
; %bb.9:                                ;   in Loop: Header=BB309_7 Depth=1
	s_and_saveexec_b64 s[48:49], s[28:29]
	s_cbranch_execz .LBB309_40
; %bb.10:                               ;   in Loop: Header=BB309_7 Depth=1
	global_load_dword v105, v107, s[22:23]
	v_mov_b32_e32 v95, 0
	v_cmp_gt_i32_e32 vcc, s41, v122
	v_mov_b32_e32 v94, v95
	v_mov_b32_e32 v93, v95
	;; [unrolled: 1-line block ×69, first 2 shown]
	s_waitcnt vmcnt(2)
	v_mov_b32_e32 v25, v95
	v_mov_b32_e32 v24, v95
	s_waitcnt vmcnt(1)
	v_mov_b32_e32 v23, v95
	v_mov_b32_e32 v22, v95
	;; [unrolled: 1-line block ×24, first 2 shown]
	scratch_store_dwordx2 off, v[106:107], off offset:4 ; 8-byte Folded Spill
	s_and_saveexec_b64 s[0:1], vcc
	s_cbranch_execz .LBB309_35
; %bb.11:                               ;   in Loop: Header=BB309_7 Depth=1
	v_mov_b32_e32 v0, 0
	s_mov_b64 s[2:3], 0
	v_mov_b32_e32 v1, v0
	v_mov_b32_e32 v2, v0
	v_mov_b32_e32 v3, v0
	v_mov_b32_e32 v4, v0
	v_mov_b32_e32 v5, v0
	v_mov_b32_e32 v6, v0
	v_mov_b32_e32 v7, v0
	v_mov_b32_e32 v8, v0
	v_mov_b32_e32 v9, v0
	v_mov_b32_e32 v10, v0
	v_mov_b32_e32 v11, v0
	v_mov_b32_e32 v12, v0
	v_mov_b32_e32 v13, v0
	v_mov_b32_e32 v14, v0
	v_mov_b32_e32 v15, v0
	v_mov_b32_e32 v16, v0
	v_mov_b32_e32 v17, v0
	v_mov_b32_e32 v18, v0
	v_mov_b32_e32 v19, v0
	v_mov_b32_e32 v20, v0
	v_mov_b32_e32 v21, v0
	v_mov_b32_e32 v22, v0
	v_mov_b32_e32 v23, v0
	v_mov_b32_e32 v24, v0
	v_mov_b32_e32 v25, v0
	v_mov_b32_e32 v26, v0
	v_mov_b32_e32 v27, v0
	v_mov_b32_e32 v28, v0
	v_mov_b32_e32 v29, v0
	v_mov_b32_e32 v30, v0
	v_mov_b32_e32 v31, v0
	v_mov_b32_e32 v32, v0
	v_mov_b32_e32 v33, v0
	v_mov_b32_e32 v34, v0
	v_mov_b32_e32 v35, v0
	v_mov_b32_e32 v36, v0
	v_mov_b32_e32 v37, v0
	v_mov_b32_e32 v38, v0
	v_mov_b32_e32 v39, v0
	v_mov_b32_e32 v40, v0
	v_mov_b32_e32 v41, v0
	v_mov_b32_e32 v42, v0
	v_mov_b32_e32 v43, v0
	v_mov_b32_e32 v44, v0
	v_mov_b32_e32 v45, v0
	v_mov_b32_e32 v46, v0
	v_mov_b32_e32 v47, v0
	v_mov_b32_e32 v48, v0
	v_mov_b32_e32 v49, v0
	v_mov_b32_e32 v50, v0
	v_mov_b32_e32 v51, v0
	v_mov_b32_e32 v52, v0
	v_mov_b32_e32 v53, v0
	v_mov_b32_e32 v54, v0
	v_mov_b32_e32 v55, v0
	v_mov_b32_e32 v56, v0
	v_mov_b32_e32 v57, v0
	v_mov_b32_e32 v58, v0
	v_mov_b32_e32 v59, v0
	v_mov_b32_e32 v60, v0
	v_mov_b32_e32 v61, v0
	v_mov_b32_e32 v62, v0
	v_mov_b32_e32 v63, v0
	v_mov_b32_e32 v64, v0
	v_mov_b32_e32 v65, v0
	v_mov_b32_e32 v66, v0
	v_mov_b32_e32 v67, v0
	v_mov_b32_e32 v68, v0
	v_mov_b32_e32 v69, v0
	v_mov_b32_e32 v70, v0
	v_mov_b32_e32 v71, v0
	v_mov_b32_e32 v72, v0
	v_mov_b32_e32 v73, v0
	v_mov_b32_e32 v74, v0
	v_mov_b32_e32 v75, v0
	v_mov_b32_e32 v76, v0
	v_mov_b32_e32 v77, v0
	v_mov_b32_e32 v78, v0
	v_mov_b32_e32 v79, v0
	v_mov_b32_e32 v80, v0
	v_mov_b32_e32 v81, v0
	v_mov_b32_e32 v82, v0
	v_mov_b32_e32 v83, v0
	v_mov_b32_e32 v84, v0
	v_mov_b32_e32 v85, v0
	v_mov_b32_e32 v86, v0
	v_mov_b32_e32 v87, v0
	v_mov_b32_e32 v88, v0
	v_mov_b32_e32 v89, v0
	v_mov_b32_e32 v90, v0
	v_mov_b32_e32 v91, v0
	v_mov_b32_e32 v92, v0
	v_mov_b32_e32 v93, v0
	v_mov_b32_e32 v94, v0
	v_mov_b32_e32 v95, v0
	s_waitcnt vmcnt(1)
	scratch_store_dword off, v105, off offset:12 ; 4-byte Folded Spill
	s_branch .LBB309_13
.LBB309_12:                             ;   in Loop: Header=BB309_13 Depth=2
	s_or_b64 exec, exec, s[4:5]
	v_add_u32_e32 v101, 0x5000, v96
	ds_read2_b32 v[98:99], v101 offset1:32
	v_add_u32_e32 v122, s59, v122
	s_waitcnt lgkmcnt(0)
	v_mfma_f32_32x32x16_fp8_fp8 v[0:15], v[116:117], v[98:99], v[0:15]
	ds_read2_b32 v[98:99], v101 offset0:128 offset1:160
	v_add_u32_e32 v101, 0x5400, v96
	s_waitcnt lgkmcnt(0)
	v_mfma_f32_32x32x16_fp8_fp8 v[0:15], v[114:115], v[98:99], v[0:15]
	ds_read2_b32 v[98:99], v101 offset1:32
	s_waitcnt lgkmcnt(0)
	v_mfma_f32_32x32x16_fp8_fp8 v[0:15], v[112:113], v[98:99], v[0:15]
	ds_read2_b32 v[98:99], v101 offset0:128 offset1:160
	v_add_u32_e32 v101, 0x5800, v96
	v_add_u32_e32 v96, 0x5c00, v96
	s_waitcnt lgkmcnt(0)
	v_mfma_f32_32x32x16_fp8_fp8 v[0:15], v[110:111], v[98:99], v[0:15]
	ds_read2_b32 v[98:99], v101 offset1:32
	s_waitcnt lgkmcnt(0)
	v_mfma_f32_32x32x16_fp8_fp8 v[0:15], v[108:109], v[98:99], v[0:15]
	ds_read2_b32 v[98:99], v101 offset0:128 offset1:160
	s_waitcnt lgkmcnt(0)
	v_mfma_f32_32x32x16_fp8_fp8 v[0:15], v[106:107], v[98:99], v[0:15]
	ds_read2_b32 v[98:99], v96 offset1:32
	ds_read2_b32 v[106:107], v96 offset0:128 offset1:160
	v_add_u32_e32 v96, 2, v119
	ds_write_b32 v125, v100 offset:36908
	s_waitcnt lgkmcnt(2)
	v_mfma_f32_32x32x16_fp8_fp8 v[0:15], v[104:105], v[98:99], v[0:15]
	v_add_u32_e32 v104, s59, v124
	v_cmp_lt_i32_e32 vcc, 0, v104
	s_nop 1
	v_cndmask_b32_e32 v119, v119, v96, vcc
	v_cmp_le_i32_e32 vcc, s41, v122
	s_or_b64 s[2:3], vcc, s[2:3]
	s_waitcnt lgkmcnt(1)
	v_mfma_f32_32x32x16_fp8_fp8 v[0:15], v[102:103], v[106:107], v[0:15]
	s_andn2_b64 exec, exec, s[2:3]
	s_cbranch_execz .LBB309_34
.LBB309_13:                             ;   Parent Loop BB309_7 Depth=1
                                        ; =>  This Loop Header: Depth=2
                                        ;       Child Loop BB309_15 Depth 3
                                        ;       Child Loop BB309_18 Depth 3
	;; [unrolled: 1-line block ×7, first 2 shown]
	v_cmp_lt_i32_e32 vcc, 0, v104
	s_nop 1
	v_subbrev_co_u32_e32 v124, vcc, 0, v104, vcc
	v_mul_lo_u32 v125, v124, 48
	ds_read_b32 v96, v125 offset:36864
	s_waitcnt lgkmcnt(0)
	v_cmp_ne_u32_e32 vcc, v96, v119
	s_and_saveexec_b64 s[4:5], vcc
	s_cbranch_execz .LBB309_16
; %bb.14:                               ;   in Loop: Header=BB309_13 Depth=2
	s_mov_b64 s[6:7], 0
.LBB309_15:                             ;   Parent Loop BB309_7 Depth=1
                                        ;     Parent Loop BB309_13 Depth=2
                                        ; =>    This Inner Loop Header: Depth=3
	;;#ASMSTART
	s_sleep 0
	;;#ASMEND
	ds_read_b32 v96, v125 offset:36864
	s_waitcnt lgkmcnt(0)
	v_cmp_eq_u32_e32 vcc, v96, v119
	s_or_b64 s[6:7], vcc, s[6:7]
	s_andn2_b64 exec, exec, s[6:7]
	s_cbranch_execnz .LBB309_15
.LBB309_16:                             ;   in Loop: Header=BB309_13 Depth=2
	s_or_b64 exec, exec, s[4:5]
	v_lshl_add_u32 v96, v124, 12, v123
	v_add_u32_e32 v98, 0x400, v96
	ds_read2_b32 v[116:117], v96 offset1:32
	ds_read2_b32 v[114:115], v96 offset0:128 offset1:160
	ds_read2_b32 v[112:113], v98 offset1:32
	ds_read2_b32 v[110:111], v98 offset0:128 offset1:160
	v_add_u32_e32 v98, 0x800, v96
	v_add_u32_e32 v96, 0xc00, v96
	ds_read2_b32 v[108:109], v98 offset1:32
	ds_read2_b32 v[106:107], v98 offset0:128 offset1:160
	ds_read2_b32 v[104:105], v96 offset1:32
	ds_read_b32 v98, v125 offset:36868
	ds_read2_b32 v[102:103], v96 offset0:128 offset1:160
	v_add_u32_e32 v100, 1, v119
	ds_write_b32 v125, v100 offset:36864
	s_waitcnt lgkmcnt(2)
	v_cmp_ne_u32_e32 vcc, v98, v119
	s_and_saveexec_b64 s[4:5], vcc
	s_cbranch_execz .LBB309_19
; %bb.17:                               ;   in Loop: Header=BB309_13 Depth=2
	s_mov_b64 s[6:7], 0
.LBB309_18:                             ;   Parent Loop BB309_7 Depth=1
                                        ;     Parent Loop BB309_13 Depth=2
                                        ; =>    This Inner Loop Header: Depth=3
	;;#ASMSTART
	s_sleep 0
	;;#ASMEND
	ds_read_b32 v96, v125 offset:36868
	s_waitcnt lgkmcnt(0)
	v_cmp_eq_u32_e32 vcc, v96, v119
	s_or_b64 s[6:7], vcc, s[6:7]
	s_andn2_b64 exec, exec, s[6:7]
	s_cbranch_execnz .LBB309_18
.LBB309_19:                             ;   in Loop: Header=BB309_13 Depth=2
	s_or_b64 exec, exec, s[4:5]
	scratch_load_dword v98, off, off        ; 4-byte Folded Reload
	s_movk_i32 s4, 0x6000
	v_mul_lo_u32 v96, v124, s4
	ds_write_b32 v125, v100 offset:36868
	s_waitcnt vmcnt(0)
	v_or_b32_e32 v96, v98, v96
	ds_read2_b32 v[98:99], v96 offset1:32
	v_add_u32_e32 v101, 0x400, v96
	s_waitcnt lgkmcnt(0)
	v_mfma_f32_32x32x16_fp8_fp8 v[80:95], v[116:117], v[98:99], v[80:95]
	ds_read2_b32 v[98:99], v96 offset0:128 offset1:160
	s_waitcnt lgkmcnt(0)
	v_mfma_f32_32x32x16_fp8_fp8 v[80:95], v[114:115], v[98:99], v[80:95]
	ds_read2_b32 v[98:99], v101 offset1:32
	s_waitcnt lgkmcnt(0)
	v_mfma_f32_32x32x16_fp8_fp8 v[80:95], v[112:113], v[98:99], v[80:95]
	ds_read2_b32 v[98:99], v101 offset0:128 offset1:160
	v_add_u32_e32 v101, 0x800, v96
	s_waitcnt lgkmcnt(0)
	v_mfma_f32_32x32x16_fp8_fp8 v[80:95], v[110:111], v[98:99], v[80:95]
	ds_read2_b32 v[98:99], v101 offset1:32
	s_waitcnt lgkmcnt(0)
	v_mfma_f32_32x32x16_fp8_fp8 v[80:95], v[108:109], v[98:99], v[80:95]
	ds_read2_b32 v[98:99], v101 offset0:128 offset1:160
	v_add_u32_e32 v101, 0xc00, v96
	s_waitcnt lgkmcnt(0)
	v_mfma_f32_32x32x16_fp8_fp8 v[80:95], v[106:107], v[98:99], v[80:95]
	ds_read2_b32 v[98:99], v101 offset1:32
	s_waitcnt lgkmcnt(0)
	v_mfma_f32_32x32x16_fp8_fp8 v[80:95], v[104:105], v[98:99], v[80:95]
	ds_read2_b32 v[98:99], v101 offset0:128 offset1:160
	ds_read_b32 v101, v125 offset:36876
	s_waitcnt lgkmcnt(0)
	v_cmp_ne_u32_e32 vcc, v101, v119
	v_mfma_f32_32x32x16_fp8_fp8 v[80:95], v[102:103], v[98:99], v[80:95]
	s_and_saveexec_b64 s[4:5], vcc
	s_cbranch_execz .LBB309_22
; %bb.20:                               ;   in Loop: Header=BB309_13 Depth=2
	s_mov_b64 s[6:7], 0
.LBB309_21:                             ;   Parent Loop BB309_7 Depth=1
                                        ;     Parent Loop BB309_13 Depth=2
                                        ; =>    This Inner Loop Header: Depth=3
	;;#ASMSTART
	s_sleep 0
	;;#ASMEND
	ds_read_b32 v98, v125 offset:36876
	s_waitcnt lgkmcnt(0)
	v_cmp_eq_u32_e32 vcc, v98, v119
	s_or_b64 s[6:7], vcc, s[6:7]
	s_andn2_b64 exec, exec, s[6:7]
	s_cbranch_execnz .LBB309_21
.LBB309_22:                             ;   in Loop: Header=BB309_13 Depth=2
	s_or_b64 exec, exec, s[4:5]
	v_add_u32_e32 v101, 0x1000, v96
	ds_read2_b32 v[98:99], v101 offset1:32
	s_waitcnt lgkmcnt(0)
	v_mfma_f32_32x32x16_fp8_fp8 v[64:79], v[116:117], v[98:99], v[64:79]
	ds_read2_b32 v[98:99], v101 offset0:128 offset1:160
	v_add_u32_e32 v101, 0x1400, v96
	s_waitcnt lgkmcnt(0)
	v_mfma_f32_32x32x16_fp8_fp8 v[64:79], v[114:115], v[98:99], v[64:79]
	ds_read2_b32 v[98:99], v101 offset1:32
	s_waitcnt lgkmcnt(0)
	v_mfma_f32_32x32x16_fp8_fp8 v[64:79], v[112:113], v[98:99], v[64:79]
	ds_read2_b32 v[98:99], v101 offset0:128 offset1:160
	v_add_u32_e32 v101, 0x1800, v96
	s_waitcnt lgkmcnt(0)
	v_mfma_f32_32x32x16_fp8_fp8 v[64:79], v[110:111], v[98:99], v[64:79]
	ds_read2_b32 v[98:99], v101 offset1:32
	s_waitcnt lgkmcnt(0)
	v_mfma_f32_32x32x16_fp8_fp8 v[64:79], v[108:109], v[98:99], v[64:79]
	ds_read2_b32 v[98:99], v101 offset0:128 offset1:160
	v_add_u32_e32 v101, 0x1c00, v96
	s_waitcnt lgkmcnt(0)
	v_mfma_f32_32x32x16_fp8_fp8 v[64:79], v[106:107], v[98:99], v[64:79]
	ds_read2_b32 v[98:99], v101 offset1:32
	s_waitcnt lgkmcnt(0)
	v_mfma_f32_32x32x16_fp8_fp8 v[64:79], v[104:105], v[98:99], v[64:79]
	ds_read_b32 v120, v125 offset:36884
	ds_read2_b32 v[98:99], v101 offset0:128 offset1:160
	ds_write_b32 v125, v100 offset:36876
	s_waitcnt lgkmcnt(2)
	v_cmp_ne_u32_e32 vcc, v120, v119
	s_waitcnt lgkmcnt(1)
	v_mfma_f32_32x32x16_fp8_fp8 v[64:79], v[102:103], v[98:99], v[64:79]
	s_and_saveexec_b64 s[4:5], vcc
	s_cbranch_execz .LBB309_25
; %bb.23:                               ;   in Loop: Header=BB309_13 Depth=2
	s_mov_b64 s[6:7], 0
.LBB309_24:                             ;   Parent Loop BB309_7 Depth=1
                                        ;     Parent Loop BB309_13 Depth=2
                                        ; =>    This Inner Loop Header: Depth=3
	;;#ASMSTART
	s_sleep 0
	;;#ASMEND
	ds_read_b32 v98, v125 offset:36884
	s_waitcnt lgkmcnt(0)
	v_cmp_eq_u32_e32 vcc, v98, v119
	s_or_b64 s[6:7], vcc, s[6:7]
	s_andn2_b64 exec, exec, s[6:7]
	s_cbranch_execnz .LBB309_24
.LBB309_25:                             ;   in Loop: Header=BB309_13 Depth=2
	s_or_b64 exec, exec, s[4:5]
	v_add_u32_e32 v101, 0x2000, v96
	ds_read2_b32 v[98:99], v101 offset1:32
	s_waitcnt lgkmcnt(0)
	v_mfma_f32_32x32x16_fp8_fp8 v[48:63], v[116:117], v[98:99], v[48:63]
	ds_read2_b32 v[98:99], v101 offset0:128 offset1:160
	v_add_u32_e32 v101, 0x2400, v96
	s_waitcnt lgkmcnt(0)
	v_mfma_f32_32x32x16_fp8_fp8 v[48:63], v[114:115], v[98:99], v[48:63]
	ds_read2_b32 v[98:99], v101 offset1:32
	s_waitcnt lgkmcnt(0)
	v_mfma_f32_32x32x16_fp8_fp8 v[48:63], v[112:113], v[98:99], v[48:63]
	ds_read2_b32 v[98:99], v101 offset0:128 offset1:160
	v_add_u32_e32 v101, 0x2800, v96
	s_waitcnt lgkmcnt(0)
	v_mfma_f32_32x32x16_fp8_fp8 v[48:63], v[110:111], v[98:99], v[48:63]
	ds_read2_b32 v[98:99], v101 offset1:32
	s_waitcnt lgkmcnt(0)
	v_mfma_f32_32x32x16_fp8_fp8 v[48:63], v[108:109], v[98:99], v[48:63]
	ds_read2_b32 v[98:99], v101 offset0:128 offset1:160
	v_add_u32_e32 v101, 0x2c00, v96
	s_waitcnt lgkmcnt(0)
	v_mfma_f32_32x32x16_fp8_fp8 v[48:63], v[106:107], v[98:99], v[48:63]
	ds_read2_b32 v[98:99], v101 offset1:32
	s_waitcnt lgkmcnt(0)
	v_mfma_f32_32x32x16_fp8_fp8 v[48:63], v[104:105], v[98:99], v[48:63]
	ds_read_b32 v120, v125 offset:36892
	ds_read2_b32 v[98:99], v101 offset0:128 offset1:160
	ds_write_b32 v125, v100 offset:36884
	s_waitcnt lgkmcnt(2)
	v_cmp_ne_u32_e32 vcc, v120, v119
	s_waitcnt lgkmcnt(1)
	;; [unrolled: 50-line block ×4, first 2 shown]
	v_mfma_f32_32x32x16_fp8_fp8 v[16:31], v[102:103], v[98:99], v[16:31]
	s_and_saveexec_b64 s[4:5], vcc
	s_cbranch_execz .LBB309_12
; %bb.32:                               ;   in Loop: Header=BB309_13 Depth=2
	s_mov_b64 s[6:7], 0
.LBB309_33:                             ;   Parent Loop BB309_7 Depth=1
                                        ;     Parent Loop BB309_13 Depth=2
                                        ; =>    This Inner Loop Header: Depth=3
	;;#ASMSTART
	s_sleep 0
	;;#ASMEND
	ds_read_b32 v98, v125 offset:36908
	s_waitcnt lgkmcnt(0)
	v_cmp_eq_u32_e32 vcc, v98, v119
	s_or_b64 s[6:7], vcc, s[6:7]
	s_andn2_b64 exec, exec, s[6:7]
	s_cbranch_execnz .LBB309_33
	s_branch .LBB309_12
.LBB309_34:                             ;   in Loop: Header=BB309_7 Depth=1
	s_or_b64 exec, exec, s[2:3]
	scratch_load_dword v105, off, off offset:12 ; 4-byte Folded Reload
.LBB309_35:                             ;   in Loop: Header=BB309_7 Depth=1
	v_writelane_b32 v126, s48, 34
	s_nop 1
	v_writelane_b32 v126, s49, 35
	v_writelane_b32 v126, s46, 36
	s_nop 1
	v_writelane_b32 v126, s47, 37
	;; [unrolled: 3-line block ×4, first 2 shown]
	v_writelane_b32 v126, s41, 42
	v_writelane_b32 v126, s40, 43
	;; [unrolled: 1-line block ×3, first 2 shown]
	s_or_b64 exec, exec, s[0:1]
	v_cmp_le_i32_e32 vcc, s8, v121
	scratch_load_dword v107, off, off offset:96 ; 4-byte Folded Reload
	v_or_b32_e32 v102, 32, v121
	s_waitcnt vmcnt(1)
	v_cndmask_b32_e32 v96, 0, v105, vcc
	v_pk_mul_f32 v[94:95], v[96:97], v[94:95] op_sel_hi:[0,1]
	v_pk_mul_f32 v[92:93], v[96:97], v[92:93] op_sel_hi:[0,1]
	;; [unrolled: 1-line block ×8, first 2 shown]
	scratch_load_dword v97, off, off offset:40 ; 4-byte Folded Reload
	v_cmp_le_i32_e32 vcc, s8, v102
	v_or_b32_e32 v96, 64, v121
                                        ; implicit-def: $vgpr127 : SGPR spill to VGPR lane
	s_nop 0
	v_cndmask_b32_e32 v82, 0, v105, vcc
	v_cmp_le_i32_e32 vcc, s8, v96
	v_or_b32_e32 v96, 0x60, v121
	v_pk_mul_f32 v[100:101], v[82:83], v[66:67] op_sel_hi:[0,1]
	v_cndmask_b32_e32 v66, 0, v105, vcc
	v_cmp_le_i32_e32 vcc, s8, v96
	v_or_b32_e32 v96, 0x80, v121
	v_pk_mul_f32 v[114:115], v[66:67], v[48:49] op_sel_hi:[0,1]
	;; [unrolled: 4-line block ×3, first 2 shown]
	v_pk_mul_f32 v[102:103], v[82:83], v[76:77] op_sel_hi:[0,1]
	v_pk_mul_f32 v[110:111], v[82:83], v[74:75] op_sel_hi:[0,1]
	;; [unrolled: 1-line block ×7, first 2 shown]
	v_cndmask_b32_e32 v32, 0, v105, vcc
	v_cmp_le_i32_e32 vcc, s8, v96
	v_pk_mul_f32 v[30:31], v[32:33], v[30:31] op_sel_hi:[0,1]
	v_pk_mul_f32 v[28:29], v[32:33], v[28:29] op_sel_hi:[0,1]
	;; [unrolled: 1-line block ×8, first 2 shown]
	v_cndmask_b32_e32 v32, 0, v105, vcc
	v_pk_mul_f32 v[124:125], v[32:33], v[0:1] op_sel_hi:[0,1]
	scratch_load_dword v0, off, off offset:48 ; 4-byte Folded Reload
	v_pk_mul_f32 v[14:15], v[32:33], v[14:15] op_sel_hi:[0,1]
	v_pk_mul_f32 v[12:13], v[32:33], v[12:13] op_sel_hi:[0,1]
	;; [unrolled: 1-line block ×21, first 2 shown]
	s_waitcnt vmcnt(1)
	v_cmp_eq_u32_e64 s[6:7], 1, v97
	s_nop 1
	v_cndmask_b32_e64 v32, v80, v81, s[6:7]
	v_cmp_eq_u32_e64 s[40:41], 2, v97
	v_cmp_eq_u32_e64 s[42:43], 3, v97
	v_cmp_eq_u32_e32 vcc, 4, v97
	v_cndmask_b32_e64 v32, v32, v98, s[40:41]
	v_cndmask_b32_e64 v32, v32, v99, s[42:43]
	v_cndmask_b32_e32 v32, v32, v84, vcc
	v_cmp_eq_u32_e64 s[0:1], 5, v97
	v_cmp_eq_u32_e64 s[2:3], 6, v97
	v_cmp_eq_u32_e64 s[30:31], 7, v97
	v_cndmask_b32_e64 v32, v32, v85, s[0:1]
	v_cndmask_b32_e64 v32, v32, v86, s[2:3]
	v_cndmask_b32_e64 v32, v32, v87, s[30:31]
	v_cmp_eq_u32_e64 s[26:27], 8, v97
	v_cmp_eq_u32_e64 s[24:25], 9, v97
	v_cmp_eq_u32_e64 s[22:23], 10, v97
	v_cndmask_b32_e64 v32, v32, v88, s[26:27]
	v_cndmask_b32_e64 v32, v32, v89, s[24:25]
	v_cndmask_b32_e64 v32, v32, v90, s[22:23]
	;; [unrolled: 6-line block ×3, first 2 shown]
	v_cmp_eq_u32_e64 s[12:13], 14, v97
	v_cmp_eq_u32_e64 s[10:11], 15, v97
	;; [unrolled: 1-line block ×3, first 2 shown]
	v_cndmask_b32_e64 v32, v32, v94, s[12:13]
	v_cndmask_b32_e64 v32, v32, v95, s[10:11]
	ds_bpermute_b32 v32, v107, v32
	s_waitcnt lgkmcnt(0)
	v_cndmask_b32_e64 v69, v88, v32, s[26:27]
	scratch_load_dword v88, off, off offset:44 ; 4-byte Folded Reload
	v_cndmask_b32_e64 v33, v95, v32, s[10:11]
	v_cndmask_b32_e64 v48, v94, v32, s[12:13]
	;; [unrolled: 1-line block ×10, first 2 shown]
	v_cndmask_b32_e32 v84, v84, v32, vcc
	v_cndmask_b32_e64 v86, v99, v32, s[42:43]
	v_cndmask_b32_e64 v87, v98, v32, s[40:41]
	v_cndmask_b32_e64 v81, v81, v32, s[6:7]
	v_cndmask_b32_e64 v32, v80, v32, s[46:47]
	s_waitcnt vmcnt(1)
	v_cmp_eq_u32_e64 s[44:45], 1, v0
	v_cmp_eq_u32_e64 s[8:9], 3, v0
	s_waitcnt vmcnt(0)
	v_cmp_eq_u32_e64 s[4:5], 1, v88
	s_nop 1
	v_cndmask_b32_e64 v66, v32, v81, s[4:5]
	v_cmp_eq_u32_e64 s[28:29], 2, v88
	v_cmp_eq_u32_e64 s[34:35], 3, v88
	v_cmp_eq_u32_e64 s[36:37], 4, v88
	v_cndmask_b32_e64 v66, v66, v87, s[28:29]
	v_cndmask_b32_e64 v66, v66, v86, s[34:35]
	v_cndmask_b32_e64 v66, v66, v84, s[36:37]
	v_cmp_eq_u32_e64 s[38:39], 5, v88
	v_cmp_eq_u32_e64 s[48:49], 6, v88
	v_cmp_eq_u32_e64 s[52:53], 7, v88
	v_cndmask_b32_e64 v66, v66, v85, s[38:39]
	v_cndmask_b32_e64 v66, v66, v77, s[48:49]
	;; [unrolled: 6-line block ×5, first 2 shown]
	ds_bpermute_b32 v80, v107, v66
	s_waitcnt lgkmcnt(0)
	v_cndmask_b32_e64 v98, v33, v80, s[84:85]
	v_cndmask_b32_e64 v33, v64, v65, s[6:7]
	;; [unrolled: 1-line block ×4, first 2 shown]
	v_cndmask_b32_e32 v33, v33, v112, vcc
	v_cndmask_b32_e64 v33, v33, v113, s[0:1]
	v_cndmask_b32_e64 v33, v33, v70, s[2:3]
	;; [unrolled: 1-line block ×9, first 2 shown]
	v_cndmask_b32_e32 v32, v32, v52, vcc
	v_cndmask_b32_e64 v33, v33, v110, s[22:23]
	v_cndmask_b32_e64 v32, v32, v53, s[0:1]
	;; [unrolled: 1-line block ×13, first 2 shown]
	ds_bpermute_b32 v69, v107, v33
	v_cndmask_b32_e64 v32, v32, v59, s[20:21]
	v_cndmask_b32_e64 v32, v32, v60, s[18:19]
	;; [unrolled: 1-line block ×5, first 2 shown]
	s_waitcnt lgkmcnt(0)
	v_cndmask_b32_e64 v106, v109, v69, s[24:25]
	v_cndmask_b32_e64 v109, v70, v69, s[2:3]
	ds_bpermute_b32 v70, v107, v32
	v_cndmask_b32_e64 v32, v82, v83, s[6:7]
	v_cndmask_b32_e64 v32, v32, v34, s[40:41]
	;; [unrolled: 1-line block ×3, first 2 shown]
	v_cndmask_b32_e32 v32, v32, v72, vcc
	v_cndmask_b32_e64 v32, v32, v73, s[0:1]
	v_cndmask_b32_e64 v32, v32, v38, s[2:3]
	;; [unrolled: 1-line block ×11, first 2 shown]
	s_waitcnt lgkmcnt(0)
	v_cndmask_b32_e64 v93, v59, v70, s[20:21]
	ds_bpermute_b32 v59, v107, v32
	v_cndmask_b32_e64 v120, v48, v80, s[80:81]
	v_cndmask_b32_e64 v1, v49, v80, s[76:77]
	;; [unrolled: 1-line block ×13, first 2 shown]
	s_waitcnt lgkmcnt(0)
	v_cndmask_b32_e64 v80, v35, v59, s[42:43]
	v_cndmask_b32_e64 v35, v16, v17, s[6:7]
	v_cndmask_b32_e64 v35, v35, v18, s[40:41]
	v_cndmask_b32_e64 v35, v35, v19, s[42:43]
	v_cndmask_b32_e32 v35, v35, v20, vcc
	v_cndmask_b32_e64 v35, v35, v21, s[0:1]
	v_cndmask_b32_e64 v35, v35, v22, s[2:3]
	;; [unrolled: 1-line block ×11, first 2 shown]
	ds_bpermute_b32 v35, v107, v35
	v_cndmask_b32_e64 v87, v65, v69, s[6:7]
	v_cndmask_b32_e64 v65, v38, v59, s[2:3]
	;; [unrolled: 1-line block ×3, first 2 shown]
	scratch_store_dword off, v38, off offset:12 ; 4-byte Folded Spill
	v_cndmask_b32_e32 v38, v72, v59, vcc
	s_waitcnt lgkmcnt(0)
	v_cndmask_b32_e64 v72, v16, v35, s[46:47]
	v_cndmask_b32_e64 v16, v124, v125, s[6:7]
	;; [unrolled: 1-line block ×4, first 2 shown]
	v_cndmask_b32_e32 v16, v16, v4, vcc
	v_cndmask_b32_e64 v16, v16, v5, s[0:1]
	v_cndmask_b32_e64 v16, v16, v6, s[2:3]
	;; [unrolled: 1-line block ×11, first 2 shown]
	ds_bpermute_b32 v16, v107, v16
	v_cndmask_b32_e64 v37, v108, v69, s[26:27]
	v_cndmask_b32_e64 v108, v71, v69, s[30:31]
	;; [unrolled: 1-line block ×8, first 2 shown]
	v_cmp_eq_u32_e64 s[6:7], 2, v0
	v_cndmask_b32_e64 v79, v79, v69, s[10:11]
	v_cndmask_b32_e64 v89, v63, v70, s[10:11]
	;; [unrolled: 1-line block ×6, first 2 shown]
	s_waitcnt lgkmcnt(0)
	v_cndmask_b32_e64 v15, v15, v16, s[10:11]
	v_cmp_eq_u32_e64 s[10:11], 4, v0
	v_cndmask_b32_e64 v78, v78, v69, s[12:13]
	v_cndmask_b32_e64 v90, v62, v70, s[12:13]
	;; [unrolled: 1-line block ×6, first 2 shown]
	v_cmp_eq_u32_e64 s[12:13], 5, v0
	v_cndmask_b32_e64 v77, v103, v69, s[14:15]
	v_cndmask_b32_e64 v91, v61, v70, s[14:15]
	;; [unrolled: 1-line block ×3, first 2 shown]
	scratch_store_dword off, v38, off offset:16 ; 4-byte Folded Spill
	v_cndmask_b32_e64 v38, v29, v35, s[14:15]
	v_cndmask_b32_e64 v17, v17, v48, s[12:13]
	;; [unrolled: 1-line block ×3, first 2 shown]
	v_cmp_eq_u32_e64 s[14:15], 6, v0
	v_cndmask_b32_e64 v99, v102, v69, s[18:19]
	v_cndmask_b32_e64 v88, v64, v69, s[46:47]
	;; [unrolled: 1-line block ×8, first 2 shown]
	v_cmp_eq_u32_e64 s[18:19], 7, v0
	v_cndmask_b32_e64 v103, v111, v69, s[20:21]
	v_cndmask_b32_e64 v95, v57, v70, s[24:25]
	;; [unrolled: 1-line block ×7, first 2 shown]
	v_cmp_eq_u32_e64 s[20:21], 8, v0
	v_cndmask_b32_e64 v105, v110, v69, s[22:23]
	v_cndmask_b32_e64 v86, v100, v69, s[40:41]
	;; [unrolled: 1-line block ×8, first 2 shown]
	v_cmp_eq_u32_e64 s[22:23], 9, v0
	v_cndmask_b32_e64 v56, v56, v70, s[26:27]
	v_cndmask_b32_e64 v55, v55, v70, s[30:31]
	;; [unrolled: 1-line block ×4, first 2 shown]
	v_cndmask_b32_e32 v96, v52, v70, vcc
	v_cndmask_b32_e64 v102, v114, v70, s[46:47]
	v_cndmask_b32_e64 v52, v41, v59, s[24:25]
	;; [unrolled: 1-line block ×7, first 2 shown]
	v_cmp_eq_u32_e64 s[24:25], 10, v0
	v_cndmask_b32_e64 v61, v24, v35, s[26:27]
	v_cndmask_b32_e64 v114, v8, v16, s[26:27]
	;; [unrolled: 1-line block ×3, first 2 shown]
	v_cmp_eq_u32_e64 s[26:27], 11, v0
	v_cndmask_b32_e32 v111, v112, v69, vcc
	v_cndmask_b32_e64 v62, v23, v35, s[30:31]
	v_cndmask_b32_e64 v8, v9, v66, s[26:27]
	;; [unrolled: 1-line block ×3, first 2 shown]
	v_cmp_eq_u32_e64 s[30:31], 12, v0
	v_cndmask_b32_e64 v110, v113, v69, s[0:1]
	v_cndmask_b32_e64 v63, v22, v35, s[2:3]
	;; [unrolled: 1-line block ×4, first 2 shown]
	v_cmp_eq_u32_e64 s[2:3], 13, v0
	v_cndmask_b32_e64 v69, v21, v35, s[0:1]
	v_cndmask_b32_e64 v5, v5, v16, s[0:1]
	v_cndmask_b32_e64 v6, v7, v1, s[2:3]
	v_cmp_eq_u32_e64 s[0:1], 14, v0
	v_cndmask_b32_e32 v20, v20, v35, vcc
	v_cndmask_b32_e32 v4, v4, v16, vcc
	v_cndmask_b32_e64 v6, v6, v120, s[0:1]
	v_cmp_eq_u32_e32 vcc, 15, v0
	v_cndmask_b32_e64 v19, v19, v35, s[42:43]
	v_cndmask_b32_e64 v82, v18, v35, s[40:41]
	v_cndmask_b32_e32 v6, v6, v98, vcc
	ds_bpermute_b32 v7, v107, v6
	v_cndmask_b32_e64 v6, v3, v16, s[42:43]
	v_cmp_eq_u32_e64 s[42:43], 0, v0
	scratch_store_dword off, v20, off offset:20 ; 4-byte Folded Spill
	scratch_store_dword off, v19, off offset:24 ; 4-byte Folded Spill
	s_waitcnt lgkmcnt(0)
	v_cndmask_b32_e64 v26, v33, v7, s[44:45]
	scratch_load_dword v33, off, off offset:52 ; 4-byte Folded Reload
	v_cndmask_b32_e32 v8, v98, v7, vcc
	v_writelane_b32 v126, s42, 45
	v_cndmask_b32_e64 v98, v2, v16, s[40:41]
	v_cmp_ne_u32_e64 s[40:41], 0, v97
	v_cndmask_b32_e64 v27, v121, v7, s[42:43]
	v_cndmask_b32_e64 v10, v1, v7, s[2:3]
	;; [unrolled: 1-line block ×16, first 2 shown]
	v_writelane_b32 v126, s43, 46
	s_waitcnt vmcnt(0)
	v_cmp_eq_u32_e64 s[58:59], 1, v33
	s_nop 1
	v_cndmask_b32_e64 v1, v27, v26, s[58:59]
	v_cmp_eq_u32_e64 s[40:41], 2, v33
	v_cmp_eq_u32_e64 s[46:47], 3, v33
	v_cmp_eq_u32_e64 s[50:51], 4, v33
	v_cndmask_b32_e64 v0, v1, v25, s[40:41]
	v_cndmask_b32_e64 v0, v0, v24, s[46:47]
	v_cndmask_b32_e64 v0, v0, v23, s[50:51]
	v_cmp_eq_u32_e64 s[54:55], 5, v33
	v_cmp_eq_u32_e64 s[62:63], 6, v33
	v_cmp_eq_u32_e64 s[66:67], 7, v33
	v_cndmask_b32_e64 v0, v0, v22, s[54:55]
	v_cndmask_b32_e64 v0, v0, v21, s[62:63]
	;; [unrolled: 6-line block ×3, first 2 shown]
	v_cndmask_b32_e64 v0, v0, v17, s[78:79]
	v_cmp_eq_u32_e64 s[82:83], 11, v33
	v_cmp_eq_u32_e64 s[86:87], 12, v33
	s_mov_b64 s[96:97], s[40:41]
	v_cndmask_b32_e64 v0, v0, v12, s[82:83]
	v_cndmask_b32_e64 v0, v0, v11, s[86:87]
	v_cmp_eq_u32_e64 s[40:41], 13, v33
	v_cmp_eq_u32_e64 s[42:43], 14, v33
	;; [unrolled: 1-line block ×3, first 2 shown]
	v_cndmask_b32_e64 v0, v0, v10, s[40:41]
	v_cndmask_b32_e64 v0, v0, v9, s[42:43]
	;; [unrolled: 1-line block ×3, first 2 shown]
	ds_bpermute_b32 v16, v107, v0
	v_writelane_b32 v126, s96, 47
	s_waitcnt lgkmcnt(0)
	v_cndmask_b32_e64 v1, v8, v16, s[98:99]
	v_writelane_b32 v126, s97, 48
	v_cndmask_b32_e64 v50, v25, v16, s[96:97]
	v_cmp_eq_u32_e64 s[96:97], 0, v33
	v_cndmask_b32_e64 v2, v9, v16, s[42:43]
	v_cndmask_b32_e64 v7, v10, v16, s[40:41]
	;; [unrolled: 1-line block ×13, first 2 shown]
	v_writelane_b32 v126, s96, 49
	v_cndmask_b32_e64 v17, v88, v87, s[4:5]
	v_cndmask_b32_e64 v17, v17, v86, s[28:29]
	v_cndmask_b32_e64 v74, v27, v16, s[96:97]
	v_cndmask_b32_e64 v16, v102, v101, s[4:5]
	v_cndmask_b32_e64 v16, v16, v100, s[28:29]
	v_cndmask_b32_e64 v16, v16, v32, s[34:35]
	v_cndmask_b32_e64 v17, v17, v85, s[34:35]
	v_cndmask_b32_e64 v16, v16, v96, s[36:37]
	v_cndmask_b32_e64 v17, v17, v111, s[36:37]
	v_cndmask_b32_e64 v16, v16, v53, s[38:39]
	v_cndmask_b32_e64 v17, v17, v110, s[38:39]
	v_cndmask_b32_e64 v16, v16, v54, s[48:49]
	v_cndmask_b32_e64 v17, v17, v109, s[48:49]
	v_cndmask_b32_e64 v16, v16, v55, s[52:53]
	v_cndmask_b32_e64 v17, v17, v108, s[52:53]
	v_cndmask_b32_e64 v16, v16, v56, s[56:57]
	v_cndmask_b32_e64 v17, v17, v37, s[56:57]
	v_cndmask_b32_e64 v16, v16, v95, s[60:61]
	v_cndmask_b32_e64 v17, v17, v106, s[60:61]
	v_cndmask_b32_e64 v16, v16, v94, s[64:65]
	v_cndmask_b32_e64 v17, v17, v105, s[64:65]
	v_cndmask_b32_e64 v16, v16, v93, s[68:69]
	v_cndmask_b32_e64 v17, v17, v103, s[68:69]
	v_cndmask_b32_e64 v16, v16, v92, s[72:73]
	v_cndmask_b32_e64 v17, v17, v99, s[72:73]
	v_cndmask_b32_e64 v16, v16, v91, s[76:77]
	v_cndmask_b32_e64 v17, v17, v77, s[76:77]
	v_cndmask_b32_e64 v16, v16, v90, s[80:81]
	v_cndmask_b32_e64 v17, v17, v78, s[80:81]
	v_cndmask_b32_e64 v16, v16, v89, s[84:85]
	v_cndmask_b32_e64 v17, v17, v79, s[84:85]
	ds_bpermute_b32 v42, v107, v16
	ds_bpermute_b32 v18, v107, v17
	v_writelane_b32 v126, s97, 50
	s_waitcnt lgkmcnt(1)
	v_cndmask_b32_e64 v125, v89, v42, s[84:85]
	scratch_load_dword v89, off, off offset:24 ; 4-byte Folded Reload
	s_waitcnt lgkmcnt(0)
	v_cndmask_b32_e64 v25, v85, v18, s[34:35]
	v_cndmask_b32_e64 v124, v88, v18, s[16:17]
	v_cndmask_b32_e64 v85, v90, v42, s[80:81]
	scratch_load_dword v88, off, off offset:16 ; 4-byte Folded Reload
	scratch_load_dword v90, off, off offset:20 ; 4-byte Folded Reload
	v_cndmask_b32_e64 v21, v53, v42, s[38:39]
	v_cndmask_b32_e64 v53, v72, v81, s[4:5]
	;; [unrolled: 1-line block ×5, first 2 shown]
	scratch_load_dword v37, off, off offset:12 ; 4-byte Folded Reload
	v_cndmask_b32_e64 v27, v87, v18, s[4:5]
	v_cndmask_b32_e64 v66, v105, v18, s[64:65]
	;; [unrolled: 1-line block ×28, first 2 shown]
	s_waitcnt vmcnt(3)
	v_cndmask_b32_e64 v53, v53, v89, s[34:35]
	s_waitcnt vmcnt(2)
	v_cndmask_b32_e64 v32, v32, v88, s[36:37]
	;; [unrolled: 2-line block ×3, first 2 shown]
	v_cndmask_b32_e64 v53, v53, v69, s[38:39]
	v_cndmask_b32_e64 v53, v53, v63, s[48:49]
	;; [unrolled: 1-line block ×11, first 2 shown]
	ds_bpermute_b32 v86, v107, v53
	v_cndmask_b32_e64 v53, v68, v3, s[4:5]
	v_cndmask_b32_e64 v53, v53, v98, s[28:29]
	;; [unrolled: 1-line block ×15, first 2 shown]
	ds_bpermute_b32 v87, v107, v53
	s_waitcnt vmcnt(0)
	v_cndmask_b32_e64 v32, v32, v37, s[38:39]
	v_cndmask_b32_e64 v32, v32, v65, s[48:49]
	v_cndmask_b32_e64 v32, v32, v64, s[52:53]
	v_cndmask_b32_e64 v32, v32, v60, s[56:57]
	s_waitcnt lgkmcnt(0)
	v_cndmask_b32_e64 v105, v14, v87, s[80:81]
	scratch_load_dword v14, off, off offset:56 ; 4-byte Folded Reload
	v_cndmask_b32_e64 v32, v32, v52, s[60:61]
	v_cndmask_b32_e64 v32, v32, v58, s[64:65]
	;; [unrolled: 1-line block ×7, first 2 shown]
	ds_bpermute_b32 v32, v107, v32
	v_cndmask_b32_e64 v56, v39, v86, s[72:73]
	v_cndmask_b32_e64 v111, v114, v87, s[56:57]
	;; [unrolled: 1-line block ×4, first 2 shown]
	s_waitcnt lgkmcnt(0)
	v_cndmask_b32_e64 v39, v64, v32, s[52:53]
	v_cndmask_b32_e64 v37, v37, v32, s[38:39]
	;; [unrolled: 1-line block ×41, first 2 shown]
	v_readlane_b32 s84, v126, 45
	v_cndmask_b32_e64 v52, v52, v32, s[60:61]
	v_cndmask_b32_e64 v59, v59, v86, s[60:61]
	v_readlane_b32 s85, v126, 46
	s_waitcnt vmcnt(0)
	v_cmp_eq_u32_e64 s[38:39], 1, v14
	s_nop 1
	v_cndmask_b32_e64 v13, v74, v51, s[38:39]
	v_cmp_eq_u32_e64 s[28:29], 2, v14
	v_cmp_eq_u32_e64 s[48:49], 3, v14
	v_cmp_eq_u32_e64 s[52:53], 4, v14
	v_cndmask_b32_e64 v13, v13, v50, s[28:29]
	v_cndmask_b32_e64 v13, v13, v49, s[48:49]
	v_cndmask_b32_e64 v13, v13, v48, s[52:53]
	v_cmp_eq_u32_e64 s[56:57], 5, v14
	v_cmp_eq_u32_e64 s[64:65], 6, v14
	v_cmp_eq_u32_e64 s[68:69], 7, v14
	v_cndmask_b32_e64 v13, v13, v29, s[56:57]
	v_cndmask_b32_e64 v13, v13, v28, s[64:65]
	;; [unrolled: 6-line block ×5, first 2 shown]
	ds_bpermute_b32 v13, v107, v13
	s_waitcnt lgkmcnt(0)
	v_cndmask_b32_e64 v91, v0, v13, s[68:69]
	v_cndmask_b32_e64 v0, v124, v27, s[44:45]
	;; [unrolled: 1-line block ×15, first 2 shown]
	v_cndmask_b32_e32 v0, v0, v75, vcc
	v_cndmask_b32_e64 v81, v1, v13, s[4:5]
	ds_bpermute_b32 v0, v107, v0
	v_cndmask_b32_e64 v1, v42, v41, s[44:45]
	v_cndmask_b32_e64 v1, v1, v40, s[6:7]
	;; [unrolled: 1-line block ×8, first 2 shown]
	s_waitcnt lgkmcnt(0)
	v_cndmask_b32_e32 v68, v75, v0, vcc
	v_cndmask_b32_e64 v69, v76, v0, s[0:1]
	v_cndmask_b32_e64 v70, v77, v0, s[2:3]
	;; [unrolled: 1-line block ×33, first 2 shown]
	v_cndmask_b32_e32 v1, v1, v125, vcc
	v_cndmask_b32_e64 v0, v0, v46, s[24:25]
	ds_bpermute_b32 v1, v107, v1
	v_cndmask_b32_e64 v0, v0, v45, s[26:27]
	v_cndmask_b32_e64 v0, v0, v44, s[30:31]
	;; [unrolled: 1-line block ×4, first 2 shown]
	v_cndmask_b32_e32 v0, v0, v47, vcc
	v_cndmask_b32_e64 v82, v2, v13, s[96:97]
	v_cndmask_b32_e64 v83, v7, v13, s[34:35]
	;; [unrolled: 1-line block ×11, first 2 shown]
	s_waitcnt lgkmcnt(0)
	v_cndmask_b32_e32 v11, v125, v1, vcc
	v_cndmask_b32_e64 v12, v85, v1, s[0:1]
	v_cndmask_b32_e64 v13, v33, v1, s[2:3]
	;; [unrolled: 1-line block ×15, first 2 shown]
	ds_bpermute_b32 v1, v107, v0
	v_cndmask_b32_e64 v0, v3, v102, s[44:45]
	v_cndmask_b32_e64 v0, v0, v101, s[6:7]
	;; [unrolled: 1-line block ×14, first 2 shown]
	v_cndmask_b32_e32 v0, v0, v53, vcc
	ds_bpermute_b32 v33, v107, v0
	v_cndmask_b32_e64 v0, v6, v123, s[44:45]
	v_cndmask_b32_e64 v0, v0, v117, s[6:7]
	v_cndmask_b32_e64 v0, v0, v116, s[8:9]
	v_cndmask_b32_e64 v0, v0, v115, s[10:11]
	v_cndmask_b32_e64 v0, v0, v114, s[12:13]
	v_cndmask_b32_e64 v0, v0, v113, s[14:15]
	v_cndmask_b32_e64 v0, v0, v112, s[18:19]
	v_cndmask_b32_e64 v0, v0, v111, s[20:21]
	v_cndmask_b32_e64 v0, v0, v110, s[22:23]
	v_cndmask_b32_e64 v0, v0, v109, s[24:25]
	v_cndmask_b32_e64 v0, v0, v108, s[26:27]
	v_cndmask_b32_e64 v0, v0, v97, s[30:31]
	v_cndmask_b32_e64 v0, v0, v106, s[2:3]
	v_cndmask_b32_e64 v0, v0, v105, s[0:1]
	v_cndmask_b32_e32 v0, v0, v103, vcc
	ds_bpermute_b32 v34, v107, v0
	s_waitcnt lgkmcnt(1)
	v_cndmask_b32_e64 v43, v56, v33, s[30:31]
	v_cndmask_b32_e64 v28, v31, v1, s[0:1]
	v_cndmask_b32_e64 v41, v54, v33, s[0:1]
	v_cndmask_b32_e64 v29, v30, v1, s[2:3]
	s_waitcnt lgkmcnt(0)
	v_cndmask_b32_e64 v56, v97, v34, s[30:31]
	scratch_load_dword v97, off, off offset:60 ; 4-byte Folded Reload
	v_cndmask_b32_e64 v54, v105, v34, s[0:1]
	v_cndmask_b32_e64 v42, v55, v33, s[2:3]
	;; [unrolled: 1-line block ×8, first 2 shown]
	s_mov_b64 s[2:3], s[84:85]
	v_cndmask_b32_e32 v27, v47, v1, vcc
	v_cndmask_b32_e32 v40, v53, v33, vcc
	v_cndmask_b32_e64 v30, v44, v1, s[30:31]
	v_cndmask_b32_e64 v31, v45, v1, s[26:27]
	;; [unrolled: 1-line block ×32, first 2 shown]
	v_cndmask_b32_e32 v53, v103, v34, vcc
	v_cndmask_b32_e64 v34, v10, v9, s[58:59]
	s_waitcnt vmcnt(0)
	v_cmp_eq_u32_e64 s[0:1], 1, v97
	s_nop 1
	v_cndmask_b32_e64 v35, v80, v86, s[0:1]
	s_mov_b64 s[10:11], s[0:1]
	v_cmp_eq_u32_e64 s[0:1], 2, v97
	s_mov_b64 s[6:7], s[0:1]
	v_cmp_eq_u32_e64 s[2:3], 14, v97
	v_cndmask_b32_e64 v33, v35, v32, s[0:1]
	v_cmp_eq_u32_e64 s[0:1], 3, v97
	s_mov_b64 s[12:13], s[0:1]
	v_cmp_eq_u32_e64 s[8:9], 15, v97
	v_cndmask_b32_e64 v33, v33, v95, s[0:1]
	v_cmp_eq_u32_e64 s[0:1], 4, v97
	s_mov_b64 s[14:15], s[0:1]
	s_nop 0
	v_cndmask_b32_e64 v33, v33, v94, s[0:1]
	v_cmp_eq_u32_e64 s[0:1], 5, v97
	s_mov_b64 s[18:19], s[0:1]
	s_nop 0
	;; [unrolled: 4-line block ×7, first 2 shown]
	v_cndmask_b32_e64 v33, v33, v88, s[0:1]
	v_cmp_eq_u32_e64 s[0:1], 11, v97
	s_mov_b64 s[44:45], s[0:1]
	v_writelane_b32 v126, s44, 51
	v_cndmask_b32_e64 v33, v33, v87, s[0:1]
	v_cmp_eq_u32_e64 s[0:1], 12, v97
	v_writelane_b32 v126, s45, 52
	s_mov_b64 s[84:85], s[0:1]
	v_writelane_b32 v126, s84, 53
	v_cndmask_b32_e64 v33, v33, v84, s[0:1]
	v_cmp_eq_u32_e64 s[0:1], 13, v97
	v_writelane_b32 v126, s85, 54
	s_nop 0
	v_writelane_b32 v126, s0, 55
	s_nop 1
	v_writelane_b32 v126, s1, 56
	v_cndmask_b32_e64 v33, v33, v83, s[0:1]
	v_writelane_b32 v126, s2, 45
	s_nop 1
	v_writelane_b32 v126, s3, 46
	v_cndmask_b32_e64 v33, v33, v82, s[2:3]
	v_writelane_b32 v126, s8, 57
	s_nop 1
	v_cndmask_b32_e64 v33, v33, v81, s[8:9]
	ds_bpermute_b32 v33, v107, v33
	v_writelane_b32 v126, s9, 58
	s_waitcnt lgkmcnt(0)
	v_cndmask_b32_e64 v82, v82, v33, s[2:3]
	v_readlane_b32 s2, v126, 47
	v_readlane_b32 s3, v126, 48
	v_cndmask_b32_e64 v83, v83, v33, s[0:1]
	v_cmp_eq_u32_e64 s[0:1], 0, v97
	v_cndmask_b32_e64 v34, v34, v67, s[2:3]
	v_cndmask_b32_e64 v34, v34, v66, s[46:47]
	;; [unrolled: 1-line block ×4, first 2 shown]
	v_writelane_b32 v126, s0, 59
	v_cndmask_b32_e64 v34, v34, v77, s[62:63]
	v_cndmask_b32_e64 v85, v32, v33, s[6:7]
	v_writelane_b32 v126, s1, 60
	v_cndmask_b32_e64 v80, v80, v33, s[0:1]
	v_cndmask_b32_e64 v32, v26, v25, s[58:59]
	s_mov_b64 s[0:1], s[2:3]
	v_cndmask_b32_e64 v34, v34, v76, s[66:67]
	v_cndmask_b32_e64 v32, v32, v24, s[0:1]
	;; [unrolled: 1-line block ×18, first 2 shown]
	ds_bpermute_b32 v34, v107, v34
	v_cndmask_b32_e64 v32, v32, v15, s[82:83]
	v_cndmask_b32_e64 v32, v32, v14, s[86:87]
	;; [unrolled: 1-line block ×5, first 2 shown]
	s_waitcnt lgkmcnt(0)
	v_cndmask_b32_e64 v99, v72, v34, s[82:83]
	ds_bpermute_b32 v72, v107, v32
	v_cndmask_b32_e64 v32, v9, v34, s[58:59]
	v_cndmask_b32_e64 v9, v1, v0, s[58:59]
	;; [unrolled: 1-line block ×28, first 2 shown]
	s_waitcnt lgkmcnt(0)
	v_cndmask_b32_e64 v33, v16, v72, s[78:79]
	ds_bpermute_b32 v16, v107, v9
	v_cndmask_b32_e64 v9, v3, v2, s[58:59]
	v_cndmask_b32_e64 v9, v9, v8, s[0:1]
	;; [unrolled: 1-line block ×13, first 2 shown]
	v_readlane_b32 s2, v126, 49
	v_cndmask_b32_e64 v9, v9, v41, s[42:43]
	v_readlane_b32 s3, v126, 50
	v_cndmask_b32_e64 v9, v9, v40, s[98:99]
	v_cndmask_b32_e64 v68, v68, v34, s[98:99]
	;; [unrolled: 1-line block ×16, first 2 shown]
	ds_bpermute_b32 v17, v107, v9
	v_cndmask_b32_e64 v9, v6, v5, s[58:59]
	v_cndmask_b32_e64 v9, v9, v4, s[0:1]
	;; [unrolled: 1-line block ×16, first 2 shown]
	ds_bpermute_b32 v18, v107, v9
	v_cndmask_b32_e64 v24, v24, v72, s[0:1]
	s_waitcnt lgkmcnt(2)
	v_cndmask_b32_e64 v9, v7, v16, s[0:1]
	s_waitcnt lgkmcnt(1)
	v_cndmask_b32_e64 v8, v8, v17, s[0:1]
	v_cndmask_b32_e64 v7, v2, v17, s[58:59]
	s_waitcnt lgkmcnt(0)
	v_cndmask_b32_e64 v117, v58, v18, s[78:79]
	v_cndmask_b32_e64 v58, v37, v16, s[54:55]
	scratch_load_dword v37, off, off offset:64 ; 4-byte Folded Reload
	v_cndmask_b32_e64 v98, v64, v18, s[50:51]
	v_cndmask_b32_e64 v64, v4, v18, s[0:1]
	s_mov_b64 s[0:1], s[2:3]
	v_cndmask_b32_e64 v4, v0, v16, s[58:59]
	v_cndmask_b32_e64 v2, v1, v16, s[0:1]
	;; [unrolled: 1-line block ×53, first 2 shown]
	s_waitcnt vmcnt(0)
	v_cmp_eq_u32_e64 s[8:9], 1, v37
	s_nop 1
	v_cndmask_b32_e64 v0, v80, v86, s[8:9]
	v_cmp_eq_u32_e64 s[0:1], 2, v37
	s_mov_b64 s[50:51], s[0:1]
	v_cmp_eq_u32_e64 s[98:99], 14, v37
	v_cndmask_b32_e64 v0, v0, v85, s[0:1]
	v_cmp_eq_u32_e64 s[0:1], 3, v37
	s_mov_b64 s[54:55], s[0:1]
	s_mov_b64 s[46:47], s[8:9]
	v_cndmask_b32_e64 v0, v0, v95, s[0:1]
	v_cmp_eq_u32_e64 s[0:1], 4, v37
	s_mov_b64 s[58:59], s[0:1]
	v_cmp_eq_u32_e64 s[8:9], 15, v37
	v_cndmask_b32_e64 v0, v0, v94, s[0:1]
	v_cmp_eq_u32_e64 s[0:1], 5, v37
	s_mov_b64 s[62:63], s[0:1]
	s_nop 0
	v_cndmask_b32_e64 v0, v0, v93, s[0:1]
	v_cmp_eq_u32_e64 s[0:1], 6, v37
	s_mov_b64 s[66:67], s[0:1]
	s_nop 0
	;; [unrolled: 4-line block ×8, first 2 shown]
	v_cndmask_b32_e64 v0, v0, v84, s[0:1]
	v_cmp_eq_u32_e64 s[0:1], 13, v37
	s_nop 1
	v_writelane_b32 v126, s0, 47
	s_nop 1
	v_cndmask_b32_e64 v0, v0, v83, s[0:1]
	v_writelane_b32 v126, s1, 48
	v_cndmask_b32_e64 v0, v0, v82, s[98:99]
	v_writelane_b32 v126, s8, 49
	s_nop 1
	v_cndmask_b32_e64 v0, v0, v81, s[8:9]
	ds_bpermute_b32 v16, v107, v0
	v_cndmask_b32_e64 v0, v10, v32, s[38:39]
	v_cndmask_b32_e64 v0, v0, v67, s[28:29]
	;; [unrolled: 1-line block ×14, first 2 shown]
	v_writelane_b32 v126, s9, 50
	s_waitcnt lgkmcnt(0)
	v_cndmask_b32_e64 v83, v83, v16, s[0:1]
	v_cndmask_b32_e64 v0, v0, v68, s[4:5]
	v_cmp_eq_u32_e64 s[0:1], 0, v37
	v_cndmask_b32_e64 v81, v81, v16, s[8:9]
	v_cndmask_b32_e64 v82, v82, v16, s[98:99]
	;; [unrolled: 1-line block ×12, first 2 shown]
	ds_bpermute_b32 v36, v107, v0
	v_cndmask_b32_e64 v0, v85, v16, s[50:51]
	v_cndmask_b32_e64 v1, v86, v16, s[46:47]
	v_writelane_b32 v126, s0, 61
	s_mov_b64 s[8:9], s[6:7]
	s_waitcnt lgkmcnt(0)
	v_cndmask_b32_e64 v85, v76, v36, s[68:69]
	v_cndmask_b32_e64 v65, v80, v16, s[0:1]
	;; [unrolled: 1-line block ×17, first 2 shown]
	ds_bpermute_b32 v48, v107, v16
	v_cndmask_b32_e64 v16, v66, v36, s[48:49]
	v_cndmask_b32_e64 v76, v10, v36, s[60:61]
	;; [unrolled: 1-line block ×4, first 2 shown]
	s_waitcnt lgkmcnt(0)
	v_cndmask_b32_e64 v47, v11, v48, s[4:5]
	v_cndmask_b32_e64 v46, v12, v48, s[96:97]
	;; [unrolled: 1-line block ×32, first 2 shown]
	ds_bpermute_b32 v11, v107, v11
	ds_bpermute_b32 v12, v107, v12
	v_cndmask_b32_e64 v10, v10, v60, s[48:49]
	v_cndmask_b32_e64 v10, v10, v59, s[52:53]
	;; [unrolled: 1-line block ×3, first 2 shown]
	s_waitcnt lgkmcnt(1)
	v_cndmask_b32_e64 v66, v103, v11, s[34:35]
	s_waitcnt lgkmcnt(0)
	v_cndmask_b32_e64 v103, v116, v12, s[36:37]
	v_cndmask_b32_e64 v116, v97, v11, s[80:81]
	scratch_load_dword v97, off, off offset:68 ; 4-byte Folded Reload
	v_cndmask_b32_e64 v10, v10, v57, s[64:65]
	v_cndmask_b32_e64 v10, v10, v56, s[68:69]
	;; [unrolled: 1-line block ×10, first 2 shown]
	ds_bpermute_b32 v10, v107, v10
	v_cndmask_b32_e64 v45, v13, v48, s[34:35]
	v_cndmask_b32_e64 v13, v100, v11, s[4:5]
	;; [unrolled: 1-line block ×5, first 2 shown]
	scratch_store_dword off, v13, off offset:20 ; 4-byte Folded Spill
	v_cndmask_b32_e64 v13, v112, v12, s[4:5]
	v_cndmask_b32_e64 v112, v115, v12, s[16:17]
	s_waitcnt lgkmcnt(0)
	v_cndmask_b32_e64 v52, v31, v10, s[36:37]
	v_cndmask_b32_e64 v115, v106, v11, s[36:37]
	;; [unrolled: 1-line block ×46, first 2 shown]
	scratch_store_dword off, v13, off offset:12 ; 4-byte Folded Spill
	v_cndmask_b32_e64 v13, v113, v12, s[96:97]
	v_cndmask_b32_e64 v113, v114, v12, s[34:35]
	;; [unrolled: 1-line block ×13, first 2 shown]
	s_waitcnt vmcnt(2)
	v_cmp_eq_u32_e64 s[36:37], 1, v97
	v_cmp_eq_u32_e64 s[38:39], 2, v97
	v_cmp_eq_u32_e64 s[40:41], 3, v97
	v_cndmask_b32_e64 v2, v65, v1, s[36:37]
	v_cndmask_b32_e64 v2, v2, v0, s[38:39]
	v_cndmask_b32_e64 v2, v2, v95, s[40:41]
	v_cmp_eq_u32_e64 s[42:43], 4, v97
	v_cmp_eq_u32_e64 s[44:45], 5, v97
	v_cmp_eq_u32_e64 s[48:49], 6, v97
	v_cndmask_b32_e64 v2, v2, v94, s[42:43]
	v_cndmask_b32_e64 v2, v2, v93, s[44:45]
	v_cndmask_b32_e64 v2, v2, v92, s[48:49]
	;; [unrolled: 6-line block ×4, first 2 shown]
	v_cmp_eq_u32_e64 s[76:77], 13, v97
	v_cmp_eq_u32_e64 s[80:81], 14, v97
	v_cmp_eq_u32_e32 vcc, 15, v97
	v_cndmask_b32_e64 v2, v2, v83, s[76:77]
	v_cndmask_b32_e64 v2, v2, v82, s[80:81]
	v_cndmask_b32_e32 v2, v2, v81, vcc
	ds_bpermute_b32 v19, v107, v2
	s_mov_b64 s[16:17], s[10:11]
	v_cndmask_b32_e64 v61, v9, v10, s[28:29]
	v_cndmask_b32_e64 v123, v8, v11, s[28:29]
	;; [unrolled: 1-line block ×3, first 2 shown]
	s_waitcnt lgkmcnt(0)
	v_cndmask_b32_e64 v2, v0, v19, s[38:39]
	v_cndmask_b32_e64 v0, v76, v77, s[16:17]
	;; [unrolled: 1-line block ×3, first 2 shown]
	s_mov_b64 s[28:29], s[12:13]
	v_cndmask_b32_e64 v50, v29, v10, s[34:35]
	v_cndmask_b32_e64 v0, v0, v16, s[28:29]
	s_mov_b64 s[34:35], s[14:15]
	v_cndmask_b32_e64 v49, v28, v10, s[96:97]
	v_cndmask_b32_e64 v0, v0, v99, s[34:35]
	s_mov_b64 s[96:97], s[18:19]
	v_cndmask_b32_e64 v0, v0, v120, s[96:97]
	s_mov_b64 s[6:7], s[20:21]
	;; [unrolled: 2-line block ×4, first 2 shown]
	v_writelane_b32 v126, s1, 62
	v_cndmask_b32_e64 v0, v0, v86, s[12:13]
	s_mov_b64 s[14:15], s[26:27]
	v_cndmask_b32_e64 v0, v0, v68, s[14:15]
	s_mov_b64 s[18:19], s[30:31]
	v_readlane_b32 s20, v126, 51
	v_cndmask_b32_e64 v0, v0, v69, s[18:19]
	v_readlane_b32 s21, v126, 52
	v_readlane_b32 s22, v126, 53
	v_readlane_b32 s23, v126, 54
	v_cndmask_b32_e64 v0, v0, v70, s[20:21]
	v_readlane_b32 s88, v126, 55
	v_cndmask_b32_e64 v0, v0, v71, s[22:23]
	v_readlane_b32 s89, v126, 56
	v_readlane_b32 s26, v126, 45
	v_readlane_b32 s27, v126, 46
	v_cndmask_b32_e64 v0, v0, v18, s[88:89]
	;; [unrolled: 6-line block ×3, first 2 shown]
	ds_bpermute_b32 v0, v107, v0
	v_cndmask_b32_e64 v32, v27, v10, s[4:5]
	s_mov_b64 s[4:5], s[46:47]
	s_mov_b64 s[46:47], s[50:51]
	;; [unrolled: 1-line block ×3, first 2 shown]
	s_waitcnt lgkmcnt(0)
	v_cndmask_b32_e64 v20, v73, v0, s[30:31]
	v_cndmask_b32_e64 v21, v72, v0, s[26:27]
	;; [unrolled: 1-line block ×19, first 2 shown]
	s_mov_b64 s[54:55], s[58:59]
	v_cndmask_b32_e64 v68, v68, v30, s[54:55]
	s_mov_b64 s[58:59], s[62:63]
	v_cndmask_b32_e64 v68, v68, v29, s[58:59]
	;; [unrolled: 2-line block ×8, first 2 shown]
	s_mov_b64 s[84:85], s[86:87]
	v_readlane_b32 s86, v126, 47
	v_cndmask_b32_e64 v68, v68, v22, s[84:85]
	v_readlane_b32 s87, v126, 48
	v_readlane_b32 s0, v126, 49
	;; [unrolled: 1-line block ×3, first 2 shown]
	v_cndmask_b32_e64 v68, v68, v18, s[86:87]
	v_cndmask_b32_e64 v68, v68, v21, s[98:99]
	;; [unrolled: 1-line block ×3, first 2 shown]
	ds_bpermute_b32 v68, v107, v68
	s_mov_b64 s[24:25], s[18:19]
	s_mov_b64 s[18:19], s[10:11]
	v_readlane_b32 s10, v126, 61
	v_readlane_b32 s11, v126, 62
	s_waitcnt lgkmcnt(0)
	v_cndmask_b32_e64 v20, v20, v68, s[0:1]
	v_cndmask_b32_e64 v21, v21, v68, s[98:99]
	;; [unrolled: 1-line block ×30, first 2 shown]
	v_cndmask_b32_e32 v0, v0, v20, vcc
	ds_bpermute_b32 v77, v107, v0
	v_cmp_eq_u32_e64 s[0:1], 0, v97
	scratch_store_dword off, v13, off offset:16 ; 4-byte Folded Spill
	v_cndmask_b32_e32 v15, v81, v19, vcc
	v_cndmask_b32_e64 v14, v82, v19, s[80:81]
	v_cndmask_b32_e64 v13, v83, v19, s[76:77]
	;; [unrolled: 1-line block ×13, first 2 shown]
	s_mov_b64 s[94:95], s[26:27]
	s_mov_b64 s[26:27], s[20:21]
	;; [unrolled: 1-line block ×4, first 2 shown]
	v_cndmask_b32_e64 v0, v65, v19, s[0:1]
	s_waitcnt lgkmcnt(0)
	v_cndmask_b32_e64 v19, v16, v77, s[40:41]
	v_cndmask_b32_e64 v16, v48, v33, s[16:17]
	;; [unrolled: 1-line block ×8, first 2 shown]
	s_mov_b64 s[90:91], s[30:31]
	s_mov_b64 s[30:31], s[22:23]
	;; [unrolled: 1-line block ×3, first 2 shown]
	v_cndmask_b32_e64 v16, v16, v42, s[20:21]
	v_cndmask_b32_e64 v16, v16, v41, s[22:23]
	;; [unrolled: 1-line block ×6, first 2 shown]
	s_mov_b64 s[14:15], s[94:95]
	v_cndmask_b32_e64 v16, v16, v46, s[14:15]
	s_mov_b64 s[94:95], s[90:91]
	v_cndmask_b32_e64 v16, v16, v47, s[94:95]
	ds_bpermute_b32 v16, v107, v16
	s_mov_b64 s[8:9], s[2:3]
	v_cndmask_b32_e64 v27, v23, v77, s[68:69]
	v_cndmask_b32_e64 v26, v24, v77, s[64:65]
	;; [unrolled: 1-line block ×3, first 2 shown]
	s_waitcnt lgkmcnt(0)
	v_cndmask_b32_e64 v47, v47, v16, s[94:95]
	v_cndmask_b32_e64 v46, v46, v16, s[14:15]
	;; [unrolled: 1-line block ×16, first 2 shown]
	s_mov_b64 s[2:3], s[4:5]
	v_cndmask_b32_e64 v48, v16, v33, s[2:3]
	v_cndmask_b32_e64 v48, v48, v34, s[46:47]
	;; [unrolled: 1-line block ×13, first 2 shown]
	v_readlane_b32 s4, v126, 49
	v_cndmask_b32_e64 v48, v48, v46, s[98:99]
	v_readlane_b32 s5, v126, 50
	s_mov_b64 s[14:15], s[6:7]
	s_mov_b64 s[6:7], s[10:11]
	v_cndmask_b32_e64 v48, v48, v47, s[4:5]
	ds_bpermute_b32 v48, v107, v48
	v_cndmask_b32_e64 v23, v70, v77, s[52:53]
	s_mov_b64 s[88:89], s[98:99]
	v_cndmask_b32_e32 v31, v20, v77, vcc
	v_writelane_b32 v126, vcc_lo, 63
	s_waitcnt lgkmcnt(0)
	v_cndmask_b32_e64 v47, v47, v48, s[4:5]
	v_cndmask_b32_e64 v46, v46, v48, s[98:99]
	;; [unrolled: 1-line block ×21, first 2 shown]
	s_mov_b64 s[98:99], s[86:87]
	s_mov_b64 s[86:87], s[84:85]
	;; [unrolled: 1-line block ×10, first 2 shown]
	v_cndmask_b32_e64 v16, v16, v70, s[48:49]
	s_mov_b64 s[54:55], s[52:53]
	v_cndmask_b32_e64 v16, v16, v69, s[54:55]
	v_cndmask_b32_e64 v16, v16, v65, s[56:57]
	;; [unrolled: 1-line block ×8, first 2 shown]
	v_cndmask_b32_e32 v16, v16, v47, vcc
	v_cndmask_b32_e64 v28, v22, v77, s[72:73]
	v_cndmask_b32_e64 v22, v71, v77, s[48:49]
	ds_bpermute_b32 v71, v107, v16
	s_mov_b64 s[4:5], s[2:3]
	s_mov_b64 s[2:3], s[12:13]
	v_cndmask_b32_e64 v16, v68, v77, s[0:1]
	s_mov_b64 s[90:91], s[0:1]
	s_waitcnt lgkmcnt(0)
	v_cndmask_b32_e64 v42, v40, v71, s[64:65]
	v_cndmask_b32_e64 v40, v65, v71, s[56:57]
	;; [unrolled: 1-line block ×7, first 2 shown]
	s_mov_b64 s[0:1], s[14:15]
	v_cndmask_b32_e64 v65, v65, v57, s[0:1]
	s_mov_b64 s[10:11], s[18:19]
	v_cndmask_b32_e64 v65, v65, v56, s[10:11]
	;; [unrolled: 2-line block ×6, first 2 shown]
	s_mov_b64 s[22:23], s[30:31]
	v_readlane_b32 s24, v126, 55
	v_cndmask_b32_e64 v30, v21, v77, s[80:81]
	v_cndmask_b32_e64 v29, v18, v77, s[76:77]
	;; [unrolled: 1-line block ×7, first 2 shown]
	s_mov_b64 s[52:53], s[44:45]
	v_cndmask_b32_e64 v36, v36, v71, s[42:43]
	s_mov_b64 s[44:45], s[42:43]
	v_cndmask_b32_e64 v35, v35, v71, s[40:41]
	;; [unrolled: 2-line block ×5, first 2 shown]
	v_readlane_b32 s25, v126, 56
	v_readlane_b32 s36, v126, 45
	;; [unrolled: 1-line block ×3, first 2 shown]
	v_cndmask_b32_e64 v65, v65, v50, s[24:25]
	s_mov_b64 s[26:27], s[22:23]
	v_cndmask_b32_e64 v65, v65, v49, s[36:37]
	v_cndmask_b32_e64 v65, v65, v32, s[94:95]
	ds_bpermute_b32 v65, v107, v65
	v_cndmask_b32_e64 v25, v25, v77, s[60:61]
	v_cndmask_b32_e64 v44, v38, v71, s[72:73]
	;; [unrolled: 1-line block ×4, first 2 shown]
	s_waitcnt lgkmcnt(0)
	v_cndmask_b32_e64 v62, v62, v65, s[16:17]
	v_cndmask_b32_e64 v63, v63, v65, s[8:9]
	v_cndmask_b32_e64 v32, v32, v65, s[94:95]
	v_cndmask_b32_e64 v49, v49, v65, s[36:37]
	v_cndmask_b32_e64 v50, v50, v65, s[24:25]
	v_cndmask_b32_e64 v51, v51, v65, s[22:23]
	v_cndmask_b32_e64 v52, v52, v65, s[20:21]
	v_cndmask_b32_e64 v53, v53, v65, s[18:19]
	v_cndmask_b32_e64 v54, v54, v65, s[14:15]
	v_cndmask_b32_e64 v55, v55, v65, s[12:13]
	v_cndmask_b32_e64 v56, v56, v65, s[10:11]
	v_cndmask_b32_e64 v57, v57, v65, s[0:1]
	v_cndmask_b32_e64 v58, v58, v65, s[96:97]
	v_cndmask_b32_e64 v59, v59, v65, s[34:35]
	v_cndmask_b32_e64 v60, v60, v65, s[28:29]
	v_cndmask_b32_e64 v61, v61, v65, s[2:3]
	v_cndmask_b32_e64 v65, v63, v62, s[4:5]
	v_cndmask_b32_e64 v65, v65, v61, s[46:47]
	v_cndmask_b32_e64 v65, v65, v60, s[50:51]
	v_cndmask_b32_e64 v65, v65, v59, s[58:59]
	v_cndmask_b32_e64 v65, v65, v58, s[62:63]
	v_cndmask_b32_e64 v65, v65, v57, s[66:67]
	v_cndmask_b32_e64 v65, v65, v56, s[70:71]
	v_cndmask_b32_e64 v65, v65, v55, s[74:75]
	v_cndmask_b32_e64 v65, v65, v54, s[78:79]
	v_cndmask_b32_e64 v65, v65, v53, s[82:83]
	v_cndmask_b32_e64 v65, v65, v52, s[84:85]
	v_cndmask_b32_e64 v65, v65, v51, s[86:87]
	s_mov_b64 s[22:23], s[18:19]
	s_mov_b64 s[18:19], s[12:13]
	;; [unrolled: 1-line block ×4, first 2 shown]
	v_cndmask_b32_e64 v65, v65, v50, s[98:99]
	v_readlane_b32 s8, v126, 49
	v_cndmask_b32_e64 v65, v65, v49, s[88:89]
	v_readlane_b32 s9, v126, 50
	v_cndmask_b32_e64 v38, v70, v71, s[48:49]
	v_writelane_b32 v127, vcc_hi, 0
	v_cndmask_b32_e64 v65, v65, v32, s[8:9]
	ds_bpermute_b32 v65, v107, v65
	v_cndmask_b32_e32 v47, v47, v71, vcc
	v_cndmask_b32_e64 v46, v46, v71, s[80:81]
	s_mov_b64 vcc, s[80:81]
	v_cndmask_b32_e64 v45, v45, v71, s[76:77]
	s_waitcnt lgkmcnt(0)
	v_cndmask_b32_e64 v68, v32, v65, s[8:9]
	v_cndmask_b32_e64 v49, v49, v65, s[88:89]
	;; [unrolled: 1-line block ×22, first 2 shown]
	s_mov_b64 s[80:81], s[76:77]
	s_mov_b64 s[76:77], s[72:73]
	;; [unrolled: 1-line block ×4, first 2 shown]
	v_cndmask_b32_e64 v41, v41, v71, s[60:61]
	s_mov_b64 s[64:65], s[60:61]
	s_mov_b64 s[60:61], s[56:57]
	v_cndmask_b32_e64 v32, v32, v69, s[54:55]
	v_cndmask_b32_e64 v32, v32, v55, s[60:61]
	;; [unrolled: 1-line block ×7, first 2 shown]
	v_readlane_b32 s56, v126, 63
	v_cndmask_b32_e32 v32, v32, v49, vcc
	v_readlane_b32 s57, v127, 0
	s_mov_b64 s[30:31], s[24:25]
	s_mov_b64 s[24:25], s[20:21]
	v_cndmask_b32_e64 v32, v32, v68, s[56:57]
	ds_bpermute_b32 v82, v107, v32
	s_mov_b64 s[20:21], s[14:15]
	s_mov_b64 s[14:15], s[10:11]
	;; [unrolled: 1-line block ×4, first 2 shown]
	s_waitcnt lgkmcnt(0)
	v_cndmask_b32_e64 v63, v68, v82, s[56:57]
	scratch_load_dword v68, off, off offset:20 ; 4-byte Folded Reload
	s_mov_b64 s[6:7], s[90:91]
	v_writelane_b32 v127, s6, 1
	s_mov_b64 s[90:91], s[56:57]
	s_mov_b64 s[56:57], s[12:13]
	v_cndmask_b32_e64 v32, v48, v71, s[6:7]
	v_cndmask_b32_e64 v48, v79, v78, s[16:17]
	;; [unrolled: 1-line block ×7, first 2 shown]
	s_mov_b64 s[12:13], s[14:15]
	v_cndmask_b32_e64 v48, v48, v110, s[12:13]
	s_mov_b64 s[14:15], s[18:19]
	v_cndmask_b32_e64 v48, v48, v124, s[14:15]
	;; [unrolled: 2-line block ×8, first 2 shown]
	v_writelane_b32 v127, s7, 2
	v_cndmask_b32_e32 v62, v49, v82, vcc
	v_cndmask_b32_e64 v61, v50, v82, s[80:81]
	v_cndmask_b32_e64 v60, v51, v82, s[76:77]
	;; [unrolled: 1-line block ×13, first 2 shown]
	v_writelane_b32 v127, s4, 3
	v_readlane_b32 s36, v126, 23
	v_readlane_b32 s37, v126, 24
	v_writelane_b32 v127, s5, 4
	v_writelane_b32 v127, s46, 5
	s_waitcnt vmcnt(0)
	v_cndmask_b32_e64 v48, v48, v68, s[94:95]
	ds_bpermute_b32 v48, v107, v48
	v_writelane_b32 v127, s47, 6
	s_waitcnt lgkmcnt(0)
	v_cndmask_b32_e64 v68, v68, v48, s[94:95]
	v_cndmask_b32_e64 v69, v100, v48, s[30:31]
	;; [unrolled: 1-line block ×29, first 2 shown]
	s_mov_b64 s[0:1], s[88:89]
	v_cndmask_b32_e64 v79, v79, v69, s[0:1]
	v_cndmask_b32_e64 v79, v79, v68, s[8:9]
	ds_bpermute_b32 v79, v107, v79
	s_waitcnt lgkmcnt(0)
	v_cndmask_b32_e64 v88, v80, v79, s[50:51]
	v_cndmask_b32_e64 v90, v78, v79, s[4:5]
	;; [unrolled: 1-line block ×10, first 2 shown]
	s_mov_b64 s[46:47], s[52:53]
	v_cndmask_b32_e64 v85, v77, v79, s[66:67]
	v_cndmask_b32_e64 v48, v48, v86, s[46:47]
	;; [unrolled: 1-line block ×19, first 2 shown]
	v_cndmask_b32_e32 v48, v48, v69, vcc
	v_cndmask_b32_e64 v48, v48, v68, s[90:91]
	ds_bpermute_b32 v81, v107, v48
	v_cndmask_b32_e64 v48, v65, v82, s[6:7]
	v_cndmask_b32_e64 v82, v108, v96, s[16:17]
	v_cndmask_b32_e64 v82, v82, v64, s[10:11]
	v_cndmask_b32_e64 v82, v82, v106, s[28:29]
	s_waitcnt lgkmcnt(0)
	v_cndmask_b32_e64 v74, v71, v81, s[68:69]
	v_cndmask_b32_e64 v71, v84, v81, s[54:55]
	scratch_load_dword v84, off, off offset:16 ; 4-byte Folded Reload
	v_cndmask_b32_e64 v73, v72, v81, s[64:65]
	v_cndmask_b32_e64 v72, v83, v81, s[60:61]
	scratch_load_dword v83, off, off offset:12 ; 4-byte Folded Reload
	v_cndmask_b32_e64 v82, v82, v98, s[34:35]
	v_cndmask_b32_e64 v82, v82, v121, s[96:97]
	;; [unrolled: 1-line block ×11, first 2 shown]
	v_cndmask_b32_e32 v78, v69, v81, vcc
	v_cndmask_b32_e64 v77, v66, v81, s[80:81]
	v_cndmask_b32_e64 v76, v67, v81, s[76:77]
	;; [unrolled: 1-line block ×9, first 2 shown]
	s_mov_b64 s[52:53], s[60:61]
	s_mov_b64 s[60:61], s[38:39]
	v_readlane_b32 s39, v126, 44
	s_mov_b32 s6, 0
	s_mov_b32 s7, 0
	v_readlane_b32 s38, v126, 25
	s_waitcnt vmcnt(1)
	v_cndmask_b32_e64 v82, v82, v84, s[30:31]
	s_waitcnt vmcnt(0)
	v_cndmask_b32_e64 v82, v82, v83, s[94:95]
	ds_bpermute_b32 v82, v107, v82
	s_waitcnt lgkmcnt(0)
	v_cndmask_b32_e64 v64, v64, v82, s[10:11]
	v_readlane_b32 s10, v126, 59
	v_cndmask_b32_e64 v91, v102, v82, s[12:13]
	v_readlane_b32 s11, v126, 60
	v_readlane_b32 s12, v127, 3
	v_cndmask_b32_e64 v83, v83, v82, s[94:95]
	v_cndmask_b32_e64 v84, v84, v82, s[30:31]
	;; [unrolled: 1-line block ×14, first 2 shown]
	v_readlane_b32 s13, v127, 4
	v_readlane_b32 s10, v127, 5
	;; [unrolled: 1-line block ×3, first 2 shown]
	v_cndmask_b32_e64 v98, v82, v96, s[12:13]
	v_readlane_b32 s16, v126, 2
	v_cndmask_b32_e64 v98, v98, v64, s[10:11]
	v_cndmask_b32_e64 v98, v98, v95, s[50:51]
	;; [unrolled: 1-line block ×14, first 2 shown]
	ds_bpermute_b32 v98, v107, v98
	v_readlane_b32 s20, v126, 6
	v_readlane_b32 s21, v126, 7
	v_readlane_b32 s14, v126, 10
	v_readlane_b32 s24, v126, 12
	s_waitcnt lgkmcnt(0)
	v_cndmask_b32_e64 v83, v83, v98, s[8:9]
	v_cndmask_b32_e64 v84, v84, v98, s[0:1]
	;; [unrolled: 1-line block ×29, first 2 shown]
	v_cndmask_b32_e32 v64, v64, v84, vcc
	v_cndmask_b32_e64 v64, v64, v83, s[90:91]
	ds_bpermute_b32 v107, v107, v64
	v_readlane_b32 s8, v127, 1
	v_readlane_b32 s9, v127, 2
	;; [unrolled: 1-line block ×4, first 2 shown]
	v_cndmask_b32_e64 v64, v80, v81, s[8:9]
	s_waitcnt lgkmcnt(0)
	v_cndmask_b32_e64 v95, v83, v107, s[90:91]
	v_cndmask_b32_e32 v94, v84, v107, vcc
	v_cndmask_b32_e64 v93, v85, v107, s[80:81]
	v_cndmask_b32_e64 v92, v86, v107, s[76:77]
	;; [unrolled: 1-line block ×14, first 2 shown]
	scratch_load_dwordx2 v[106:107], off, off offset:4 ; 8-byte Folded Reload
	scratch_load_dword v123, off, off offset:36 ; 4-byte Folded Reload
	scratch_load_dword v97, off, off offset:92 ; 4-byte Folded Reload
	v_readlane_b32 s52, v126, 26
	v_readlane_b32 s53, v126, 27
	s_mul_i32 s0, s39, s53
	s_ashr_i32 s1, s0, 31
	s_lshl_b64 s[0:1], s[0:1], 1
	v_readlane_b32 s44, v126, 38
	s_add_u32 s2, s20, s0
	v_readlane_b32 s45, v126, 39
	s_addc_u32 s3, s21, s1
	s_ashr_i32 s45, s44, 31
	s_lshl_b64 s[0:1], s[44:45], 1
	s_add_u32 s0, s2, s0
	s_addc_u32 s1, s3, s1
	v_readlane_b32 s41, v126, 42
	v_readlane_b32 s42, v126, 40
	;; [unrolled: 1-line block ×13, first 2 shown]
	v_subrev_u32_e32 v122, s41, v122
	v_readlane_b32 s11, v126, 0
	v_readlane_b32 s12, v126, 1
	;; [unrolled: 1-line block ×17, first 2 shown]
                                        ; implicit-def: $sgpr2_sgpr3
	s_waitcnt vmcnt(2)
	v_lshl_add_u64 v[102:103], s[0:1], 0, v[106:107]
	s_mov_b64 s[0:1], 0
	s_branch .LBB309_37
.LBB309_36:                             ;   in Loop: Header=BB309_37 Depth=2
	s_or_b64 exec, exec, s[4:5]
	s_and_b64 s[4:5], exec, s[2:3]
	s_or_b64 s[0:1], s[4:5], s[0:1]
	s_andn2_b64 exec, exec, s[0:1]
	s_cbranch_execz .LBB309_39
.LBB309_37:                             ;   Parent Loop BB309_7 Depth=1
                                        ; =>  This Inner Loop Header: Depth=2
	s_and_b32 s4, s7, 2
	s_and_b32 s5, s6, 24
	s_or_b32 s4, s5, s4
	s_waitcnt vmcnt(0)
	v_or_b32_e32 v96, s4, v97
	v_add_u32_e32 v98, s92, v96
	v_cmp_gt_u32_e32 vcc, 32, v98
	s_or_b64 s[2:3], s[2:3], exec
	s_and_saveexec_b64 s[4:5], vcc
	s_cbranch_execz .LBB309_36
; %bb.38:                               ;   in Loop: Header=BB309_37 Depth=2
	s_add_i32 s10, s7, 1
	s_set_gpr_idx_on s7, gpr_idx(SRC0)
	v_mov_b32_e32 v98, v0
	s_set_gpr_idx_off
	v_cvt_f16_f32_e32 v100, v98
	s_set_gpr_idx_on s10, gpr_idx(SRC0)
	v_mov_b32_e32 v98, v0
	s_set_gpr_idx_off
	v_cvt_f16_f32_sdwa v101, v98 dst_sel:WORD_1 dst_unused:UNUSED_PAD src0_sel:DWORD
	v_mul_lo_u32 v98, v96, s53
	v_ashrrev_i32_e32 v99, 31, v98
	v_lshl_add_u64 v[98:99], v[98:99], 1, v[102:103]
	v_or_b32_e32 v96, v101, v100
	;;#ASMSTART
	global_atomic_pk_add_f16 v[98:99], v96, off
	
	;;#ASMEND
	s_set_gpr_idx_on s7, gpr_idx(SRC0)
	v_mov_b32_e32 v96, v16
	s_set_gpr_idx_off
	v_cvt_f16_f32_e32 v96, v96
	s_set_gpr_idx_on s10, gpr_idx(SRC0)
	v_mov_b32_e32 v100, v16
	s_set_gpr_idx_off
	v_cvt_f16_f32_sdwa v105, v100 dst_sel:WORD_1 dst_unused:UNUSED_PAD src0_sel:DWORD
	v_lshl_add_u64 v[100:101], v[98:99], 0, 64
	s_mov_b64 s[8:9], 0x80
	s_add_i32 s6, s6, 4
	v_or_b32_e32 v96, v105, v96
	;;#ASMSTART
	global_atomic_pk_add_f16 v[100:101], v96, off
	
	;;#ASMEND
	s_set_gpr_idx_on s7, gpr_idx(SRC0)
	v_mov_b32_e32 v96, v32
	s_set_gpr_idx_off
	v_cvt_f16_f32_e32 v96, v96
	s_set_gpr_idx_on s10, gpr_idx(SRC0)
	v_mov_b32_e32 v100, v32
	s_set_gpr_idx_off
	v_cvt_f16_f32_sdwa v105, v100 dst_sel:WORD_1 dst_unused:UNUSED_PAD src0_sel:DWORD
	v_lshl_add_u64 v[100:101], v[98:99], 0, s[8:9]
	s_mov_b64 s[8:9], 0xc0
	v_or_b32_e32 v96, v105, v96
	;;#ASMSTART
	global_atomic_pk_add_f16 v[100:101], v96, off
	
	;;#ASMEND
	s_set_gpr_idx_on s7, gpr_idx(SRC0)
	v_mov_b32_e32 v96, v48
	s_set_gpr_idx_off
	v_cvt_f16_f32_e32 v96, v96
	s_set_gpr_idx_on s10, gpr_idx(SRC0)
	v_mov_b32_e32 v100, v48
	s_set_gpr_idx_off
	v_cvt_f16_f32_sdwa v105, v100 dst_sel:WORD_1 dst_unused:UNUSED_PAD src0_sel:DWORD
	v_lshl_add_u64 v[100:101], v[98:99], 0, s[8:9]
	s_mov_b64 s[8:9], 0x100
	;; [unrolled: 15-line block ×3, first 2 shown]
	v_lshl_add_u64 v[98:99], v[98:99], 0, s[8:9]
	v_or_b32_e32 v96, v105, v96
	;;#ASMSTART
	global_atomic_pk_add_f16 v[100:101], v96, off
	
	;;#ASMEND
	s_set_gpr_idx_on s7, gpr_idx(SRC0)
	v_mov_b32_e32 v96, v80
	s_set_gpr_idx_off
	v_cvt_f16_f32_e32 v96, v96
	s_set_gpr_idx_on s10, gpr_idx(SRC0)
	v_mov_b32_e32 v100, v80
	s_set_gpr_idx_off
	s_add_i32 s7, s7, 2
	v_cvt_f16_f32_sdwa v100, v100 dst_sel:WORD_1 dst_unused:UNUSED_PAD src0_sel:DWORD
	s_cmp_eq_u32 s7, 16
	s_cselect_b64 s[8:9], -1, 0
	s_andn2_b64 s[2:3], s[2:3], exec
	s_and_b64 s[8:9], s[8:9], exec
	s_or_b64 s[2:3], s[2:3], s[8:9]
	v_or_b32_e32 v96, v100, v96
	;;#ASMSTART
	global_atomic_pk_add_f16 v[98:99], v96, off
	
	;;#ASMEND
	s_branch .LBB309_36
.LBB309_39:                             ;   in Loop: Header=BB309_7 Depth=1
	s_or_b64 exec, exec, s[0:1]
	scratch_load_dword v22, off, off offset:28 ; 4-byte Folded Reload
	scratch_load_dword v121, off, off offset:32 ; 4-byte Folded Reload
	scratch_load_dwordx2 v[24:25], off, off offset:72 ; 8-byte Folded Reload
	scratch_load_dword v23, off, off offset:88 ; 4-byte Folded Reload
.LBB309_40:                             ;   in Loop: Header=BB309_7 Depth=1
	s_or_b64 exec, exec, s[48:49]
.LBB309_41:                             ;   in Loop: Header=BB309_7 Depth=1
	s_andn2_saveexec_b64 s[0:1], s[46:47]
	s_cbranch_execz .LBB309_50
; %bb.42:                               ;   in Loop: Header=BB309_7 Depth=1
	s_mul_i32 s10, s41, 6
	v_cmp_gt_i32_e32 vcc, s10, v122
	s_and_saveexec_b64 s[2:3], vcc
	s_cbranch_execz .LBB309_49
; %bb.43:                               ;   in Loop: Header=BB309_7 Depth=1
	scratch_load_dwordx2 v[0:1], off, off offset:80 ; 8-byte Folded Reload
	s_mul_i32 s4, s44, s55
	s_ashr_i32 s5, s4, 31
	s_add_u32 s4, s18, s4
	s_addc_u32 s5, s19, s5
	s_ashr_i32 s6, s40, 31
	s_add_u32 s4, s4, s40
	s_addc_u32 s5, s5, s6
	s_waitcnt vmcnt(0)
	v_lshl_add_u64 v[0:1], s[4:5], 0, v[0:1]
	v_lshl_add_u64 v[16:17], v[0:1], 0, v[24:25]
	s_mov_b64 s[4:5], 0
	s_branch .LBB309_45
.LBB309_44:                             ;   in Loop: Header=BB309_45 Depth=2
	s_or_b64 exec, exec, s[6:7]
	v_lshl_or_b32 v20, v18, 12, v23
	;;#ASMSTART
	s_waitcnt vmcnt(3)
	;;#ASMEND
	ds_write2_b32 v20, v12, v13 offset1:32
	ds_write2_b32 v20, v14, v15 offset0:64 offset1:96
	v_add_u32_e32 v12, 0x400, v20
	;;#ASMSTART
	s_waitcnt vmcnt(2)
	;;#ASMEND
	ds_write2_b32 v12, v8, v9 offset1:32
	ds_write2_b32 v12, v10, v11 offset0:64 offset1:96
	v_add_u32_e32 v8, 0x800, v20
	;; [unrolled: 6-line block ×3, first 2 shown]
	v_add_u32_e32 v122, s58, v122
	;;#ASMSTART
	s_waitcnt vmcnt(0)
	;;#ASMEND
	ds_write2_b32 v4, v0, v1 offset1:32
	ds_write2_b32 v4, v2, v3 offset0:64 offset1:96
	v_add_u32_e32 v0, 1, v119
	v_add_u32_e32 v104, s58, v18
	v_cmp_le_i32_e32 vcc, s10, v122
	ds_write_b32 v19, v0 offset:12
	v_add_u32_e32 v0, 2, v119
	s_or_b64 s[4:5], vcc, s[4:5]
	v_cmp_lt_i32_e32 vcc, 5, v104
	s_nop 1
	v_cndmask_b32_e32 v119, v119, v0, vcc
	s_andn2_b64 exec, exec, s[4:5]
	s_cbranch_execz .LBB309_48
.LBB309_45:                             ;   Parent Loop BB309_7 Depth=1
                                        ; =>  This Loop Header: Depth=2
                                        ;       Child Loop BB309_47 Depth 3
	v_cmp_gt_i32_e32 vcc, 6, v104
	s_mov_b32 s6, 0x2aaaaaab
	s_nop 0
	v_cndmask_b32_e64 v0, -6, 0, vcc
	v_add_u32_e32 v18, v0, v104
	v_mul_hi_i32 v0, v122, s6
	v_lshrrev_b32_e32 v1, 31, v0
	v_add_u32_e32 v0, v0, v1
	v_mul_lo_u32 v1, v0, 6
	v_sub_u32_e32 v2, v122, v1
	v_lshlrev_b32_e32 v0, 7, v0
	v_ashrrev_i32_e32 v1, 31, v0
	v_mul_lo_u32 v2, s31, v2
	v_lshl_add_u64 v[0:1], v[16:17], 0, v[0:1]
	v_ashrrev_i32_e32 v3, 31, v2
	v_lshl_add_u64 v[0:1], v[0:1], 0, v[2:3]
	v_lshlrev_b32_e32 v19, 2, v18
	;;#ASMSTART
	global_load_dwordx4 v[12:15], v[0:1], off offset:0   sc0 sc1 nt  
	global_load_dwordx4 v[8:11], v[0:1], off offset:32  sc0 sc1 nt  
	global_load_dwordx4 v[4:7], v[0:1], off offset:64  sc0 sc1 nt  
	;; [unrolled: 1-line block ×3, first 2 shown]
	
	;;#ASMEND
	ds_read_b32 v20, v19 offset:36876
	v_add_u32_e32 v19, 0x9000, v19
	s_waitcnt lgkmcnt(0)
	v_cmp_ne_u32_e32 vcc, v20, v119
	s_and_saveexec_b64 s[6:7], vcc
	s_cbranch_execz .LBB309_44
; %bb.46:                               ;   in Loop: Header=BB309_45 Depth=2
	s_mov_b64 s[8:9], 0
.LBB309_47:                             ;   Parent Loop BB309_7 Depth=1
                                        ;     Parent Loop BB309_45 Depth=2
                                        ; =>    This Inner Loop Header: Depth=3
	;;#ASMSTART
	s_sleep 0
	;;#ASMEND
	ds_read_b32 v20, v19 offset:12
	s_waitcnt lgkmcnt(0)
	v_cmp_eq_u32_e32 vcc, v20, v119
	s_or_b64 s[8:9], vcc, s[8:9]
	s_andn2_b64 exec, exec, s[8:9]
	s_cbranch_execnz .LBB309_47
	s_branch .LBB309_44
.LBB309_48:                             ;   in Loop: Header=BB309_7 Depth=1
	s_or_b64 exec, exec, s[4:5]
.LBB309_49:                             ;   in Loop: Header=BB309_7 Depth=1
	s_or_b64 exec, exec, s[2:3]
	v_subrev_u32_e32 v122, s10, v122
.LBB309_50:                             ;   in Loop: Header=BB309_7 Depth=1
	s_or_b64 exec, exec, s[0:1]
.LBB309_51:                             ;   in Loop: Header=BB309_7 Depth=1
	s_andn2_saveexec_b64 s[0:1], s[42:43]
	s_cbranch_execz .LBB309_6
; %bb.52:                               ;   in Loop: Header=BB309_7 Depth=1
	s_mul_i32 s10, s41, 3
	v_cmp_gt_i32_e32 vcc, s10, v122
	s_and_saveexec_b64 s[2:3], vcc
	s_cbranch_execz .LBB309_5
; %bb.53:                               ;   in Loop: Header=BB309_7 Depth=1
	s_mul_i32 s4, s39, s54
	s_ashr_i32 s5, s4, 31
	s_add_u32 s4, s16, s4
	s_addc_u32 s5, s17, s5
	s_ashr_i32 s6, s40, 31
	s_add_u32 s4, s4, s40
	s_addc_u32 s5, s5, s6
	s_waitcnt vmcnt(2)
	v_add_u32_e32 v2, s92, v121
	s_movk_i32 s6, 0x60
	v_mul_lo_u32 v0, s54, v121
	v_cmp_gt_u32_e32 vcc, s6, v2
	v_sub_u32_e32 v18, 0x5f, v2
	s_nop 0
	v_cndmask_b32_e32 v0, 0, v0, vcc
	v_ashrrev_i32_e32 v1, 31, v0
	v_lshl_add_u64 v[0:1], s[4:5], 0, v[0:1]
	s_waitcnt vmcnt(1)
	v_lshl_add_u64 v[16:17], v[0:1], 0, v[24:25]
	s_mov_b64 s[4:5], 0
	s_branch .LBB309_55
.LBB309_54:                             ;   in Loop: Header=BB309_55 Depth=2
	s_or_b64 exec, exec, s[6:7]
	v_lshl_add_u32 v21, v19, 12, v118
	;;#ASMSTART
	s_waitcnt vmcnt(3)
	;;#ASMEND
	ds_write2_b32 v21, v12, v13 offset1:32
	ds_write2_b32 v21, v14, v15 offset0:64 offset1:96
	v_add_u32_e32 v12, 0x400, v21
	;;#ASMSTART
	s_waitcnt vmcnt(2)
	;;#ASMEND
	ds_write2_b32 v12, v8, v9 offset1:32
	ds_write2_b32 v12, v10, v11 offset0:64 offset1:96
	v_add_u32_e32 v8, 0x800, v21
	;; [unrolled: 6-line block ×3, first 2 shown]
	v_add_u32_e32 v122, s57, v122
	;;#ASMSTART
	s_waitcnt vmcnt(0)
	;;#ASMEND
	ds_write2_b32 v4, v0, v1 offset1:32
	ds_write2_b32 v4, v2, v3 offset0:64 offset1:96
	v_add_u32_e32 v0, 1, v119
	v_add_u32_e32 v104, s57, v19
	v_cmp_le_i32_e32 vcc, s10, v122
	ds_write_b32 v20, v0
	v_add_u32_e32 v0, 2, v119
	s_or_b64 s[4:5], vcc, s[4:5]
	v_cmp_lt_i32_e32 vcc, 2, v104
	s_nop 1
	v_cndmask_b32_e32 v119, v119, v0, vcc
	s_andn2_b64 exec, exec, s[4:5]
	s_cbranch_execz .LBB309_4
.LBB309_55:                             ;   Parent Loop BB309_7 Depth=1
                                        ; =>  This Loop Header: Depth=2
                                        ;       Child Loop BB309_57 Depth 3
	v_cmp_gt_i32_e32 vcc, 3, v104
	s_mov_b32 s6, 0x55555556
	s_nop 0
	v_cndmask_b32_e64 v0, -3, 0, vcc
	v_add_u32_e32 v19, v0, v104
	v_mul_hi_i32 v0, v122, s6
	v_lshrrev_b32_e32 v1, 31, v0
	v_add_u32_e32 v0, v0, v1
	v_lshl_add_u32 v1, v0, 1, v0
	v_sub_u32_e32 v1, v122, v1
	v_lshlrev_b32_e32 v1, 5, v1
	v_cmp_le_i32_e32 vcc, v1, v18
	v_lshlrev_b32_e32 v0, 7, v0
	v_lshlrev_b32_e32 v20, 2, v19
	v_cndmask_b32_e32 v2, 0, v1, vcc
	v_ashrrev_i32_e32 v1, 31, v0
	v_mul_lo_u32 v2, v2, s54
	v_lshl_add_u64 v[0:1], v[16:17], 0, v[0:1]
	v_ashrrev_i32_e32 v3, 31, v2
	v_lshl_add_u64 v[0:1], v[0:1], 0, v[2:3]
	;;#ASMSTART
	global_load_dwordx4 v[12:15], v[0:1], off offset:0   
	global_load_dwordx4 v[8:11], v[0:1], off offset:32  
	;; [unrolled: 1-line block ×4, first 2 shown]
	
	;;#ASMEND
	ds_read_b32 v21, v20 offset:36864
	v_add_u32_e32 v20, 0x9000, v20
	s_waitcnt lgkmcnt(0)
	v_cmp_ne_u32_e32 vcc, v21, v119
	s_and_saveexec_b64 s[6:7], vcc
	s_cbranch_execz .LBB309_54
; %bb.56:                               ;   in Loop: Header=BB309_55 Depth=2
	s_mov_b64 s[8:9], 0
.LBB309_57:                             ;   Parent Loop BB309_7 Depth=1
                                        ;     Parent Loop BB309_55 Depth=2
                                        ; =>    This Inner Loop Header: Depth=3
	;;#ASMSTART
	s_sleep 0
	;;#ASMEND
	ds_read_b32 v21, v20
	s_waitcnt lgkmcnt(0)
	v_cmp_eq_u32_e32 vcc, v21, v119
	s_or_b64 s[8:9], vcc, s[8:9]
	s_andn2_b64 exec, exec, s[8:9]
	s_cbranch_execnz .LBB309_57
	s_branch .LBB309_54
.LBB309_58:
	s_endpgm
	.section	.rodata,"a",@progbits
	.p2align	6, 0x0
	.amdhsa_kernel _Z19_skinny_gemm_kernelILi3ELi6ELi1ELi32ELi8EEvPKhS1_P6__halfPKfiiiiiiii
		.amdhsa_group_segment_fixed_size 36900
		.amdhsa_private_segment_fixed_size 104
		.amdhsa_kernarg_size 64
		.amdhsa_user_sgpr_count 2
		.amdhsa_user_sgpr_dispatch_ptr 0
		.amdhsa_user_sgpr_queue_ptr 0
		.amdhsa_user_sgpr_kernarg_segment_ptr 1
		.amdhsa_user_sgpr_dispatch_id 0
		.amdhsa_user_sgpr_kernarg_preload_length 0
		.amdhsa_user_sgpr_kernarg_preload_offset 0
		.amdhsa_user_sgpr_private_segment_size 0
		.amdhsa_uses_dynamic_stack 0
		.amdhsa_enable_private_segment 1
		.amdhsa_system_sgpr_workgroup_id_x 1
		.amdhsa_system_sgpr_workgroup_id_y 0
		.amdhsa_system_sgpr_workgroup_id_z 0
		.amdhsa_system_sgpr_workgroup_info 0
		.amdhsa_system_vgpr_workitem_id 0
		.amdhsa_next_free_vgpr 128
		.amdhsa_next_free_sgpr 100
		.amdhsa_accum_offset 128
		.amdhsa_reserve_vcc 1
		.amdhsa_float_round_mode_32 0
		.amdhsa_float_round_mode_16_64 0
		.amdhsa_float_denorm_mode_32 3
		.amdhsa_float_denorm_mode_16_64 3
		.amdhsa_dx10_clamp 1
		.amdhsa_ieee_mode 1
		.amdhsa_fp16_overflow 0
		.amdhsa_tg_split 0
		.amdhsa_exception_fp_ieee_invalid_op 0
		.amdhsa_exception_fp_denorm_src 0
		.amdhsa_exception_fp_ieee_div_zero 0
		.amdhsa_exception_fp_ieee_overflow 0
		.amdhsa_exception_fp_ieee_underflow 0
		.amdhsa_exception_fp_ieee_inexact 0
		.amdhsa_exception_int_div_zero 0
	.end_amdhsa_kernel
	.section	.text._Z19_skinny_gemm_kernelILi3ELi6ELi1ELi32ELi8EEvPKhS1_P6__halfPKfiiiiiiii,"axG",@progbits,_Z19_skinny_gemm_kernelILi3ELi6ELi1ELi32ELi8EEvPKhS1_P6__halfPKfiiiiiiii,comdat
.Lfunc_end309:
	.size	_Z19_skinny_gemm_kernelILi3ELi6ELi1ELi32ELi8EEvPKhS1_P6__halfPKfiiiiiiii, .Lfunc_end309-_Z19_skinny_gemm_kernelILi3ELi6ELi1ELi32ELi8EEvPKhS1_P6__halfPKfiiiiiiii
                                        ; -- End function
	.set _Z19_skinny_gemm_kernelILi3ELi6ELi1ELi32ELi8EEvPKhS1_P6__halfPKfiiiiiiii.num_vgpr, 128
	.set _Z19_skinny_gemm_kernelILi3ELi6ELi1ELi32ELi8EEvPKhS1_P6__halfPKfiiiiiiii.num_agpr, 0
	.set _Z19_skinny_gemm_kernelILi3ELi6ELi1ELi32ELi8EEvPKhS1_P6__halfPKfiiiiiiii.numbered_sgpr, 100
	.set _Z19_skinny_gemm_kernelILi3ELi6ELi1ELi32ELi8EEvPKhS1_P6__halfPKfiiiiiiii.num_named_barrier, 0
	.set _Z19_skinny_gemm_kernelILi3ELi6ELi1ELi32ELi8EEvPKhS1_P6__halfPKfiiiiiiii.private_seg_size, 104
	.set _Z19_skinny_gemm_kernelILi3ELi6ELi1ELi32ELi8EEvPKhS1_P6__halfPKfiiiiiiii.uses_vcc, 1
	.set _Z19_skinny_gemm_kernelILi3ELi6ELi1ELi32ELi8EEvPKhS1_P6__halfPKfiiiiiiii.uses_flat_scratch, 0
	.set _Z19_skinny_gemm_kernelILi3ELi6ELi1ELi32ELi8EEvPKhS1_P6__halfPKfiiiiiiii.has_dyn_sized_stack, 0
	.set _Z19_skinny_gemm_kernelILi3ELi6ELi1ELi32ELi8EEvPKhS1_P6__halfPKfiiiiiiii.has_recursion, 0
	.set _Z19_skinny_gemm_kernelILi3ELi6ELi1ELi32ELi8EEvPKhS1_P6__halfPKfiiiiiiii.has_indirect_call, 0
	.section	.AMDGPU.csdata,"",@progbits
; Kernel info:
; codeLenInByte = 21700
; TotalNumSgprs: 106
; NumVgprs: 128
; NumAgprs: 0
; TotalNumVgprs: 128
; ScratchSize: 104
; MemoryBound: 0
; FloatMode: 240
; IeeeMode: 1
; LDSByteSize: 36900 bytes/workgroup (compile time only)
; SGPRBlocks: 13
; VGPRBlocks: 15
; NumSGPRsForWavesPerEU: 106
; NumVGPRsForWavesPerEU: 128
; AccumOffset: 128
; Occupancy: 4
; WaveLimiterHint : 0
; COMPUTE_PGM_RSRC2:SCRATCH_EN: 1
; COMPUTE_PGM_RSRC2:USER_SGPR: 2
; COMPUTE_PGM_RSRC2:TRAP_HANDLER: 0
; COMPUTE_PGM_RSRC2:TGID_X_EN: 1
; COMPUTE_PGM_RSRC2:TGID_Y_EN: 0
; COMPUTE_PGM_RSRC2:TGID_Z_EN: 0
; COMPUTE_PGM_RSRC2:TIDIG_COMP_CNT: 0
; COMPUTE_PGM_RSRC3_GFX90A:ACCUM_OFFSET: 31
; COMPUTE_PGM_RSRC3_GFX90A:TG_SPLIT: 0
	.section	.text._Z19_skinny_gemm_kernelILi3ELi6ELi2ELi16ELi4EEvPKhS1_P6__halfPKfiiiiiiii,"axG",@progbits,_Z19_skinny_gemm_kernelILi3ELi6ELi2ELi16ELi4EEvPKhS1_P6__halfPKfiiiiiiii,comdat
	.protected	_Z19_skinny_gemm_kernelILi3ELi6ELi2ELi16ELi4EEvPKhS1_P6__halfPKfiiiiiiii ; -- Begin function _Z19_skinny_gemm_kernelILi3ELi6ELi2ELi16ELi4EEvPKhS1_P6__halfPKfiiiiiiii
	.globl	_Z19_skinny_gemm_kernelILi3ELi6ELi2ELi16ELi4EEvPKhS1_P6__halfPKfiiiiiiii
	.p2align	8
	.type	_Z19_skinny_gemm_kernelILi3ELi6ELi2ELi16ELi4EEvPKhS1_P6__halfPKfiiiiiiii,@function
_Z19_skinny_gemm_kernelILi3ELi6ELi2ELi16ELi4EEvPKhS1_P6__halfPKfiiiiiiii: ; @_Z19_skinny_gemm_kernelILi3ELi6ELi2ELi16ELi4EEvPKhS1_P6__halfPKfiiiiiiii
; %bb.0:
	v_cmp_gt_u32_e32 vcc, 18, v0
	v_lshlrev_b32_e32 v1, 2, v0
	s_and_saveexec_b64 s[4:5], vcc
; %bb.1:
	v_mov_b32_e32 v2, 0
	ds_write_b32 v1, v2 offset:36864
; %bb.2:
	s_or_b64 exec, exec, s[4:5]
	s_load_dwordx8 s[20:27], s[0:1], 0x20
	s_mov_b32 s58, 0x2aaaaaab
	s_waitcnt lgkmcnt(0)
	s_barrier
	s_add_i32 s3, s20, 47
	s_mul_hi_i32 s3, s3, 0x2aaaaaab
	s_lshr_b32 s4, s3, 31
	s_ashr_i32 s33, s3, 3
	s_add_i32 s3, s21, 0x5f
	s_mul_hi_i32 s3, s3, 0x2aaaaaab
	s_add_i32 s33, s33, s4
	s_lshr_b32 s4, s3, 31
	s_ashr_i32 s56, s3, 4
	s_add_i32 s56, s56, s4
	s_mul_i32 s3, s56, s33
	s_mul_i32 s3, s3, s24
	s_add_i32 s4, s3, 0x12f
	s_mul_hi_i32 s4, s4, 0x6bca1af3
	s_lshr_b32 s5, s4, 31
	s_ashr_i32 s4, s4, 7
	s_add_i32 s4, s4, s5
	s_add_i32 s5, s2, 1
	s_mul_i32 s5, s4, s5
	v_cvt_f64_i32_e32 v[2:3], s3
	v_cvt_f64_u32_e32 v[4:5], s5
	v_min_f64 v[2:3], v[2:3], v[4:5]
	v_cvt_i32_f64_e32 v73, v[2:3]
	s_mul_i32 s57, s4, s2
	v_cmp_ge_i32_e32 vcc, s57, v73
	s_cbranch_vccnz .LBB310_67
; %bb.3:
	v_lshrrev_b32_e32 v2, 6, v0
	s_add_i32 s4, s26, s25
	s_load_dwordx8 s[36:43], s[0:1], 0x0
	v_cmp_le_i32_e64 s[0:1], s4, v2
	v_mov_b32_e32 v3, s25
	v_cmp_le_i32_e64 s[2:3], s25, v2
	v_mov_b32_e32 v4, s26
	v_cndmask_b32_e64 v4, 0, v4, s[0:1]
	v_cndmask_b32_e64 v3, 0, v3, s[2:3]
	s_abs_i32 s5, s24
	v_add_u32_e32 v3, v3, v4
	v_cvt_f32_u32_e32 v4, s5
	v_sub_u32_e32 v86, v2, v3
	s_ashr_i32 s6, s22, 31
	s_lshr_b32 s6, s6, 25
	v_rcp_iflag_f32_e32 v3, v4
	s_sub_i32 s9, 0, s5
	s_add_i32 s6, s22, s6
	s_ashr_i32 s6, s6, 7
	v_mul_f32_e32 v3, 0x4f7ffffe, v3
	v_cvt_u32_f32_e32 v3, v3
	s_abs_i32 s8, s6
	s_xor_b32 s7, s6, s24
	s_ashr_i32 s7, s7, 31
	v_readfirstlane_b32 s10, v3
	s_mul_i32 s9, s9, s10
	s_mul_hi_u32 s9, s10, s9
	s_add_i32 s10, s10, s9
	s_mul_hi_u32 s9, s8, s10
	s_mul_i32 s10, s9, s5
	s_sub_i32 s8, s8, s10
	s_add_i32 s10, s9, 1
	s_sub_i32 s11, s8, s5
	s_cmp_ge_u32 s8, s5
	s_cselect_b32 s9, s10, s9
	s_cselect_b32 s8, s11, s8
	s_add_i32 s10, s9, 1
	s_cmp_ge_u32 s8, s5
	s_cselect_b32 s5, s10, s9
	s_xor_b32 s5, s5, s7
	s_sub_i32 s59, s5, s7
	s_add_i32 s24, s24, -1
	s_mul_i32 s5, s59, s24
	s_add_i32 s4, s4, s27
	s_sub_i32 s60, s6, s5
	v_cmp_gt_i32_e64 s[4:5], s4, v2
	v_lshlrev_b32_e32 v2, 1, v0
	v_lshlrev_b32_e32 v3, 4, v0
	v_and_b32_e32 v1, 60, v1
	v_and_b32_e32 v2, 64, v2
	;; [unrolled: 1-line block ×3, first 2 shown]
	v_or3_b32 v115, v1, v2, v4
	v_and_b32_e32 v1, 1, v0
	v_lshrrev_b32_e32 v4, 2, v0
	v_and_b32_e32 v72, 14, v0
	v_and_or_b32 v118, v4, 12, v1
	v_mad_u64_u32 v[74:75], s[6:7], s21, v118, v[72:73]
	s_lshl_b32 s6, s21, 4
	s_nop 0
	v_add_u32_e32 v4, s6, v74
	s_abs_i32 s61, s33
	v_ashrrev_i32_e32 v5, 31, v4
	v_and_b32_e32 v80, 48, v3
	v_cvt_f32_u32_e32 v3, s61
	scratch_store_dwordx2 off, v[4:5], off  ; 8-byte Folded Spill
	v_add_u32_e32 v4, s6, v4
	v_lshlrev_b32_e32 v2, 1, v1
	v_ashrrev_i32_e32 v5, 31, v4
	v_sub_u32_e32 v2, v0, v2
	v_bitop3_b32 v116, v0, 1, v0 bitop3:0xc
	v_bitop3_b32 v117, v0, 3, 1 bitop3:0x6c
	scratch_store_dwordx2 off, v[4:5], off offset:8 ; 8-byte Folded Spill
	v_bfe_u32 v119, v0, 2, 4
	v_and_b32_e32 v1, 60, v0
	v_lshlrev_b32_e32 v4, 8, v0
	v_lshlrev_b32_e32 v0, 6, v0
	v_and_b32_e32 v4, 0x200, v4
	v_rcp_iflag_f32_e32 v3, v3
	v_and_b32_e32 v0, 64, v0
	s_abs_i32 s63, s56
	v_or3_b32 v120, v1, v4, v0
	v_cvt_f32_u32_e32 v1, s63
	v_mul_f32_e32 v0, 0x4f7ffffe, v3
	v_cvt_u32_f32_e32 v0, v0
	s_sub_i32 s6, 0, s61
	v_rcp_iflag_f32_e32 v1, v1
	v_add_u32_e32 v2, 1, v2
	v_readfirstlane_b32 s7, v0
	s_mul_i32 s6, s6, s7
	v_mul_f32_e32 v0, 0x4f7ffffe, v1
	v_cvt_u32_f32_e32 v0, v0
	s_mul_hi_u32 s6, s7, s6
	s_add_i32 s65, s7, s6
	s_sub_i32 s6, 0, s63
	v_readfirstlane_b32 s7, v0
	v_mbcnt_lo_u32_b32 v0, -1, 0
	v_and_b32_e32 v2, 63, v2
	s_mul_i32 s6, s6, s7
	v_mbcnt_hi_u32_b32 v0, -1, v0
	v_mul_lo_u32 v82, s23, v119
	s_mul_hi_u32 s6, s7, s6
	v_and_or_b32 v0, v0, 64, v2
	v_cndmask_b32_e64 v114, 0, 1, s[0:1]
	s_ashr_i32 s29, s21, 31
	s_mov_b32 s28, s21
	v_ashrrev_i32_e32 v75, 31, v74
	v_ashrrev_i32_e32 v83, 31, v82
	v_mov_b32_e32 v81, 0
	s_lshl_b32 s62, s23, 4
	s_ashr_i32 s64, s33, 31
	s_ashr_i32 s66, s56, 31
	s_add_i32 s67, s7, s6
	s_movk_i32 s68, 0x3000
	s_movk_i32 s69, 0x1800
	s_mov_b64 s[30:31], 0x60
	s_mov_b64 s[34:35], 0x80
	;; [unrolled: 1-line block ×3, first 2 shown]
	s_mov_b32 s70, 0x55555556
	v_lshlrev_b32_e32 v121, 2, v0
	v_mov_b32_e32 v122, v86
	s_branch .LBB310_7
.LBB310_4:                              ;   in Loop: Header=BB310_7 Depth=1
	s_or_b64 exec, exec, s[10:11]
.LBB310_5:                              ;   in Loop: Header=BB310_7 Depth=1
	s_or_b64 exec, exec, s[8:9]
	v_subrev_u32_e32 v122, s74, v122
.LBB310_6:                              ;   in Loop: Header=BB310_7 Depth=1
	s_or_b64 exec, exec, s[6:7]
	s_add_i32 s57, s57, 1
	v_cmp_ge_i32_e32 vcc, s57, v73
	s_cbranch_vccnz .LBB310_67
.LBB310_7:                              ; =>This Loop Header: Depth=1
                                        ;     Child Loop BB310_13 Depth 2
                                        ;       Child Loop BB310_15 Depth 3
                                        ;       Child Loop BB310_18 Depth 3
                                        ;       Child Loop BB310_21 Depth 3
                                        ;       Child Loop BB310_24 Depth 3
                                        ;       Child Loop BB310_27 Depth 3
                                        ;       Child Loop BB310_30 Depth 3
                                        ;       Child Loop BB310_33 Depth 3
                                        ;       Child Loop BB310_36 Depth 3
                                        ;       Child Loop BB310_39 Depth 3
                                        ;     Child Loop BB310_54 Depth 2
                                        ;       Child Loop BB310_56 Depth 3
                                        ;     Child Loop BB310_64 Depth 2
                                        ;       Child Loop BB310_66 Depth 3
	s_abs_i32 s7, s57
	s_mul_hi_u32 s8, s7, s65
	s_mul_i32 s9, s8, s61
	s_ashr_i32 s6, s57, 31
	s_sub_i32 s7, s7, s9
	s_xor_b32 s6, s6, s64
	s_add_i32 s9, s8, 1
	s_sub_i32 s10, s7, s61
	s_cmp_ge_u32 s7, s61
	s_cselect_b32 s8, s9, s8
	s_cselect_b32 s7, s10, s7
	s_add_i32 s9, s8, 1
	s_cmp_ge_u32 s7, s61
	s_cselect_b32 s7, s9, s8
	s_xor_b32 s7, s7, s6
	s_sub_i32 s6, s7, s6
	s_abs_i32 s8, s6
	s_mul_hi_u32 s9, s8, s67
	s_mul_i32 s7, s6, s33
	s_mul_i32 s10, s9, s63
	s_sub_i32 s71, s57, s7
	s_ashr_i32 s7, s6, 31
	s_sub_i32 s8, s8, s10
	s_xor_b32 s7, s7, s66
	s_add_i32 s10, s9, 1
	s_sub_i32 s11, s8, s63
	s_cmp_ge_u32 s8, s63
	s_cselect_b32 s9, s10, s9
	s_cselect_b32 s8, s11, s8
	s_add_i32 s10, s9, 1
	s_cmp_ge_u32 s8, s63
	s_cselect_b32 s8, s10, s9
	s_xor_b32 s8, s8, s7
	s_sub_i32 s7, s8, s7
	s_mul_i32 s8, s7, s59
	s_lshl_b32 s72, s8, 7
	s_mul_i32 s71, s71, 48
	s_cmp_eq_u32 s7, s24
	s_cselect_b32 s74, s60, s59
	s_sub_i32 s8, s71, s20
	s_add_i32 s8, s8, 48
	s_max_i32 s73, s8, 0
	s_and_saveexec_b64 s[8:9], s[2:3]
	s_xor_b64 s[46:47], exec, s[8:9]
	s_cbranch_execz .LBB310_60
; %bb.8:                                ;   in Loop: Header=BB310_7 Depth=1
	s_mul_i32 s7, s7, s56
	s_sub_i32 s6, s6, s7
	s_mulk_i32 s6, 0x60
	s_sub_i32 s49, s6, s21
	s_addk_i32 s49, 0x60
	s_max_i32 s7, s49, 0
	s_sub_i32 s48, s6, s7
	s_and_saveexec_b64 s[6:7], s[0:1]
	s_xor_b64 s[50:51], exec, s[6:7]
	s_cbranch_execz .LBB310_50
; %bb.9:                                ;   in Loop: Header=BB310_7 Depth=1
	s_and_saveexec_b64 s[52:53], s[4:5]
	s_cbranch_execz .LBB310_49
; %bb.10:                               ;   in Loop: Header=BB310_7 Depth=1
	s_waitcnt lgkmcnt(0)
	global_load_dword v123, v81, s[42:43]
	v_mov_b32_e32 v71, 0
	v_cmp_gt_i32_e32 vcc, s74, v122
	v_mov_b32_e32 v70, v71
	v_mov_b32_e32 v69, v71
	;; [unrolled: 1-line block ×71, first 2 shown]
	s_and_saveexec_b64 s[6:7], vcc
	s_cbranch_execz .LBB310_41
; %bb.11:                               ;   in Loop: Header=BB310_7 Depth=1
	v_mov_b32_e32 v12, 0
	s_mov_b64 s[8:9], 0
	v_mov_b32_e32 v13, v12
	v_mov_b32_e32 v14, v12
	;; [unrolled: 1-line block ×71, first 2 shown]
	s_branch .LBB310_13
.LBB310_12:                             ;   in Loop: Header=BB310_13 Depth=2
	s_or_b64 exec, exec, s[10:11]
	v_add_u32_e32 v78, 0x2800, v108
	ds_read2_b32 v[76:77], v78 offset1:32
	ds_read2_b32 v[78:79], v78 offset0:128 offset1:160
	v_add_u32_e32 v108, 0x2c00, v108
	v_add_u32_e32 v122, s27, v122
	s_waitcnt lgkmcnt(1)
	v_mfma_f32_16x16x32_fp8_fp8 v[48:51], v[84:85], v[76:77], v[48:51]
	ds_read2_b32 v[84:85], v108 offset1:32
	v_mfma_f32_16x16x32_fp8_fp8 v[24:27], v[92:93], v[76:77], v[24:27]
	v_mfma_f32_16x16x32_fp8_fp8 v[12:15], v[102:103], v[76:77], v[12:15]
	v_add_u32_e32 v76, 2, v114
	s_waitcnt lgkmcnt(1)
	v_mfma_f32_16x16x32_fp8_fp8 v[48:51], v[86:87], v[78:79], v[48:51]
	v_add_u32_e32 v86, s27, v124
	v_cmp_lt_i32_e32 vcc, 1, v86
	v_mfma_f32_16x16x32_fp8_fp8 v[24:27], v[94:95], v[78:79], v[24:27]
	s_nop 0
	v_cndmask_b32_e32 v114, v114, v76, vcc
	v_cmp_le_i32_e32 vcc, s74, v122
	s_or_b64 s[8:9], vcc, s[8:9]
	v_mfma_f32_16x16x32_fp8_fp8 v[12:15], v[104:105], v[78:79], v[12:15]
	s_waitcnt lgkmcnt(0)
	v_mfma_f32_16x16x32_fp8_fp8 v[48:51], v[88:89], v[84:85], v[48:51]
	ds_read2_b32 v[88:89], v108 offset0:128 offset1:160
	;;#ASMSTART
	s_waitcnt lgkmcnt(0)
	;;#ASMEND
	ds_write_b32 v125, v126 offset:36908
	v_mfma_f32_16x16x32_fp8_fp8 v[24:27], v[96:97], v[84:85], v[24:27]
	v_mfma_f32_16x16x32_fp8_fp8 v[12:15], v[106:107], v[84:85], v[12:15]
	s_waitcnt lgkmcnt(1)
	v_mfma_f32_16x16x32_fp8_fp8 v[48:51], v[90:91], v[88:89], v[48:51]
	v_mfma_f32_16x16x32_fp8_fp8 v[24:27], v[98:99], v[88:89], v[24:27]
	v_mfma_f32_16x16x32_fp8_fp8 v[12:15], v[100:101], v[88:89], v[12:15]
	s_andn2_b64 exec, exec, s[8:9]
	s_cbranch_execz .LBB310_40
.LBB310_13:                             ;   Parent Loop BB310_7 Depth=1
                                        ; =>  This Loop Header: Depth=2
                                        ;       Child Loop BB310_15 Depth 3
                                        ;       Child Loop BB310_18 Depth 3
	;; [unrolled: 1-line block ×9, first 2 shown]
	v_cmp_gt_i32_e32 vcc, 2, v86
	s_nop 1
	v_cndmask_b32_e64 v76, -2, 0, vcc
	v_add_u32_e32 v124, v76, v86
	v_mul_lo_u32 v125, v124, 24
	ds_read_b32 v76, v125 offset:36888
	s_waitcnt lgkmcnt(0)
	v_cmp_ne_u32_e32 vcc, v76, v114
	s_and_saveexec_b64 s[10:11], vcc
	s_cbranch_execz .LBB310_16
; %bb.14:                               ;   in Loop: Header=BB310_13 Depth=2
	s_mov_b64 s[12:13], 0
.LBB310_15:                             ;   Parent Loop BB310_7 Depth=1
                                        ;     Parent Loop BB310_13 Depth=2
                                        ; =>    This Inner Loop Header: Depth=3
	;;#ASMSTART
	s_sleep 0
	;;#ASMEND
	ds_read_b32 v76, v125 offset:36888
	s_waitcnt lgkmcnt(0)
	v_cmp_eq_u32_e32 vcc, v76, v114
	s_or_b64 s[12:13], vcc, s[12:13]
	s_andn2_b64 exec, exec, s[12:13]
	s_cbranch_execnz .LBB310_15
.LBB310_16:                             ;   in Loop: Header=BB310_13 Depth=2
	s_or_b64 exec, exec, s[10:11]
	v_mul_lo_u32 v127, v124, s68
	v_or_b32_e32 v76, v115, v127
	ds_read2_b32 v[100:101], v76 offset1:32
	ds_read2_b32 v[108:109], v76 offset0:128 offset1:160
	v_add_u32_e32 v76, 0x400, v76
	v_add_u32_e32 v126, 1, v114
	ds_read2_b32 v[112:113], v76 offset1:32
	ds_read2_b32 v[110:111], v76 offset0:128 offset1:160
	;;#ASMSTART
	s_waitcnt lgkmcnt(0)
	;;#ASMEND
	ds_write_b32 v125, v126 offset:36888
	v_mul_lo_u32 v78, v124, 12
	ds_read_b32 v76, v78 offset:36864
	s_waitcnt lgkmcnt(0)
	v_cmp_ne_u32_e32 vcc, v76, v114
	s_and_saveexec_b64 s[10:11], vcc
	s_cbranch_execz .LBB310_19
; %bb.17:                               ;   in Loop: Header=BB310_13 Depth=2
	s_mov_b64 s[12:13], 0
.LBB310_18:                             ;   Parent Loop BB310_7 Depth=1
                                        ;     Parent Loop BB310_13 Depth=2
                                        ; =>    This Inner Loop Header: Depth=3
	;;#ASMSTART
	s_sleep 0
	;;#ASMEND
	ds_read_b32 v76, v78 offset:36864
	s_waitcnt lgkmcnt(0)
	v_cmp_eq_u32_e32 vcc, v76, v114
	s_or_b64 s[12:13], vcc, s[12:13]
	s_andn2_b64 exec, exec, s[12:13]
	s_cbranch_execnz .LBB310_18
.LBB310_19:                             ;   in Loop: Header=BB310_13 Depth=2
	s_or_b64 exec, exec, s[10:11]
	v_mul_lo_u32 v76, v124, s69
	v_or_b32_e32 v77, 0x6000, v115
	v_add_u32_e32 v79, v77, v76
	ds_read2_b32 v[84:85], v79 offset1:32
	ds_read2_b32 v[86:87], v79 offset0:128 offset1:160
	v_add_u32_e32 v76, 0x400, v79
	ds_read2_b32 v[88:89], v76 offset1:32
	ds_read2_b32 v[90:91], v76 offset0:128 offset1:160
	ds_read_b32 v76, v78 offset:36868
	ds_write_b32 v78, v126 offset:36864
	s_waitcnt lgkmcnt(5)
	v_mfma_f32_16x16x32_fp8_fp8 v[68:71], v[84:85], v[100:101], v[68:71]
	s_waitcnt lgkmcnt(1)
	v_cmp_ne_u32_e32 vcc, v76, v114
	v_mfma_f32_16x16x32_fp8_fp8 v[68:71], v[86:87], v[108:109], v[68:71]
	v_mfma_f32_16x16x32_fp8_fp8 v[68:71], v[88:89], v[112:113], v[68:71]
	v_mfma_f32_16x16x32_fp8_fp8 v[68:71], v[90:91], v[110:111], v[68:71]
	s_and_saveexec_b64 s[10:11], vcc
	s_cbranch_execz .LBB310_22
; %bb.20:                               ;   in Loop: Header=BB310_13 Depth=2
	s_mov_b64 s[12:13], 0
.LBB310_21:                             ;   Parent Loop BB310_7 Depth=1
                                        ;     Parent Loop BB310_13 Depth=2
                                        ; =>    This Inner Loop Header: Depth=3
	;;#ASMSTART
	s_sleep 0
	;;#ASMEND
	ds_read_b32 v76, v78 offset:36868
	s_waitcnt lgkmcnt(0)
	v_cmp_eq_u32_e32 vcc, v76, v114
	s_or_b64 s[12:13], vcc, s[12:13]
	s_andn2_b64 exec, exec, s[12:13]
	s_cbranch_execnz .LBB310_21
.LBB310_22:                             ;   in Loop: Header=BB310_13 Depth=2
	s_or_b64 exec, exec, s[10:11]
	v_add_u32_e32 v76, 0x800, v79
	ds_read2_b32 v[92:93], v76 offset1:32
	ds_read2_b32 v[94:95], v76 offset0:128 offset1:160
	v_add_u32_e32 v76, 0xc00, v79
	ds_read2_b32 v[96:97], v76 offset1:32
	ds_read2_b32 v[98:99], v76 offset0:128 offset1:160
	ds_read_b32 v76, v78 offset:36872
	s_waitcnt lgkmcnt(4)
	v_mfma_f32_16x16x32_fp8_fp8 v[44:47], v[92:93], v[100:101], v[44:47]
	ds_write_b32 v78, v126 offset:36868
	s_waitcnt lgkmcnt(1)
	v_cmp_ne_u32_e32 vcc, v76, v114
	v_mfma_f32_16x16x32_fp8_fp8 v[44:47], v[94:95], v[108:109], v[44:47]
	v_mfma_f32_16x16x32_fp8_fp8 v[44:47], v[96:97], v[112:113], v[44:47]
	;; [unrolled: 1-line block ×3, first 2 shown]
	s_and_saveexec_b64 s[10:11], vcc
	s_cbranch_execz .LBB310_25
; %bb.23:                               ;   in Loop: Header=BB310_13 Depth=2
	s_mov_b64 s[12:13], 0
.LBB310_24:                             ;   Parent Loop BB310_7 Depth=1
                                        ;     Parent Loop BB310_13 Depth=2
                                        ; =>    This Inner Loop Header: Depth=3
	;;#ASMSTART
	s_sleep 0
	;;#ASMEND
	ds_read_b32 v76, v78 offset:36872
	s_waitcnt lgkmcnt(0)
	v_cmp_eq_u32_e32 vcc, v76, v114
	s_or_b64 s[12:13], vcc, s[12:13]
	s_andn2_b64 exec, exec, s[12:13]
	s_cbranch_execnz .LBB310_24
.LBB310_25:                             ;   in Loop: Header=BB310_13 Depth=2
	s_or_b64 exec, exec, s[10:11]
	v_add_u32_e32 v76, 0x1000, v79
	ds_read2_b32 v[102:103], v76 offset1:32
	ds_read2_b32 v[104:105], v76 offset0:128 offset1:160
	v_add_u32_e32 v76, 0x1400, v79
	ds_read2_b32 v[106:107], v76 offset1:32
	ds_write_b32 v78, v126 offset:36872
	s_waitcnt lgkmcnt(3)
	v_mfma_f32_16x16x32_fp8_fp8 v[20:23], v[102:103], v[100:101], v[20:23]
	ds_read2_b32 v[100:101], v76 offset0:128 offset1:160
	ds_read_b32 v76, v125 offset:36892
	s_waitcnt lgkmcnt(0)
	v_cmp_ne_u32_e32 vcc, v76, v114
	v_mfma_f32_16x16x32_fp8_fp8 v[20:23], v[104:105], v[108:109], v[20:23]
	v_mfma_f32_16x16x32_fp8_fp8 v[20:23], v[106:107], v[112:113], v[20:23]
	;; [unrolled: 1-line block ×3, first 2 shown]
	s_and_saveexec_b64 s[10:11], vcc
	s_cbranch_execz .LBB310_28
; %bb.26:                               ;   in Loop: Header=BB310_13 Depth=2
	s_mov_b64 s[12:13], 0
.LBB310_27:                             ;   Parent Loop BB310_7 Depth=1
                                        ;     Parent Loop BB310_13 Depth=2
                                        ; =>    This Inner Loop Header: Depth=3
	;;#ASMSTART
	s_sleep 0
	;;#ASMEND
	ds_read_b32 v76, v125 offset:36892
	s_waitcnt lgkmcnt(0)
	v_cmp_eq_u32_e32 vcc, v76, v114
	s_or_b64 s[12:13], vcc, s[12:13]
	s_andn2_b64 exec, exec, s[12:13]
	s_cbranch_execnz .LBB310_27
.LBB310_28:                             ;   in Loop: Header=BB310_13 Depth=2
	s_or_b64 exec, exec, s[10:11]
	v_add_u32_e32 v108, v115, v127
	v_add_u32_e32 v76, 0x800, v108
	ds_read2_b32 v[78:79], v76 offset1:32
	ds_read2_b32 v[110:111], v76 offset0:128 offset1:160
	v_add_u32_e32 v76, 0xc00, v108
	ds_read2_b32 v[112:113], v76 offset1:32
	ds_read2_b32 v[76:77], v76 offset0:128 offset1:160
	s_waitcnt lgkmcnt(3)
	v_mfma_f32_16x16x32_fp8_fp8 v[64:67], v[84:85], v[78:79], v[64:67]
	;;#ASMSTART
	s_waitcnt lgkmcnt(0)
	;;#ASMEND
	ds_write_b32 v125, v126 offset:36892
	v_mfma_f32_16x16x32_fp8_fp8 v[40:43], v[92:93], v[78:79], v[40:43]
	v_mfma_f32_16x16x32_fp8_fp8 v[16:19], v[102:103], v[78:79], v[16:19]
	ds_read_b32 v78, v125 offset:36896
	s_waitcnt lgkmcnt(0)
	v_cmp_ne_u32_e32 vcc, v78, v114
	v_mfma_f32_16x16x32_fp8_fp8 v[64:67], v[86:87], v[110:111], v[64:67]
	v_mfma_f32_16x16x32_fp8_fp8 v[40:43], v[94:95], v[110:111], v[40:43]
	v_mfma_f32_16x16x32_fp8_fp8 v[16:19], v[104:105], v[110:111], v[16:19]
	v_mfma_f32_16x16x32_fp8_fp8 v[64:67], v[88:89], v[112:113], v[64:67]
	v_mfma_f32_16x16x32_fp8_fp8 v[40:43], v[96:97], v[112:113], v[40:43]
	v_mfma_f32_16x16x32_fp8_fp8 v[16:19], v[106:107], v[112:113], v[16:19]
	v_mfma_f32_16x16x32_fp8_fp8 v[64:67], v[90:91], v[76:77], v[64:67]
	v_mfma_f32_16x16x32_fp8_fp8 v[40:43], v[98:99], v[76:77], v[40:43]
	v_mfma_f32_16x16x32_fp8_fp8 v[16:19], v[100:101], v[76:77], v[16:19]
	s_and_saveexec_b64 s[10:11], vcc
	s_cbranch_execz .LBB310_31
; %bb.29:                               ;   in Loop: Header=BB310_13 Depth=2
	s_mov_b64 s[12:13], 0
.LBB310_30:                             ;   Parent Loop BB310_7 Depth=1
                                        ;     Parent Loop BB310_13 Depth=2
                                        ; =>    This Inner Loop Header: Depth=3
	;;#ASMSTART
	s_sleep 0
	;;#ASMEND
	ds_read_b32 v76, v125 offset:36896
	s_waitcnt lgkmcnt(0)
	v_cmp_eq_u32_e32 vcc, v76, v114
	s_or_b64 s[12:13], vcc, s[12:13]
	s_andn2_b64 exec, exec, s[12:13]
	s_cbranch_execnz .LBB310_30
.LBB310_31:                             ;   in Loop: Header=BB310_13 Depth=2
	s_or_b64 exec, exec, s[10:11]
	v_add_u32_e32 v78, 0x1000, v108
	ds_read2_b32 v[76:77], v78 offset1:32
	ds_read2_b32 v[78:79], v78 offset0:128 offset1:160
	v_add_u32_e32 v109, 0x1400, v108
	ds_read2_b32 v[110:111], v109 offset1:32
	ds_read2_b32 v[112:113], v109 offset0:128 offset1:160
	s_waitcnt lgkmcnt(3)
	v_mfma_f32_16x16x32_fp8_fp8 v[60:63], v[84:85], v[76:77], v[60:63]
	;;#ASMSTART
	s_waitcnt lgkmcnt(0)
	;;#ASMEND
	ds_write_b32 v125, v126 offset:36896
	v_mfma_f32_16x16x32_fp8_fp8 v[36:39], v[92:93], v[76:77], v[36:39]
	v_mfma_f32_16x16x32_fp8_fp8 v[8:11], v[102:103], v[76:77], v[8:11]
	ds_read_b32 v76, v125 offset:36900
	s_waitcnt lgkmcnt(0)
	v_cmp_ne_u32_e32 vcc, v76, v114
	v_mfma_f32_16x16x32_fp8_fp8 v[60:63], v[86:87], v[78:79], v[60:63]
	v_mfma_f32_16x16x32_fp8_fp8 v[36:39], v[94:95], v[78:79], v[36:39]
	v_mfma_f32_16x16x32_fp8_fp8 v[8:11], v[104:105], v[78:79], v[8:11]
	v_mfma_f32_16x16x32_fp8_fp8 v[60:63], v[88:89], v[110:111], v[60:63]
	v_mfma_f32_16x16x32_fp8_fp8 v[36:39], v[96:97], v[110:111], v[36:39]
	v_mfma_f32_16x16x32_fp8_fp8 v[8:11], v[106:107], v[110:111], v[8:11]
	v_mfma_f32_16x16x32_fp8_fp8 v[60:63], v[90:91], v[112:113], v[60:63]
	v_mfma_f32_16x16x32_fp8_fp8 v[36:39], v[98:99], v[112:113], v[36:39]
	v_mfma_f32_16x16x32_fp8_fp8 v[8:11], v[100:101], v[112:113], v[8:11]
	s_and_saveexec_b64 s[10:11], vcc
	s_cbranch_execz .LBB310_34
; %bb.32:                               ;   in Loop: Header=BB310_13 Depth=2
	s_mov_b64 s[12:13], 0
.LBB310_33:                             ;   Parent Loop BB310_7 Depth=1
                                        ;     Parent Loop BB310_13 Depth=2
                                        ; =>    This Inner Loop Header: Depth=3
	;;#ASMSTART
	s_sleep 0
	;;#ASMEND
	ds_read_b32 v76, v125 offset:36900
	s_waitcnt lgkmcnt(0)
	v_cmp_eq_u32_e32 vcc, v76, v114
	s_or_b64 s[12:13], vcc, s[12:13]
	s_andn2_b64 exec, exec, s[12:13]
	s_cbranch_execnz .LBB310_33
.LBB310_34:                             ;   in Loop: Header=BB310_13 Depth=2
	s_or_b64 exec, exec, s[10:11]
	;; [unrolled: 44-line block ×3, first 2 shown]
	v_add_u32_e32 v78, 0x2000, v108
	ds_read2_b32 v[76:77], v78 offset1:32
	ds_read2_b32 v[78:79], v78 offset0:128 offset1:160
	v_add_u32_e32 v109, 0x2400, v108
	ds_read2_b32 v[110:111], v109 offset1:32
	ds_read2_b32 v[112:113], v109 offset0:128 offset1:160
	s_waitcnt lgkmcnt(3)
	v_mfma_f32_16x16x32_fp8_fp8 v[52:55], v[84:85], v[76:77], v[52:55]
	;;#ASMSTART
	s_waitcnt lgkmcnt(0)
	;;#ASMEND
	ds_write_b32 v125, v126 offset:36904
	v_mfma_f32_16x16x32_fp8_fp8 v[28:31], v[92:93], v[76:77], v[28:31]
	v_mfma_f32_16x16x32_fp8_fp8 v[0:3], v[102:103], v[76:77], v[0:3]
	ds_read_b32 v76, v125 offset:36908
	s_waitcnt lgkmcnt(0)
	v_cmp_ne_u32_e32 vcc, v76, v114
	v_mfma_f32_16x16x32_fp8_fp8 v[52:55], v[86:87], v[78:79], v[52:55]
	v_mfma_f32_16x16x32_fp8_fp8 v[28:31], v[94:95], v[78:79], v[28:31]
	;; [unrolled: 1-line block ×9, first 2 shown]
	s_and_saveexec_b64 s[10:11], vcc
	s_cbranch_execz .LBB310_12
; %bb.38:                               ;   in Loop: Header=BB310_13 Depth=2
	s_mov_b64 s[12:13], 0
.LBB310_39:                             ;   Parent Loop BB310_7 Depth=1
                                        ;     Parent Loop BB310_13 Depth=2
                                        ; =>    This Inner Loop Header: Depth=3
	;;#ASMSTART
	s_sleep 0
	;;#ASMEND
	ds_read_b32 v76, v125 offset:36908
	s_waitcnt lgkmcnt(0)
	v_cmp_eq_u32_e32 vcc, v76, v114
	s_or_b64 s[12:13], vcc, s[12:13]
	s_andn2_b64 exec, exec, s[12:13]
	s_cbranch_execnz .LBB310_39
	s_branch .LBB310_12
.LBB310_40:                             ;   in Loop: Header=BB310_7 Depth=1
	s_or_b64 exec, exec, s[8:9]
.LBB310_41:                             ;   in Loop: Header=BB310_7 Depth=1
	s_or_b64 exec, exec, s[6:7]
	v_cmp_le_i32_e32 vcc, s49, v72
	v_cmp_eq_u32_e64 s[12:13], 1, v116
	v_cmp_eq_u32_e64 s[6:7], 3, v116
	s_waitcnt vmcnt(0)
	v_cndmask_b32_e32 v84, 0, v123, vcc
	v_pk_mul_f32 v[68:69], v[84:85], v[68:69] op_sel_hi:[0,1]
	v_pk_mul_f32 v[76:77], v[84:85], v[70:71] op_sel_hi:[0,1]
	v_cndmask_b32_e64 v70, v68, v69, s[12:13]
	v_cmp_eq_u32_e32 vcc, 2, v116
	v_cmp_eq_u32_e64 s[8:9], 0, v116
	v_cmp_eq_u32_e64 s[10:11], 1, v117
	v_cndmask_b32_e32 v70, v70, v76, vcc
	v_cndmask_b32_e64 v70, v70, v77, s[6:7]
	ds_bpermute_b32 v78, v121, v70
	v_cmp_eq_u32_e64 s[16:17], 3, v117
	s_waitcnt lgkmcnt(0)
	v_cndmask_b32_e64 v85, v68, v78, s[8:9]
	v_or_b32_e32 v68, 16, v72
	v_cmp_le_i32_e64 s[14:15], s49, v68
	v_cndmask_b32_e64 v69, v69, v78, s[12:13]
	v_cndmask_b32_e64 v70, v77, v78, s[6:7]
	;; [unrolled: 1-line block ×3, first 2 shown]
	v_pk_mul_f32 v[64:65], v[68:69], v[64:65] op_sel_hi:[0,1]
	v_cndmask_b32_e32 v71, v76, v78, vcc
	v_pk_mul_f32 v[76:77], v[68:69], v[66:67] op_sel_hi:[0,1]
	v_cndmask_b32_e64 v66, v64, v65, s[12:13]
	v_cndmask_b32_e32 v66, v66, v76, vcc
	v_cndmask_b32_e64 v66, v66, v77, s[6:7]
	ds_bpermute_b32 v79, v121, v66
	v_cndmask_b32_e64 v78, v85, v69, s[10:11]
	v_cmp_eq_u32_e64 s[14:15], 2, v117
	s_waitcnt lgkmcnt(0)
	v_cndmask_b32_e64 v89, v64, v79, s[8:9]
	v_or_b32_e32 v64, 32, v72
	v_cmp_le_i32_e64 s[18:19], s49, v64
	v_cndmask_b32_e64 v65, v65, v79, s[12:13]
	v_cndmask_b32_e64 v66, v78, v71, s[14:15]
	;; [unrolled: 1-line block ×3, first 2 shown]
	v_pk_mul_f32 v[60:61], v[64:65], v[60:61] op_sel_hi:[0,1]
	v_cndmask_b32_e64 v67, v77, v79, s[6:7]
	v_cndmask_b32_e32 v78, v76, v79, vcc
	v_pk_mul_f32 v[76:77], v[64:65], v[62:63] op_sel_hi:[0,1]
	v_cndmask_b32_e64 v62, v60, v61, s[12:13]
	v_cndmask_b32_e32 v62, v62, v76, vcc
	v_cndmask_b32_e64 v62, v62, v77, s[6:7]
	ds_bpermute_b32 v87, v121, v62
	v_cndmask_b32_e64 v62, v89, v65, s[10:11]
	v_cndmask_b32_e64 v62, v62, v78, s[14:15]
	;; [unrolled: 1-line block ×4, first 2 shown]
	s_waitcnt lgkmcnt(0)
	v_cndmask_b32_e64 v92, v60, v87, s[8:9]
	v_or_b32_e32 v60, 48, v72
	v_cmp_le_i32_e64 s[18:19], s49, v60
	v_cndmask_b32_e64 v61, v61, v87, s[12:13]
	v_cndmask_b32_e64 v63, v77, v87, s[6:7]
	;; [unrolled: 1-line block ×3, first 2 shown]
	v_pk_mul_f32 v[56:57], v[60:61], v[56:57] op_sel_hi:[0,1]
	v_cndmask_b32_e32 v79, v76, v87, vcc
	v_pk_mul_f32 v[76:77], v[60:61], v[58:59] op_sel_hi:[0,1]
	v_cndmask_b32_e64 v58, v56, v57, s[12:13]
	v_cndmask_b32_e32 v58, v58, v76, vcc
	v_cndmask_b32_e64 v58, v58, v77, s[6:7]
	ds_bpermute_b32 v88, v121, v58
	v_cndmask_b32_e64 v58, v92, v61, s[10:11]
	v_cndmask_b32_e64 v58, v58, v79, s[14:15]
	;; [unrolled: 1-line block ×3, first 2 shown]
	ds_bpermute_b32 v66, v121, v66
	s_waitcnt lgkmcnt(1)
	v_cndmask_b32_e64 v93, v56, v88, s[8:9]
	v_or_b32_e32 v56, 64, v72
	v_cmp_le_i32_e64 s[18:19], s49, v56
	v_cndmask_b32_e64 v57, v57, v88, s[12:13]
	v_cndmask_b32_e64 v59, v77, v88, s[6:7]
	;; [unrolled: 1-line block ×3, first 2 shown]
	v_pk_mul_f32 v[52:53], v[56:57], v[52:53] op_sel_hi:[0,1]
	v_cndmask_b32_e32 v87, v76, v88, vcc
	v_pk_mul_f32 v[76:77], v[56:57], v[54:55] op_sel_hi:[0,1]
	v_cndmask_b32_e64 v54, v52, v53, s[12:13]
	v_cndmask_b32_e32 v54, v54, v76, vcc
	v_cndmask_b32_e64 v54, v54, v77, s[6:7]
	ds_bpermute_b32 v90, v121, v54
	v_cndmask_b32_e64 v54, v93, v57, s[10:11]
	v_cndmask_b32_e64 v54, v54, v87, s[14:15]
	;; [unrolled: 1-line block ×3, first 2 shown]
	ds_bpermute_b32 v62, v121, v62
	s_waitcnt lgkmcnt(1)
	v_cndmask_b32_e64 v95, v52, v90, s[8:9]
	v_or_b32_e32 v52, 0x50, v72
	v_cmp_le_i32_e64 s[18:19], s49, v52
	v_cndmask_b32_e64 v55, v77, v90, s[6:7]
	v_cndmask_b32_e32 v88, v76, v90, vcc
	v_cndmask_b32_e64 v52, 0, v123, s[18:19]
	v_pk_mul_f32 v[96:97], v[52:53], v[48:49] op_sel_hi:[0,1]
	v_pk_mul_f32 v[76:77], v[52:53], v[50:51] op_sel_hi:[0,1]
	v_cndmask_b32_e64 v48, v96, v97, s[12:13]
	v_cndmask_b32_e32 v48, v48, v76, vcc
	v_cndmask_b32_e64 v48, v48, v77, s[6:7]
	ds_bpermute_b32 v49, v121, v48
	v_cndmask_b32_e64 v94, v53, v90, s[12:13]
	v_cndmask_b32_e64 v48, v95, v94, s[10:11]
	;; [unrolled: 1-line block ×4, first 2 shown]
	s_waitcnt lgkmcnt(0)
	v_cndmask_b32_e32 v51, v76, v49, vcc
	v_cmp_ne_u32_e32 vcc, 0, v116
	ds_bpermute_b32 v90, v121, v48
	v_cndmask_b32_e64 v50, v77, v49, s[6:7]
	v_cndmask_b32_e32 v48, v97, v49, vcc
	v_cndmask_b32_e64 v49, v96, v49, s[8:9]
	v_cndmask_b32_e64 v53, v49, v48, s[10:11]
	;; [unrolled: 1-line block ×4, first 2 shown]
	ds_bpermute_b32 v58, v121, v58
	ds_bpermute_b32 v54, v121, v54
	;; [unrolled: 1-line block ×3, first 2 shown]
	v_add_u32_e32 v53, s73, v118
	v_cmp_gt_u32_e32 vcc, 48, v53
	s_and_saveexec_b64 s[18:19], vcc
	s_cbranch_execz .LBB310_48
; %bb.42:                               ;   in Loop: Header=BB310_7 Depth=1
	v_cmp_eq_u32_e64 s[8:9], 1, v117
	v_cmp_eq_u32_e64 s[10:11], 0, v117
	v_cmp_eq_u32_e32 vcc, 3, v117
	v_cndmask_b32_e64 v69, v69, v66, s[8:9]
	v_cndmask_b32_e64 v76, v85, v66, s[10:11]
	;; [unrolled: 1-line block ×3, first 2 shown]
	s_waitcnt lgkmcnt(2)
	v_cndmask_b32_e64 v61, v61, v58, s[8:9]
	v_cndmask_b32_e64 v85, v92, v58, s[10:11]
	s_waitcnt lgkmcnt(1)
	v_cndmask_b32_e64 v57, v57, v54, s[8:9]
	v_cndmask_b32_e64 v92, v94, v90, s[8:9]
	s_waitcnt lgkmcnt(0)
	v_cndmask_b32_e64 v94, v48, v91, s[8:9]
	s_mul_i32 s8, s71, s21
	s_ashr_i32 s9, s8, 31
	s_lshl_b64 s[8:9], s[8:9], 1
	v_cndmask_b32_e64 v77, v89, v62, s[10:11]
	v_cndmask_b32_e64 v89, v93, v54, s[10:11]
	;; [unrolled: 1-line block ×4, first 2 shown]
	s_add_u32 s10, s40, s8
	s_addc_u32 s11, s41, s9
	s_ashr_i32 s49, s48, 31
	v_cvt_f16_f32_e32 v76, v76
	v_cvt_f16_f32_sdwa v69, v69 dst_sel:WORD_1 dst_unused:UNUSED_PAD src0_sel:DWORD
	v_cvt_f16_f32_e32 v96, v77
	v_cvt_f16_f32_sdwa v65, v65 dst_sel:WORD_1 dst_unused:UNUSED_PAD src0_sel:DWORD
	s_lshl_b64 s[8:9], s[48:49], 1
	s_add_u32 s54, s10, s8
	s_addc_u32 s55, s11, s9
	v_lshl_add_u64 v[48:49], v[74:75], 1, s[54:55]
	v_or_b32_e32 v69, v69, v76
	v_or_b32_e32 v65, v65, v96
	;;#ASMSTART
	global_atomic_pk_add_f16 v[48:49], v69, off
	
	;;#ASMEND
	v_lshl_add_u64 v[76:77], v[48:49], 0, 32
	;;#ASMSTART
	global_atomic_pk_add_f16 v[76:77], v65, off
	
	;;#ASMEND
	v_cvt_f16_f32_e32 v65, v85
	v_cvt_f16_f32_sdwa v61, v61 dst_sel:WORD_1 dst_unused:UNUSED_PAD src0_sel:DWORD
	v_cvt_f16_f32_e32 v69, v89
	v_cvt_f16_f32_sdwa v57, v57 dst_sel:WORD_1 dst_unused:UNUSED_PAD src0_sel:DWORD
	v_lshl_add_u64 v[76:77], v[48:49], 0, 64
	v_or_b32_e32 v61, v61, v65
	;;#ASMSTART
	global_atomic_pk_add_f16 v[76:77], v61, off
	
	;;#ASMEND
	v_or_b32_e32 v57, v57, v69
	v_lshl_add_u64 v[76:77], v[48:49], 0, s[30:31]
	;;#ASMSTART
	global_atomic_pk_add_f16 v[76:77], v57, off
	
	;;#ASMEND
	v_cvt_f16_f32_e32 v57, v93
	v_cvt_f16_f32_sdwa v61, v92 dst_sel:WORD_1 dst_unused:UNUSED_PAD src0_sel:DWORD
	v_cvt_f16_f32_e32 v65, v95
	v_cvt_f16_f32_sdwa v69, v94 dst_sel:WORD_1 dst_unused:UNUSED_PAD src0_sel:DWORD
	v_cmp_eq_u32_e64 s[6:7], 2, v117
	v_lshl_add_u64 v[76:77], v[48:49], 0, s[34:35]
	v_or_b32_e32 v57, v61, v57
	v_cmp_gt_u32_e64 s[8:9], 46, v53
	;;#ASMSTART
	global_atomic_pk_add_f16 v[76:77], v57, off
	
	;;#ASMEND
	v_lshl_add_u64 v[76:77], v[48:49], 0, s[44:45]
	v_or_b32_e32 v57, v69, v65
	;;#ASMSTART
	global_atomic_pk_add_f16 v[76:77], v57, off
	
	;;#ASMEND
	s_and_b64 exec, exec, s[8:9]
	s_cbranch_execz .LBB310_48
; %bb.43:                               ;   in Loop: Header=BB310_7 Depth=1
	v_cndmask_b32_e32 v70, v70, v66, vcc
	v_cndmask_b32_e64 v66, v71, v66, s[6:7]
	v_cvt_f16_f32_e32 v66, v66
	v_cvt_f16_f32_sdwa v70, v70 dst_sel:WORD_1 dst_unused:UNUSED_PAD src0_sel:DWORD
	v_cndmask_b32_e32 v63, v63, v58, vcc
	v_cndmask_b32_e64 v58, v79, v58, s[6:7]
	v_cndmask_b32_e32 v67, v67, v62, vcc
	v_cndmask_b32_e64 v62, v78, v62, s[6:7]
	v_cvt_f16_f32_e32 v58, v58
	v_cvt_f16_f32_sdwa v63, v63 dst_sel:WORD_1 dst_unused:UNUSED_PAD src0_sel:DWORD
	v_cndmask_b32_e32 v76, v50, v91, vcc
	v_or_b32_e32 v50, v70, v66
	v_cvt_f16_f32_e32 v62, v62
	v_cvt_f16_f32_sdwa v66, v67 dst_sel:WORD_1 dst_unused:UNUSED_PAD src0_sel:DWORD
	v_lshl_add_u64 v[48:49], s[28:29], 2, v[48:49]
	v_cndmask_b32_e32 v59, v59, v54, vcc
	v_cndmask_b32_e64 v54, v87, v54, s[6:7]
	v_cndmask_b32_e64 v77, v51, v91, s[6:7]
	;;#ASMSTART
	global_atomic_pk_add_f16 v[48:49], v50, off
	
	;;#ASMEND
	v_lshl_add_u64 v[50:51], v[48:49], 0, 32
	v_or_b32_e32 v58, v63, v58
	v_cndmask_b32_e32 v55, v55, v90, vcc
	v_cndmask_b32_e64 v71, v88, v90, s[6:7]
	v_or_b32_e32 v62, v66, v62
	;;#ASMSTART
	global_atomic_pk_add_f16 v[50:51], v62, off
	
	;;#ASMEND
	v_lshl_add_u64 v[50:51], v[48:49], 0, 64
	;;#ASMSTART
	global_atomic_pk_add_f16 v[50:51], v58, off
	
	;;#ASMEND
	v_cvt_f16_f32_e32 v54, v54
	v_cvt_f16_f32_sdwa v58, v59 dst_sel:WORD_1 dst_unused:UNUSED_PAD src0_sel:DWORD
	v_cvt_f16_f32_e32 v59, v71
	v_cvt_f16_f32_sdwa v55, v55 dst_sel:WORD_1 dst_unused:UNUSED_PAD src0_sel:DWORD
	v_mov_b32_e32 v85, v84
	v_or_b32_e32 v54, v58, v54
	v_lshl_add_u64 v[50:51], v[48:49], 0, s[30:31]
	;;#ASMSTART
	global_atomic_pk_add_f16 v[50:51], v54, off
	
	;;#ASMEND
	v_or_b32_e32 v62, v55, v59
	v_mov_b32_e32 v54, v84
	v_mov_b32_e32 v55, v84
	v_pk_mul_f32 v[58:59], v[84:85], v[44:45]
	v_cmp_eq_u32_e64 s[8:9], 1, v116
	v_pk_mul_f32 v[54:55], v[54:55], v[46:47]
	v_cmp_eq_u32_e32 vcc, 2, v116
	v_cndmask_b32_e64 v44, v58, v59, s[8:9]
	v_cmp_eq_u32_e64 s[6:7], 3, v116
	v_cndmask_b32_e32 v44, v44, v54, vcc
	v_lshl_add_u64 v[50:51], v[48:49], 0, s[34:35]
	v_cndmask_b32_e64 v44, v44, v55, s[6:7]
	v_mov_b32_e32 v69, v68
	ds_bpermute_b32 v63, v121, v44
	;;#ASMSTART
	global_atomic_pk_add_f16 v[50:51], v62, off
	
	;;#ASMEND
	v_mov_b32_e32 v50, v68
	v_mov_b32_e32 v51, v68
	v_pk_mul_f32 v[42:43], v[50:51], v[42:43]
	v_pk_mul_f32 v[50:51], v[68:69], v[40:41]
	s_waitcnt lgkmcnt(0)
	v_cndmask_b32_e64 v46, v55, v63, s[6:7]
	v_cndmask_b32_e64 v40, v50, v51, s[8:9]
	v_cndmask_b32_e32 v40, v40, v42, vcc
	v_cndmask_b32_e64 v40, v40, v43, s[6:7]
	ds_bpermute_b32 v55, v121, v40
	v_cmp_eq_u32_e64 s[10:11], 0, v116
	v_lshl_add_u64 v[44:45], v[48:49], 0, s[44:45]
	v_cndmask_b32_e64 v48, v59, v63, s[8:9]
	v_cndmask_b32_e64 v49, v58, v63, s[10:11]
	v_cmp_eq_u32_e64 s[12:13], 1, v117
	v_cndmask_b32_e32 v47, v54, v63, vcc
	v_cmp_eq_u32_e64 s[14:15], 2, v117
	v_cndmask_b32_e64 v54, v49, v48, s[12:13]
	v_mov_b32_e32 v65, v64
	v_cndmask_b32_e64 v40, v54, v47, s[14:15]
	s_waitcnt lgkmcnt(0)
	v_cndmask_b32_e64 v41, v43, v55, s[6:7]
	v_cndmask_b32_e32 v42, v42, v55, vcc
	v_cndmask_b32_e64 v43, v51, v55, s[8:9]
	v_cndmask_b32_e64 v50, v50, v55, s[10:11]
	v_mov_b32_e32 v54, v64
	v_mov_b32_e32 v55, v64
	v_pk_mul_f32 v[38:39], v[54:55], v[38:39]
	v_pk_mul_f32 v[54:55], v[64:65], v[36:37]
	v_mov_b32_e32 v61, v60
	v_cndmask_b32_e64 v36, v54, v55, s[8:9]
	v_cndmask_b32_e32 v36, v36, v38, vcc
	v_cndmask_b32_e64 v36, v36, v39, s[6:7]
	ds_bpermute_b32 v51, v121, v36
	v_pk_mul_f32 v[58:59], v[60:61], v[32:33]
	v_mov_b32_e32 v57, v56
	v_cndmask_b32_e64 v32, v58, v59, s[8:9]
	v_pk_mul_f32 v[62:63], v[56:57], v[28:29]
	s_waitcnt lgkmcnt(0)
	v_cndmask_b32_e64 v37, v39, v51, s[6:7]
	v_cndmask_b32_e32 v38, v38, v51, vcc
	v_cndmask_b32_e64 v39, v55, v51, s[8:9]
	v_cndmask_b32_e64 v51, v54, v51, s[10:11]
	v_mov_b32_e32 v54, v60
	v_mov_b32_e32 v55, v60
	v_pk_mul_f32 v[34:35], v[54:55], v[34:35]
	v_cndmask_b32_e64 v28, v62, v63, s[8:9]
	v_cndmask_b32_e32 v32, v32, v34, vcc
	v_cndmask_b32_e64 v32, v32, v35, s[6:7]
	ds_bpermute_b32 v55, v121, v32
	v_mov_b32_e32 v53, v52
	v_pk_mul_f32 v[66:67], v[52:53], v[24:25]
	v_cmp_eq_u32_e64 s[16:17], 3, v117
	v_cndmask_b32_e64 v24, v66, v67, s[8:9]
	s_waitcnt lgkmcnt(0)
	v_cndmask_b32_e64 v33, v35, v55, s[6:7]
	v_cndmask_b32_e32 v34, v34, v55, vcc
	v_cndmask_b32_e64 v54, v59, v55, s[8:9]
	v_cndmask_b32_e64 v55, v58, v55, s[10:11]
	v_mov_b32_e32 v58, v56
	v_mov_b32_e32 v59, v56
	v_pk_mul_f32 v[30:31], v[58:59], v[30:31]
	v_cndmask_b32_e64 v36, v50, v43, s[12:13]
	v_cndmask_b32_e32 v28, v28, v30, vcc
	v_cndmask_b32_e64 v28, v28, v31, s[6:7]
	ds_bpermute_b32 v35, v121, v28
	v_cndmask_b32_e64 v32, v51, v39, s[12:13]
	v_cndmask_b32_e64 v28, v55, v54, s[12:13]
	v_cvt_f16_f32_e32 v70, v77
	v_cvt_f16_f32_sdwa v71, v76 dst_sel:WORD_1 dst_unused:UNUSED_PAD src0_sel:DWORD
	s_waitcnt lgkmcnt(0)
	v_cndmask_b32_e64 v58, v63, v35, s[8:9]
	v_cndmask_b32_e64 v59, v62, v35, s[10:11]
	v_mov_b32_e32 v62, v52
	v_mov_b32_e32 v63, v52
	v_pk_mul_f32 v[62:63], v[62:63], v[26:27]
	v_cndmask_b32_e32 v30, v30, v35, vcc
	v_cndmask_b32_e32 v24, v24, v62, vcc
	v_cndmask_b32_e64 v24, v24, v63, s[6:7]
	ds_bpermute_b32 v25, v121, v24
	v_cndmask_b32_e64 v24, v59, v58, s[12:13]
	v_cndmask_b32_e64 v29, v31, v35, s[6:7]
	;; [unrolled: 1-line block ×4, first 2 shown]
	s_waitcnt lgkmcnt(0)
	v_cndmask_b32_e32 v27, v62, v25, vcc
	v_cmp_ne_u32_e32 vcc, 0, v116
	ds_bpermute_b32 v31, v121, v24
	v_cndmask_b32_e64 v26, v63, v25, s[6:7]
	v_cndmask_b32_e32 v24, v67, v25, vcc
	v_cndmask_b32_e64 v25, v66, v25, s[10:11]
	v_cndmask_b32_e64 v35, v25, v24, s[12:13]
	;; [unrolled: 1-line block ×11, first 2 shown]
	ds_bpermute_b32 v40, v121, v40
	ds_bpermute_b32 v36, v121, v36
	;; [unrolled: 1-line block ×5, first 2 shown]
	v_or_b32_e32 v62, v71, v70
	;;#ASMSTART
	global_atomic_pk_add_f16 v[44:45], v62, off
	
	;;#ASMEND
	v_or_b32_e32 v44, 16, v118
	v_add_u32_e32 v44, s73, v44
	v_cmp_gt_u32_e32 vcc, 48, v44
	s_and_b64 exec, exec, vcc
	s_cbranch_execz .LBB310_48
; %bb.44:                               ;   in Loop: Header=BB310_7 Depth=1
	v_cmp_eq_u32_e64 s[8:9], 1, v117
	v_cmp_eq_u32_e64 s[10:11], 0, v117
	v_cmp_eq_u32_e32 vcc, 3, v117
	s_waitcnt lgkmcnt(4)
	v_cndmask_b32_e64 v45, v48, v40, s[8:9]
	v_cndmask_b32_e64 v48, v49, v40, s[10:11]
	s_waitcnt lgkmcnt(3)
	v_cndmask_b32_e64 v49, v50, v36, s[10:11]
	s_waitcnt lgkmcnt(2)
	;; [unrolled: 2-line block ×3, first 2 shown]
	v_cndmask_b32_e64 v51, v54, v28, s[8:9]
	v_cndmask_b32_e64 v54, v55, v28, s[10:11]
	;; [unrolled: 1-line block ×4, first 2 shown]
	s_waitcnt lgkmcnt(0)
	v_cndmask_b32_e64 v59, v24, v35, s[8:9]
	v_cndmask_b32_e64 v62, v25, v35, s[10:11]
	scratch_load_dwordx2 v[24:25], off, off ; 8-byte Folded Reload
	v_cndmask_b32_e64 v43, v43, v36, s[8:9]
	v_cvt_f16_f32_e32 v63, v49
	v_cvt_f16_f32_sdwa v43, v43 dst_sel:WORD_1 dst_unused:UNUSED_PAD src0_sel:DWORD
	v_cvt_f16_f32_e32 v48, v48
	v_cvt_f16_f32_sdwa v45, v45 dst_sel:WORD_1 dst_unused:UNUSED_PAD src0_sel:DWORD
	v_cndmask_b32_e64 v39, v39, v32, s[8:9]
	v_or_b32_e32 v43, v43, v63
	v_cvt_f16_f32_sdwa v39, v39 dst_sel:WORD_1 dst_unused:UNUSED_PAD src0_sel:DWORD
	v_or_b32_e32 v45, v45, v48
	v_cmp_eq_u32_e64 s[6:7], 2, v117
	v_cmp_gt_u32_e64 s[8:9], 46, v44
	s_waitcnt vmcnt(0)
	v_lshl_add_u64 v[24:25], v[24:25], 1, s[54:55]
	;;#ASMSTART
	global_atomic_pk_add_f16 v[24:25], v45, off
	
	;;#ASMEND
	v_lshl_add_u64 v[48:49], v[24:25], 0, 32
	;;#ASMSTART
	global_atomic_pk_add_f16 v[48:49], v43, off
	
	;;#ASMEND
	v_cvt_f16_f32_e32 v43, v50
	v_cvt_f16_f32_e32 v45, v54
	v_cvt_f16_f32_sdwa v50, v51 dst_sel:WORD_1 dst_unused:UNUSED_PAD src0_sel:DWORD
	v_lshl_add_u64 v[48:49], v[24:25], 0, 64
	v_or_b32_e32 v39, v39, v43
	;;#ASMSTART
	global_atomic_pk_add_f16 v[48:49], v39, off
	
	;;#ASMEND
	v_or_b32_e32 v39, v50, v45
	v_lshl_add_u64 v[48:49], v[24:25], 0, s[30:31]
	;;#ASMSTART
	global_atomic_pk_add_f16 v[48:49], v39, off
	
	;;#ASMEND
	v_cvt_f16_f32_e32 v39, v58
	v_cvt_f16_f32_sdwa v43, v55 dst_sel:WORD_1 dst_unused:UNUSED_PAD src0_sel:DWORD
	v_cvt_f16_f32_e32 v45, v62
	v_cvt_f16_f32_sdwa v50, v59 dst_sel:WORD_1 dst_unused:UNUSED_PAD src0_sel:DWORD
	v_lshl_add_u64 v[48:49], v[24:25], 0, s[34:35]
	v_or_b32_e32 v39, v43, v39
	;;#ASMSTART
	global_atomic_pk_add_f16 v[48:49], v39, off
	
	;;#ASMEND
	v_lshl_add_u64 v[48:49], v[24:25], 0, s[44:45]
	v_or_b32_e32 v39, v50, v45
	;;#ASMSTART
	global_atomic_pk_add_f16 v[48:49], v39, off
	
	;;#ASMEND
	s_and_b64 exec, exec, s[8:9]
	s_cbranch_execz .LBB310_48
; %bb.45:                               ;   in Loop: Header=BB310_7 Depth=1
	v_cndmask_b32_e32 v39, v46, v40, vcc
	v_cndmask_b32_e64 v40, v47, v40, s[6:7]
	v_cndmask_b32_e32 v33, v33, v28, vcc
	v_cndmask_b32_e64 v28, v34, v28, s[6:7]
	;; [unrolled: 2-line block ×3, first 2 shown]
	v_cvt_f16_f32_e32 v31, v40
	v_cvt_f16_f32_sdwa v34, v39 dst_sel:WORD_1 dst_unused:UNUSED_PAD src0_sel:DWORD
	v_cndmask_b32_e32 v41, v41, v36, vcc
	v_cndmask_b32_e64 v36, v42, v36, s[6:7]
	v_cndmask_b32_e32 v37, v37, v32, vcc
	v_cndmask_b32_e64 v32, v38, v32, s[6:7]
	v_cndmask_b32_e32 v38, v26, v35, vcc
	v_or_b32_e32 v26, v34, v31
	v_cvt_f16_f32_e32 v31, v36
	v_cvt_f16_f32_sdwa v34, v41 dst_sel:WORD_1 dst_unused:UNUSED_PAD src0_sel:DWORD
	v_cvt_f16_f32_e32 v32, v32
	v_cvt_f16_f32_sdwa v36, v37 dst_sel:WORD_1 dst_unused:UNUSED_PAD src0_sel:DWORD
	v_lshl_add_u64 v[24:25], s[28:29], 2, v[24:25]
	v_or_b32_e32 v31, v34, v31
	v_cndmask_b32_e64 v35, v27, v35, s[6:7]
	;;#ASMSTART
	global_atomic_pk_add_f16 v[24:25], v26, off
	
	;;#ASMEND
	v_lshl_add_u64 v[26:27], v[24:25], 0, 32
	;;#ASMSTART
	global_atomic_pk_add_f16 v[26:27], v31, off
	
	;;#ASMEND
	v_or_b32_e32 v31, v36, v32
	v_lshl_add_u64 v[26:27], v[24:25], 0, 64
	;;#ASMSTART
	global_atomic_pk_add_f16 v[26:27], v31, off
	
	;;#ASMEND
	v_cvt_f16_f32_e32 v28, v28
	v_cvt_f16_f32_sdwa v31, v33 dst_sel:WORD_1 dst_unused:UNUSED_PAD src0_sel:DWORD
	v_cvt_f16_f32_e32 v30, v30
	v_cvt_f16_f32_sdwa v29, v29 dst_sel:WORD_1 dst_unused:UNUSED_PAD src0_sel:DWORD
	v_lshl_add_u64 v[26:27], v[24:25], 0, s[30:31]
	v_or_b32_e32 v28, v31, v28
	;;#ASMSTART
	global_atomic_pk_add_f16 v[26:27], v28, off
	
	;;#ASMEND
	v_or_b32_e32 v32, v29, v30
	v_mov_b32_e32 v28, v84
	v_mov_b32_e32 v29, v84
	v_pk_mul_f32 v[30:31], v[84:85], v[20:21]
	v_cmp_eq_u32_e64 s[8:9], 1, v116
	v_pk_mul_f32 v[28:29], v[28:29], v[22:23]
	v_cmp_eq_u32_e32 vcc, 2, v116
	v_cndmask_b32_e64 v20, v30, v31, s[8:9]
	v_cmp_eq_u32_e64 s[6:7], 3, v116
	v_cndmask_b32_e32 v20, v20, v28, vcc
	v_lshl_add_u64 v[26:27], v[24:25], 0, s[34:35]
	v_cndmask_b32_e64 v20, v20, v29, s[6:7]
	ds_bpermute_b32 v33, v121, v20
	;;#ASMSTART
	global_atomic_pk_add_f16 v[26:27], v32, off
	
	;;#ASMEND
	v_mov_b32_e32 v26, v68
	v_mov_b32_e32 v27, v68
	v_pk_mul_f32 v[18:19], v[26:27], v[18:19]
	v_pk_mul_f32 v[26:27], v[68:69], v[16:17]
	s_waitcnt lgkmcnt(0)
	v_cndmask_b32_e64 v22, v29, v33, s[6:7]
	v_cndmask_b32_e64 v16, v26, v27, s[8:9]
	v_cndmask_b32_e32 v16, v16, v18, vcc
	v_cndmask_b32_e64 v16, v16, v19, s[6:7]
	ds_bpermute_b32 v29, v121, v16
	v_cmp_eq_u32_e64 s[10:11], 0, v116
	v_lshl_add_u64 v[20:21], v[24:25], 0, s[44:45]
	v_cndmask_b32_e64 v24, v31, v33, s[8:9]
	v_cndmask_b32_e64 v25, v30, v33, s[10:11]
	v_cmp_eq_u32_e64 s[12:13], 1, v117
	v_cndmask_b32_e32 v23, v28, v33, vcc
	v_cmp_eq_u32_e64 s[14:15], 2, v117
	v_cndmask_b32_e64 v28, v25, v24, s[12:13]
	s_waitcnt lgkmcnt(0)
	v_cndmask_b32_e64 v17, v19, v29, s[6:7]
	v_cndmask_b32_e64 v16, v28, v23, s[14:15]
	v_cndmask_b32_e32 v18, v18, v29, vcc
	v_cndmask_b32_e64 v19, v27, v29, s[8:9]
	v_cndmask_b32_e64 v26, v26, v29, s[10:11]
	v_mov_b32_e32 v28, v64
	v_mov_b32_e32 v29, v64
	v_pk_mul_f32 v[10:11], v[28:29], v[10:11]
	v_pk_mul_f32 v[28:29], v[64:65], v[8:9]
	;; [unrolled: 1-line block ×3, first 2 shown]
	v_cndmask_b32_e64 v8, v28, v29, s[8:9]
	v_cndmask_b32_e32 v8, v8, v10, vcc
	v_cndmask_b32_e64 v8, v8, v11, s[6:7]
	ds_bpermute_b32 v27, v121, v8
	v_cndmask_b32_e64 v4, v30, v31, s[8:9]
	v_pk_mul_f32 v[32:33], v[56:57], v[0:1]
	v_cmp_eq_u32_e64 s[16:17], 3, v117
	v_cndmask_b32_e64 v0, v32, v33, s[8:9]
	s_waitcnt lgkmcnt(0)
	v_cndmask_b32_e64 v9, v11, v27, s[6:7]
	v_cndmask_b32_e32 v10, v10, v27, vcc
	v_cndmask_b32_e64 v11, v29, v27, s[8:9]
	v_cndmask_b32_e64 v27, v28, v27, s[10:11]
	v_mov_b32_e32 v28, v60
	v_mov_b32_e32 v29, v60
	v_pk_mul_f32 v[6:7], v[28:29], v[6:7]
	v_cndmask_b32_e64 v8, v26, v19, s[12:13]
	v_cndmask_b32_e32 v4, v4, v6, vcc
	v_cndmask_b32_e64 v4, v4, v7, s[6:7]
	ds_bpermute_b32 v29, v121, v4
	v_cndmask_b32_e64 v4, v27, v11, s[12:13]
	v_cvt_f16_f32_e32 v34, v35
	v_cvt_f16_f32_sdwa v35, v38 dst_sel:WORD_1 dst_unused:UNUSED_PAD src0_sel:DWORD
	v_cndmask_b32_e64 v8, v8, v18, s[14:15]
	s_waitcnt lgkmcnt(0)
	v_cndmask_b32_e64 v5, v7, v29, s[6:7]
	v_cndmask_b32_e32 v6, v6, v29, vcc
	v_cndmask_b32_e64 v28, v31, v29, s[8:9]
	v_cndmask_b32_e64 v29, v30, v29, s[10:11]
	v_mov_b32_e32 v30, v56
	v_mov_b32_e32 v31, v56
	v_pk_mul_f32 v[30:31], v[30:31], v[2:3]
	v_cndmask_b32_e64 v4, v4, v10, s[14:15]
	v_cndmask_b32_e32 v0, v0, v30, vcc
	v_cndmask_b32_e64 v0, v0, v31, s[6:7]
	ds_bpermute_b32 v1, v121, v0
	v_cndmask_b32_e64 v0, v29, v28, s[12:13]
	v_cndmask_b32_e64 v0, v0, v6, s[14:15]
	;; [unrolled: 1-line block ×3, first 2 shown]
	ds_bpermute_b32 v2, v121, v0
	s_waitcnt lgkmcnt(1)
	v_cndmask_b32_e64 v3, v31, v1, s[6:7]
	v_cndmask_b32_e32 v7, v30, v1, vcc
	v_cndmask_b32_e64 v0, v33, v1, s[8:9]
	v_cndmask_b32_e64 v1, v32, v1, s[10:11]
	v_mov_b32_e32 v30, v52
	v_mov_b32_e32 v31, v52
	v_pk_mul_f32 v[32:33], v[52:53], v[12:13]
	v_pk_mul_f32 v[14:15], v[30:31], v[14:15]
	v_cndmask_b32_e64 v12, v32, v33, s[8:9]
	v_cndmask_b32_e32 v12, v12, v14, vcc
	v_cndmask_b32_e64 v12, v12, v15, s[6:7]
	ds_bpermute_b32 v31, v121, v12
	v_cndmask_b32_e64 v12, v1, v0, s[12:13]
	v_cndmask_b32_e64 v12, v12, v7, s[14:15]
	;; [unrolled: 1-line block ×4, first 2 shown]
	s_waitcnt lgkmcnt(0)
	v_cndmask_b32_e32 v14, v14, v31, vcc
	v_cmp_ne_u32_e32 vcc, 0, v116
	v_cndmask_b32_e64 v13, v15, v31, s[6:7]
	v_cndmask_b32_e64 v4, v4, v9, s[16:17]
	v_cndmask_b32_e32 v30, v33, v31, vcc
	v_cndmask_b32_e64 v31, v32, v31, s[10:11]
	v_cndmask_b32_e64 v15, v31, v30, s[12:13]
	;; [unrolled: 1-line block ×5, first 2 shown]
	ds_bpermute_b32 v16, v121, v16
	ds_bpermute_b32 v8, v121, v8
	ds_bpermute_b32 v4, v121, v4
	ds_bpermute_b32 v12, v121, v12
	ds_bpermute_b32 v15, v121, v15
	v_or_b32_e32 v32, v35, v34
	;;#ASMSTART
	global_atomic_pk_add_f16 v[20:21], v32, off
	
	;;#ASMEND
	v_or_b32_e32 v20, 32, v118
	v_add_u32_e32 v20, s73, v20
	v_cmp_gt_u32_e32 vcc, 48, v20
	s_and_b64 exec, exec, vcc
	s_cbranch_execz .LBB310_48
; %bb.46:                               ;   in Loop: Header=BB310_7 Depth=1
	v_cmp_eq_u32_e64 s[8:9], 1, v117
	v_cmp_eq_u32_e64 s[10:11], 0, v117
	v_cmp_eq_u32_e32 vcc, 3, v117
	s_waitcnt lgkmcnt(4)
	v_cndmask_b32_e64 v21, v24, v16, s[8:9]
	v_cndmask_b32_e64 v24, v25, v16, s[10:11]
	s_waitcnt lgkmcnt(3)
	v_cndmask_b32_e64 v25, v26, v8, s[10:11]
	s_waitcnt lgkmcnt(2)
	v_cndmask_b32_e64 v26, v27, v4, s[10:11]
	v_cndmask_b32_e64 v27, v28, v2, s[8:9]
	;; [unrolled: 1-line block ×3, first 2 shown]
	s_waitcnt lgkmcnt(1)
	v_cndmask_b32_e64 v29, v0, v12, s[8:9]
	v_cndmask_b32_e64 v32, v1, v12, s[10:11]
	scratch_load_dwordx2 v[0:1], off, off offset:8 ; 8-byte Folded Reload
	v_cndmask_b32_e64 v19, v19, v8, s[8:9]
	v_cvt_f16_f32_e32 v33, v25
	v_cvt_f16_f32_sdwa v19, v19 dst_sel:WORD_1 dst_unused:UNUSED_PAD src0_sel:DWORD
	v_cvt_f16_f32_e32 v24, v24
	v_cvt_f16_f32_sdwa v21, v21 dst_sel:WORD_1 dst_unused:UNUSED_PAD src0_sel:DWORD
	v_cndmask_b32_e64 v11, v11, v4, s[8:9]
	v_or_b32_e32 v19, v19, v33
	v_cvt_f16_f32_sdwa v11, v11 dst_sel:WORD_1 dst_unused:UNUSED_PAD src0_sel:DWORD
	v_or_b32_e32 v21, v21, v24
	s_waitcnt lgkmcnt(0)
	v_cndmask_b32_e64 v30, v30, v15, s[8:9]
	v_cndmask_b32_e64 v31, v31, v15, s[10:11]
	v_cmp_eq_u32_e64 s[6:7], 2, v117
	v_cmp_gt_u32_e64 s[8:9], 46, v20
	s_waitcnt vmcnt(0)
	v_lshl_add_u64 v[0:1], v[0:1], 1, s[54:55]
	;;#ASMSTART
	global_atomic_pk_add_f16 v[0:1], v21, off
	
	;;#ASMEND
	v_lshl_add_u64 v[24:25], v[0:1], 0, 32
	;;#ASMSTART
	global_atomic_pk_add_f16 v[24:25], v19, off
	
	;;#ASMEND
	v_cvt_f16_f32_e32 v19, v26
	v_cvt_f16_f32_e32 v21, v28
	v_cvt_f16_f32_sdwa v26, v27 dst_sel:WORD_1 dst_unused:UNUSED_PAD src0_sel:DWORD
	v_lshl_add_u64 v[24:25], v[0:1], 0, 64
	v_or_b32_e32 v11, v11, v19
	;;#ASMSTART
	global_atomic_pk_add_f16 v[24:25], v11, off
	
	;;#ASMEND
	v_or_b32_e32 v11, v26, v21
	v_lshl_add_u64 v[24:25], v[0:1], 0, s[30:31]
	;;#ASMSTART
	global_atomic_pk_add_f16 v[24:25], v11, off
	
	;;#ASMEND
	v_cvt_f16_f32_e32 v11, v32
	v_cvt_f16_f32_sdwa v19, v29 dst_sel:WORD_1 dst_unused:UNUSED_PAD src0_sel:DWORD
	v_cvt_f16_f32_e32 v21, v31
	v_cvt_f16_f32_sdwa v26, v30 dst_sel:WORD_1 dst_unused:UNUSED_PAD src0_sel:DWORD
	v_lshl_add_u64 v[24:25], v[0:1], 0, s[34:35]
	v_or_b32_e32 v11, v19, v11
	;;#ASMSTART
	global_atomic_pk_add_f16 v[24:25], v11, off
	
	;;#ASMEND
	v_lshl_add_u64 v[24:25], v[0:1], 0, s[44:45]
	v_or_b32_e32 v11, v26, v21
	;;#ASMSTART
	global_atomic_pk_add_f16 v[24:25], v11, off
	
	;;#ASMEND
	s_and_b64 exec, exec, s[8:9]
	s_cbranch_execz .LBB310_48
; %bb.47:                               ;   in Loop: Header=BB310_7 Depth=1
	v_cndmask_b32_e32 v11, v22, v16, vcc
	v_cndmask_b32_e64 v16, v23, v16, s[6:7]
	v_cndmask_b32_e32 v17, v17, v8, vcc
	v_cndmask_b32_e64 v8, v18, v8, s[6:7]
	;; [unrolled: 2-line block ×4, first 2 shown]
	v_cndmask_b32_e32 v10, v3, v12, vcc
	v_cvt_f16_f32_e32 v2, v16
	v_cvt_f16_f32_sdwa v3, v11 dst_sel:WORD_1 dst_unused:UNUSED_PAD src0_sel:DWORD
	v_cvt_f16_f32_e32 v8, v8
	v_cvt_f16_f32_sdwa v11, v17 dst_sel:WORD_1 dst_unused:UNUSED_PAD src0_sel:DWORD
	v_lshl_add_u64 v[0:1], s[28:29], 2, v[0:1]
	v_or_b32_e32 v2, v3, v2
	;;#ASMSTART
	global_atomic_pk_add_f16 v[0:1], v2, off
	
	;;#ASMEND
	v_or_b32_e32 v8, v11, v8
	v_lshl_add_u64 v[2:3], v[0:1], 0, 32
	;;#ASMSTART
	global_atomic_pk_add_f16 v[2:3], v8, off
	
	;;#ASMEND
	v_cvt_f16_f32_e32 v4, v4
	v_cvt_f16_f32_sdwa v8, v9 dst_sel:WORD_1 dst_unused:UNUSED_PAD src0_sel:DWORD
	v_cvt_f16_f32_e32 v6, v6
	v_cvt_f16_f32_sdwa v5, v5 dst_sel:WORD_1 dst_unused:UNUSED_PAD src0_sel:DWORD
	v_cndmask_b32_e64 v7, v7, v12, s[6:7]
	v_or_b32_e32 v4, v8, v4
	v_cndmask_b32_e32 v12, v13, v15, vcc
	v_cndmask_b32_e64 v13, v14, v15, s[6:7]
	v_lshl_add_u64 v[2:3], v[0:1], 0, 64
	;;#ASMSTART
	global_atomic_pk_add_f16 v[2:3], v4, off
	
	;;#ASMEND
	v_or_b32_e32 v4, v5, v6
	v_lshl_add_u64 v[2:3], v[0:1], 0, s[30:31]
	;;#ASMSTART
	global_atomic_pk_add_f16 v[2:3], v4, off
	
	;;#ASMEND
	v_cvt_f16_f32_e32 v4, v7
	v_cvt_f16_f32_sdwa v5, v10 dst_sel:WORD_1 dst_unused:UNUSED_PAD src0_sel:DWORD
	v_cvt_f16_f32_e32 v6, v13
	v_cvt_f16_f32_sdwa v7, v12 dst_sel:WORD_1 dst_unused:UNUSED_PAD src0_sel:DWORD
	v_lshl_add_u64 v[2:3], v[0:1], 0, s[34:35]
	v_or_b32_e32 v4, v5, v4
	;;#ASMSTART
	global_atomic_pk_add_f16 v[2:3], v4, off
	
	;;#ASMEND
	v_lshl_add_u64 v[0:1], v[0:1], 0, s[44:45]
	v_or_b32_e32 v2, v7, v6
	;;#ASMSTART
	global_atomic_pk_add_f16 v[0:1], v2, off
	
	;;#ASMEND
.LBB310_48:                             ;   in Loop: Header=BB310_7 Depth=1
	s_or_b64 exec, exec, s[18:19]
	v_subrev_u32_e32 v122, s74, v122
.LBB310_49:                             ;   in Loop: Header=BB310_7 Depth=1
	s_or_b64 exec, exec, s[52:53]
.LBB310_50:                             ;   in Loop: Header=BB310_7 Depth=1
	s_andn2_saveexec_b64 s[6:7], s[50:51]
	s_cbranch_execz .LBB310_59
; %bb.51:                               ;   in Loop: Header=BB310_7 Depth=1
	s_mul_i32 s16, s74, 6
	v_cmp_gt_i32_e32 vcc, s16, v122
	s_and_saveexec_b64 s[8:9], vcc
	s_cbranch_execz .LBB310_58
; %bb.52:                               ;   in Loop: Header=BB310_7 Depth=1
	s_mul_i32 s10, s48, s23
	s_ashr_i32 s11, s10, 31
	s_waitcnt lgkmcnt(0)
	s_add_u32 s10, s38, s10
	s_addc_u32 s11, s39, s11
	s_ashr_i32 s12, s72, 31
	s_add_u32 s10, s10, s72
	s_addc_u32 s11, s11, s12
	v_lshl_add_u64 v[0:1], s[10:11], 0, v[82:83]
	v_lshl_add_u64 v[8:9], v[0:1], 0, v[80:81]
	s_mov_b64 s[10:11], 0
	s_branch .LBB310_54
.LBB310_53:                             ;   in Loop: Header=BB310_54 Depth=2
	s_or_b64 exec, exec, s[12:13]
	v_lshl_or_b32 v12, v10, 11, v120
	;;#ASMSTART
	s_waitcnt vmcnt(1)
	;;#ASMEND
	ds_write2_b32 v12, v4, v5 offset1:32
	ds_write2_b32 v12, v6, v7 offset0:64 offset1:96
	v_add_u32_e32 v4, 0x400, v12
	v_add_u32_e32 v122, s26, v122
	;;#ASMSTART
	s_waitcnt vmcnt(0)
	;;#ASMEND
	ds_write2_b32 v4, v0, v1 offset1:32
	ds_write2_b32 v4, v2, v3 offset0:64 offset1:96
	v_add_u32_e32 v0, 1, v114
	v_add_u32_e32 v86, s26, v10
	v_cmp_le_i32_e32 vcc, s16, v122
	ds_write_b32 v11, v0 offset:24
	v_add_u32_e32 v0, 2, v114
	s_or_b64 s[10:11], vcc, s[10:11]
	v_cmp_lt_i32_e32 vcc, 11, v86
	s_nop 1
	v_cndmask_b32_e32 v114, v114, v0, vcc
	s_andn2_b64 exec, exec, s[10:11]
	s_cbranch_execz .LBB310_57
.LBB310_54:                             ;   Parent Loop BB310_7 Depth=1
                                        ; =>  This Loop Header: Depth=2
                                        ;       Child Loop BB310_56 Depth 3
	v_cmp_gt_i32_e32 vcc, 12, v86
	s_nop 1
	v_cndmask_b32_e64 v0, -12, 0, vcc
	v_add_u32_e32 v10, v0, v86
	v_mul_hi_i32 v0, v122, s58
	v_lshrrev_b32_e32 v1, 31, v0
	v_add_u32_e32 v0, v0, v1
	v_mul_lo_u32 v1, v0, 6
	v_sub_u32_e32 v2, v122, v1
	v_lshlrev_b32_e32 v0, 7, v0
	v_ashrrev_i32_e32 v1, 31, v0
	v_mul_lo_u32 v2, s62, v2
	v_lshl_add_u64 v[0:1], v[8:9], 0, v[0:1]
	v_ashrrev_i32_e32 v3, 31, v2
	v_lshl_add_u64 v[0:1], v[0:1], 0, v[2:3]
	v_lshlrev_b32_e32 v11, 2, v10
	;;#ASMSTART
	global_load_dwordx4 v[4:7], v[0:1], off offset:0   sc0 sc1 nt  
	global_load_dwordx4 v[0:3], v[0:1], off offset:64  sc0 sc1 nt  
	
	;;#ASMEND
	ds_read_b32 v12, v11 offset:36888
	v_add_u32_e32 v11, 0x9000, v11
	s_waitcnt lgkmcnt(0)
	v_cmp_ne_u32_e32 vcc, v12, v114
	s_and_saveexec_b64 s[12:13], vcc
	s_cbranch_execz .LBB310_53
; %bb.55:                               ;   in Loop: Header=BB310_54 Depth=2
	s_mov_b64 s[14:15], 0
.LBB310_56:                             ;   Parent Loop BB310_7 Depth=1
                                        ;     Parent Loop BB310_54 Depth=2
                                        ; =>    This Inner Loop Header: Depth=3
	;;#ASMSTART
	s_sleep 0
	;;#ASMEND
	ds_read_b32 v12, v11 offset:24
	s_waitcnt lgkmcnt(0)
	v_cmp_eq_u32_e32 vcc, v12, v114
	s_or_b64 s[14:15], vcc, s[14:15]
	s_andn2_b64 exec, exec, s[14:15]
	s_cbranch_execnz .LBB310_56
	s_branch .LBB310_53
.LBB310_57:                             ;   in Loop: Header=BB310_7 Depth=1
	s_or_b64 exec, exec, s[10:11]
.LBB310_58:                             ;   in Loop: Header=BB310_7 Depth=1
	s_or_b64 exec, exec, s[8:9]
	v_subrev_u32_e32 v122, s16, v122
.LBB310_59:                             ;   in Loop: Header=BB310_7 Depth=1
	s_or_b64 exec, exec, s[6:7]
.LBB310_60:                             ;   in Loop: Header=BB310_7 Depth=1
	s_andn2_saveexec_b64 s[6:7], s[46:47]
	s_cbranch_execz .LBB310_6
; %bb.61:                               ;   in Loop: Header=BB310_7 Depth=1
	s_mul_i32 s74, s74, 3
	v_cmp_gt_i32_e32 vcc, s74, v122
	s_and_saveexec_b64 s[8:9], vcc
	s_cbranch_execz .LBB310_5
; %bb.62:                               ;   in Loop: Header=BB310_7 Depth=1
	s_mul_i32 s71, s71, s22
	s_ashr_i32 s10, s71, 31
	s_waitcnt lgkmcnt(0)
	s_add_u32 s11, s36, s71
	v_add_u32_e32 v2, s73, v119
	s_addc_u32 s12, s37, s10
	s_ashr_i32 s13, s72, 31
	v_mul_lo_u32 v0, s22, v119
	v_cmp_gt_u32_e32 vcc, 48, v2
	s_add_u32 s10, s11, s72
	s_addc_u32 s11, s12, s13
	v_cndmask_b32_e32 v0, 0, v0, vcc
	v_ashrrev_i32_e32 v1, 31, v0
	v_lshl_add_u64 v[0:1], s[10:11], 0, v[0:1]
	v_lshl_add_u64 v[8:9], v[0:1], 0, v[80:81]
	v_sub_u32_e32 v10, 47, v2
	s_mov_b64 s[10:11], 0
	s_branch .LBB310_64
.LBB310_63:                             ;   in Loop: Header=BB310_64 Depth=2
	s_or_b64 exec, exec, s[12:13]
	v_or_b32_e32 v13, 0x6000, v120
	v_lshl_add_u32 v13, v11, 11, v13
	;;#ASMSTART
	s_waitcnt vmcnt(1)
	;;#ASMEND
	ds_write2_b32 v13, v4, v5 offset1:32
	ds_write2_b32 v13, v6, v7 offset0:64 offset1:96
	v_add_u32_e32 v4, 0x400, v13
	v_add_u32_e32 v122, s25, v122
	;;#ASMSTART
	s_waitcnt vmcnt(0)
	;;#ASMEND
	ds_write2_b32 v4, v0, v1 offset1:32
	ds_write2_b32 v4, v2, v3 offset0:64 offset1:96
	v_add_u32_e32 v0, 1, v114
	v_add_u32_e32 v86, s25, v11
	v_cmp_le_i32_e32 vcc, s74, v122
	ds_write_b32 v12, v0
	v_add_u32_e32 v0, 2, v114
	s_or_b64 s[10:11], vcc, s[10:11]
	v_cmp_lt_i32_e32 vcc, 5, v86
	s_nop 1
	v_cndmask_b32_e32 v114, v114, v0, vcc
	s_andn2_b64 exec, exec, s[10:11]
	s_cbranch_execz .LBB310_4
.LBB310_64:                             ;   Parent Loop BB310_7 Depth=1
                                        ; =>  This Loop Header: Depth=2
                                        ;       Child Loop BB310_66 Depth 3
	v_cmp_gt_i32_e32 vcc, 6, v86
	s_nop 1
	v_cndmask_b32_e64 v0, -6, 0, vcc
	v_add_u32_e32 v11, v0, v86
	v_mul_hi_i32 v0, v122, s70
	v_lshrrev_b32_e32 v1, 31, v0
	v_add_u32_e32 v0, v0, v1
	v_lshl_add_u32 v1, v0, 1, v0
	v_sub_u32_e32 v1, v122, v1
	v_lshlrev_b32_e32 v1, 4, v1
	v_cmp_le_i32_e32 vcc, v1, v10
	v_lshlrev_b32_e32 v0, 7, v0
	v_lshlrev_b32_e32 v12, 2, v11
	v_cndmask_b32_e32 v2, 0, v1, vcc
	v_ashrrev_i32_e32 v1, 31, v0
	v_mul_lo_u32 v2, v2, s22
	v_lshl_add_u64 v[0:1], v[8:9], 0, v[0:1]
	v_ashrrev_i32_e32 v3, 31, v2
	v_lshl_add_u64 v[0:1], v[0:1], 0, v[2:3]
	;;#ASMSTART
	global_load_dwordx4 v[4:7], v[0:1], off offset:0   
	global_load_dwordx4 v[0:3], v[0:1], off offset:64  
	
	;;#ASMEND
	ds_read_b32 v13, v12 offset:36864
	v_add_u32_e32 v12, 0x9000, v12
	s_waitcnt lgkmcnt(0)
	v_cmp_ne_u32_e32 vcc, v13, v114
	s_and_saveexec_b64 s[12:13], vcc
	s_cbranch_execz .LBB310_63
; %bb.65:                               ;   in Loop: Header=BB310_64 Depth=2
	s_mov_b64 s[14:15], 0
.LBB310_66:                             ;   Parent Loop BB310_7 Depth=1
                                        ;     Parent Loop BB310_64 Depth=2
                                        ; =>    This Inner Loop Header: Depth=3
	;;#ASMSTART
	s_sleep 0
	;;#ASMEND
	ds_read_b32 v13, v12
	s_waitcnt lgkmcnt(0)
	v_cmp_eq_u32_e32 vcc, v13, v114
	s_or_b64 s[14:15], vcc, s[14:15]
	s_andn2_b64 exec, exec, s[14:15]
	s_cbranch_execnz .LBB310_66
	s_branch .LBB310_63
.LBB310_67:
	s_endpgm
	.section	.rodata,"a",@progbits
	.p2align	6, 0x0
	.amdhsa_kernel _Z19_skinny_gemm_kernelILi3ELi6ELi2ELi16ELi4EEvPKhS1_P6__halfPKfiiiiiiii
		.amdhsa_group_segment_fixed_size 36936
		.amdhsa_private_segment_fixed_size 20
		.amdhsa_kernarg_size 64
		.amdhsa_user_sgpr_count 2
		.amdhsa_user_sgpr_dispatch_ptr 0
		.amdhsa_user_sgpr_queue_ptr 0
		.amdhsa_user_sgpr_kernarg_segment_ptr 1
		.amdhsa_user_sgpr_dispatch_id 0
		.amdhsa_user_sgpr_kernarg_preload_length 0
		.amdhsa_user_sgpr_kernarg_preload_offset 0
		.amdhsa_user_sgpr_private_segment_size 0
		.amdhsa_uses_dynamic_stack 0
		.amdhsa_enable_private_segment 1
		.amdhsa_system_sgpr_workgroup_id_x 1
		.amdhsa_system_sgpr_workgroup_id_y 0
		.amdhsa_system_sgpr_workgroup_id_z 0
		.amdhsa_system_sgpr_workgroup_info 0
		.amdhsa_system_vgpr_workitem_id 0
		.amdhsa_next_free_vgpr 128
		.amdhsa_next_free_sgpr 75
		.amdhsa_accum_offset 128
		.amdhsa_reserve_vcc 1
		.amdhsa_float_round_mode_32 0
		.amdhsa_float_round_mode_16_64 0
		.amdhsa_float_denorm_mode_32 3
		.amdhsa_float_denorm_mode_16_64 3
		.amdhsa_dx10_clamp 1
		.amdhsa_ieee_mode 1
		.amdhsa_fp16_overflow 0
		.amdhsa_tg_split 0
		.amdhsa_exception_fp_ieee_invalid_op 0
		.amdhsa_exception_fp_denorm_src 0
		.amdhsa_exception_fp_ieee_div_zero 0
		.amdhsa_exception_fp_ieee_overflow 0
		.amdhsa_exception_fp_ieee_underflow 0
		.amdhsa_exception_fp_ieee_inexact 0
		.amdhsa_exception_int_div_zero 0
	.end_amdhsa_kernel
	.section	.text._Z19_skinny_gemm_kernelILi3ELi6ELi2ELi16ELi4EEvPKhS1_P6__halfPKfiiiiiiii,"axG",@progbits,_Z19_skinny_gemm_kernelILi3ELi6ELi2ELi16ELi4EEvPKhS1_P6__halfPKfiiiiiiii,comdat
.Lfunc_end310:
	.size	_Z19_skinny_gemm_kernelILi3ELi6ELi2ELi16ELi4EEvPKhS1_P6__halfPKfiiiiiiii, .Lfunc_end310-_Z19_skinny_gemm_kernelILi3ELi6ELi2ELi16ELi4EEvPKhS1_P6__halfPKfiiiiiiii
                                        ; -- End function
	.set _Z19_skinny_gemm_kernelILi3ELi6ELi2ELi16ELi4EEvPKhS1_P6__halfPKfiiiiiiii.num_vgpr, 128
	.set _Z19_skinny_gemm_kernelILi3ELi6ELi2ELi16ELi4EEvPKhS1_P6__halfPKfiiiiiiii.num_agpr, 0
	.set _Z19_skinny_gemm_kernelILi3ELi6ELi2ELi16ELi4EEvPKhS1_P6__halfPKfiiiiiiii.numbered_sgpr, 75
	.set _Z19_skinny_gemm_kernelILi3ELi6ELi2ELi16ELi4EEvPKhS1_P6__halfPKfiiiiiiii.num_named_barrier, 0
	.set _Z19_skinny_gemm_kernelILi3ELi6ELi2ELi16ELi4EEvPKhS1_P6__halfPKfiiiiiiii.private_seg_size, 20
	.set _Z19_skinny_gemm_kernelILi3ELi6ELi2ELi16ELi4EEvPKhS1_P6__halfPKfiiiiiiii.uses_vcc, 1
	.set _Z19_skinny_gemm_kernelILi3ELi6ELi2ELi16ELi4EEvPKhS1_P6__halfPKfiiiiiiii.uses_flat_scratch, 0
	.set _Z19_skinny_gemm_kernelILi3ELi6ELi2ELi16ELi4EEvPKhS1_P6__halfPKfiiiiiiii.has_dyn_sized_stack, 0
	.set _Z19_skinny_gemm_kernelILi3ELi6ELi2ELi16ELi4EEvPKhS1_P6__halfPKfiiiiiiii.has_recursion, 0
	.set _Z19_skinny_gemm_kernelILi3ELi6ELi2ELi16ELi4EEvPKhS1_P6__halfPKfiiiiiiii.has_indirect_call, 0
	.section	.AMDGPU.csdata,"",@progbits
; Kernel info:
; codeLenInByte = 9160
; TotalNumSgprs: 81
; NumVgprs: 128
; NumAgprs: 0
; TotalNumVgprs: 128
; ScratchSize: 20
; MemoryBound: 0
; FloatMode: 240
; IeeeMode: 1
; LDSByteSize: 36936 bytes/workgroup (compile time only)
; SGPRBlocks: 10
; VGPRBlocks: 15
; NumSGPRsForWavesPerEU: 81
; NumVGPRsForWavesPerEU: 128
; AccumOffset: 128
; Occupancy: 4
; WaveLimiterHint : 0
; COMPUTE_PGM_RSRC2:SCRATCH_EN: 1
; COMPUTE_PGM_RSRC2:USER_SGPR: 2
; COMPUTE_PGM_RSRC2:TRAP_HANDLER: 0
; COMPUTE_PGM_RSRC2:TGID_X_EN: 1
; COMPUTE_PGM_RSRC2:TGID_Y_EN: 0
; COMPUTE_PGM_RSRC2:TGID_Z_EN: 0
; COMPUTE_PGM_RSRC2:TIDIG_COMP_CNT: 0
; COMPUTE_PGM_RSRC3_GFX90A:ACCUM_OFFSET: 31
; COMPUTE_PGM_RSRC3_GFX90A:TG_SPLIT: 0
	.section	.text._Z19_skinny_gemm_kernelILi3ELi6ELi2ELi32ELi4EEvPKhS1_P6__halfPKfiiiiiiii,"axG",@progbits,_Z19_skinny_gemm_kernelILi3ELi6ELi2ELi32ELi4EEvPKhS1_P6__halfPKfiiiiiiii,comdat
	.protected	_Z19_skinny_gemm_kernelILi3ELi6ELi2ELi32ELi4EEvPKhS1_P6__halfPKfiiiiiiii ; -- Begin function _Z19_skinny_gemm_kernelILi3ELi6ELi2ELi32ELi4EEvPKhS1_P6__halfPKfiiiiiiii
	.globl	_Z19_skinny_gemm_kernelILi3ELi6ELi2ELi32ELi4EEvPKhS1_P6__halfPKfiiiiiiii
	.p2align	8
	.type	_Z19_skinny_gemm_kernelILi3ELi6ELi2ELi32ELi4EEvPKhS1_P6__halfPKfiiiiiiii,@function
_Z19_skinny_gemm_kernelILi3ELi6ELi2ELi32ELi4EEvPKhS1_P6__halfPKfiiiiiiii: ; @_Z19_skinny_gemm_kernelILi3ELi6ELi2ELi32ELi4EEvPKhS1_P6__halfPKfiiiiiiii
; %bb.0:
	v_cmp_gt_u32_e32 vcc, 18, v0
	s_and_saveexec_b64 s[4:5], vcc
; %bb.1:
	v_lshlrev_b32_e32 v1, 2, v0
	v_mov_b32_e32 v2, 0
	ds_write_b32 v1, v2 offset:36864
; %bb.2:
	s_or_b64 exec, exec, s[4:5]
	s_load_dwordx8 s[52:59], s[0:1], 0x20
	s_waitcnt lgkmcnt(0)
	s_barrier
	s_add_i32 s3, s52, 0x5f
	s_mul_hi_i32 s3, s3, 0x2aaaaaab
	s_add_i32 s4, s53, 0xbf
	s_lshr_b32 s5, s3, 31
	s_ashr_i32 s3, s3, 4
	s_add_i32 s11, s3, s5
	s_mul_hi_i32 s3, s4, 0x2aaaaaab
	s_lshr_b32 s4, s3, 31
	s_ashr_i32 s3, s3, 5
	s_add_i32 s12, s3, s4
	s_mul_i32 s3, s12, s11
	s_mul_i32 s3, s3, s56
	s_add_i32 s4, s3, 0x12f
	s_mul_hi_i32 s4, s4, 0x6bca1af3
	s_lshr_b32 s5, s4, 31
	s_ashr_i32 s4, s4, 7
	s_add_i32 s4, s4, s5
	s_add_i32 s5, s2, 1
	s_mul_i32 s5, s4, s5
	v_cvt_f64_i32_e32 v[2:3], s3
	v_cvt_f64_u32_e32 v[4:5], s5
	v_min_f64 v[2:3], v[2:3], v[4:5]
	v_cvt_i32_f64_e32 v14, v[2:3]
	s_mul_i32 s33, s4, s2
	v_cmp_ge_i32_e32 vcc, s33, v14
	s_cbranch_vccnz .LBB311_58
; %bb.3:
	s_load_dwordx8 s[16:23], s[0:1], 0x0
	v_lshrrev_b32_e32 v1, 6, v0
	s_add_i32 s0, s58, s57
	v_cmp_le_i32_e64 s[14:15], s0, v1
	v_mov_b32_e32 v2, s57
	v_cmp_le_i32_e64 s[24:25], s57, v1
	v_mov_b32_e32 v3, s58
	v_cndmask_b32_e64 v3, 0, v3, s[14:15]
	v_cndmask_b32_e64 v2, 0, v2, s[24:25]
	s_abs_i32 s1, s56
	v_add_u32_e32 v2, v2, v3
	v_cvt_f32_u32_e32 v3, s1
	v_sub_u32_e32 v104, v1, v2
	s_ashr_i32 s2, s54, 31
	s_lshr_b32 s2, s2, 26
	v_rcp_iflag_f32_e32 v2, v3
	s_sub_i32 s5, 0, s1
	s_add_i32 s2, s54, s2
	s_ashr_i32 s2, s2, 6
	v_mul_f32_e32 v2, 0x4f7ffffe, v2
	v_cvt_u32_f32_e32 v2, v2
	s_abs_i32 s4, s2
	s_xor_b32 s3, s2, s56
	s_ashr_i32 s3, s3, 31
	v_readfirstlane_b32 s6, v2
	s_mul_i32 s5, s5, s6
	s_mul_hi_u32 s5, s6, s5
	s_add_i32 s6, s6, s5
	s_mul_hi_u32 s5, s4, s6
	s_mul_i32 s6, s5, s1
	s_sub_i32 s4, s4, s6
	s_add_i32 s6, s5, 1
	s_sub_i32 s7, s4, s1
	s_cmp_ge_u32 s4, s1
	s_cselect_b32 s5, s6, s5
	s_cselect_b32 s4, s7, s4
	s_add_i32 s6, s5, 1
	s_cmp_ge_u32 s4, s1
	s_cselect_b32 s1, s6, s5
	s_add_i32 s0, s0, s59
	v_and_b32_e32 v100, 31, v0
	v_lshrrev_b32_e32 v2, 3, v0
	v_cmp_gt_i32_e64 s[28:29], s0, v1
	v_lshlrev_b32_e32 v1, 2, v100
	v_and_b32_e32 v3, 4, v2
	v_lshlrev_b32_e32 v2, 6, v3
	v_or_b32_e32 v4, 0x6000, v1
	v_and_b32_e32 v5, 1, v0
	v_or_b32_e32 v116, v4, v2
	v_or_b32_e32 v117, v1, v2
	v_lshlrev_b32_e32 v2, 1, v5
	v_sub_u32_e32 v2, v0, v2
	v_add_u32_e32 v2, 1, v2
	v_and_b32_e32 v6, 63, v2
	v_bitop3_b32 v2, v0, 1, v0 bitop3:0xc
	scratch_store_dword off, v2, off offset:48 ; 4-byte Folded Spill
	v_bitop3_b32 v2, v0, 3, 1 bitop3:0x6c
	scratch_store_dword off, v2, off offset:52 ; 4-byte Folded Spill
	v_bitop3_b32 v2, v0, 5, 1 bitop3:0x6c
	scratch_store_dword off, v2, off offset:56 ; 4-byte Folded Spill
	v_bitop3_b32 v2, v0, 7, 1 bitop3:0x6c
	scratch_store_dword off, v2, off offset:60 ; 4-byte Folded Spill
	v_bitop3_b32 v2, v0, 9, 1 bitop3:0x6c
	scratch_store_dword off, v2, off offset:64 ; 4-byte Folded Spill
	v_bitop3_b32 v2, v0, 11, 1 bitop3:0x6c
	v_lshrrev_b32_e32 v7, 1, v0
	s_abs_i32 s30, s11
                                        ; implicit-def: $vgpr126 : SGPR spill to VGPR lane
	scratch_store_dword off, v2, off offset:68 ; 4-byte Folded Spill
	v_bitop3_b32 v2, v0, 13, 1 bitop3:0x6c
	v_and_b32_e32 v16, 16, v7
	v_cvt_f32_u32_e32 v7, s30
	v_writelane_b32 v126, s11, 0
	scratch_store_dword off, v2, off offset:72 ; 4-byte Folded Spill
	v_bitop3_b32 v2, v0, 15, 1 bitop3:0x6c
	v_writelane_b32 v126, s12, 1
	scratch_store_dword off, v2, off offset:76 ; 4-byte Folded Spill
	v_and_b32_e32 v2, 30, v0
	v_lshlrev_b32_e32 v0, 4, v0
	s_waitcnt lgkmcnt(0)
	v_writelane_b32 v126, s16, 2
	v_and_b32_e32 v0, 0x200, v0
	v_or_b32_e32 v15, v1, v0
	v_writelane_b32 v126, s17, 3
	v_rcp_iflag_f32_e32 v1, v7
	v_writelane_b32 v126, s18, 4
	v_writelane_b32 v126, s19, 5
	;; [unrolled: 1-line block ×3, first 2 shown]
	s_abs_i32 s34, s12
	v_writelane_b32 v126, s21, 7
	v_or_b32_e32 v124, v4, v0
	v_mul_f32_e32 v0, 0x4f7ffffe, v1
	v_cvt_f32_u32_e32 v1, s34
	v_writelane_b32 v126, s22, 8
	v_writelane_b32 v126, s23, 9
	v_cndmask_b32_e64 v111, 0, 1, s[14:15]
	v_writelane_b32 v126, s14, 10
	s_xor_b32 s1, s1, s3
	v_cvt_u32_f32_e32 v0, v0
	v_writelane_b32 v126, s15, 11
	v_rcp_iflag_f32_e32 v1, v1
	v_writelane_b32 v126, s24, 12
	s_sub_i32 s13, s1, s3
	s_add_i32 s26, s56, -1
	v_writelane_b32 v126, s25, 13
	s_mul_i32 s1, s13, s26
	v_writelane_b32 v126, s13, 14
	s_sub_i32 s27, s2, s1
	v_writelane_b32 v126, s26, 15
	v_readfirstlane_b32 s1, v0
	v_mul_f32_e32 v0, 0x4f7ffffe, v1
	v_writelane_b32 v126, s27, 16
	v_cvt_u32_f32_e32 v0, v0
	v_writelane_b32 v126, s28, 17
	s_sub_i32 s0, 0, s30
	s_lshl_b32 s31, s55, 5
	v_writelane_b32 v126, s29, 18
	s_mul_i32 s0, s0, s1
	v_writelane_b32 v126, s30, 19
	s_mul_hi_u32 s0, s1, s0
	v_writelane_b32 v126, s31, 20
	s_ashr_i32 s35, s11, 31
	s_add_i32 s36, s1, s0
	s_sub_i32 s0, 0, s34
	v_readfirstlane_b32 s1, v0
	v_writelane_b32 v126, s34, 21
	s_mul_i32 s0, s0, s1
	v_writelane_b32 v126, s35, 22
	s_ashr_i32 s37, s12, 31
	s_mul_hi_u32 s0, s1, s0
	v_writelane_b32 v126, s36, 23
	s_add_i32 s38, s1, s0
	v_writelane_b32 v126, s37, 24
	v_writelane_b32 v126, s38, 25
	v_mul_lo_u32 v8, s55, v100
	v_writelane_b32 v126, s52, 26
	v_mbcnt_lo_u32_b32 v0, -1, 0
	v_mbcnt_hi_u32_b32 v0, -1, v0
	v_writelane_b32 v126, s53, 27
	v_writelane_b32 v126, s54, 28
	;; [unrolled: 1-line block ×5, first 2 shown]
	v_mov_b32_e32 v119, 0
	v_and_or_b32 v0, v0, 64, v6
	v_writelane_b32 v126, s58, 32
	v_ashrrev_i32_e32 v9, 31, v8
	v_mov_b32_e32 v17, v119
	v_lshlrev_b32_e32 v118, 1, v2
	v_lshlrev_b32_e32 v120, 2, v0
	v_mov_b32_e32 v101, v104
	v_writelane_b32 v126, s59, 33
	scratch_store_dwordx2 off, v[8:9], off offset:88 ; 8-byte Folded Spill
	v_or_b32_e32 v121, v5, v3
	scratch_store_dword off, v14, off offset:32 ; 4-byte Folded Spill
	scratch_store_dword off, v100, off offset:36 ; 4-byte Folded Spill
	;; [unrolled: 1-line block ×4, first 2 shown]
	scratch_store_dwordx2 off, v[16:17], off offset:80 ; 8-byte Folded Spill
	scratch_store_dword off, v15, off offset:96 ; 4-byte Folded Spill
	scratch_store_dword off, v121, off offset:100 ; 4-byte Folded Spill
	s_branch .LBB311_7
.LBB311_4:                              ;   in Loop: Header=BB311_7 Depth=1
	s_or_b64 exec, exec, s[4:5]
.LBB311_5:                              ;   in Loop: Header=BB311_7 Depth=1
	s_or_b64 exec, exec, s[2:3]
	v_subrev_u32_e32 v101, s10, v101
.LBB311_6:                              ;   in Loop: Header=BB311_7 Depth=1
	s_or_b64 exec, exec, s[0:1]
	s_add_i32 s33, s33, 1
	s_waitcnt vmcnt(3)
	v_cmp_ge_i32_e32 vcc, s33, v14
	s_cbranch_vccnz .LBB311_58
.LBB311_7:                              ; =>This Loop Header: Depth=1
                                        ;     Child Loop BB311_13 Depth 2
                                        ;       Child Loop BB311_15 Depth 3
                                        ;       Child Loop BB311_18 Depth 3
	;; [unrolled: 1-line block ×7, first 2 shown]
                                        ;     Child Loop BB311_37 Depth 2
                                        ;     Child Loop BB311_45 Depth 2
                                        ;       Child Loop BB311_47 Depth 3
                                        ;     Child Loop BB311_55 Depth 2
                                        ;       Child Loop BB311_57 Depth 3
	s_abs_i32 s1, s33
	s_mul_hi_u32 s2, s1, s36
	s_mul_i32 s3, s2, s30
	s_ashr_i32 s0, s33, 31
	s_sub_i32 s1, s1, s3
	s_xor_b32 s0, s0, s35
	s_add_i32 s3, s2, 1
	s_sub_i32 s4, s1, s30
	s_cmp_ge_u32 s1, s30
	s_cselect_b32 s2, s3, s2
	s_cselect_b32 s1, s4, s1
	s_add_i32 s3, s2, 1
	s_cmp_ge_u32 s1, s30
	s_cselect_b32 s1, s3, s2
	s_xor_b32 s1, s1, s0
	s_sub_i32 s0, s1, s0
	s_abs_i32 s2, s0
	s_mul_i32 s1, s0, s11
	s_mul_hi_u32 s3, s2, s38
	s_sub_i32 s1, s33, s1
	s_mul_i32 s4, s3, s34
	s_mul_i32 s39, s1, 0x60
	s_ashr_i32 s1, s0, 31
	s_sub_i32 s2, s2, s4
	s_xor_b32 s1, s1, s37
	s_add_i32 s4, s3, 1
	s_sub_i32 s5, s2, s34
	s_cmp_ge_u32 s2, s34
	s_cselect_b32 s3, s4, s3
	s_cselect_b32 s2, s5, s2
	s_add_i32 s4, s3, 1
	s_cmp_ge_u32 s2, s34
	s_cselect_b32 s2, s4, s3
	s_xor_b32 s2, s2, s1
	s_sub_i32 s1, s2, s1
	s_mul_i32 s2, s1, s13
	s_lshl_b32 s40, s2, 6
	s_cmp_eq_u32 s1, s26
	s_cselect_b32 s41, s27, s13
	s_sub_i32 s2, s39, s52
	s_addk_i32 s2, 0x60
	s_max_i32 s92, s2, 0
	s_and_saveexec_b64 s[2:3], s[24:25]
	s_xor_b64 s[42:43], exec, s[2:3]
	s_cbranch_execz .LBB311_51
; %bb.8:                                ;   in Loop: Header=BB311_7 Depth=1
	s_mul_i32 s1, s1, s12
	s_sub_i32 s0, s0, s1
	s_mulk_i32 s0, 0xc0
	s_sub_i32 s8, s0, s53
	s_addk_i32 s8, 0xc0
	s_max_i32 s1, s8, 0
	s_sub_i32 s44, s0, s1
	s_and_saveexec_b64 s[0:1], s[14:15]
	s_xor_b64 s[46:47], exec, s[0:1]
	s_cbranch_execz .LBB311_41
; %bb.9:                                ;   in Loop: Header=BB311_7 Depth=1
	s_and_saveexec_b64 s[48:49], s[28:29]
	s_cbranch_execz .LBB311_40
; %bb.10:                               ;   in Loop: Header=BB311_7 Depth=1
	global_load_dword v96, v119, s[22:23]
	v_mov_b32_e32 v95, 0
	v_cmp_gt_i32_e32 vcc, s41, v101
	v_mov_b32_e32 v94, v95
	v_mov_b32_e32 v93, v95
	;; [unrolled: 1-line block ×77, first 2 shown]
	s_waitcnt vmcnt(2)
	v_mov_b32_e32 v17, v95
	v_mov_b32_e32 v16, v95
	s_waitcnt vmcnt(1)
	v_mov_b32_e32 v15, v95
	v_mov_b32_e32 v14, v95
	;; [unrolled: 1-line block ×16, first 2 shown]
	s_and_saveexec_b64 s[0:1], vcc
	s_cbranch_execz .LBB311_35
; %bb.11:                               ;   in Loop: Header=BB311_7 Depth=1
	v_mov_b32_e32 v0, 0
	s_mov_b64 s[2:3], 0
	v_mov_b32_e32 v1, v0
	v_mov_b32_e32 v2, v0
	;; [unrolled: 1-line block ×95, first 2 shown]
	s_branch .LBB311_13
.LBB311_12:                             ;   in Loop: Header=BB311_13 Depth=2
	s_or_b64 exec, exec, s[4:5]
	v_add_u32_e32 v114, 0x2800, v110
	ds_read2_b32 v[112:113], v114 offset1:32
	v_add_u32_e32 v101, s59, v101
	s_waitcnt lgkmcnt(0)
	v_mfma_f32_32x32x16_fp8_fp8 v[0:15], v[108:109], v[112:113], v[0:15]
	ds_read2_b32 v[108:109], v114 offset0:128 offset1:160
	s_waitcnt lgkmcnt(0)
	v_mfma_f32_32x32x16_fp8_fp8 v[0:15], v[106:107], v[108:109], v[0:15]
	v_add_u32_e32 v108, 0x2c00, v110
	ds_read2_b32 v[106:107], v108 offset1:32
	ds_read2_b32 v[108:109], v108 offset0:128 offset1:160
	ds_write_b32 v98, v99 offset:36908
	s_waitcnt lgkmcnt(2)
	v_mfma_f32_32x32x16_fp8_fp8 v[0:15], v[104:105], v[106:107], v[0:15]
	v_add_u32_e32 v104, s59, v97
	v_add_u32_e32 v97, 2, v111
	v_cmp_lt_i32_e32 vcc, 1, v104
	s_nop 1
	v_cndmask_b32_e32 v111, v111, v97, vcc
	v_cmp_le_i32_e32 vcc, s41, v101
	s_waitcnt lgkmcnt(1)
	v_mfma_f32_32x32x16_fp8_fp8 v[0:15], v[102:103], v[108:109], v[0:15]
	s_or_b64 s[2:3], vcc, s[2:3]
	s_andn2_b64 exec, exec, s[2:3]
	s_cbranch_execz .LBB311_34
.LBB311_13:                             ;   Parent Loop BB311_7 Depth=1
                                        ; =>  This Loop Header: Depth=2
                                        ;       Child Loop BB311_15 Depth 3
                                        ;       Child Loop BB311_18 Depth 3
	;; [unrolled: 1-line block ×7, first 2 shown]
	v_cmp_gt_i32_e32 vcc, 2, v104
	s_nop 1
	v_cndmask_b32_e64 v97, -2, 0, vcc
	v_add_u32_e32 v97, v97, v104
	v_mul_lo_u32 v98, v97, 48
	ds_read_b32 v99, v98 offset:36864
	s_waitcnt lgkmcnt(0)
	v_cmp_ne_u32_e32 vcc, v99, v111
	s_and_saveexec_b64 s[4:5], vcc
	s_cbranch_execz .LBB311_16
; %bb.14:                               ;   in Loop: Header=BB311_13 Depth=2
	s_mov_b64 s[6:7], 0
.LBB311_15:                             ;   Parent Loop BB311_7 Depth=1
                                        ;     Parent Loop BB311_13 Depth=2
                                        ; =>    This Inner Loop Header: Depth=3
	;;#ASMSTART
	s_sleep 0
	;;#ASMEND
	ds_read_b32 v99, v98 offset:36864
	s_waitcnt lgkmcnt(0)
	v_cmp_eq_u32_e32 vcc, v99, v111
	s_or_b64 s[6:7], vcc, s[6:7]
	s_andn2_b64 exec, exec, s[6:7]
	s_cbranch_execnz .LBB311_15
.LBB311_16:                             ;   in Loop: Header=BB311_13 Depth=2
	s_or_b64 exec, exec, s[4:5]
	v_lshl_add_u32 v99, v97, 11, v116
	ds_read2_b32 v[108:109], v99 offset1:32
	ds_read2_b32 v[106:107], v99 offset0:128 offset1:160
	v_add_u32_e32 v99, 0x400, v99
	ds_read2_b32 v[104:105], v99 offset1:32
	ds_read_b32 v110, v98 offset:36868
	ds_read2_b32 v[102:103], v99 offset0:128 offset1:160
	v_add_u32_e32 v99, 1, v111
	ds_write_b32 v98, v99 offset:36864
	s_waitcnt lgkmcnt(2)
	v_cmp_ne_u32_e32 vcc, v110, v111
	s_and_saveexec_b64 s[4:5], vcc
	s_cbranch_execz .LBB311_19
; %bb.17:                               ;   in Loop: Header=BB311_13 Depth=2
	s_mov_b64 s[6:7], 0
.LBB311_18:                             ;   Parent Loop BB311_7 Depth=1
                                        ;     Parent Loop BB311_13 Depth=2
                                        ; =>    This Inner Loop Header: Depth=3
	;;#ASMSTART
	s_sleep 0
	;;#ASMEND
	ds_read_b32 v110, v98 offset:36868
	s_waitcnt lgkmcnt(0)
	v_cmp_eq_u32_e32 vcc, v110, v111
	s_or_b64 s[6:7], vcc, s[6:7]
	s_andn2_b64 exec, exec, s[6:7]
	s_cbranch_execnz .LBB311_18
.LBB311_19:                             ;   in Loop: Header=BB311_13 Depth=2
	s_or_b64 exec, exec, s[4:5]
	s_movk_i32 s4, 0x3000
	v_mul_lo_u32 v110, v97, s4
	v_or_b32_e32 v114, v117, v110
	ds_read2_b32 v[112:113], v114 offset1:32
	ds_write_b32 v98, v99 offset:36868
	s_waitcnt lgkmcnt(1)
	v_mfma_f32_32x32x16_fp8_fp8 v[80:95], v[108:109], v[112:113], v[80:95]
	ds_read2_b32 v[112:113], v114 offset0:128 offset1:160
	v_add_u32_e32 v114, 0x400, v114
	s_waitcnt lgkmcnt(0)
	v_mfma_f32_32x32x16_fp8_fp8 v[80:95], v[106:107], v[112:113], v[80:95]
	ds_read2_b32 v[112:113], v114 offset1:32
	s_waitcnt lgkmcnt(0)
	v_mfma_f32_32x32x16_fp8_fp8 v[80:95], v[104:105], v[112:113], v[80:95]
	ds_read2_b32 v[112:113], v114 offset0:128 offset1:160
	ds_read_b32 v114, v98 offset:36876
	s_waitcnt lgkmcnt(0)
	v_cmp_ne_u32_e32 vcc, v114, v111
	v_mfma_f32_32x32x16_fp8_fp8 v[80:95], v[102:103], v[112:113], v[80:95]
	s_and_saveexec_b64 s[4:5], vcc
	s_cbranch_execz .LBB311_22
; %bb.20:                               ;   in Loop: Header=BB311_13 Depth=2
	s_mov_b64 s[6:7], 0
.LBB311_21:                             ;   Parent Loop BB311_7 Depth=1
                                        ;     Parent Loop BB311_13 Depth=2
                                        ; =>    This Inner Loop Header: Depth=3
	;;#ASMSTART
	s_sleep 0
	;;#ASMEND
	ds_read_b32 v112, v98 offset:36876
	s_waitcnt lgkmcnt(0)
	v_cmp_eq_u32_e32 vcc, v112, v111
	s_or_b64 s[6:7], vcc, s[6:7]
	s_andn2_b64 exec, exec, s[6:7]
	s_cbranch_execnz .LBB311_21
.LBB311_22:                             ;   in Loop: Header=BB311_13 Depth=2
	s_or_b64 exec, exec, s[4:5]
	v_add_u32_e32 v110, v117, v110
	v_add_u32_e32 v114, 0x800, v110
	ds_read2_b32 v[112:113], v114 offset1:32
	ds_write_b32 v98, v99 offset:36876
	s_waitcnt lgkmcnt(1)
	v_mfma_f32_32x32x16_fp8_fp8 v[64:79], v[108:109], v[112:113], v[64:79]
	ds_read2_b32 v[112:113], v114 offset0:128 offset1:160
	v_add_u32_e32 v114, 0xc00, v110
	s_waitcnt lgkmcnt(0)
	v_mfma_f32_32x32x16_fp8_fp8 v[64:79], v[106:107], v[112:113], v[64:79]
	ds_read2_b32 v[112:113], v114 offset1:32
	s_waitcnt lgkmcnt(0)
	v_mfma_f32_32x32x16_fp8_fp8 v[64:79], v[104:105], v[112:113], v[64:79]
	ds_read2_b32 v[112:113], v114 offset0:128 offset1:160
	ds_read_b32 v114, v98 offset:36884
	s_waitcnt lgkmcnt(0)
	v_cmp_ne_u32_e32 vcc, v114, v111
	v_mfma_f32_32x32x16_fp8_fp8 v[64:79], v[102:103], v[112:113], v[64:79]
	s_and_saveexec_b64 s[4:5], vcc
	s_cbranch_execz .LBB311_25
; %bb.23:                               ;   in Loop: Header=BB311_13 Depth=2
	s_mov_b64 s[6:7], 0
.LBB311_24:                             ;   Parent Loop BB311_7 Depth=1
                                        ;     Parent Loop BB311_13 Depth=2
                                        ; =>    This Inner Loop Header: Depth=3
	;;#ASMSTART
	s_sleep 0
	;;#ASMEND
	ds_read_b32 v112, v98 offset:36884
	s_waitcnt lgkmcnt(0)
	v_cmp_eq_u32_e32 vcc, v112, v111
	s_or_b64 s[6:7], vcc, s[6:7]
	s_andn2_b64 exec, exec, s[6:7]
	s_cbranch_execnz .LBB311_24
.LBB311_25:                             ;   in Loop: Header=BB311_13 Depth=2
	s_or_b64 exec, exec, s[4:5]
	v_add_u32_e32 v114, 0x1000, v110
	ds_read2_b32 v[112:113], v114 offset1:32
	s_waitcnt lgkmcnt(0)
	v_mfma_f32_32x32x16_fp8_fp8 v[48:63], v[108:109], v[112:113], v[48:63]
	ds_read2_b32 v[112:113], v114 offset0:128 offset1:160
	v_add_u32_e32 v114, 0x1400, v110
	s_waitcnt lgkmcnt(0)
	v_mfma_f32_32x32x16_fp8_fp8 v[48:63], v[106:107], v[112:113], v[48:63]
	ds_read2_b32 v[112:113], v114 offset1:32
	s_waitcnt lgkmcnt(0)
	v_mfma_f32_32x32x16_fp8_fp8 v[48:63], v[104:105], v[112:113], v[48:63]
	ds_read_b32 v115, v98 offset:36892
	ds_read2_b32 v[112:113], v114 offset0:128 offset1:160
	ds_write_b32 v98, v99 offset:36884
	s_waitcnt lgkmcnt(2)
	v_cmp_ne_u32_e32 vcc, v115, v111
	s_waitcnt lgkmcnt(1)
	v_mfma_f32_32x32x16_fp8_fp8 v[48:63], v[102:103], v[112:113], v[48:63]
	s_and_saveexec_b64 s[4:5], vcc
	s_cbranch_execz .LBB311_28
; %bb.26:                               ;   in Loop: Header=BB311_13 Depth=2
	s_mov_b64 s[6:7], 0
.LBB311_27:                             ;   Parent Loop BB311_7 Depth=1
                                        ;     Parent Loop BB311_13 Depth=2
                                        ; =>    This Inner Loop Header: Depth=3
	;;#ASMSTART
	s_sleep 0
	;;#ASMEND
	ds_read_b32 v112, v98 offset:36892
	s_waitcnt lgkmcnt(0)
	v_cmp_eq_u32_e32 vcc, v112, v111
	s_or_b64 s[6:7], vcc, s[6:7]
	s_andn2_b64 exec, exec, s[6:7]
	s_cbranch_execnz .LBB311_27
.LBB311_28:                             ;   in Loop: Header=BB311_13 Depth=2
	s_or_b64 exec, exec, s[4:5]
	v_add_u32_e32 v114, 0x1800, v110
	ds_read2_b32 v[112:113], v114 offset1:32
	s_waitcnt lgkmcnt(0)
	v_mfma_f32_32x32x16_fp8_fp8 v[32:47], v[108:109], v[112:113], v[32:47]
	ds_read2_b32 v[112:113], v114 offset0:128 offset1:160
	v_add_u32_e32 v114, 0x1c00, v110
	s_waitcnt lgkmcnt(0)
	v_mfma_f32_32x32x16_fp8_fp8 v[32:47], v[106:107], v[112:113], v[32:47]
	ds_read2_b32 v[112:113], v114 offset1:32
	s_waitcnt lgkmcnt(0)
	v_mfma_f32_32x32x16_fp8_fp8 v[32:47], v[104:105], v[112:113], v[32:47]
	ds_read_b32 v115, v98 offset:36900
	ds_read2_b32 v[112:113], v114 offset0:128 offset1:160
	ds_write_b32 v98, v99 offset:36892
	s_waitcnt lgkmcnt(2)
	v_cmp_ne_u32_e32 vcc, v115, v111
	s_waitcnt lgkmcnt(1)
	;; [unrolled: 36-line block ×3, first 2 shown]
	v_mfma_f32_32x32x16_fp8_fp8 v[16:31], v[102:103], v[112:113], v[16:31]
	s_and_saveexec_b64 s[4:5], vcc
	s_cbranch_execz .LBB311_12
; %bb.32:                               ;   in Loop: Header=BB311_13 Depth=2
	s_mov_b64 s[6:7], 0
.LBB311_33:                             ;   Parent Loop BB311_7 Depth=1
                                        ;     Parent Loop BB311_13 Depth=2
                                        ; =>    This Inner Loop Header: Depth=3
	;;#ASMSTART
	s_sleep 0
	;;#ASMEND
	ds_read_b32 v112, v98 offset:36908
	s_waitcnt lgkmcnt(0)
	v_cmp_eq_u32_e32 vcc, v112, v111
	s_or_b64 s[6:7], vcc, s[6:7]
	s_andn2_b64 exec, exec, s[6:7]
	s_cbranch_execnz .LBB311_33
	s_branch .LBB311_12
.LBB311_34:                             ;   in Loop: Header=BB311_7 Depth=1
	s_or_b64 exec, exec, s[2:3]
.LBB311_35:                             ;   in Loop: Header=BB311_7 Depth=1
	v_writelane_b32 v126, s48, 34
	s_nop 1
	v_writelane_b32 v126, s49, 35
	v_writelane_b32 v126, s46, 36
	s_nop 1
	v_writelane_b32 v126, s47, 37
	;; [unrolled: 3-line block ×4, first 2 shown]
	v_writelane_b32 v126, s41, 42
	v_writelane_b32 v126, s40, 43
	;; [unrolled: 1-line block ×3, first 2 shown]
	s_or_b64 exec, exec, s[0:1]
	v_cmp_le_i32_e32 vcc, s8, v100
	v_or_b32_e32 v97, 32, v100
	scratch_store_dwordx2 off, v[118:119], off ; 8-byte Folded Spill
	s_waitcnt vmcnt(1)
	v_cndmask_b32_e32 v98, 0, v96, vcc
	v_cmp_le_i32_e32 vcc, s8, v97
	v_or_b32_e32 v97, 64, v100
	v_pk_mul_f32 v[112:113], v[98:99], v[94:95] op_sel_hi:[0,1]
	v_pk_mul_f32 v[92:93], v[98:99], v[92:93] op_sel_hi:[0,1]
	v_pk_mul_f32 v[90:91], v[98:99], v[90:91] op_sel_hi:[0,1]
	v_pk_mul_f32 v[88:89], v[98:99], v[88:89] op_sel_hi:[0,1]
	v_pk_mul_f32 v[86:87], v[98:99], v[86:87] op_sel_hi:[0,1]
	v_pk_mul_f32 v[84:85], v[98:99], v[84:85] op_sel_hi:[0,1]
	v_pk_mul_f32 v[82:83], v[98:99], v[82:83] op_sel_hi:[0,1]
	v_pk_mul_f32 v[80:81], v[98:99], v[80:81] op_sel_hi:[0,1]
	v_cndmask_b32_e32 v98, 0, v96, vcc
	v_cmp_le_i32_e32 vcc, s8, v97
	v_or_b32_e32 v97, 0x60, v100
	v_pk_mul_f32 v[102:103], v[98:99], v[66:67] op_sel_hi:[0,1]
	v_cndmask_b32_e32 v66, 0, v96, vcc
	v_cmp_le_i32_e32 vcc, s8, v97
	v_or_b32_e32 v97, 0x80, v100
	v_pk_mul_f32 v[116:117], v[66:67], v[48:49] op_sel_hi:[0,1]
	v_cndmask_b32_e32 v48, 0, v96, vcc
	v_cmp_le_i32_e32 vcc, s8, v97
	v_or_b32_e32 v97, 0xa0, v100
	scratch_load_dword v100, off, off offset:48 ; 4-byte Folded Reload
	scratch_load_dword v118, off, off offset:56 ; 4-byte Folded Reload
	v_pk_mul_f32 v[46:47], v[48:49], v[46:47] op_sel_hi:[0,1]
	v_pk_mul_f32 v[44:45], v[48:49], v[44:45] op_sel_hi:[0,1]
	;; [unrolled: 1-line block ×8, first 2 shown]
	v_cndmask_b32_e32 v48, 0, v96, vcc
	v_cmp_le_i32_e32 vcc, s8, v97
	v_pk_mul_f32 v[30:31], v[48:49], v[30:31] op_sel_hi:[0,1]
	v_pk_mul_f32 v[28:29], v[48:49], v[28:29] op_sel_hi:[0,1]
	;; [unrolled: 1-line block ×8, first 2 shown]
	v_cndmask_b32_e32 v48, 0, v96, vcc
	v_pk_mul_f32 v[14:15], v[48:49], v[14:15] op_sel_hi:[0,1]
	v_pk_mul_f32 v[12:13], v[48:49], v[12:13] op_sel_hi:[0,1]
	;; [unrolled: 1-line block ×22, first 2 shown]
                                        ; implicit-def: $vgpr127 : SGPR spill to VGPR lane
	s_waitcnt vmcnt(1)
	v_cmp_eq_u32_e64 s[6:7], 1, v100
	s_nop 1
	v_cndmask_b32_e64 v48, v80, v81, s[6:7]
	v_cmp_eq_u32_e64 s[40:41], 2, v100
	v_cmp_eq_u32_e64 s[42:43], 3, v100
	v_cmp_eq_u32_e32 vcc, 4, v100
	v_cndmask_b32_e64 v48, v48, v82, s[40:41]
	v_cndmask_b32_e64 v48, v48, v83, s[42:43]
	v_cndmask_b32_e32 v48, v48, v84, vcc
	v_cmp_eq_u32_e64 s[0:1], 5, v100
	v_cmp_eq_u32_e64 s[2:3], 6, v100
	v_cmp_eq_u32_e64 s[30:31], 7, v100
	v_cndmask_b32_e64 v48, v48, v85, s[0:1]
	v_cndmask_b32_e64 v48, v48, v86, s[2:3]
	v_cndmask_b32_e64 v48, v48, v87, s[30:31]
	v_cmp_eq_u32_e64 s[26:27], 8, v100
	v_cmp_eq_u32_e64 s[24:25], 9, v100
	v_cmp_eq_u32_e64 s[22:23], 10, v100
	v_cndmask_b32_e64 v48, v48, v88, s[26:27]
	v_cndmask_b32_e64 v48, v48, v89, s[24:25]
	v_cndmask_b32_e64 v48, v48, v90, s[22:23]
	;; [unrolled: 6-line block ×3, first 2 shown]
	v_cmp_eq_u32_e64 s[12:13], 14, v100
	v_cmp_eq_u32_e64 s[10:11], 15, v100
	;; [unrolled: 1-line block ×3, first 2 shown]
	v_cndmask_b32_e64 v48, v48, v112, s[12:13]
	v_cndmask_b32_e64 v48, v48, v113, s[10:11]
	ds_bpermute_b32 v48, v120, v48
	s_waitcnt vmcnt(0)
	v_cmp_eq_u32_e64 s[44:45], 1, v118
	v_cmp_eq_u32_e64 s[8:9], 3, v118
	s_waitcnt lgkmcnt(0)
	v_cndmask_b32_e64 v75, v87, v48, s[30:31]
	scratch_load_dword v87, off, off offset:52 ; 4-byte Folded Reload
	v_cndmask_b32_e64 v81, v81, v48, s[6:7]
	v_cndmask_b32_e64 v80, v80, v48, s[46:47]
	;; [unrolled: 1-line block ×12, first 2 shown]
	v_cndmask_b32_e32 v84, v84, v48, vcc
	v_cndmask_b32_e64 v83, v83, v48, s[42:43]
	v_cndmask_b32_e64 v82, v82, v48, s[40:41]
	s_waitcnt vmcnt(0)
	v_cmp_eq_u32_e64 s[4:5], 1, v87
	s_nop 1
	v_cndmask_b32_e64 v48, v80, v81, s[4:5]
	v_cmp_eq_u32_e64 s[28:29], 2, v87
	v_cmp_eq_u32_e64 s[34:35], 3, v87
	v_cmp_eq_u32_e64 s[36:37], 4, v87
	v_cndmask_b32_e64 v48, v48, v82, s[28:29]
	v_cndmask_b32_e64 v48, v48, v83, s[34:35]
	v_cndmask_b32_e64 v48, v48, v84, s[36:37]
	v_cmp_eq_u32_e64 s[38:39], 5, v87
	v_cmp_eq_u32_e64 s[48:49], 6, v87
	v_cmp_eq_u32_e64 s[52:53], 7, v87
	v_cndmask_b32_e64 v48, v48, v85, s[38:39]
	v_cndmask_b32_e64 v48, v48, v77, s[48:49]
	;; [unrolled: 6-line block ×5, first 2 shown]
	ds_bpermute_b32 v86, v120, v48
	s_waitcnt lgkmcnt(0)
	v_cndmask_b32_e64 v121, v50, v86, s[80:81]
	v_cndmask_b32_e64 v50, v94, v95, s[6:7]
	;; [unrolled: 1-line block ×4, first 2 shown]
	v_cndmask_b32_e32 v50, v50, v114, vcc
	v_cndmask_b32_e64 v50, v50, v115, s[0:1]
	v_cndmask_b32_e64 v50, v50, v70, s[2:3]
	;; [unrolled: 1-line block ×13, first 2 shown]
	ds_bpermute_b32 v82, v120, v50
	v_cndmask_b32_e64 v76, v74, v86, s[56:57]
	v_cndmask_b32_e64 v74, v75, v86, s[52:53]
	;; [unrolled: 1-line block ×4, first 2 shown]
	s_waitcnt lgkmcnt(0)
	v_cndmask_b32_e64 v112, v70, v82, s[2:3]
	v_cndmask_b32_e64 v70, v116, v117, s[6:7]
	;; [unrolled: 1-line block ×4, first 2 shown]
	v_cndmask_b32_e32 v70, v70, v52, vcc
	v_cndmask_b32_e64 v70, v70, v53, s[0:1]
	v_cndmask_b32_e64 v70, v70, v54, s[2:3]
	;; [unrolled: 1-line block ×11, first 2 shown]
	ds_bpermute_b32 v70, v120, v70
	v_cndmask_b32_e64 v77, v107, v82, s[14:15]
	v_cndmask_b32_e64 v107, v108, v82, s[22:23]
	;; [unrolled: 1-line block ×4, first 2 shown]
	s_waitcnt lgkmcnt(0)
	v_cndmask_b32_e32 v96, v52, v70, vcc
	v_cndmask_b32_e64 v52, v32, v33, s[6:7]
	v_cndmask_b32_e64 v52, v52, v34, s[40:41]
	v_cndmask_b32_e64 v52, v52, v35, s[42:43]
	v_cndmask_b32_e32 v52, v52, v36, vcc
	v_cndmask_b32_e64 v52, v52, v37, s[0:1]
	v_cndmask_b32_e64 v52, v52, v38, s[2:3]
	;; [unrolled: 1-line block ×12, first 2 shown]
	ds_bpermute_b32 v59, v120, v52
	v_cndmask_b32_e64 v125, v67, v86, s[68:69]
	v_cndmask_b32_e64 v66, v68, v86, s[64:65]
	v_cndmask_b32_e64 v67, v69, v86, s[60:61]
	v_cndmask_b32_e64 v68, v85, v86, s[38:39]
	s_waitcnt lgkmcnt(0)
	v_cndmask_b32_e64 v73, v33, v59, s[6:7]
	scratch_load_dword v33, off, off offset:60 ; 4-byte Folded Reload
	v_cndmask_b32_e64 v69, v84, v86, s[36:37]
	v_cndmask_b32_e64 v48, v83, v86, s[34:35]
	;; [unrolled: 1-line block ×11, first 2 shown]
	v_cndmask_b32_e32 v114, v114, v82, vcc
	v_cndmask_b32_e64 v85, v103, v82, s[42:43]
	v_cndmask_b32_e64 v86, v102, v82, s[40:41]
	;; [unrolled: 1-line block ×8, first 2 shown]
	v_cndmask_b32_e32 v35, v35, v20, vcc
	v_cndmask_b32_e64 v35, v35, v21, s[0:1]
	v_cndmask_b32_e64 v35, v35, v22, s[2:3]
	v_cndmask_b32_e64 v35, v35, v23, s[30:31]
	v_cndmask_b32_e64 v35, v35, v24, s[26:27]
	v_cndmask_b32_e64 v35, v35, v25, s[24:25]
	v_cndmask_b32_e64 v35, v35, v26, s[22:23]
	v_cndmask_b32_e64 v35, v35, v27, s[20:21]
	v_cndmask_b32_e64 v35, v35, v28, s[18:19]
	v_cndmask_b32_e64 v35, v35, v29, s[14:15]
	v_cndmask_b32_e64 v35, v35, v30, s[12:13]
	v_cndmask_b32_e64 v35, v35, v31, s[10:11]
	ds_bpermute_b32 v35, v120, v35
	v_cndmask_b32_e64 v102, v117, v70, s[6:7]
	v_cndmask_b32_e64 v72, v32, v59, s[46:47]
	;; [unrolled: 1-line block ×4, first 2 shown]
	s_waitcnt lgkmcnt(0)
	v_cndmask_b32_e64 v80, v16, v35, s[46:47]
	v_cndmask_b32_e64 v16, v0, v1, s[6:7]
	;; [unrolled: 1-line block ×4, first 2 shown]
	v_cndmask_b32_e32 v16, v16, v4, vcc
	v_cndmask_b32_e64 v16, v16, v5, s[0:1]
	v_cndmask_b32_e64 v16, v16, v6, s[2:3]
	v_cndmask_b32_e64 v16, v16, v7, s[30:31]
	v_cndmask_b32_e64 v16, v16, v8, s[26:27]
	v_cndmask_b32_e64 v16, v16, v9, s[24:25]
	v_cndmask_b32_e64 v16, v16, v10, s[22:23]
	v_cndmask_b32_e64 v16, v16, v11, s[20:21]
	v_cndmask_b32_e64 v16, v16, v12, s[18:19]
	v_cndmask_b32_e64 v16, v16, v13, s[14:15]
	v_cndmask_b32_e64 v16, v16, v14, s[12:13]
	v_cndmask_b32_e64 v16, v16, v15, s[10:11]
	ds_bpermute_b32 v16, v120, v16
	v_cndmask_b32_e64 v17, v17, v35, s[6:7]
	v_cmp_eq_u32_e64 s[6:7], 2, v118
	scratch_store_dword off, v17, off offset:28 ; 4-byte Folded Spill
	v_cndmask_b32_e64 v47, v47, v59, s[10:11]
	v_cndmask_b32_e64 v17, v32, v49, s[6:7]
	;; [unrolled: 1-line block ×4, first 2 shown]
	s_waitcnt lgkmcnt(0)
	v_cndmask_b32_e64 v15, v15, v16, s[10:11]
	v_cmp_eq_u32_e64 s[10:11], 4, v118
	v_cndmask_b32_e64 v90, v62, v70, s[12:13]
	v_cndmask_b32_e64 v46, v46, v59, s[12:13]
	v_cndmask_b32_e64 v37, v37, v59, s[0:1]
	v_cndmask_b32_e64 v30, v30, v35, s[12:13]
	v_cndmask_b32_e64 v17, v17, v69, s[10:11]
	v_cndmask_b32_e64 v14, v14, v16, s[12:13]
	v_cmp_eq_u32_e64 s[12:13], 5, v118
	v_cndmask_b32_e64 v91, v61, v70, s[14:15]
	v_cndmask_b32_e64 v45, v45, v59, s[14:15]
	scratch_store_dword off, v37, off offset:8 ; 4-byte Folded Spill
	v_cndmask_b32_e64 v37, v29, v35, s[14:15]
	v_cndmask_b32_e64 v17, v17, v68, s[12:13]
	;; [unrolled: 1-line block ×3, first 2 shown]
	v_cmp_eq_u32_e64 s[14:15], 6, v118
	v_cndmask_b32_e64 v92, v60, v70, s[18:19]
	v_cndmask_b32_e64 v99, v64, v70, s[40:41]
	;; [unrolled: 1-line block ×7, first 2 shown]
	v_cmp_eq_u32_e64 s[18:19], 7, v118
	v_cndmask_b32_e64 v95, v57, v70, s[24:25]
	v_cndmask_b32_e64 v57, v43, v59, s[20:21]
	;; [unrolled: 1-line block ×5, first 2 shown]
	v_cmp_eq_u32_e64 s[20:21], 8, v118
	v_cndmask_b32_e64 v94, v58, v70, s[22:23]
	v_cndmask_b32_e64 v58, v42, v59, s[22:23]
	;; [unrolled: 1-line block ×5, first 2 shown]
	v_cmp_eq_u32_e64 s[22:23], 9, v118
	v_cndmask_b32_e64 v52, v41, v59, s[24:25]
	v_cndmask_b32_e64 v60, v40, v59, s[26:27]
	;; [unrolled: 1-line block ×3, first 2 shown]
	v_cndmask_b32_e32 v36, v36, v59, vcc
	v_cndmask_b32_e64 v81, v34, v59, s[40:41]
	v_cndmask_b32_e64 v59, v25, v35, s[24:25]
	;; [unrolled: 1-line block ×4, first 2 shown]
	v_cmp_eq_u32_e64 s[24:25], 10, v118
	v_cndmask_b32_e64 v56, v56, v70, s[26:27]
	v_cndmask_b32_e64 v61, v24, v35, s[26:27]
	;; [unrolled: 1-line block ×4, first 2 shown]
	v_cmp_eq_u32_e64 s[26:27], 11, v118
	v_cndmask_b32_e64 v55, v55, v70, s[30:31]
	v_cndmask_b32_e64 v103, v116, v70, s[46:47]
	;; [unrolled: 1-line block ×5, first 2 shown]
	v_cmp_eq_u32_e64 s[30:31], 12, v118
	v_cndmask_b32_e64 v54, v54, v70, s[2:3]
	v_cndmask_b32_e64 v63, v22, v35, s[2:3]
	;; [unrolled: 1-line block ×4, first 2 shown]
	v_cmp_eq_u32_e64 s[2:3], 13, v118
	v_cndmask_b32_e64 v53, v53, v70, s[0:1]
	v_cndmask_b32_e64 v97, v65, v70, s[42:43]
	v_cndmask_b32_e64 v65, v21, v35, s[0:1]
	v_cndmask_b32_e64 v6, v7, v122, s[2:3]
	v_cndmask_b32_e64 v5, v5, v16, s[0:1]
	v_cmp_eq_u32_e64 s[0:1], 14, v118
	v_cndmask_b32_e32 v20, v20, v35, vcc
	v_cndmask_b32_e32 v4, v4, v16, vcc
	v_cndmask_b32_e64 v6, v6, v121, s[0:1]
	v_cmp_eq_u32_e32 vcc, 15, v118
	v_cndmask_b32_e64 v19, v19, v35, s[42:43]
	v_cndmask_b32_e64 v18, v18, v35, s[40:41]
	v_cndmask_b32_e32 v6, v6, v98, vcc
	ds_bpermute_b32 v7, v120, v6
	v_cndmask_b32_e64 v6, v3, v16, s[42:43]
	v_cmp_eq_u32_e64 s[42:43], 0, v118
	s_waitcnt vmcnt(2)
	v_cmp_eq_u32_e64 s[58:59], 1, v33
	v_cndmask_b32_e64 v71, v0, v16, s[46:47]
	s_waitcnt lgkmcnt(0)
	v_cndmask_b32_e32 v8, v98, v7, vcc
	v_cndmask_b32_e64 v27, v51, v7, s[44:45]
	v_writelane_b32 v126, s42, 45
	v_cndmask_b32_e64 v98, v2, v16, s[40:41]
	v_cmp_ne_u32_e64 s[40:41], 0, v100
	v_cndmask_b32_e64 v32, v50, v7, s[42:43]
	v_cndmask_b32_e64 v26, v49, v7, s[6:7]
	;; [unrolled: 1-line block ×4, first 2 shown]
	v_cmp_eq_u32_e64 s[40:41], 2, v33
	v_cndmask_b32_e64 v25, v48, v7, s[8:9]
	v_cmp_eq_u32_e64 s[46:47], 3, v33
	v_cndmask_b32_e64 v0, v1, v26, s[40:41]
	v_cndmask_b32_e64 v24, v69, v7, s[10:11]
	;; [unrolled: 1-line block ×3, first 2 shown]
	v_cmp_eq_u32_e64 s[50:51], 4, v33
	v_cndmask_b32_e64 v23, v68, v7, s[12:13]
	v_cmp_eq_u32_e64 s[54:55], 5, v33
	v_cndmask_b32_e64 v0, v0, v24, s[50:51]
	v_cndmask_b32_e64 v22, v75, v7, s[14:15]
	;; [unrolled: 1-line block ×3, first 2 shown]
	v_cmp_eq_u32_e64 s[62:63], 6, v33
	v_cndmask_b32_e64 v21, v74, v7, s[18:19]
	v_cmp_eq_u32_e64 s[66:67], 7, v33
	v_cndmask_b32_e64 v0, v0, v22, s[62:63]
	scratch_store_dword off, v20, off offset:16 ; 4-byte Folded Spill
	v_cndmask_b32_e64 v20, v76, v7, s[20:21]
	v_cndmask_b32_e64 v0, v0, v21, s[66:67]
	v_cmp_eq_u32_e64 s[70:71], 8, v33
	scratch_store_dword off, v19, off offset:20 ; 4-byte Folded Spill
	v_cndmask_b32_e64 v19, v67, v7, s[22:23]
	v_cndmask_b32_e64 v0, v0, v20, s[70:71]
	v_cmp_eq_u32_e64 s[74:75], 9, v33
	;; [unrolled: 4-line block ×3, first 2 shown]
	v_cndmask_b32_e64 v17, v125, v7, s[26:27]
	v_cmp_eq_u32_e64 s[82:83], 11, v33
	v_cndmask_b32_e64 v0, v0, v18, s[78:79]
	v_cndmask_b32_e64 v11, v123, v7, s[30:31]
	;; [unrolled: 1-line block ×3, first 2 shown]
	v_cmp_eq_u32_e64 s[86:87], 12, v33
	v_cndmask_b32_e64 v10, v122, v7, s[2:3]
	s_mov_b64 s[96:97], s[40:41]
	v_cndmask_b32_e64 v0, v0, v11, s[86:87]
	v_cmp_eq_u32_e64 s[40:41], 13, v33
	v_cndmask_b32_e64 v9, v121, v7, s[0:1]
	v_writelane_b32 v126, s43, 46
	v_cndmask_b32_e64 v0, v0, v10, s[40:41]
	v_cmp_eq_u32_e64 s[42:43], 14, v33
	v_cmp_eq_u32_e64 s[98:99], 15, v33
	v_writelane_b32 v126, s96, 47
	v_cndmask_b32_e64 v0, v0, v9, s[42:43]
	v_cndmask_b32_e64 v0, v0, v8, s[98:99]
	ds_bpermute_b32 v16, v120, v0
	v_writelane_b32 v126, s97, 48
	scratch_store_dword off, v36, off offset:12 ; 4-byte Folded Spill
	s_waitcnt lgkmcnt(0)
	v_cndmask_b32_e64 v2, v9, v16, s[42:43]
	v_cndmask_b32_e64 v9, v17, v16, s[82:83]
	v_cndmask_b32_e64 v17, v88, v87, s[4:5]
	v_cndmask_b32_e64 v50, v26, v16, s[96:97]
	v_cmp_eq_u32_e64 s[96:97], 0, v33
	v_cndmask_b32_e64 v1, v8, v16, s[98:99]
	v_cndmask_b32_e64 v7, v10, v16, s[40:41]
	;; [unrolled: 1-line block ×13, first 2 shown]
	v_writelane_b32 v126, s96, 49
	v_cndmask_b32_e64 v17, v17, v85, s[34:35]
	v_cndmask_b32_e64 v17, v17, v114, s[36:37]
	;; [unrolled: 1-line block ×28, first 2 shown]
	ds_bpermute_b32 v18, v120, v17
	v_cndmask_b32_e64 v16, v16, v89, s[84:85]
	ds_bpermute_b32 v42, v120, v16
	v_writelane_b32 v126, s97, 50
	s_waitcnt lgkmcnt(1)
	v_cndmask_b32_e64 v121, v88, v18, s[16:17]
	scratch_load_dword v88, off, off offset:12 ; 4-byte Folded Reload
	s_waitcnt lgkmcnt(0)
	v_cndmask_b32_e64 v122, v89, v42, s[84:85]
	v_cndmask_b32_e64 v32, v90, v42, s[80:81]
	;; [unrolled: 1-line block ×5, first 2 shown]
	scratch_load_dword v89, off, off offset:28 ; 4-byte Folded Reload
	scratch_load_dword v90, off, off offset:24 ; 4-byte Folded Reload
	scratch_load_dword v91, off, off offset:20 ; 4-byte Folded Reload
	scratch_load_dword v92, off, off offset:16 ; 4-byte Folded Reload
	scratch_load_dword v93, off, off offset:8 ; 4-byte Folded Reload
	v_cndmask_b32_e64 v21, v53, v42, s[38:39]
	v_cndmask_b32_e64 v53, v72, v73, s[4:5]
	;; [unrolled: 1-line block ×29, first 2 shown]
	s_waitcnt vmcnt(5)
	v_cndmask_b32_e64 v53, v53, v88, s[36:37]
	s_waitcnt vmcnt(0)
	v_cndmask_b32_e64 v53, v53, v93, s[38:39]
	v_cndmask_b32_e64 v53, v53, v64, s[48:49]
	;; [unrolled: 1-line block ×11, first 2 shown]
	ds_bpermute_b32 v85, v120, v53
	v_cndmask_b32_e64 v53, v80, v89, s[4:5]
	v_cndmask_b32_e64 v53, v53, v90, s[28:29]
	;; [unrolled: 1-line block ×15, first 2 shown]
	ds_bpermute_b32 v86, v120, v53
	v_cndmask_b32_e64 v53, v71, v3, s[4:5]
	v_cndmask_b32_e64 v53, v53, v98, s[28:29]
	;; [unrolled: 1-line block ×15, first 2 shown]
	ds_bpermute_b32 v87, v120, v53
	s_waitcnt lgkmcnt(1)
	v_cndmask_b32_e64 v55, v37, v86, s[76:77]
	v_cndmask_b32_e64 v56, v38, v86, s[72:73]
	;; [unrolled: 1-line block ×4, first 2 shown]
	s_waitcnt lgkmcnt(0)
	v_cndmask_b32_e64 v107, v13, v87, s[76:77]
	scratch_load_dword v13, off, off offset:64 ; 4-byte Folded Reload
	v_cndmask_b32_e64 v114, v116, v87, s[52:53]
	v_cndmask_b32_e64 v64, v65, v86, s[38:39]
	v_cndmask_b32_e64 v116, v5, v87, s[38:39]
	v_cndmask_b32_e64 v108, v12, v87, s[72:73]
	v_cndmask_b32_e64 v97, v81, v85, s[28:29]
	v_cndmask_b32_e64 v102, v90, v86, s[28:29]
	v_cndmask_b32_e64 v118, v98, v87, s[28:29]
	v_cndmask_b32_e64 v63, v63, v86, s[48:49]
	v_cndmask_b32_e64 v115, v115, v87, s[48:49]
	v_cndmask_b32_e64 v39, v39, v85, s[52:53]
	v_cndmask_b32_e64 v62, v62, v86, s[52:53]
	v_cndmask_b32_e64 v60, v60, v85, s[56:57]
	v_cndmask_b32_e64 v61, v61, v86, s[56:57]
	v_cndmask_b32_e64 v113, v117, v87, s[56:57]
	v_cndmask_b32_e64 v53, v31, v86, s[84:85]
	v_cndmask_b32_e64 v31, v46, v85, s[80:81]
	v_cndmask_b32_e64 v46, v58, v85, s[64:65]
	v_cndmask_b32_e64 v58, v83, v86, s[64:65]
	v_cndmask_b32_e64 v110, v28, v87, s[64:65]
	v_cndmask_b32_e64 v54, v30, v86, s[80:81]
	v_cndmask_b32_e64 v30, v45, v85, s[76:77]
	v_cndmask_b32_e64 v45, v57, v85, s[68:69]
	v_cndmask_b32_e64 v57, v84, v86, s[68:69]
	v_cndmask_b32_e64 v109, v119, v87, s[68:69]
	v_cndmask_b32_e64 v44, v44, v85, s[72:73]
	v_cndmask_b32_e64 v106, v14, v87, s[80:81]
	v_cndmask_b32_e64 v5, v88, v85, s[36:37]
	v_cndmask_b32_e64 v65, v92, v86, s[36:37]
	v_cndmask_b32_e64 v117, v4, v87, s[36:37]
	v_cndmask_b32_e64 v100, v6, v87, s[34:35]
	v_cndmask_b32_e64 v119, v3, v87, s[4:5]
	v_cndmask_b32_e64 v96, v72, v85, s[16:17]
	v_cndmask_b32_e64 v3, v80, v86, s[16:17]
	v_cndmask_b32_e64 v6, v71, v87, s[16:17]
	v_cndmask_b32_e64 v4, v82, v85, s[34:35]
	v_cndmask_b32_e64 v99, v91, v86, s[34:35]
	v_cndmask_b32_e64 v98, v73, v85, s[4:5]
	v_cndmask_b32_e64 v103, v89, v86, s[4:5]
	v_cndmask_b32_e64 v47, v47, v85, s[84:85]
	v_cndmask_b32_e64 v105, v15, v87, s[84:85]
	v_readlane_b32 s84, v126, 45
	v_cndmask_b32_e64 v52, v52, v85, s[60:61]
	v_cndmask_b32_e64 v59, v59, v86, s[60:61]
	;; [unrolled: 1-line block ×3, first 2 shown]
	v_readlane_b32 s85, v126, 46
	s_waitcnt vmcnt(0)
	v_cmp_eq_u32_e64 s[38:39], 1, v13
	s_nop 1
	v_cndmask_b32_e64 v12, v74, v51, s[38:39]
	v_cmp_eq_u32_e64 s[28:29], 2, v13
	v_cmp_eq_u32_e64 s[48:49], 3, v13
	v_cmp_eq_u32_e64 s[52:53], 4, v13
	v_cndmask_b32_e64 v12, v12, v50, s[28:29]
	v_cndmask_b32_e64 v12, v12, v49, s[48:49]
	v_cndmask_b32_e64 v12, v12, v48, s[52:53]
	v_cmp_eq_u32_e64 s[56:57], 5, v13
	v_cmp_eq_u32_e64 s[64:65], 6, v13
	v_cmp_eq_u32_e64 s[68:69], 7, v13
	v_cndmask_b32_e64 v12, v12, v68, s[56:57]
	v_cndmask_b32_e64 v12, v12, v70, s[64:65]
	v_cndmask_b32_e64 v12, v12, v69, s[68:69]
	v_cmp_eq_u32_e64 s[72:73], 8, v13
	v_cmp_eq_u32_e64 s[76:77], 9, v13
	v_cmp_eq_u32_e64 s[80:81], 10, v13
	v_cndmask_b32_e64 v12, v12, v0, s[72:73]
	v_cndmask_b32_e64 v12, v12, v11, s[76:77]
	v_cndmask_b32_e64 v12, v12, v10, s[80:81]
	v_cmp_eq_u32_e64 s[36:37], 11, v13
	v_cmp_eq_u32_e64 s[16:17], 12, v13
	v_cmp_eq_u32_e64 s[34:35], 13, v13
	v_cndmask_b32_e64 v12, v12, v9, s[36:37]
	v_cndmask_b32_e64 v12, v12, v8, s[16:17]
	v_cndmask_b32_e64 v12, v12, v7, s[34:35]
	v_cmp_eq_u32_e64 s[96:97], 14, v13
	v_cmp_eq_u32_e64 s[4:5], 15, v13
	v_cmp_eq_u32_e64 s[60:61], 0, v13
	v_cndmask_b32_e64 v12, v12, v2, s[96:97]
	v_cndmask_b32_e64 v12, v12, v1, s[4:5]
	ds_bpermute_b32 v12, v120, v12
	s_waitcnt lgkmcnt(0)
	v_cndmask_b32_e64 v81, v1, v12, s[4:5]
	v_cndmask_b32_e64 v1, v42, v41, s[44:45]
	v_cndmask_b32_e64 v1, v1, v125, s[6:7]
	v_cndmask_b32_e64 v1, v1, v123, s[8:9]
	v_cndmask_b32_e64 v1, v1, v40, s[10:11]
	v_cndmask_b32_e64 v1, v1, v21, s[12:13]
	v_cndmask_b32_e64 v1, v1, v20, s[14:15]
	v_cndmask_b32_e64 v1, v1, v19, s[18:19]
	v_cndmask_b32_e64 v1, v1, v18, s[20:21]
	v_cndmask_b32_e64 v1, v1, v36, s[22:23]
	v_cndmask_b32_e64 v1, v1, v34, s[24:25]
	v_cndmask_b32_e64 v1, v1, v16, s[26:27]
	v_cndmask_b32_e64 v1, v1, v35, s[30:31]
	v_cndmask_b32_e64 v1, v1, v33, s[2:3]
	v_cndmask_b32_e64 v1, v1, v32, s[0:1]
	v_cndmask_b32_e32 v1, v1, v122, vcc
	ds_bpermute_b32 v1, v120, v1
	v_cndmask_b32_e64 v90, v0, v12, s[72:73]
	v_cndmask_b32_e64 v0, v121, v27, s[44:45]
	;; [unrolled: 1-line block ×4, first 2 shown]
	s_waitcnt lgkmcnt(0)
	v_cndmask_b32_e64 v14, v35, v1, s[30:31]
	scratch_load_dword v35, off, off offset:68 ; 4-byte Folded Reload
	v_cndmask_b32_e64 v0, v0, v43, s[10:11]
	v_cndmask_b32_e64 v0, v0, v24, s[12:13]
	;; [unrolled: 1-line block ×11, first 2 shown]
	v_cndmask_b32_e32 v0, v0, v75, vcc
	ds_bpermute_b32 v0, v120, v0
	v_cndmask_b32_e64 v87, v9, v12, s[36:37]
	v_cndmask_b32_e64 v88, v10, v12, s[80:81]
	;; [unrolled: 1-line block ×6, first 2 shown]
	s_waitcnt lgkmcnt(0)
	v_cndmask_b32_e32 v68, v75, v0, vcc
	v_cndmask_b32_e64 v69, v76, v0, s[0:1]
	v_cndmask_b32_e64 v70, v77, v0, s[2:3]
	;; [unrolled: 1-line block ×29, first 2 shown]
	v_cndmask_b32_e32 v0, v0, v47, vcc
	v_cndmask_b32_e64 v82, v2, v12, s[96:97]
	v_cndmask_b32_e64 v83, v7, v12, s[34:35]
	;; [unrolled: 1-line block ×8, first 2 shown]
	v_cndmask_b32_e32 v11, v122, v1, vcc
	v_cndmask_b32_e64 v12, v32, v1, s[0:1]
	v_cndmask_b32_e64 v13, v33, v1, s[2:3]
	;; [unrolled: 1-line block ×14, first 2 shown]
	ds_bpermute_b32 v1, v120, v0
	v_cndmask_b32_e64 v0, v3, v103, s[44:45]
	v_cndmask_b32_e64 v0, v0, v102, s[6:7]
	v_cndmask_b32_e64 v0, v0, v99, s[8:9]
	v_cndmask_b32_e64 v0, v0, v65, s[10:11]
	v_cndmask_b32_e64 v0, v0, v64, s[12:13]
	v_cndmask_b32_e64 v0, v0, v63, s[14:15]
	v_cndmask_b32_e64 v0, v0, v62, s[18:19]
	v_cndmask_b32_e64 v0, v0, v61, s[20:21]
	v_cndmask_b32_e64 v0, v0, v59, s[22:23]
	v_cndmask_b32_e64 v0, v0, v58, s[24:25]
	v_cndmask_b32_e64 v0, v0, v57, s[26:27]
	v_cndmask_b32_e64 v0, v0, v56, s[30:31]
	v_cndmask_b32_e64 v0, v0, v55, s[2:3]
	v_cndmask_b32_e64 v0, v0, v54, s[0:1]
	v_cndmask_b32_e32 v0, v0, v53, vcc
	ds_bpermute_b32 v32, v120, v0
	v_cndmask_b32_e64 v0, v6, v119, s[44:45]
	v_cndmask_b32_e64 v0, v0, v118, s[6:7]
	;; [unrolled: 1-line block ×14, first 2 shown]
	v_cndmask_b32_e32 v0, v0, v105, vcc
	ds_bpermute_b32 v33, v120, v0
	s_waitcnt lgkmcnt(2)
	v_cndmask_b32_e64 v28, v31, v1, s[0:1]
	s_waitcnt lgkmcnt(1)
	v_cndmask_b32_e64 v41, v54, v32, s[0:1]
	v_cndmask_b32_e32 v27, v47, v1, vcc
	v_cndmask_b32_e64 v29, v30, v1, s[2:3]
	s_waitcnt lgkmcnt(0)
	v_cndmask_b32_e64 v54, v106, v33, s[0:1]
	s_waitcnt vmcnt(0)
	v_cmp_eq_u32_e64 s[0:1], 1, v35
	v_cndmask_b32_e64 v42, v55, v32, s[2:3]
	v_cndmask_b32_e64 v55, v107, v33, s[2:3]
	;; [unrolled: 1-line block ×9, first 2 shown]
	s_mov_b64 s[2:3], s[84:85]
	v_cndmask_b32_e64 v34, v80, v86, s[0:1]
	s_mov_b64 s[10:11], s[0:1]
	v_cmp_eq_u32_e64 s[0:1], 2, v35
	v_cndmask_b32_e32 v40, v53, v32, vcc
	v_cndmask_b32_e64 v30, v44, v1, s[30:31]
	v_cndmask_b32_e64 v43, v56, v32, s[30:31]
	;; [unrolled: 1-line block ×20, first 2 shown]
	s_mov_b64 s[6:7], s[0:1]
	v_cmp_eq_u32_e64 s[0:1], 3, v35
	v_cndmask_b32_e64 v37, v37, v1, s[12:13]
	v_cndmask_b32_e64 v63, v116, v33, s[12:13]
	;; [unrolled: 1-line block ×3, first 2 shown]
	s_mov_b64 s[12:13], s[0:1]
	v_cmp_eq_u32_e64 s[0:1], 4, v35
	v_cndmask_b32_e64 v62, v115, v33, s[14:15]
	s_mov_b64 s[14:15], s[0:1]
	v_cndmask_b32_e64 v32, v32, v94, s[0:1]
	v_cmp_eq_u32_e64 s[0:1], 5, v35
	s_mov_b64 s[18:19], s[0:1]
	v_cndmask_b32_e64 v56, v108, v33, s[30:31]
	v_cndmask_b32_e64 v32, v32, v93, s[0:1]
	v_cmp_eq_u32_e64 s[0:1], 6, v35
	v_cndmask_b32_e64 v108, v60, v1, s[20:21]
	v_cndmask_b32_e64 v60, v113, v33, s[20:21]
	;; [unrolled: 1-line block ×3, first 2 shown]
	s_mov_b64 s[20:21], s[0:1]
	v_cmp_eq_u32_e64 s[0:1], 7, v35
	v_cndmask_b32_e64 v59, v112, v33, s[22:23]
	s_mov_b64 s[22:23], s[0:1]
	v_cndmask_b32_e64 v32, v32, v91, s[0:1]
	v_cmp_eq_u32_e64 s[0:1], 8, v35
	v_cndmask_b32_e64 v58, v110, v33, s[24:25]
	s_mov_b64 s[24:25], s[0:1]
	v_cndmask_b32_e64 v32, v32, v90, s[0:1]
	v_cmp_eq_u32_e64 s[0:1], 9, v35
	s_mov_b64 s[26:27], s[0:1]
	v_cndmask_b32_e64 v0, v98, v1, s[44:45]
	v_cndmask_b32_e64 v32, v32, v89, s[0:1]
	v_cmp_eq_u32_e64 s[0:1], 10, v35
	s_mov_b64 s[30:31], s[0:1]
	v_cndmask_b32_e64 v5, v119, v33, s[44:45]
	v_cndmask_b32_e64 v32, v32, v88, s[0:1]
	v_cmp_eq_u32_e64 s[0:1], 11, v35
	s_mov_b64 s[44:45], s[0:1]
	v_writelane_b32 v126, s44, 51
	v_cndmask_b32_e64 v32, v32, v87, s[0:1]
	v_cmp_eq_u32_e64 s[0:1], 12, v35
	v_writelane_b32 v126, s45, 52
	s_mov_b64 s[84:85], s[0:1]
	v_writelane_b32 v126, s84, 53
	v_cndmask_b32_e64 v32, v32, v84, s[0:1]
	v_cmp_eq_u32_e64 s[0:1], 13, v35
	v_writelane_b32 v126, s85, 54
	v_cndmask_b32_e64 v1, v96, v1, s[2:3]
	v_writelane_b32 v126, s0, 55
	v_cndmask_b32_e64 v6, v6, v33, s[2:3]
	v_cmp_eq_u32_e64 s[2:3], 14, v35
	v_writelane_b32 v126, s1, 56
	v_cndmask_b32_e64 v32, v32, v83, s[0:1]
	;; [unrolled: 5-line block ×3, first 2 shown]
	v_writelane_b32 v126, s8, 57
	v_cndmask_b32_e32 v53, v105, v33, vcc
	v_cndmask_b32_e64 v33, v10, v9, s[58:59]
	v_cndmask_b32_e64 v32, v32, v81, s[8:9]
	ds_bpermute_b32 v32, v120, v32
	v_writelane_b32 v126, s9, 58
	s_waitcnt lgkmcnt(0)
	v_cndmask_b32_e64 v82, v82, v32, s[2:3]
	v_readlane_b32 s2, v126, 47
	v_readlane_b32 s3, v126, 48
	v_cndmask_b32_e64 v83, v83, v32, s[0:1]
	v_cmp_eq_u32_e64 s[0:1], 0, v35
	v_cndmask_b32_e64 v33, v33, v67, s[2:3]
	v_cndmask_b32_e64 v33, v33, v66, s[46:47]
	;; [unrolled: 1-line block ×4, first 2 shown]
	v_writelane_b32 v126, s0, 59
	v_cndmask_b32_e64 v81, v81, v32, s[8:9]
	v_cndmask_b32_e64 v84, v84, v32, s[84:85]
	;; [unrolled: 1-line block ×14, first 2 shown]
	v_writelane_b32 v126, s1, 60
	v_cndmask_b32_e64 v80, v80, v32, s[0:1]
	v_cndmask_b32_e64 v32, v26, v25, s[58:59]
	s_mov_b64 s[0:1], s[2:3]
	v_cndmask_b32_e64 v33, v33, v76, s[66:67]
	v_cndmask_b32_e64 v32, v32, v24, s[0:1]
	;; [unrolled: 1-line block ×18, first 2 shown]
	ds_bpermute_b32 v33, v120, v33
	v_cndmask_b32_e64 v32, v32, v15, s[82:83]
	v_cndmask_b32_e64 v32, v32, v14, s[86:87]
	;; [unrolled: 1-line block ×5, first 2 shown]
	s_waitcnt lgkmcnt(0)
	v_cndmask_b32_e64 v123, v73, v33, s[78:79]
	ds_bpermute_b32 v73, v120, v32
	v_cndmask_b32_e64 v32, v9, v33, s[58:59]
	v_cndmask_b32_e64 v9, v1, v0, s[58:59]
	;; [unrolled: 1-line block ×4, first 2 shown]
	s_waitcnt lgkmcnt(0)
	v_cndmask_b32_e64 v36, v19, v73, s[66:67]
	scratch_load_dword v19, off, off offset:72 ; 4-byte Folded Reload
	v_cndmask_b32_e64 v9, v9, v38, s[50:51]
	v_cndmask_b32_e64 v9, v9, v37, s[54:55]
	;; [unrolled: 1-line block ×10, first 2 shown]
	v_readlane_b32 s2, v126, 49
	v_cndmask_b32_e64 v9, v9, v28, s[42:43]
	v_readlane_b32 s3, v126, 50
	v_cndmask_b32_e64 v9, v9, v27, s[98:99]
	v_cndmask_b32_e64 v68, v68, v33, s[98:99]
	v_cndmask_b32_e64 v69, v69, v33, s[42:43]
	v_cndmask_b32_e64 v70, v70, v33, s[40:41]
	v_cndmask_b32_e64 v71, v71, v33, s[86:87]
	v_cndmask_b32_e64 v72, v72, v33, s[82:83]
	v_cndmask_b32_e64 v125, v74, v33, s[74:75]
	v_cndmask_b32_e64 v75, v75, v33, s[70:71]
	v_cndmask_b32_e64 v76, v76, v33, s[66:67]
	v_cndmask_b32_e64 v77, v77, v33, s[62:63]
	v_cndmask_b32_e64 v78, v78, v33, s[54:55]
	v_cndmask_b32_e64 v79, v79, v33, s[50:51]
	v_cndmask_b32_e64 v66, v66, v33, s[46:47]
	v_cndmask_b32_e64 v67, v67, v33, s[0:1]
	v_cndmask_b32_e64 v10, v10, v33, s[2:3]
	v_cndmask_b32_e64 v33, v16, v73, s[78:79]
	ds_bpermute_b32 v16, v120, v9
	v_cndmask_b32_e64 v9, v3, v2, s[58:59]
	v_cndmask_b32_e64 v9, v9, v8, s[0:1]
	v_cndmask_b32_e64 v9, v9, v52, s[46:47]
	v_cndmask_b32_e64 v9, v9, v51, s[50:51]
	v_cndmask_b32_e64 v9, v9, v50, s[54:55]
	v_cndmask_b32_e64 v9, v9, v49, s[62:63]
	v_cndmask_b32_e64 v9, v9, v48, s[66:67]
	v_cndmask_b32_e64 v9, v9, v47, s[70:71]
	v_cndmask_b32_e64 v9, v9, v46, s[74:75]
	v_cndmask_b32_e64 v9, v9, v45, s[78:79]
	v_cndmask_b32_e64 v9, v9, v44, s[82:83]
	v_cndmask_b32_e64 v9, v9, v43, s[86:87]
	v_cndmask_b32_e64 v9, v9, v42, s[40:41]
	v_cndmask_b32_e64 v9, v9, v41, s[42:43]
	v_cndmask_b32_e64 v9, v9, v40, s[98:99]
	v_cndmask_b32_e64 v34, v17, v73, s[74:75]
	ds_bpermute_b32 v17, v120, v9
	;; [unrolled: 17-line block ×3, first 2 shown]
	v_cndmask_b32_e64 v24, v24, v73, s[0:1]
	s_waitcnt lgkmcnt(2)
	v_cndmask_b32_e64 v9, v7, v16, s[0:1]
	s_waitcnt lgkmcnt(1)
	v_cndmask_b32_e64 v8, v8, v17, s[0:1]
	v_cndmask_b32_e64 v7, v2, v17, s[58:59]
	s_waitcnt lgkmcnt(0)
	v_cndmask_b32_e64 v113, v56, v18, s[86:87]
	v_cndmask_b32_e64 v56, v109, v16, s[66:67]
	;; [unrolled: 1-line block ×4, first 2 shown]
	s_mov_b64 s[0:1], s[2:3]
	v_cndmask_b32_e64 v4, v0, v16, s[58:59]
	v_cndmask_b32_e64 v2, v1, v16, s[0:1]
	;; [unrolled: 1-line block ×6, first 2 shown]
	s_waitcnt vmcnt(0)
	v_cmp_eq_u32_e64 s[8:9], 1, v19
	v_cmp_eq_u32_e64 s[0:1], 2, v19
	v_cndmask_b32_e64 v122, v63, v18, s[54:55]
	v_cndmask_b32_e64 v0, v80, v86, s[8:9]
	;; [unrolled: 1-line block ×6, first 2 shown]
	s_mov_b64 s[50:51], s[0:1]
	v_cmp_eq_u32_e64 s[0:1], 3, v19
	v_cndmask_b32_e64 v21, v21, v73, s[54:55]
	v_cndmask_b32_e64 v117, v58, v18, s[78:79]
	;; [unrolled: 1-line block ×6, first 2 shown]
	s_mov_b64 s[54:55], s[0:1]
	v_cmp_eq_u32_e64 s[0:1], 4, v19
	v_cndmask_b32_e64 v25, v25, v73, s[58:59]
	v_cndmask_b32_e64 v5, v5, v18, s[58:59]
	;; [unrolled: 1-line block ×3, first 2 shown]
	s_mov_b64 s[58:59], s[0:1]
	v_cmp_eq_u32_e64 s[0:1], 5, v19
	v_cndmask_b32_e64 v20, v20, v73, s[62:63]
	v_cndmask_b32_e64 v116, v57, v18, s[82:83]
	;; [unrolled: 1-line block ×6, first 2 shown]
	s_mov_b64 s[62:63], s[0:1]
	v_cmp_eq_u32_e64 s[0:1], 6, v19
	s_mov_b64 s[66:67], s[0:1]
	v_cndmask_b32_e64 v112, v55, v18, s[40:41]
	v_cndmask_b32_e64 v0, v0, v92, s[0:1]
	v_cmp_eq_u32_e64 s[0:1], 7, v19
	v_cndmask_b32_e64 v55, v108, v16, s[70:71]
	v_cndmask_b32_e64 v108, v47, v17, s[70:71]
	v_cndmask_b32_e64 v118, v60, v18, s[70:71]
	v_cndmask_b32_e64 v0, v0, v91, s[0:1]
	s_mov_b64 s[70:71], s[0:1]
	v_cmp_eq_u32_e64 s[0:1], 8, v19
	v_cndmask_b32_e64 v110, v54, v18, s[42:43]
	v_cndmask_b32_e64 v54, v107, v16, s[74:75]
	v_cndmask_b32_e64 v107, v46, v17, s[74:75]
	v_cndmask_b32_e64 v0, v0, v90, s[0:1]
	s_mov_b64 s[74:75], s[0:1]
	;; [unrolled: 6-line block ×4, first 2 shown]
	v_cmp_eq_u32_e64 s[0:1], 11, v19
	s_mov_b64 s[84:85], s[0:1]
	v_cndmask_b32_e64 v14, v14, v73, s[86:87]
	v_cndmask_b32_e64 v0, v0, v87, s[0:1]
	v_cmp_eq_u32_e64 s[0:1], 12, v19
	v_cndmask_b32_e64 v30, v30, v16, s[86:87]
	v_cndmask_b32_e64 v103, v43, v17, s[86:87]
	;; [unrolled: 1-line block ×3, first 2 shown]
	s_mov_b64 s[86:87], s[0:1]
	v_cmp_eq_u32_e64 s[0:1], 13, v19
	v_cndmask_b32_e64 v11, v11, v73, s[98:99]
	v_cndmask_b32_e64 v27, v27, v16, s[98:99]
	;; [unrolled: 1-line block ×3, first 2 shown]
	v_writelane_b32 v126, s0, 47
	v_cmp_eq_u32_e64 s[98:99], 14, v19
	v_cndmask_b32_e64 v23, v23, v73, s[46:47]
	v_cndmask_b32_e64 v0, v0, v83, s[0:1]
	;; [unrolled: 1-line block ×5, first 2 shown]
	s_mov_b64 s[46:47], s[8:9]
	v_writelane_b32 v126, s1, 48
	v_cndmask_b32_e64 v0, v0, v82, s[98:99]
	v_cmp_eq_u32_e64 s[8:9], 15, v19
	v_cndmask_b32_e64 v28, v28, v16, s[42:43]
	v_cndmask_b32_e64 v29, v29, v16, s[40:41]
	v_writelane_b32 v126, s8, 49
	v_cndmask_b32_e64 v26, v26, v73, s[2:3]
	v_cndmask_b32_e64 v13, v13, v73, s[40:41]
	v_cndmask_b32_e64 v0, v0, v81, s[8:9]
	ds_bpermute_b32 v16, v120, v0
	v_cndmask_b32_e64 v0, v10, v32, s[38:39]
	v_cndmask_b32_e64 v0, v0, v67, s[28:29]
	;; [unrolled: 1-line block ×14, first 2 shown]
	v_writelane_b32 v126, s9, 50
	s_waitcnt lgkmcnt(0)
	v_cndmask_b32_e64 v83, v83, v16, s[0:1]
	v_cndmask_b32_e64 v0, v0, v68, s[4:5]
	v_cmp_eq_u32_e64 s[0:1], 0, v19
	v_cndmask_b32_e64 v81, v81, v16, s[8:9]
	v_cndmask_b32_e64 v82, v82, v16, s[98:99]
	;; [unrolled: 1-line block ×12, first 2 shown]
	ds_bpermute_b32 v37, v120, v0
	v_cndmask_b32_e64 v0, v85, v16, s[50:51]
	v_cndmask_b32_e64 v1, v86, v16, s[46:47]
	v_writelane_b32 v126, s0, 61
	v_cndmask_b32_e64 v12, v12, v73, s[42:43]
	v_cndmask_b32_e64 v102, v42, v17, s[40:41]
	;; [unrolled: 1-line block ×18, first 2 shown]
	ds_bpermute_b32 v49, v120, v16
	v_cndmask_b32_e64 v97, v41, v17, s[42:43]
	s_waitcnt lgkmcnt(1)
	v_cndmask_b32_e64 v18, v68, v37, s[4:5]
	v_cndmask_b32_e64 v74, v69, v37, s[96:97]
	;; [unrolled: 1-line block ×3, first 2 shown]
	s_waitcnt lgkmcnt(0)
	v_cndmask_b32_e64 v47, v11, v49, s[4:5]
	v_cndmask_b32_e64 v46, v12, v49, s[96:97]
	;; [unrolled: 1-line block ×32, first 2 shown]
	ds_bpermute_b32 v11, v120, v11
	ds_bpermute_b32 v12, v120, v12
	v_cndmask_b32_e64 v75, v10, v37, s[60:61]
	v_cndmask_b32_e64 v10, v2, v4, s[38:39]
	;; [unrolled: 1-line block ×3, first 2 shown]
	s_waitcnt lgkmcnt(1)
	v_cndmask_b32_e64 v68, v105, v11, s[36:37]
	s_waitcnt lgkmcnt(0)
	v_cndmask_b32_e64 v105, v119, v12, s[68:69]
	scratch_load_dword v119, off, off offset:76 ; 4-byte Folded Reload
	v_cndmask_b32_e64 v10, v10, v60, s[48:49]
	v_cndmask_b32_e64 v10, v10, v59, s[52:53]
	;; [unrolled: 1-line block ×13, first 2 shown]
	ds_bpermute_b32 v10, v120, v10
	v_cndmask_b32_e64 v45, v13, v49, s[34:35]
	v_cndmask_b32_e64 v13, v99, v12, s[4:5]
	;; [unrolled: 1-line block ×4, first 2 shown]
	scratch_store_dword off, v13, off offset:8 ; 4-byte Folded Spill
	v_cndmask_b32_e64 v13, v110, v12, s[96:97]
	v_cndmask_b32_e64 v110, v102, v11, s[34:35]
	s_waitcnt lgkmcnt(0)
	v_cndmask_b32_e64 v52, v31, v10, s[36:37]
	v_cndmask_b32_e64 v102, v116, v12, s[36:37]
	;; [unrolled: 1-line block ×58, first 2 shown]
	s_waitcnt vmcnt(1)
	v_cmp_eq_u32_e64 s[36:37], 1, v119
	v_cmp_eq_u32_e64 s[38:39], 2, v119
	v_cmp_eq_u32_e64 s[40:41], 3, v119
	v_cndmask_b32_e64 v2, v65, v1, s[36:37]
	v_cndmask_b32_e64 v2, v2, v0, s[38:39]
	v_cndmask_b32_e64 v2, v2, v114, s[40:41]
	v_cmp_eq_u32_e64 s[42:43], 4, v119
	v_cmp_eq_u32_e64 s[44:45], 5, v119
	v_cmp_eq_u32_e64 s[48:49], 6, v119
	v_cndmask_b32_e64 v2, v2, v94, s[42:43]
	v_cndmask_b32_e64 v2, v2, v93, s[44:45]
	v_cndmask_b32_e64 v2, v2, v92, s[48:49]
	;; [unrolled: 6-line block ×4, first 2 shown]
	v_cmp_eq_u32_e64 s[76:77], 13, v119
	v_cndmask_b32_e64 v53, v53, v10, s[80:81]
	v_cmp_eq_u32_e64 s[80:81], 14, v119
	v_cndmask_b32_e64 v2, v2, v83, s[76:77]
	v_cmp_eq_u32_e32 vcc, 15, v119
	v_cndmask_b32_e64 v2, v2, v82, s[80:81]
	v_cndmask_b32_e64 v51, v30, v10, s[16:17]
	v_cndmask_b32_e32 v2, v2, v81, vcc
	ds_bpermute_b32 v20, v120, v2
	s_mov_b64 s[16:17], s[10:11]
	s_mov_b64 s[8:9], s[6:7]
	v_cndmask_b32_e64 v61, v9, v10, s[28:29]
	v_cndmask_b32_e64 v77, v8, v11, s[28:29]
	s_waitcnt lgkmcnt(0)
	v_cndmask_b32_e64 v2, v0, v20, s[38:39]
	v_cndmask_b32_e64 v0, v75, v78, s[16:17]
	;; [unrolled: 1-line block ×3, first 2 shown]
	s_mov_b64 s[28:29], s[12:13]
	v_cndmask_b32_e64 v50, v29, v10, s[34:35]
	v_cndmask_b32_e64 v0, v0, v16, s[28:29]
	s_mov_b64 s[34:35], s[14:15]
	v_cndmask_b32_e64 v32, v28, v10, s[96:97]
	v_cndmask_b32_e64 v0, v0, v123, s[34:35]
	s_mov_b64 s[96:97], s[18:19]
	v_cndmask_b32_e64 v0, v0, v125, s[96:97]
	s_mov_b64 s[6:7], s[20:21]
	;; [unrolled: 2-line block ×4, first 2 shown]
	v_writelane_b32 v126, s1, 62
	v_cndmask_b32_e64 v0, v0, v69, s[12:13]
	s_mov_b64 s[14:15], s[26:27]
	v_cndmask_b32_e64 v0, v0, v70, s[14:15]
	s_mov_b64 s[18:19], s[30:31]
	v_readlane_b32 s20, v126, 51
	v_cndmask_b32_e64 v0, v0, v71, s[18:19]
	v_readlane_b32 s21, v126, 52
	v_readlane_b32 s22, v126, 53
	v_readlane_b32 s23, v126, 54
	v_cndmask_b32_e64 v0, v0, v72, s[20:21]
	v_readlane_b32 s88, v126, 55
	v_cndmask_b32_e64 v0, v0, v19, s[22:23]
	v_readlane_b32 s89, v126, 56
	v_readlane_b32 s26, v126, 45
	v_readlane_b32 s27, v126, 46
	v_cndmask_b32_e64 v0, v0, v73, s[88:89]
	;; [unrolled: 6-line block ×3, first 2 shown]
	ds_bpermute_b32 v0, v120, v0
	v_cndmask_b32_e64 v66, v27, v10, s[4:5]
	v_cndmask_b32_e64 v96, v96, v11, s[4:5]
	s_mov_b64 s[4:5], s[46:47]
	s_mov_b64 s[46:47], s[50:51]
	s_waitcnt lgkmcnt(0)
	v_cndmask_b32_e64 v18, v18, v0, s[30:31]
	v_cndmask_b32_e64 v21, v74, v0, s[26:27]
	;; [unrolled: 1-line block ×18, first 2 shown]
	s_mov_b64 s[50:51], s[54:55]
	v_cndmask_b32_e64 v69, v69, v16, s[50:51]
	s_mov_b64 s[54:55], s[58:59]
	v_cndmask_b32_e64 v69, v69, v30, s[54:55]
	;; [unrolled: 2-line block ×9, first 2 shown]
	s_mov_b64 s[84:85], s[86:87]
	v_readlane_b32 s86, v126, 47
	v_cndmask_b32_e64 v69, v69, v19, s[84:85]
	v_readlane_b32 s87, v126, 48
	v_readlane_b32 s0, v126, 49
	;; [unrolled: 1-line block ×3, first 2 shown]
	v_cndmask_b32_e64 v69, v69, v22, s[86:87]
	v_cndmask_b32_e64 v69, v69, v21, s[98:99]
	;; [unrolled: 1-line block ×3, first 2 shown]
	ds_bpermute_b32 v69, v120, v69
	s_mov_b64 s[24:25], s[18:19]
	s_mov_b64 s[18:19], s[10:11]
	v_readlane_b32 s10, v126, 61
	v_readlane_b32 s11, v126, 62
	s_waitcnt lgkmcnt(0)
	v_cndmask_b32_e64 v18, v18, v69, s[0:1]
	v_cndmask_b32_e64 v21, v21, v69, s[98:99]
	;; [unrolled: 1-line block ×30, first 2 shown]
	v_cndmask_b32_e32 v0, v0, v18, vcc
	ds_bpermute_b32 v78, v120, v0
	s_mov_b64 s[94:95], s[26:27]
	s_mov_b64 s[26:27], s[20:21]
	;; [unrolled: 1-line block ×4, first 2 shown]
	s_waitcnt lgkmcnt(0)
	v_cndmask_b32_e64 v28, v19, v78, s[72:73]
	v_cndmask_b32_e64 v19, v16, v78, s[40:41]
	;; [unrolled: 1-line block ×9, first 2 shown]
	s_mov_b64 s[90:91], s[30:31]
	s_mov_b64 s[30:31], s[22:23]
	;; [unrolled: 1-line block ×3, first 2 shown]
	v_cndmask_b32_e64 v16, v16, v42, s[20:21]
	v_cndmask_b32_e64 v16, v16, v41, s[22:23]
	;; [unrolled: 1-line block ×6, first 2 shown]
	s_mov_b64 s[14:15], s[94:95]
	v_cndmask_b32_e64 v16, v16, v46, s[14:15]
	s_mov_b64 s[94:95], s[90:91]
	v_cndmask_b32_e64 v16, v16, v47, s[94:95]
	ds_bpermute_b32 v16, v120, v16
	s_mov_b64 s[8:9], s[2:3]
	v_cmp_eq_u32_e64 s[0:1], 0, v119
	v_cndmask_b32_e64 v27, v23, v78, s[68:69]
	v_cndmask_b32_e64 v26, v24, v78, s[64:65]
	s_waitcnt lgkmcnt(0)
	v_cndmask_b32_e64 v47, v47, v16, s[94:95]
	v_cndmask_b32_e64 v46, v46, v16, s[14:15]
	;; [unrolled: 1-line block ×16, first 2 shown]
	s_mov_b64 s[2:3], s[4:5]
	v_cndmask_b32_e64 v49, v16, v33, s[2:3]
	v_cndmask_b32_e64 v49, v49, v34, s[46:47]
	v_cndmask_b32_e64 v49, v49, v35, s[50:51]
	v_cndmask_b32_e64 v49, v49, v36, s[54:55]
	v_cndmask_b32_e64 v49, v49, v37, s[58:59]
	v_cndmask_b32_e64 v49, v49, v44, s[62:63]
	v_cndmask_b32_e64 v49, v49, v43, s[66:67]
	v_cndmask_b32_e64 v49, v49, v42, s[70:71]
	v_cndmask_b32_e64 v49, v49, v41, s[74:75]
	v_cndmask_b32_e64 v49, v49, v40, s[78:79]
	v_cndmask_b32_e64 v49, v49, v39, s[82:83]
	v_cndmask_b32_e64 v49, v49, v38, s[84:85]
	v_cndmask_b32_e64 v49, v49, v45, s[86:87]
	v_readlane_b32 s4, v126, 49
	v_cndmask_b32_e64 v49, v49, v46, s[98:99]
	v_readlane_b32 s5, v126, 50
	s_mov_b64 s[14:15], s[6:7]
	s_mov_b64 s[6:7], s[10:11]
	v_cndmask_b32_e64 v49, v49, v47, s[4:5]
	ds_bpermute_b32 v49, v120, v49
	v_cndmask_b32_e64 v0, v65, v20, s[0:1]
	v_cndmask_b32_e64 v24, v70, v78, s[56:57]
	;; [unrolled: 1-line block ×3, first 2 shown]
	s_mov_b64 s[88:89], s[98:99]
	s_waitcnt lgkmcnt(0)
	v_cndmask_b32_e64 v47, v47, v49, s[4:5]
	v_cndmask_b32_e64 v46, v46, v49, s[98:99]
	;; [unrolled: 1-line block ×21, first 2 shown]
	s_mov_b64 s[98:99], s[86:87]
	s_mov_b64 s[86:87], s[84:85]
	;; [unrolled: 1-line block ×10, first 2 shown]
	v_cndmask_b32_e64 v16, v16, v71, s[48:49]
	s_mov_b64 s[54:55], s[52:53]
	v_cndmask_b32_e64 v16, v16, v70, s[54:55]
	v_cndmask_b32_e64 v16, v16, v65, s[56:57]
	;; [unrolled: 1-line block ×8, first 2 shown]
	v_cndmask_b32_e32 v15, v81, v20, vcc
	v_cndmask_b32_e32 v31, v18, v78, vcc
	v_writelane_b32 v126, vcc_lo, 63
	v_cndmask_b32_e64 v29, v22, v78, s[76:77]
	v_cndmask_b32_e64 v22, v72, v78, s[48:49]
	v_cndmask_b32_e32 v16, v16, v47, vcc
	ds_bpermute_b32 v72, v120, v16
	s_mov_b64 s[4:5], s[2:3]
	s_mov_b64 s[2:3], s[12:13]
	v_cndmask_b32_e64 v16, v69, v78, s[0:1]
	s_mov_b64 s[90:91], s[0:1]
	s_waitcnt lgkmcnt(0)
	v_cndmask_b32_e64 v42, v40, v72, s[64:65]
	v_cndmask_b32_e64 v40, v65, v72, s[56:57]
	;; [unrolled: 1-line block ×7, first 2 shown]
	s_mov_b64 s[0:1], s[14:15]
	v_cndmask_b32_e64 v65, v65, v57, s[0:1]
	s_mov_b64 s[10:11], s[18:19]
	v_cndmask_b32_e64 v65, v65, v56, s[10:11]
	;; [unrolled: 2-line block ×6, first 2 shown]
	s_mov_b64 s[22:23], s[30:31]
	v_readlane_b32 s24, v126, 55
	scratch_store_dword off, v13, off offset:12 ; 4-byte Folded Spill
	v_cndmask_b32_e64 v14, v82, v20, s[80:81]
	v_cndmask_b32_e64 v13, v83, v20, s[76:77]
	;; [unrolled: 1-line block ×19, first 2 shown]
	s_mov_b64 s[52:53], s[44:45]
	v_cndmask_b32_e64 v36, v36, v72, s[42:43]
	s_mov_b64 s[44:45], s[42:43]
	v_cndmask_b32_e64 v35, v35, v72, s[40:41]
	;; [unrolled: 2-line block ×5, first 2 shown]
	v_readlane_b32 s25, v126, 56
	v_readlane_b32 s36, v126, 45
	;; [unrolled: 1-line block ×3, first 2 shown]
	v_cndmask_b32_e64 v65, v65, v50, s[24:25]
	s_mov_b64 s[26:27], s[22:23]
	v_cndmask_b32_e64 v65, v65, v32, s[36:37]
	v_cndmask_b32_e64 v65, v65, v66, s[94:95]
	ds_bpermute_b32 v65, v120, v65
	v_cndmask_b32_e64 v25, v25, v78, s[60:61]
	v_cndmask_b32_e64 v44, v38, v72, s[72:73]
	;; [unrolled: 1-line block ×4, first 2 shown]
	s_waitcnt lgkmcnt(0)
	v_cndmask_b32_e64 v62, v62, v65, s[16:17]
	v_cndmask_b32_e64 v63, v63, v65, s[8:9]
	;; [unrolled: 1-line block ×28, first 2 shown]
	s_mov_b64 s[22:23], s[18:19]
	s_mov_b64 s[18:19], s[12:13]
	;; [unrolled: 1-line block ×4, first 2 shown]
	v_cndmask_b32_e64 v65, v65, v50, s[98:99]
	v_readlane_b32 s8, v126, 49
	v_cndmask_b32_e64 v65, v65, v32, s[88:89]
	v_readlane_b32 s9, v126, 50
	v_cndmask_b32_e64 v38, v71, v72, s[48:49]
	v_writelane_b32 v127, vcc_hi, 0
	v_cndmask_b32_e64 v65, v65, v66, s[8:9]
	ds_bpermute_b32 v65, v120, v65
	v_cndmask_b32_e32 v47, v47, v72, vcc
	v_cndmask_b32_e64 v46, v46, v72, s[80:81]
	s_mov_b64 vcc, s[80:81]
	v_cndmask_b32_e64 v45, v45, v72, s[76:77]
	s_waitcnt lgkmcnt(0)
	v_cndmask_b32_e64 v66, v66, v65, s[8:9]
	v_cndmask_b32_e64 v69, v32, v65, s[88:89]
	;; [unrolled: 1-line block ×22, first 2 shown]
	s_mov_b64 s[80:81], s[76:77]
	s_mov_b64 s[76:77], s[72:73]
	;; [unrolled: 1-line block ×4, first 2 shown]
	v_cndmask_b32_e64 v41, v41, v72, s[60:61]
	s_mov_b64 s[64:65], s[60:61]
	s_mov_b64 s[60:61], s[56:57]
	v_cndmask_b32_e64 v32, v32, v70, s[54:55]
	v_cndmask_b32_e64 v32, v32, v55, s[60:61]
	;; [unrolled: 1-line block ×7, first 2 shown]
	v_readlane_b32 s56, v126, 63
	v_cndmask_b32_e32 v32, v32, v69, vcc
	v_readlane_b32 s57, v127, 0
	s_mov_b64 s[30:31], s[24:25]
	s_mov_b64 s[24:25], s[20:21]
	v_cndmask_b32_e64 v32, v32, v66, s[56:57]
	ds_bpermute_b32 v82, v120, v32
	s_mov_b64 s[20:21], s[14:15]
	s_mov_b64 s[14:15], s[10:11]
	;; [unrolled: 1-line block ×4, first 2 shown]
	s_waitcnt lgkmcnt(0)
	v_cndmask_b32_e64 v63, v66, v82, s[56:57]
	v_cndmask_b32_e64 v66, v79, v48, s[16:17]
	;; [unrolled: 1-line block ×5, first 2 shown]
	s_mov_b64 s[6:7], s[90:91]
	s_mov_b64 s[90:91], s[56:57]
	v_cndmask_b32_e64 v66, v66, v121, s[96:97]
	s_mov_b64 s[56:57], s[12:13]
	v_cndmask_b32_e64 v66, v66, v80, s[56:57]
	;; [unrolled: 2-line block ×10, first 2 shown]
	v_cndmask_b32_e64 v66, v66, v96, s[94:95]
	ds_bpermute_b32 v66, v120, v66
	v_writelane_b32 v127, s6, 1
	v_cndmask_b32_e32 v62, v69, v82, vcc
	v_cndmask_b32_e64 v61, v50, v82, s[80:81]
	v_writelane_b32 v127, s7, 2
	v_cndmask_b32_e64 v32, v49, v72, s[6:7]
	v_cndmask_b32_e64 v60, v51, v82, s[76:77]
	;; [unrolled: 1-line block ×13, first 2 shown]
	s_waitcnt lgkmcnt(0)
	v_cndmask_b32_e64 v69, v96, v66, s[94:95]
	v_cndmask_b32_e64 v70, v95, v66, s[30:31]
	;; [unrolled: 1-line block ×16, first 2 shown]
	v_writelane_b32 v127, s4, 3
	s_mov_b64 s[0:1], s[88:89]
	scratch_load_dwordx2 v[118:119], off, off ; 8-byte Folded Reload
	v_writelane_b32 v127, s5, 4
	v_cndmask_b32_e64 v79, v66, v48, s[4:5]
	v_writelane_b32 v127, s46, 5
	v_readlane_b32 s36, v126, 23
	v_readlane_b32 s37, v126, 24
	v_cndmask_b32_e64 v79, v79, v77, s[46:47]
	v_cndmask_b32_e64 v79, v79, v76, s[50:51]
	;; [unrolled: 1-line block ×14, first 2 shown]
	ds_bpermute_b32 v79, v120, v79
	v_writelane_b32 v127, s47, 6
	s_waitcnt lgkmcnt(0)
	v_cndmask_b32_e64 v86, v80, v79, s[62:63]
	v_cndmask_b32_e64 v90, v48, v79, s[4:5]
	;; [unrolled: 1-line block ×10, first 2 shown]
	s_mov_b64 s[46:47], s[52:53]
	v_cndmask_b32_e64 v85, v78, v79, s[66:67]
	v_cndmask_b32_e64 v48, v48, v86, s[46:47]
	;; [unrolled: 1-line block ×19, first 2 shown]
	v_cndmask_b32_e32 v48, v48, v70, vcc
	v_cndmask_b32_e64 v48, v48, v69, s[90:91]
	ds_bpermute_b32 v81, v120, v48
	v_cndmask_b32_e64 v48, v65, v82, s[6:7]
	v_cndmask_b32_e64 v82, v115, v109, s[16:17]
	;; [unrolled: 1-line block ×4, first 2 shown]
	s_waitcnt lgkmcnt(0)
	v_cndmask_b32_e64 v77, v71, v81, s[80:81]
	v_cndmask_b32_e64 v71, v84, v81, s[54:55]
	scratch_load_dword v84, off, off offset:12 ; 4-byte Folded Reload
	v_cndmask_b32_e64 v74, v72, v81, s[68:69]
	v_cndmask_b32_e64 v72, v83, v81, s[60:61]
	scratch_load_dword v83, off, off offset:8 ; 4-byte Folded Reload
	scratch_load_dword v116, off, off offset:40 ; 4-byte Folded Reload
	;; [unrolled: 1-line block ×4, first 2 shown]
	v_cndmask_b32_e64 v82, v82, v108, s[34:35]
	v_cndmask_b32_e64 v82, v82, v107, s[96:97]
	;; [unrolled: 1-line block ×11, first 2 shown]
	v_cndmask_b32_e32 v78, v70, v81, vcc
	v_cndmask_b32_e64 v76, v67, v81, s[76:77]
	v_cndmask_b32_e64 v75, v68, v81, s[72:73]
	;; [unrolled: 1-line block ×8, first 2 shown]
	s_mov_b64 s[52:53], s[60:61]
	s_mov_b64 s[60:61], s[38:39]
	v_readlane_b32 s39, v126, 44
	v_cndmask_b32_e64 v73, v73, v81, s[64:65]
	s_mov_b32 s6, 0
	s_mov_b32 s7, 0
	v_readlane_b32 s38, v126, 25
	s_waitcnt vmcnt(4)
	v_cndmask_b32_e64 v82, v82, v84, s[30:31]
	s_waitcnt vmcnt(3)
	v_cndmask_b32_e64 v82, v82, v83, s[94:95]
	ds_bpermute_b32 v82, v120, v82
	s_waitcnt lgkmcnt(0)
	v_cndmask_b32_e64 v95, v98, v82, s[10:11]
	v_readlane_b32 s10, v126, 59
	v_cndmask_b32_e64 v91, v105, v82, s[12:13]
	v_readlane_b32 s11, v126, 60
	v_readlane_b32 s12, v127, 3
	v_cndmask_b32_e64 v83, v83, v82, s[94:95]
	v_cndmask_b32_e64 v84, v84, v82, s[30:31]
	;; [unrolled: 1-line block ×14, first 2 shown]
	v_readlane_b32 s13, v127, 4
	v_readlane_b32 s10, v127, 5
	;; [unrolled: 1-line block ×3, first 2 shown]
	v_cndmask_b32_e64 v97, v82, v96, s[12:13]
	v_readlane_b32 s16, v126, 2
	v_cndmask_b32_e64 v97, v97, v95, s[10:11]
	v_cndmask_b32_e64 v97, v97, v64, s[50:51]
	;; [unrolled: 1-line block ×14, first 2 shown]
	ds_bpermute_b32 v97, v120, v97
	v_readlane_b32 s20, v126, 6
	v_readlane_b32 s21, v126, 7
	;; [unrolled: 1-line block ×4, first 2 shown]
	s_waitcnt lgkmcnt(0)
	v_cndmask_b32_e64 v83, v83, v97, s[8:9]
	v_cndmask_b32_e64 v84, v84, v97, s[0:1]
	;; [unrolled: 1-line block ×29, first 2 shown]
	v_cndmask_b32_e32 v64, v64, v84, vcc
	v_cndmask_b32_e64 v64, v64, v83, s[90:91]
	ds_bpermute_b32 v108, v120, v64
	v_readlane_b32 s8, v127, 1
	v_readlane_b32 s9, v127, 2
	;; [unrolled: 1-line block ×4, first 2 shown]
	s_waitcnt lgkmcnt(0)
	v_cndmask_b32_e64 v91, v87, v108, s[72:73]
	v_cndmask_b32_e64 v90, v88, v108, s[68:69]
	;; [unrolled: 1-line block ×4, first 2 shown]
	v_readlane_b32 s52, v126, 26
	v_readlane_b32 s53, v126, 27
	s_mul_i32 s0, s39, s53
	s_ashr_i32 s1, s0, 31
	v_cndmask_b32_e32 v94, v84, v108, vcc
	v_cndmask_b32_e64 v84, v105, v108, s[44:45]
	s_lshl_b64 s[0:1], s[0:1], 1
	v_readlane_b32 s44, v126, 38
	s_add_u32 s2, s20, s0
	v_readlane_b32 s45, v126, 39
	s_addc_u32 s3, s21, s1
	s_ashr_i32 s45, s44, 31
	s_lshl_b64 s[0:1], s[44:45], 1
	s_add_u32 s0, s2, s0
	v_cndmask_b32_e64 v95, v83, v108, s[90:91]
	v_cndmask_b32_e64 v93, v85, v108, s[80:81]
	v_cndmask_b32_e64 v92, v86, v108, s[76:77]
	v_cndmask_b32_e64 v86, v102, v108, s[48:49]
	v_cndmask_b32_e64 v85, v103, v108, s[46:47]
	v_cndmask_b32_e64 v83, v106, v108, s[42:43]
	v_cndmask_b32_e64 v82, v107, v108, s[40:41]
	s_addc_u32 s1, s3, s1
	v_readlane_b32 s41, v126, 42
	v_readlane_b32 s42, v126, 40
	;; [unrolled: 1-line block ×4, first 2 shown]
	v_cndmask_b32_e64 v64, v80, v81, s[8:9]
	v_cndmask_b32_e64 v89, v89, v108, s[64:65]
	v_readlane_b32 s54, v126, 28
	v_readlane_b32 s55, v126, 29
	;; [unrolled: 1-line block ×9, first 2 shown]
	v_subrev_u32_e32 v101, s41, v101
	v_cndmask_b32_e64 v81, v96, v108, s[60:61]
	v_cndmask_b32_e64 v80, v97, v108, s[8:9]
	v_lshl_add_u64 v[102:103], s[0:1], 0, v[118:119]
	s_mov_b64 s[0:1], 0
	v_readlane_b32 s11, v126, 0
	v_readlane_b32 s12, v126, 1
	;; [unrolled: 1-line block ×17, first 2 shown]
                                        ; implicit-def: $sgpr2_sgpr3
	s_branch .LBB311_37
.LBB311_36:                             ;   in Loop: Header=BB311_37 Depth=2
	s_or_b64 exec, exec, s[4:5]
	s_and_b64 s[4:5], exec, s[2:3]
	s_or_b64 s[0:1], s[4:5], s[0:1]
	s_andn2_b64 exec, exec, s[0:1]
	s_cbranch_execz .LBB311_39
.LBB311_37:                             ;   Parent Loop BB311_7 Depth=1
                                        ; =>  This Inner Loop Header: Depth=2
	s_and_b32 s4, s7, 2
	s_and_b32 s5, s6, 24
	s_or_b32 s4, s5, s4
	s_waitcnt vmcnt(0)
	v_or_b32_e32 v96, s4, v121
	v_add_u32_e32 v97, s92, v96
	v_cmp_gt_u32_e32 vcc, 32, v97
	s_or_b64 s[2:3], s[2:3], exec
	s_and_saveexec_b64 s[4:5], vcc
	s_cbranch_execz .LBB311_36
; %bb.38:                               ;   in Loop: Header=BB311_37 Depth=2
	s_add_i32 s10, s7, 1
	s_set_gpr_idx_on s7, gpr_idx(SRC0)
	v_mov_b32_e32 v97, v0
	s_set_gpr_idx_off
	v_cvt_f16_f32_e32 v98, v97
	s_set_gpr_idx_on s10, gpr_idx(SRC0)
	v_mov_b32_e32 v97, v0
	s_set_gpr_idx_off
	v_cvt_f16_f32_sdwa v99, v97 dst_sel:WORD_1 dst_unused:UNUSED_PAD src0_sel:DWORD
	v_mul_lo_u32 v96, v96, s53
	v_ashrrev_i32_e32 v97, 31, v96
	v_lshl_add_u64 v[96:97], v[96:97], 1, v[102:103]
	v_or_b32_e32 v98, v99, v98
	;;#ASMSTART
	global_atomic_pk_add_f16 v[96:97], v98, off
	
	;;#ASMEND
	s_set_gpr_idx_on s7, gpr_idx(SRC0)
	v_mov_b32_e32 v98, v16
	s_set_gpr_idx_off
	v_cvt_f16_f32_e32 v105, v98
	s_set_gpr_idx_on s10, gpr_idx(SRC0)
	v_mov_b32_e32 v98, v16
	s_set_gpr_idx_off
	v_cvt_f16_f32_sdwa v106, v98 dst_sel:WORD_1 dst_unused:UNUSED_PAD src0_sel:DWORD
	v_lshl_add_u64 v[98:99], v[96:97], 0, 64
	s_mov_b64 s[8:9], 0x80
	s_add_i32 s6, s6, 4
	v_or_b32_e32 v105, v106, v105
	;;#ASMSTART
	global_atomic_pk_add_f16 v[98:99], v105, off
	
	;;#ASMEND
	s_set_gpr_idx_on s7, gpr_idx(SRC0)
	v_mov_b32_e32 v98, v32
	s_set_gpr_idx_off
	v_cvt_f16_f32_e32 v105, v98
	s_set_gpr_idx_on s10, gpr_idx(SRC0)
	v_mov_b32_e32 v98, v32
	s_set_gpr_idx_off
	v_cvt_f16_f32_sdwa v106, v98 dst_sel:WORD_1 dst_unused:UNUSED_PAD src0_sel:DWORD
	v_lshl_add_u64 v[98:99], v[96:97], 0, s[8:9]
	s_mov_b64 s[8:9], 0xc0
	v_or_b32_e32 v105, v106, v105
	;;#ASMSTART
	global_atomic_pk_add_f16 v[98:99], v105, off
	
	;;#ASMEND
	s_set_gpr_idx_on s7, gpr_idx(SRC0)
	v_mov_b32_e32 v98, v48
	s_set_gpr_idx_off
	v_cvt_f16_f32_e32 v105, v98
	s_set_gpr_idx_on s10, gpr_idx(SRC0)
	v_mov_b32_e32 v98, v48
	s_set_gpr_idx_off
	v_cvt_f16_f32_sdwa v106, v98 dst_sel:WORD_1 dst_unused:UNUSED_PAD src0_sel:DWORD
	v_lshl_add_u64 v[98:99], v[96:97], 0, s[8:9]
	s_mov_b64 s[8:9], 0x100
	;; [unrolled: 15-line block ×3, first 2 shown]
	v_lshl_add_u64 v[96:97], v[96:97], 0, s[8:9]
	v_or_b32_e32 v105, v106, v105
	;;#ASMSTART
	global_atomic_pk_add_f16 v[98:99], v105, off
	
	;;#ASMEND
	s_set_gpr_idx_on s7, gpr_idx(SRC0)
	v_mov_b32_e32 v98, v80
	s_set_gpr_idx_off
	v_cvt_f16_f32_e32 v98, v98
	s_set_gpr_idx_on s10, gpr_idx(SRC0)
	v_mov_b32_e32 v99, v80
	s_set_gpr_idx_off
	s_add_i32 s7, s7, 2
	v_cvt_f16_f32_sdwa v99, v99 dst_sel:WORD_1 dst_unused:UNUSED_PAD src0_sel:DWORD
	s_cmp_eq_u32 s7, 16
	s_cselect_b64 s[8:9], -1, 0
	s_andn2_b64 s[2:3], s[2:3], exec
	s_and_b64 s[8:9], s[8:9], exec
	s_or_b64 s[2:3], s[2:3], s[8:9]
	v_or_b32_e32 v98, v99, v98
	;;#ASMSTART
	global_atomic_pk_add_f16 v[96:97], v98, off
	
	;;#ASMEND
	s_branch .LBB311_36
.LBB311_39:                             ;   in Loop: Header=BB311_7 Depth=1
	s_or_b64 exec, exec, s[0:1]
	scratch_load_dword v14, off, off offset:32 ; 4-byte Folded Reload
	scratch_load_dword v100, off, off offset:36 ; 4-byte Folded Reload
	scratch_load_dwordx2 v[16:17], off, off offset:80 ; 8-byte Folded Reload
	scratch_load_dword v15, off, off offset:96 ; 4-byte Folded Reload
.LBB311_40:                             ;   in Loop: Header=BB311_7 Depth=1
	s_or_b64 exec, exec, s[48:49]
.LBB311_41:                             ;   in Loop: Header=BB311_7 Depth=1
	s_andn2_saveexec_b64 s[0:1], s[46:47]
	s_cbranch_execz .LBB311_50
; %bb.42:                               ;   in Loop: Header=BB311_7 Depth=1
	s_mul_i32 s10, s41, 6
	v_cmp_gt_i32_e32 vcc, s10, v101
	s_and_saveexec_b64 s[2:3], vcc
	s_cbranch_execz .LBB311_49
; %bb.43:                               ;   in Loop: Header=BB311_7 Depth=1
	scratch_load_dwordx2 v[0:1], off, off offset:88 ; 8-byte Folded Reload
	s_mul_i32 s4, s44, s55
	s_ashr_i32 s5, s4, 31
	s_add_u32 s4, s18, s4
	s_addc_u32 s5, s19, s5
	s_ashr_i32 s6, s40, 31
	s_add_u32 s4, s4, s40
	s_addc_u32 s5, s5, s6
	s_waitcnt vmcnt(0)
	v_lshl_add_u64 v[0:1], s[4:5], 0, v[0:1]
	v_lshl_add_u64 v[8:9], v[0:1], 0, v[16:17]
	s_mov_b64 s[4:5], 0
	s_branch .LBB311_45
.LBB311_44:                             ;   in Loop: Header=BB311_45 Depth=2
	s_or_b64 exec, exec, s[6:7]
	v_lshl_or_b32 v12, v10, 11, v15
	;;#ASMSTART
	s_waitcnt vmcnt(1)
	;;#ASMEND
	ds_write2_b32 v12, v4, v5 offset1:32
	ds_write2_b32 v12, v6, v7 offset0:64 offset1:96
	v_add_u32_e32 v4, 0x400, v12
	v_add_u32_e32 v101, s58, v101
	;;#ASMSTART
	s_waitcnt vmcnt(0)
	;;#ASMEND
	ds_write2_b32 v4, v0, v1 offset1:32
	ds_write2_b32 v4, v2, v3 offset0:64 offset1:96
	v_add_u32_e32 v0, 1, v111
	v_add_u32_e32 v104, s58, v10
	v_cmp_le_i32_e32 vcc, s10, v101
	ds_write_b32 v11, v0 offset:24
	v_add_u32_e32 v0, 2, v111
	s_or_b64 s[4:5], vcc, s[4:5]
	v_cmp_lt_i32_e32 vcc, 11, v104
	s_nop 1
	v_cndmask_b32_e32 v111, v111, v0, vcc
	s_andn2_b64 exec, exec, s[4:5]
	s_cbranch_execz .LBB311_48
.LBB311_45:                             ;   Parent Loop BB311_7 Depth=1
                                        ; =>  This Loop Header: Depth=2
                                        ;       Child Loop BB311_47 Depth 3
	v_cmp_gt_i32_e32 vcc, 12, v104
	s_mov_b32 s6, 0x2aaaaaab
	s_nop 0
	v_cndmask_b32_e64 v0, -12, 0, vcc
	v_add_u32_e32 v10, v0, v104
	v_mul_hi_i32 v0, v101, s6
	v_lshrrev_b32_e32 v1, 31, v0
	v_add_u32_e32 v0, v0, v1
	v_mul_lo_u32 v1, v0, 6
	v_sub_u32_e32 v2, v101, v1
	v_lshlrev_b32_e32 v0, 6, v0
	v_ashrrev_i32_e32 v1, 31, v0
	v_mul_lo_u32 v2, s31, v2
	v_lshl_add_u64 v[0:1], v[8:9], 0, v[0:1]
	v_ashrrev_i32_e32 v3, 31, v2
	v_lshl_add_u64 v[0:1], v[0:1], 0, v[2:3]
	v_lshlrev_b32_e32 v11, 2, v10
	;;#ASMSTART
	global_load_dwordx4 v[4:7], v[0:1], off offset:0   sc0 sc1 nt  
	global_load_dwordx4 v[0:3], v[0:1], off offset:32  sc0 sc1 nt  
	
	;;#ASMEND
	ds_read_b32 v12, v11 offset:36888
	v_add_u32_e32 v11, 0x9000, v11
	s_waitcnt lgkmcnt(0)
	v_cmp_ne_u32_e32 vcc, v12, v111
	s_and_saveexec_b64 s[6:7], vcc
	s_cbranch_execz .LBB311_44
; %bb.46:                               ;   in Loop: Header=BB311_45 Depth=2
	s_mov_b64 s[8:9], 0
.LBB311_47:                             ;   Parent Loop BB311_7 Depth=1
                                        ;     Parent Loop BB311_45 Depth=2
                                        ; =>    This Inner Loop Header: Depth=3
	;;#ASMSTART
	s_sleep 0
	;;#ASMEND
	ds_read_b32 v12, v11 offset:24
	s_waitcnt lgkmcnt(0)
	v_cmp_eq_u32_e32 vcc, v12, v111
	s_or_b64 s[8:9], vcc, s[8:9]
	s_andn2_b64 exec, exec, s[8:9]
	s_cbranch_execnz .LBB311_47
	s_branch .LBB311_44
.LBB311_48:                             ;   in Loop: Header=BB311_7 Depth=1
	s_or_b64 exec, exec, s[4:5]
.LBB311_49:                             ;   in Loop: Header=BB311_7 Depth=1
	s_or_b64 exec, exec, s[2:3]
	v_subrev_u32_e32 v101, s10, v101
.LBB311_50:                             ;   in Loop: Header=BB311_7 Depth=1
	s_or_b64 exec, exec, s[0:1]
.LBB311_51:                             ;   in Loop: Header=BB311_7 Depth=1
	s_andn2_saveexec_b64 s[0:1], s[42:43]
	s_cbranch_execz .LBB311_6
; %bb.52:                               ;   in Loop: Header=BB311_7 Depth=1
	s_mul_i32 s10, s41, 3
	v_cmp_gt_i32_e32 vcc, s10, v101
	s_and_saveexec_b64 s[2:3], vcc
	s_cbranch_execz .LBB311_5
; %bb.53:                               ;   in Loop: Header=BB311_7 Depth=1
	s_mul_i32 s4, s39, s54
	s_ashr_i32 s5, s4, 31
	s_add_u32 s4, s16, s4
	s_addc_u32 s5, s17, s5
	s_ashr_i32 s6, s40, 31
	s_add_u32 s4, s4, s40
	s_addc_u32 s5, s5, s6
	s_waitcnt vmcnt(2)
	v_add_u32_e32 v2, s92, v100
	s_movk_i32 s6, 0x60
	v_mul_lo_u32 v0, s54, v100
	v_cmp_gt_u32_e32 vcc, s6, v2
	v_sub_u32_e32 v10, 0x5f, v2
	s_nop 0
	v_cndmask_b32_e32 v0, 0, v0, vcc
	v_ashrrev_i32_e32 v1, 31, v0
	v_lshl_add_u64 v[0:1], s[4:5], 0, v[0:1]
	s_waitcnt vmcnt(1)
	v_lshl_add_u64 v[8:9], v[0:1], 0, v[16:17]
	s_mov_b64 s[4:5], 0
	s_branch .LBB311_55
.LBB311_54:                             ;   in Loop: Header=BB311_55 Depth=2
	s_or_b64 exec, exec, s[6:7]
	v_lshl_add_u32 v13, v11, 11, v124
	;;#ASMSTART
	s_waitcnt vmcnt(1)
	;;#ASMEND
	ds_write2_b32 v13, v4, v5 offset1:32
	ds_write2_b32 v13, v6, v7 offset0:64 offset1:96
	v_add_u32_e32 v4, 0x400, v13
	v_add_u32_e32 v101, s57, v101
	;;#ASMSTART
	s_waitcnt vmcnt(0)
	;;#ASMEND
	ds_write2_b32 v4, v0, v1 offset1:32
	ds_write2_b32 v4, v2, v3 offset0:64 offset1:96
	v_add_u32_e32 v0, 1, v111
	v_add_u32_e32 v104, s57, v11
	v_cmp_le_i32_e32 vcc, s10, v101
	ds_write_b32 v12, v0
	v_add_u32_e32 v0, 2, v111
	s_or_b64 s[4:5], vcc, s[4:5]
	v_cmp_lt_i32_e32 vcc, 5, v104
	s_nop 1
	v_cndmask_b32_e32 v111, v111, v0, vcc
	s_andn2_b64 exec, exec, s[4:5]
	s_cbranch_execz .LBB311_4
.LBB311_55:                             ;   Parent Loop BB311_7 Depth=1
                                        ; =>  This Loop Header: Depth=2
                                        ;       Child Loop BB311_57 Depth 3
	v_cmp_gt_i32_e32 vcc, 6, v104
	s_mov_b32 s6, 0x55555556
	s_nop 0
	v_cndmask_b32_e64 v0, -6, 0, vcc
	v_add_u32_e32 v11, v0, v104
	v_mul_hi_i32 v0, v101, s6
	v_lshrrev_b32_e32 v1, 31, v0
	v_add_u32_e32 v0, v0, v1
	v_lshl_add_u32 v1, v0, 1, v0
	v_sub_u32_e32 v1, v101, v1
	v_lshlrev_b32_e32 v1, 5, v1
	v_cmp_le_i32_e32 vcc, v1, v10
	v_lshlrev_b32_e32 v0, 6, v0
	v_lshlrev_b32_e32 v12, 2, v11
	v_cndmask_b32_e32 v2, 0, v1, vcc
	v_ashrrev_i32_e32 v1, 31, v0
	v_mul_lo_u32 v2, v2, s54
	v_lshl_add_u64 v[0:1], v[8:9], 0, v[0:1]
	v_ashrrev_i32_e32 v3, 31, v2
	v_lshl_add_u64 v[0:1], v[0:1], 0, v[2:3]
	;;#ASMSTART
	global_load_dwordx4 v[4:7], v[0:1], off offset:0   
	global_load_dwordx4 v[0:3], v[0:1], off offset:32  
	
	;;#ASMEND
	ds_read_b32 v13, v12 offset:36864
	v_add_u32_e32 v12, 0x9000, v12
	s_waitcnt lgkmcnt(0)
	v_cmp_ne_u32_e32 vcc, v13, v111
	s_and_saveexec_b64 s[6:7], vcc
	s_cbranch_execz .LBB311_54
; %bb.56:                               ;   in Loop: Header=BB311_55 Depth=2
	s_mov_b64 s[8:9], 0
.LBB311_57:                             ;   Parent Loop BB311_7 Depth=1
                                        ;     Parent Loop BB311_55 Depth=2
                                        ; =>    This Inner Loop Header: Depth=3
	;;#ASMSTART
	s_sleep 0
	;;#ASMEND
	ds_read_b32 v13, v12
	s_waitcnt lgkmcnt(0)
	v_cmp_eq_u32_e32 vcc, v13, v111
	s_or_b64 s[8:9], vcc, s[8:9]
	s_andn2_b64 exec, exec, s[8:9]
	s_cbranch_execnz .LBB311_57
	s_branch .LBB311_54
.LBB311_58:
	s_endpgm
	.section	.rodata,"a",@progbits
	.p2align	6, 0x0
	.amdhsa_kernel _Z19_skinny_gemm_kernelILi3ELi6ELi2ELi32ELi4EEvPKhS1_P6__halfPKfiiiiiiii
		.amdhsa_group_segment_fixed_size 36936
		.amdhsa_private_segment_fixed_size 108
		.amdhsa_kernarg_size 64
		.amdhsa_user_sgpr_count 2
		.amdhsa_user_sgpr_dispatch_ptr 0
		.amdhsa_user_sgpr_queue_ptr 0
		.amdhsa_user_sgpr_kernarg_segment_ptr 1
		.amdhsa_user_sgpr_dispatch_id 0
		.amdhsa_user_sgpr_kernarg_preload_length 0
		.amdhsa_user_sgpr_kernarg_preload_offset 0
		.amdhsa_user_sgpr_private_segment_size 0
		.amdhsa_uses_dynamic_stack 0
		.amdhsa_enable_private_segment 1
		.amdhsa_system_sgpr_workgroup_id_x 1
		.amdhsa_system_sgpr_workgroup_id_y 0
		.amdhsa_system_sgpr_workgroup_id_z 0
		.amdhsa_system_sgpr_workgroup_info 0
		.amdhsa_system_vgpr_workitem_id 0
		.amdhsa_next_free_vgpr 128
		.amdhsa_next_free_sgpr 100
		.amdhsa_accum_offset 128
		.amdhsa_reserve_vcc 1
		.amdhsa_float_round_mode_32 0
		.amdhsa_float_round_mode_16_64 0
		.amdhsa_float_denorm_mode_32 3
		.amdhsa_float_denorm_mode_16_64 3
		.amdhsa_dx10_clamp 1
		.amdhsa_ieee_mode 1
		.amdhsa_fp16_overflow 0
		.amdhsa_tg_split 0
		.amdhsa_exception_fp_ieee_invalid_op 0
		.amdhsa_exception_fp_denorm_src 0
		.amdhsa_exception_fp_ieee_div_zero 0
		.amdhsa_exception_fp_ieee_overflow 0
		.amdhsa_exception_fp_ieee_underflow 0
		.amdhsa_exception_fp_ieee_inexact 0
		.amdhsa_exception_int_div_zero 0
	.end_amdhsa_kernel
	.section	.text._Z19_skinny_gemm_kernelILi3ELi6ELi2ELi32ELi4EEvPKhS1_P6__halfPKfiiiiiiii,"axG",@progbits,_Z19_skinny_gemm_kernelILi3ELi6ELi2ELi32ELi4EEvPKhS1_P6__halfPKfiiiiiiii,comdat
.Lfunc_end311:
	.size	_Z19_skinny_gemm_kernelILi3ELi6ELi2ELi32ELi4EEvPKhS1_P6__halfPKfiiiiiiii, .Lfunc_end311-_Z19_skinny_gemm_kernelILi3ELi6ELi2ELi32ELi4EEvPKhS1_P6__halfPKfiiiiiiii
                                        ; -- End function
	.set _Z19_skinny_gemm_kernelILi3ELi6ELi2ELi32ELi4EEvPKhS1_P6__halfPKfiiiiiiii.num_vgpr, 128
	.set _Z19_skinny_gemm_kernelILi3ELi6ELi2ELi32ELi4EEvPKhS1_P6__halfPKfiiiiiiii.num_agpr, 0
	.set _Z19_skinny_gemm_kernelILi3ELi6ELi2ELi32ELi4EEvPKhS1_P6__halfPKfiiiiiiii.numbered_sgpr, 100
	.set _Z19_skinny_gemm_kernelILi3ELi6ELi2ELi32ELi4EEvPKhS1_P6__halfPKfiiiiiiii.num_named_barrier, 0
	.set _Z19_skinny_gemm_kernelILi3ELi6ELi2ELi32ELi4EEvPKhS1_P6__halfPKfiiiiiiii.private_seg_size, 108
	.set _Z19_skinny_gemm_kernelILi3ELi6ELi2ELi32ELi4EEvPKhS1_P6__halfPKfiiiiiiii.uses_vcc, 1
	.set _Z19_skinny_gemm_kernelILi3ELi6ELi2ELi32ELi4EEvPKhS1_P6__halfPKfiiiiiiii.uses_flat_scratch, 0
	.set _Z19_skinny_gemm_kernelILi3ELi6ELi2ELi32ELi4EEvPKhS1_P6__halfPKfiiiiiiii.has_dyn_sized_stack, 0
	.set _Z19_skinny_gemm_kernelILi3ELi6ELi2ELi32ELi4EEvPKhS1_P6__halfPKfiiiiiiii.has_recursion, 0
	.set _Z19_skinny_gemm_kernelILi3ELi6ELi2ELi32ELi4EEvPKhS1_P6__halfPKfiiiiiiii.has_indirect_call, 0
	.section	.AMDGPU.csdata,"",@progbits
; Kernel info:
; codeLenInByte = 20720
; TotalNumSgprs: 106
; NumVgprs: 128
; NumAgprs: 0
; TotalNumVgprs: 128
; ScratchSize: 108
; MemoryBound: 0
; FloatMode: 240
; IeeeMode: 1
; LDSByteSize: 36936 bytes/workgroup (compile time only)
; SGPRBlocks: 13
; VGPRBlocks: 15
; NumSGPRsForWavesPerEU: 106
; NumVGPRsForWavesPerEU: 128
; AccumOffset: 128
; Occupancy: 4
; WaveLimiterHint : 0
; COMPUTE_PGM_RSRC2:SCRATCH_EN: 1
; COMPUTE_PGM_RSRC2:USER_SGPR: 2
; COMPUTE_PGM_RSRC2:TRAP_HANDLER: 0
; COMPUTE_PGM_RSRC2:TGID_X_EN: 1
; COMPUTE_PGM_RSRC2:TGID_Y_EN: 0
; COMPUTE_PGM_RSRC2:TGID_Z_EN: 0
; COMPUTE_PGM_RSRC2:TIDIG_COMP_CNT: 0
; COMPUTE_PGM_RSRC3_GFX90A:ACCUM_OFFSET: 31
; COMPUTE_PGM_RSRC3_GFX90A:TG_SPLIT: 0
	.section	.text._Z19_skinny_gemm_kernelILi3ELi6ELi3ELi16ELi4EEvPKhS1_P6__halfPKfiiiiiiii,"axG",@progbits,_Z19_skinny_gemm_kernelILi3ELi6ELi3ELi16ELi4EEvPKhS1_P6__halfPKfiiiiiiii,comdat
	.protected	_Z19_skinny_gemm_kernelILi3ELi6ELi3ELi16ELi4EEvPKhS1_P6__halfPKfiiiiiiii ; -- Begin function _Z19_skinny_gemm_kernelILi3ELi6ELi3ELi16ELi4EEvPKhS1_P6__halfPKfiiiiiiii
	.globl	_Z19_skinny_gemm_kernelILi3ELi6ELi3ELi16ELi4EEvPKhS1_P6__halfPKfiiiiiiii
	.p2align	8
	.type	_Z19_skinny_gemm_kernelILi3ELi6ELi3ELi16ELi4EEvPKhS1_P6__halfPKfiiiiiiii,@function
_Z19_skinny_gemm_kernelILi3ELi6ELi3ELi16ELi4EEvPKhS1_P6__halfPKfiiiiiiii: ; @_Z19_skinny_gemm_kernelILi3ELi6ELi3ELi16ELi4EEvPKhS1_P6__halfPKfiiiiiiii
; %bb.0:
	v_cmp_gt_u32_e32 vcc, 27, v0
	v_lshlrev_b32_e32 v1, 2, v0
	s_and_saveexec_b64 s[4:5], vcc
; %bb.1:
	v_mov_b32_e32 v2, 0
	ds_write_b32 v1, v2 offset:55296
; %bb.2:
	s_or_b64 exec, exec, s[4:5]
	s_load_dwordx8 s[20:27], s[0:1], 0x20
	s_mov_b32 s58, 0x2aaaaaab
	s_waitcnt lgkmcnt(0)
	s_barrier
	s_add_i32 s3, s20, 47
	s_mul_hi_i32 s3, s3, 0x2aaaaaab
	s_lshr_b32 s4, s3, 31
	s_ashr_i32 s33, s3, 3
	s_add_i32 s3, s21, 0x5f
	s_mul_hi_i32 s3, s3, 0x2aaaaaab
	s_add_i32 s33, s33, s4
	s_lshr_b32 s4, s3, 31
	s_ashr_i32 s56, s3, 4
	s_add_i32 s56, s56, s4
	s_mul_i32 s3, s56, s33
	s_mul_i32 s3, s3, s24
	s_add_i32 s4, s3, 0x12f
	s_mul_hi_i32 s4, s4, 0x6bca1af3
	s_lshr_b32 s5, s4, 31
	s_ashr_i32 s4, s4, 7
	s_add_i32 s4, s4, s5
	s_add_i32 s5, s2, 1
	s_mul_i32 s5, s4, s5
	v_cvt_f64_i32_e32 v[2:3], s3
	v_cvt_f64_u32_e32 v[4:5], s5
	v_min_f64 v[2:3], v[2:3], v[4:5]
	v_cvt_i32_f64_e32 v73, v[2:3]
	s_mul_i32 s57, s4, s2
	v_cmp_ge_i32_e32 vcc, s57, v73
	s_cbranch_vccnz .LBB312_67
; %bb.3:
	v_lshrrev_b32_e32 v2, 6, v0
	s_add_i32 s4, s26, s25
	s_load_dwordx8 s[36:43], s[0:1], 0x0
	v_cmp_le_i32_e64 s[0:1], s4, v2
	v_mov_b32_e32 v3, s25
	v_cmp_le_i32_e64 s[2:3], s25, v2
	v_mov_b32_e32 v4, s26
	v_cndmask_b32_e64 v4, 0, v4, s[0:1]
	v_cndmask_b32_e64 v3, 0, v3, s[2:3]
	s_abs_i32 s5, s24
	v_add_u32_e32 v3, v3, v4
	v_cvt_f32_u32_e32 v4, s5
	v_sub_u32_e32 v86, v2, v3
	s_ashr_i32 s6, s22, 31
	s_lshr_b32 s6, s6, 25
	v_rcp_iflag_f32_e32 v3, v4
	s_sub_i32 s9, 0, s5
	s_add_i32 s6, s22, s6
	s_ashr_i32 s6, s6, 7
	v_mul_f32_e32 v3, 0x4f7ffffe, v3
	v_cvt_u32_f32_e32 v3, v3
	s_abs_i32 s8, s6
	s_xor_b32 s7, s6, s24
	s_ashr_i32 s7, s7, 31
	v_readfirstlane_b32 s10, v3
	s_mul_i32 s9, s9, s10
	s_mul_hi_u32 s9, s10, s9
	s_add_i32 s10, s10, s9
	s_mul_hi_u32 s9, s8, s10
	s_mul_i32 s10, s9, s5
	s_sub_i32 s8, s8, s10
	s_add_i32 s10, s9, 1
	s_sub_i32 s11, s8, s5
	s_cmp_ge_u32 s8, s5
	s_cselect_b32 s9, s10, s9
	s_cselect_b32 s8, s11, s8
	s_add_i32 s10, s9, 1
	s_cmp_ge_u32 s8, s5
	s_cselect_b32 s5, s10, s9
	s_xor_b32 s5, s5, s7
	s_sub_i32 s59, s5, s7
	s_add_i32 s24, s24, -1
	s_mul_i32 s5, s59, s24
	s_add_i32 s4, s4, s27
	s_sub_i32 s60, s6, s5
	v_cmp_gt_i32_e64 s[4:5], s4, v2
	v_lshlrev_b32_e32 v2, 1, v0
	v_lshlrev_b32_e32 v3, 4, v0
	v_and_b32_e32 v1, 60, v1
	v_and_b32_e32 v2, 64, v2
	;; [unrolled: 1-line block ×3, first 2 shown]
	v_or3_b32 v115, v1, v2, v4
	v_and_b32_e32 v1, 1, v0
	v_lshrrev_b32_e32 v4, 2, v0
	v_and_b32_e32 v72, 14, v0
	v_and_or_b32 v118, v4, 12, v1
	v_mad_u64_u32 v[74:75], s[6:7], s21, v118, v[72:73]
	s_lshl_b32 s6, s21, 4
	s_nop 0
	v_add_u32_e32 v4, s6, v74
	s_abs_i32 s61, s33
	v_ashrrev_i32_e32 v5, 31, v4
	v_and_b32_e32 v80, 48, v3
	v_cvt_f32_u32_e32 v3, s61
	scratch_store_dwordx2 off, v[4:5], off  ; 8-byte Folded Spill
	v_add_u32_e32 v4, s6, v4
	v_lshlrev_b32_e32 v2, 1, v1
	v_ashrrev_i32_e32 v5, 31, v4
	v_sub_u32_e32 v2, v0, v2
	v_bitop3_b32 v116, v0, 1, v0 bitop3:0xc
	v_bitop3_b32 v117, v0, 3, 1 bitop3:0x6c
	scratch_store_dwordx2 off, v[4:5], off offset:8 ; 8-byte Folded Spill
	v_bfe_u32 v119, v0, 2, 4
	v_and_b32_e32 v1, 60, v0
	v_lshlrev_b32_e32 v4, 8, v0
	v_lshlrev_b32_e32 v0, 6, v0
	v_and_b32_e32 v4, 0x200, v4
	v_rcp_iflag_f32_e32 v3, v3
	v_and_b32_e32 v0, 64, v0
	s_abs_i32 s63, s56
	v_or3_b32 v120, v1, v4, v0
	v_cvt_f32_u32_e32 v1, s63
	v_mul_f32_e32 v0, 0x4f7ffffe, v3
	v_cvt_u32_f32_e32 v0, v0
	s_sub_i32 s6, 0, s61
	v_rcp_iflag_f32_e32 v1, v1
	v_add_u32_e32 v2, 1, v2
	v_readfirstlane_b32 s7, v0
	s_mul_i32 s6, s6, s7
	v_mul_f32_e32 v0, 0x4f7ffffe, v1
	v_cvt_u32_f32_e32 v0, v0
	s_mul_hi_u32 s6, s7, s6
	s_add_i32 s65, s7, s6
	s_sub_i32 s6, 0, s63
	v_readfirstlane_b32 s7, v0
	v_mbcnt_lo_u32_b32 v0, -1, 0
	v_and_b32_e32 v2, 63, v2
	s_mul_i32 s6, s6, s7
	v_mbcnt_hi_u32_b32 v0, -1, v0
	v_mul_lo_u32 v82, s23, v119
	s_mul_hi_u32 s6, s7, s6
	v_and_or_b32 v0, v0, 64, v2
	v_cndmask_b32_e64 v114, 0, 1, s[0:1]
	s_ashr_i32 s29, s21, 31
	s_mov_b32 s28, s21
	v_ashrrev_i32_e32 v75, 31, v74
	v_ashrrev_i32_e32 v83, 31, v82
	v_mov_b32_e32 v81, 0
	s_lshl_b32 s62, s23, 4
	s_ashr_i32 s64, s33, 31
	s_ashr_i32 s66, s56, 31
	s_add_i32 s67, s7, s6
	s_movk_i32 s68, 0x3000
	s_movk_i32 s69, 0x1800
	s_mov_b64 s[30:31], 0x60
	s_mov_b64 s[34:35], 0x80
	;; [unrolled: 1-line block ×3, first 2 shown]
	s_mov_b32 s70, 0x55555556
	v_lshlrev_b32_e32 v121, 2, v0
	v_mov_b32_e32 v122, v86
	s_branch .LBB312_7
.LBB312_4:                              ;   in Loop: Header=BB312_7 Depth=1
	s_or_b64 exec, exec, s[10:11]
.LBB312_5:                              ;   in Loop: Header=BB312_7 Depth=1
	s_or_b64 exec, exec, s[8:9]
	v_subrev_u32_e32 v122, s74, v122
.LBB312_6:                              ;   in Loop: Header=BB312_7 Depth=1
	s_or_b64 exec, exec, s[6:7]
	s_add_i32 s57, s57, 1
	v_cmp_ge_i32_e32 vcc, s57, v73
	s_cbranch_vccnz .LBB312_67
.LBB312_7:                              ; =>This Loop Header: Depth=1
                                        ;     Child Loop BB312_13 Depth 2
                                        ;       Child Loop BB312_15 Depth 3
                                        ;       Child Loop BB312_18 Depth 3
	;; [unrolled: 1-line block ×9, first 2 shown]
                                        ;     Child Loop BB312_54 Depth 2
                                        ;       Child Loop BB312_56 Depth 3
                                        ;     Child Loop BB312_64 Depth 2
                                        ;       Child Loop BB312_66 Depth 3
	s_abs_i32 s7, s57
	s_mul_hi_u32 s8, s7, s65
	s_mul_i32 s9, s8, s61
	s_ashr_i32 s6, s57, 31
	s_sub_i32 s7, s7, s9
	s_xor_b32 s6, s6, s64
	s_add_i32 s9, s8, 1
	s_sub_i32 s10, s7, s61
	s_cmp_ge_u32 s7, s61
	s_cselect_b32 s8, s9, s8
	s_cselect_b32 s7, s10, s7
	s_add_i32 s9, s8, 1
	s_cmp_ge_u32 s7, s61
	s_cselect_b32 s7, s9, s8
	s_xor_b32 s7, s7, s6
	s_sub_i32 s6, s7, s6
	s_abs_i32 s8, s6
	s_mul_hi_u32 s9, s8, s67
	s_mul_i32 s7, s6, s33
	s_mul_i32 s10, s9, s63
	s_sub_i32 s71, s57, s7
	s_ashr_i32 s7, s6, 31
	s_sub_i32 s8, s8, s10
	s_xor_b32 s7, s7, s66
	s_add_i32 s10, s9, 1
	s_sub_i32 s11, s8, s63
	s_cmp_ge_u32 s8, s63
	s_cselect_b32 s9, s10, s9
	s_cselect_b32 s8, s11, s8
	s_add_i32 s10, s9, 1
	s_cmp_ge_u32 s8, s63
	s_cselect_b32 s8, s10, s9
	s_xor_b32 s8, s8, s7
	s_sub_i32 s7, s8, s7
	s_mul_i32 s8, s7, s59
	s_lshl_b32 s72, s8, 7
	s_mul_i32 s71, s71, 48
	s_cmp_eq_u32 s7, s24
	s_cselect_b32 s74, s60, s59
	s_sub_i32 s8, s71, s20
	s_add_i32 s8, s8, 48
	s_max_i32 s73, s8, 0
	s_and_saveexec_b64 s[8:9], s[2:3]
	s_xor_b64 s[46:47], exec, s[8:9]
	s_cbranch_execz .LBB312_60
; %bb.8:                                ;   in Loop: Header=BB312_7 Depth=1
	s_mul_i32 s7, s7, s56
	s_sub_i32 s6, s6, s7
	s_mulk_i32 s6, 0x60
	s_sub_i32 s49, s6, s21
	s_addk_i32 s49, 0x60
	s_max_i32 s7, s49, 0
	s_sub_i32 s48, s6, s7
	s_and_saveexec_b64 s[6:7], s[0:1]
	s_xor_b64 s[50:51], exec, s[6:7]
	s_cbranch_execz .LBB312_50
; %bb.9:                                ;   in Loop: Header=BB312_7 Depth=1
	s_and_saveexec_b64 s[52:53], s[4:5]
	s_cbranch_execz .LBB312_49
; %bb.10:                               ;   in Loop: Header=BB312_7 Depth=1
	s_waitcnt lgkmcnt(0)
	global_load_dword v123, v81, s[42:43]
	v_mov_b32_e32 v71, 0
	v_cmp_gt_i32_e32 vcc, s74, v122
	v_mov_b32_e32 v70, v71
	v_mov_b32_e32 v69, v71
	;; [unrolled: 1-line block ×71, first 2 shown]
	s_and_saveexec_b64 s[6:7], vcc
	s_cbranch_execz .LBB312_41
; %bb.11:                               ;   in Loop: Header=BB312_7 Depth=1
	v_mov_b32_e32 v12, 0
	s_mov_b64 s[8:9], 0
	v_mov_b32_e32 v13, v12
	v_mov_b32_e32 v14, v12
	;; [unrolled: 1-line block ×71, first 2 shown]
	s_branch .LBB312_13
.LBB312_12:                             ;   in Loop: Header=BB312_13 Depth=2
	s_or_b64 exec, exec, s[10:11]
	v_add_u32_e32 v78, 0x2800, v108
	ds_read2_b32 v[76:77], v78 offset1:32
	ds_read2_b32 v[78:79], v78 offset0:128 offset1:160
	v_add_u32_e32 v108, 0x2c00, v108
	v_add_u32_e32 v122, s27, v122
	s_waitcnt lgkmcnt(1)
	v_mfma_f32_16x16x32_fp8_fp8 v[48:51], v[84:85], v[76:77], v[48:51]
	ds_read2_b32 v[84:85], v108 offset1:32
	v_mfma_f32_16x16x32_fp8_fp8 v[24:27], v[92:93], v[76:77], v[24:27]
	v_mfma_f32_16x16x32_fp8_fp8 v[12:15], v[102:103], v[76:77], v[12:15]
	v_add_u32_e32 v76, 2, v114
	s_waitcnt lgkmcnt(1)
	v_mfma_f32_16x16x32_fp8_fp8 v[48:51], v[86:87], v[78:79], v[48:51]
	v_add_u32_e32 v86, s27, v124
	v_cmp_lt_i32_e32 vcc, 2, v86
	v_mfma_f32_16x16x32_fp8_fp8 v[24:27], v[94:95], v[78:79], v[24:27]
	s_nop 0
	v_cndmask_b32_e32 v114, v114, v76, vcc
	v_cmp_le_i32_e32 vcc, s74, v122
	s_or_b64 s[8:9], vcc, s[8:9]
	v_mfma_f32_16x16x32_fp8_fp8 v[12:15], v[104:105], v[78:79], v[12:15]
	s_waitcnt lgkmcnt(0)
	v_mfma_f32_16x16x32_fp8_fp8 v[48:51], v[88:89], v[84:85], v[48:51]
	ds_read2_b32 v[88:89], v108 offset0:128 offset1:160
	;;#ASMSTART
	s_waitcnt lgkmcnt(0)
	;;#ASMEND
	ds_write_b32 v125, v126 offset:55352
	v_mfma_f32_16x16x32_fp8_fp8 v[24:27], v[96:97], v[84:85], v[24:27]
	v_mfma_f32_16x16x32_fp8_fp8 v[12:15], v[106:107], v[84:85], v[12:15]
	s_waitcnt lgkmcnt(1)
	v_mfma_f32_16x16x32_fp8_fp8 v[48:51], v[90:91], v[88:89], v[48:51]
	v_mfma_f32_16x16x32_fp8_fp8 v[24:27], v[98:99], v[88:89], v[24:27]
	;; [unrolled: 1-line block ×3, first 2 shown]
	s_andn2_b64 exec, exec, s[8:9]
	s_cbranch_execz .LBB312_40
.LBB312_13:                             ;   Parent Loop BB312_7 Depth=1
                                        ; =>  This Loop Header: Depth=2
                                        ;       Child Loop BB312_15 Depth 3
                                        ;       Child Loop BB312_18 Depth 3
	;; [unrolled: 1-line block ×9, first 2 shown]
	v_cmp_gt_i32_e32 vcc, 3, v86
	s_nop 1
	v_cndmask_b32_e64 v76, -3, 0, vcc
	v_add_u32_e32 v124, v76, v86
	v_mul_lo_u32 v125, v124, 24
	ds_read_b32 v76, v125 offset:55332
	s_waitcnt lgkmcnt(0)
	v_cmp_ne_u32_e32 vcc, v76, v114
	s_and_saveexec_b64 s[10:11], vcc
	s_cbranch_execz .LBB312_16
; %bb.14:                               ;   in Loop: Header=BB312_13 Depth=2
	s_mov_b64 s[12:13], 0
.LBB312_15:                             ;   Parent Loop BB312_7 Depth=1
                                        ;     Parent Loop BB312_13 Depth=2
                                        ; =>    This Inner Loop Header: Depth=3
	;;#ASMSTART
	s_sleep 0
	;;#ASMEND
	ds_read_b32 v76, v125 offset:55332
	s_waitcnt lgkmcnt(0)
	v_cmp_eq_u32_e32 vcc, v76, v114
	s_or_b64 s[12:13], vcc, s[12:13]
	s_andn2_b64 exec, exec, s[12:13]
	s_cbranch_execnz .LBB312_15
.LBB312_16:                             ;   in Loop: Header=BB312_13 Depth=2
	s_or_b64 exec, exec, s[10:11]
	v_mul_lo_u32 v127, v124, s68
	v_or_b32_e32 v76, v115, v127
	ds_read2_b32 v[100:101], v76 offset1:32
	ds_read2_b32 v[108:109], v76 offset0:128 offset1:160
	v_add_u32_e32 v76, 0x400, v76
	v_add_u32_e32 v126, 1, v114
	ds_read2_b32 v[112:113], v76 offset1:32
	ds_read2_b32 v[110:111], v76 offset0:128 offset1:160
	;;#ASMSTART
	s_waitcnt lgkmcnt(0)
	;;#ASMEND
	ds_write_b32 v125, v126 offset:55332
	v_mul_lo_u32 v78, v124, 12
	ds_read_b32 v76, v78 offset:55296
	s_waitcnt lgkmcnt(0)
	v_cmp_ne_u32_e32 vcc, v76, v114
	s_and_saveexec_b64 s[10:11], vcc
	s_cbranch_execz .LBB312_19
; %bb.17:                               ;   in Loop: Header=BB312_13 Depth=2
	s_mov_b64 s[12:13], 0
.LBB312_18:                             ;   Parent Loop BB312_7 Depth=1
                                        ;     Parent Loop BB312_13 Depth=2
                                        ; =>    This Inner Loop Header: Depth=3
	;;#ASMSTART
	s_sleep 0
	;;#ASMEND
	ds_read_b32 v76, v78 offset:55296
	s_waitcnt lgkmcnt(0)
	v_cmp_eq_u32_e32 vcc, v76, v114
	s_or_b64 s[12:13], vcc, s[12:13]
	s_andn2_b64 exec, exec, s[12:13]
	s_cbranch_execnz .LBB312_18
.LBB312_19:                             ;   in Loop: Header=BB312_13 Depth=2
	s_or_b64 exec, exec, s[10:11]
	v_mul_lo_u32 v76, v124, s69
	v_or_b32_e32 v77, 0x9000, v115
	v_add_u32_e32 v79, v77, v76
	ds_read2_b32 v[84:85], v79 offset1:32
	ds_read2_b32 v[86:87], v79 offset0:128 offset1:160
	v_add_u32_e32 v76, 0x400, v79
	ds_read2_b32 v[88:89], v76 offset1:32
	ds_read2_b32 v[90:91], v76 offset0:128 offset1:160
	ds_read_b32 v76, v78 offset:55300
	ds_write_b32 v78, v126 offset:55296
	s_waitcnt lgkmcnt(5)
	v_mfma_f32_16x16x32_fp8_fp8 v[68:71], v[84:85], v[100:101], v[68:71]
	s_waitcnt lgkmcnt(1)
	v_cmp_ne_u32_e32 vcc, v76, v114
	v_mfma_f32_16x16x32_fp8_fp8 v[68:71], v[86:87], v[108:109], v[68:71]
	v_mfma_f32_16x16x32_fp8_fp8 v[68:71], v[88:89], v[112:113], v[68:71]
	;; [unrolled: 1-line block ×3, first 2 shown]
	s_and_saveexec_b64 s[10:11], vcc
	s_cbranch_execz .LBB312_22
; %bb.20:                               ;   in Loop: Header=BB312_13 Depth=2
	s_mov_b64 s[12:13], 0
.LBB312_21:                             ;   Parent Loop BB312_7 Depth=1
                                        ;     Parent Loop BB312_13 Depth=2
                                        ; =>    This Inner Loop Header: Depth=3
	;;#ASMSTART
	s_sleep 0
	;;#ASMEND
	ds_read_b32 v76, v78 offset:55300
	s_waitcnt lgkmcnt(0)
	v_cmp_eq_u32_e32 vcc, v76, v114
	s_or_b64 s[12:13], vcc, s[12:13]
	s_andn2_b64 exec, exec, s[12:13]
	s_cbranch_execnz .LBB312_21
.LBB312_22:                             ;   in Loop: Header=BB312_13 Depth=2
	s_or_b64 exec, exec, s[10:11]
	v_add_u32_e32 v76, 0x800, v79
	ds_read2_b32 v[92:93], v76 offset1:32
	ds_read2_b32 v[94:95], v76 offset0:128 offset1:160
	v_add_u32_e32 v76, 0xc00, v79
	ds_read2_b32 v[96:97], v76 offset1:32
	ds_read2_b32 v[98:99], v76 offset0:128 offset1:160
	ds_read_b32 v76, v78 offset:55304
	s_waitcnt lgkmcnt(4)
	v_mfma_f32_16x16x32_fp8_fp8 v[44:47], v[92:93], v[100:101], v[44:47]
	ds_write_b32 v78, v126 offset:55300
	s_waitcnt lgkmcnt(1)
	v_cmp_ne_u32_e32 vcc, v76, v114
	v_mfma_f32_16x16x32_fp8_fp8 v[44:47], v[94:95], v[108:109], v[44:47]
	v_mfma_f32_16x16x32_fp8_fp8 v[44:47], v[96:97], v[112:113], v[44:47]
	;; [unrolled: 1-line block ×3, first 2 shown]
	s_and_saveexec_b64 s[10:11], vcc
	s_cbranch_execz .LBB312_25
; %bb.23:                               ;   in Loop: Header=BB312_13 Depth=2
	s_mov_b64 s[12:13], 0
.LBB312_24:                             ;   Parent Loop BB312_7 Depth=1
                                        ;     Parent Loop BB312_13 Depth=2
                                        ; =>    This Inner Loop Header: Depth=3
	;;#ASMSTART
	s_sleep 0
	;;#ASMEND
	ds_read_b32 v76, v78 offset:55304
	s_waitcnt lgkmcnt(0)
	v_cmp_eq_u32_e32 vcc, v76, v114
	s_or_b64 s[12:13], vcc, s[12:13]
	s_andn2_b64 exec, exec, s[12:13]
	s_cbranch_execnz .LBB312_24
.LBB312_25:                             ;   in Loop: Header=BB312_13 Depth=2
	s_or_b64 exec, exec, s[10:11]
	v_add_u32_e32 v76, 0x1000, v79
	ds_read2_b32 v[102:103], v76 offset1:32
	ds_read2_b32 v[104:105], v76 offset0:128 offset1:160
	v_add_u32_e32 v76, 0x1400, v79
	ds_read2_b32 v[106:107], v76 offset1:32
	ds_write_b32 v78, v126 offset:55304
	s_waitcnt lgkmcnt(3)
	v_mfma_f32_16x16x32_fp8_fp8 v[20:23], v[102:103], v[100:101], v[20:23]
	ds_read2_b32 v[100:101], v76 offset0:128 offset1:160
	ds_read_b32 v76, v125 offset:55336
	s_waitcnt lgkmcnt(0)
	v_cmp_ne_u32_e32 vcc, v76, v114
	v_mfma_f32_16x16x32_fp8_fp8 v[20:23], v[104:105], v[108:109], v[20:23]
	v_mfma_f32_16x16x32_fp8_fp8 v[20:23], v[106:107], v[112:113], v[20:23]
	;; [unrolled: 1-line block ×3, first 2 shown]
	s_and_saveexec_b64 s[10:11], vcc
	s_cbranch_execz .LBB312_28
; %bb.26:                               ;   in Loop: Header=BB312_13 Depth=2
	s_mov_b64 s[12:13], 0
.LBB312_27:                             ;   Parent Loop BB312_7 Depth=1
                                        ;     Parent Loop BB312_13 Depth=2
                                        ; =>    This Inner Loop Header: Depth=3
	;;#ASMSTART
	s_sleep 0
	;;#ASMEND
	ds_read_b32 v76, v125 offset:55336
	s_waitcnt lgkmcnt(0)
	v_cmp_eq_u32_e32 vcc, v76, v114
	s_or_b64 s[12:13], vcc, s[12:13]
	s_andn2_b64 exec, exec, s[12:13]
	s_cbranch_execnz .LBB312_27
.LBB312_28:                             ;   in Loop: Header=BB312_13 Depth=2
	s_or_b64 exec, exec, s[10:11]
	v_add_u32_e32 v108, v115, v127
	v_add_u32_e32 v76, 0x800, v108
	ds_read2_b32 v[78:79], v76 offset1:32
	ds_read2_b32 v[110:111], v76 offset0:128 offset1:160
	v_add_u32_e32 v76, 0xc00, v108
	ds_read2_b32 v[112:113], v76 offset1:32
	ds_read2_b32 v[76:77], v76 offset0:128 offset1:160
	s_waitcnt lgkmcnt(3)
	v_mfma_f32_16x16x32_fp8_fp8 v[64:67], v[84:85], v[78:79], v[64:67]
	;;#ASMSTART
	s_waitcnt lgkmcnt(0)
	;;#ASMEND
	ds_write_b32 v125, v126 offset:55336
	v_mfma_f32_16x16x32_fp8_fp8 v[40:43], v[92:93], v[78:79], v[40:43]
	v_mfma_f32_16x16x32_fp8_fp8 v[16:19], v[102:103], v[78:79], v[16:19]
	ds_read_b32 v78, v125 offset:55340
	s_waitcnt lgkmcnt(0)
	v_cmp_ne_u32_e32 vcc, v78, v114
	v_mfma_f32_16x16x32_fp8_fp8 v[64:67], v[86:87], v[110:111], v[64:67]
	v_mfma_f32_16x16x32_fp8_fp8 v[40:43], v[94:95], v[110:111], v[40:43]
	v_mfma_f32_16x16x32_fp8_fp8 v[16:19], v[104:105], v[110:111], v[16:19]
	v_mfma_f32_16x16x32_fp8_fp8 v[64:67], v[88:89], v[112:113], v[64:67]
	v_mfma_f32_16x16x32_fp8_fp8 v[40:43], v[96:97], v[112:113], v[40:43]
	v_mfma_f32_16x16x32_fp8_fp8 v[16:19], v[106:107], v[112:113], v[16:19]
	v_mfma_f32_16x16x32_fp8_fp8 v[64:67], v[90:91], v[76:77], v[64:67]
	v_mfma_f32_16x16x32_fp8_fp8 v[40:43], v[98:99], v[76:77], v[40:43]
	v_mfma_f32_16x16x32_fp8_fp8 v[16:19], v[100:101], v[76:77], v[16:19]
	s_and_saveexec_b64 s[10:11], vcc
	s_cbranch_execz .LBB312_31
; %bb.29:                               ;   in Loop: Header=BB312_13 Depth=2
	s_mov_b64 s[12:13], 0
.LBB312_30:                             ;   Parent Loop BB312_7 Depth=1
                                        ;     Parent Loop BB312_13 Depth=2
                                        ; =>    This Inner Loop Header: Depth=3
	;;#ASMSTART
	s_sleep 0
	;;#ASMEND
	ds_read_b32 v76, v125 offset:55340
	s_waitcnt lgkmcnt(0)
	v_cmp_eq_u32_e32 vcc, v76, v114
	s_or_b64 s[12:13], vcc, s[12:13]
	s_andn2_b64 exec, exec, s[12:13]
	s_cbranch_execnz .LBB312_30
.LBB312_31:                             ;   in Loop: Header=BB312_13 Depth=2
	s_or_b64 exec, exec, s[10:11]
	v_add_u32_e32 v78, 0x1000, v108
	ds_read2_b32 v[76:77], v78 offset1:32
	ds_read2_b32 v[78:79], v78 offset0:128 offset1:160
	v_add_u32_e32 v109, 0x1400, v108
	ds_read2_b32 v[110:111], v109 offset1:32
	ds_read2_b32 v[112:113], v109 offset0:128 offset1:160
	s_waitcnt lgkmcnt(3)
	v_mfma_f32_16x16x32_fp8_fp8 v[60:63], v[84:85], v[76:77], v[60:63]
	;;#ASMSTART
	s_waitcnt lgkmcnt(0)
	;;#ASMEND
	ds_write_b32 v125, v126 offset:55340
	v_mfma_f32_16x16x32_fp8_fp8 v[36:39], v[92:93], v[76:77], v[36:39]
	v_mfma_f32_16x16x32_fp8_fp8 v[8:11], v[102:103], v[76:77], v[8:11]
	ds_read_b32 v76, v125 offset:55344
	s_waitcnt lgkmcnt(0)
	v_cmp_ne_u32_e32 vcc, v76, v114
	v_mfma_f32_16x16x32_fp8_fp8 v[60:63], v[86:87], v[78:79], v[60:63]
	v_mfma_f32_16x16x32_fp8_fp8 v[36:39], v[94:95], v[78:79], v[36:39]
	v_mfma_f32_16x16x32_fp8_fp8 v[8:11], v[104:105], v[78:79], v[8:11]
	v_mfma_f32_16x16x32_fp8_fp8 v[60:63], v[88:89], v[110:111], v[60:63]
	v_mfma_f32_16x16x32_fp8_fp8 v[36:39], v[96:97], v[110:111], v[36:39]
	v_mfma_f32_16x16x32_fp8_fp8 v[8:11], v[106:107], v[110:111], v[8:11]
	v_mfma_f32_16x16x32_fp8_fp8 v[60:63], v[90:91], v[112:113], v[60:63]
	v_mfma_f32_16x16x32_fp8_fp8 v[36:39], v[98:99], v[112:113], v[36:39]
	v_mfma_f32_16x16x32_fp8_fp8 v[8:11], v[100:101], v[112:113], v[8:11]
	s_and_saveexec_b64 s[10:11], vcc
	s_cbranch_execz .LBB312_34
; %bb.32:                               ;   in Loop: Header=BB312_13 Depth=2
	s_mov_b64 s[12:13], 0
.LBB312_33:                             ;   Parent Loop BB312_7 Depth=1
                                        ;     Parent Loop BB312_13 Depth=2
                                        ; =>    This Inner Loop Header: Depth=3
	;;#ASMSTART
	s_sleep 0
	;;#ASMEND
	ds_read_b32 v76, v125 offset:55344
	s_waitcnt lgkmcnt(0)
	v_cmp_eq_u32_e32 vcc, v76, v114
	s_or_b64 s[12:13], vcc, s[12:13]
	s_andn2_b64 exec, exec, s[12:13]
	s_cbranch_execnz .LBB312_33
.LBB312_34:                             ;   in Loop: Header=BB312_13 Depth=2
	s_or_b64 exec, exec, s[10:11]
	;; [unrolled: 44-line block ×3, first 2 shown]
	v_add_u32_e32 v78, 0x2000, v108
	ds_read2_b32 v[76:77], v78 offset1:32
	ds_read2_b32 v[78:79], v78 offset0:128 offset1:160
	v_add_u32_e32 v109, 0x2400, v108
	ds_read2_b32 v[110:111], v109 offset1:32
	ds_read2_b32 v[112:113], v109 offset0:128 offset1:160
	s_waitcnt lgkmcnt(3)
	v_mfma_f32_16x16x32_fp8_fp8 v[52:55], v[84:85], v[76:77], v[52:55]
	;;#ASMSTART
	s_waitcnt lgkmcnt(0)
	;;#ASMEND
	ds_write_b32 v125, v126 offset:55348
	v_mfma_f32_16x16x32_fp8_fp8 v[28:31], v[92:93], v[76:77], v[28:31]
	v_mfma_f32_16x16x32_fp8_fp8 v[0:3], v[102:103], v[76:77], v[0:3]
	ds_read_b32 v76, v125 offset:55352
	s_waitcnt lgkmcnt(0)
	v_cmp_ne_u32_e32 vcc, v76, v114
	v_mfma_f32_16x16x32_fp8_fp8 v[52:55], v[86:87], v[78:79], v[52:55]
	v_mfma_f32_16x16x32_fp8_fp8 v[28:31], v[94:95], v[78:79], v[28:31]
	;; [unrolled: 1-line block ×9, first 2 shown]
	s_and_saveexec_b64 s[10:11], vcc
	s_cbranch_execz .LBB312_12
; %bb.38:                               ;   in Loop: Header=BB312_13 Depth=2
	s_mov_b64 s[12:13], 0
.LBB312_39:                             ;   Parent Loop BB312_7 Depth=1
                                        ;     Parent Loop BB312_13 Depth=2
                                        ; =>    This Inner Loop Header: Depth=3
	;;#ASMSTART
	s_sleep 0
	;;#ASMEND
	ds_read_b32 v76, v125 offset:55352
	s_waitcnt lgkmcnt(0)
	v_cmp_eq_u32_e32 vcc, v76, v114
	s_or_b64 s[12:13], vcc, s[12:13]
	s_andn2_b64 exec, exec, s[12:13]
	s_cbranch_execnz .LBB312_39
	s_branch .LBB312_12
.LBB312_40:                             ;   in Loop: Header=BB312_7 Depth=1
	s_or_b64 exec, exec, s[8:9]
.LBB312_41:                             ;   in Loop: Header=BB312_7 Depth=1
	s_or_b64 exec, exec, s[6:7]
	v_cmp_le_i32_e32 vcc, s49, v72
	v_cmp_eq_u32_e64 s[12:13], 1, v116
	v_cmp_eq_u32_e64 s[6:7], 3, v116
	s_waitcnt vmcnt(0)
	v_cndmask_b32_e32 v84, 0, v123, vcc
	v_pk_mul_f32 v[68:69], v[84:85], v[68:69] op_sel_hi:[0,1]
	v_pk_mul_f32 v[76:77], v[84:85], v[70:71] op_sel_hi:[0,1]
	v_cndmask_b32_e64 v70, v68, v69, s[12:13]
	v_cmp_eq_u32_e32 vcc, 2, v116
	v_cmp_eq_u32_e64 s[8:9], 0, v116
	v_cmp_eq_u32_e64 s[10:11], 1, v117
	v_cndmask_b32_e32 v70, v70, v76, vcc
	v_cndmask_b32_e64 v70, v70, v77, s[6:7]
	ds_bpermute_b32 v78, v121, v70
	v_cmp_eq_u32_e64 s[16:17], 3, v117
	s_waitcnt lgkmcnt(0)
	v_cndmask_b32_e64 v85, v68, v78, s[8:9]
	v_or_b32_e32 v68, 16, v72
	v_cmp_le_i32_e64 s[14:15], s49, v68
	v_cndmask_b32_e64 v69, v69, v78, s[12:13]
	v_cndmask_b32_e64 v70, v77, v78, s[6:7]
	;; [unrolled: 1-line block ×3, first 2 shown]
	v_pk_mul_f32 v[64:65], v[68:69], v[64:65] op_sel_hi:[0,1]
	v_cndmask_b32_e32 v71, v76, v78, vcc
	v_pk_mul_f32 v[76:77], v[68:69], v[66:67] op_sel_hi:[0,1]
	v_cndmask_b32_e64 v66, v64, v65, s[12:13]
	v_cndmask_b32_e32 v66, v66, v76, vcc
	v_cndmask_b32_e64 v66, v66, v77, s[6:7]
	ds_bpermute_b32 v79, v121, v66
	v_cndmask_b32_e64 v78, v85, v69, s[10:11]
	v_cmp_eq_u32_e64 s[14:15], 2, v117
	s_waitcnt lgkmcnt(0)
	v_cndmask_b32_e64 v89, v64, v79, s[8:9]
	v_or_b32_e32 v64, 32, v72
	v_cmp_le_i32_e64 s[18:19], s49, v64
	v_cndmask_b32_e64 v65, v65, v79, s[12:13]
	v_cndmask_b32_e64 v66, v78, v71, s[14:15]
	;; [unrolled: 1-line block ×3, first 2 shown]
	v_pk_mul_f32 v[60:61], v[64:65], v[60:61] op_sel_hi:[0,1]
	v_cndmask_b32_e64 v67, v77, v79, s[6:7]
	v_cndmask_b32_e32 v78, v76, v79, vcc
	v_pk_mul_f32 v[76:77], v[64:65], v[62:63] op_sel_hi:[0,1]
	v_cndmask_b32_e64 v62, v60, v61, s[12:13]
	v_cndmask_b32_e32 v62, v62, v76, vcc
	v_cndmask_b32_e64 v62, v62, v77, s[6:7]
	ds_bpermute_b32 v87, v121, v62
	v_cndmask_b32_e64 v62, v89, v65, s[10:11]
	v_cndmask_b32_e64 v62, v62, v78, s[14:15]
	;; [unrolled: 1-line block ×4, first 2 shown]
	s_waitcnt lgkmcnt(0)
	v_cndmask_b32_e64 v92, v60, v87, s[8:9]
	v_or_b32_e32 v60, 48, v72
	v_cmp_le_i32_e64 s[18:19], s49, v60
	v_cndmask_b32_e64 v61, v61, v87, s[12:13]
	v_cndmask_b32_e64 v63, v77, v87, s[6:7]
	;; [unrolled: 1-line block ×3, first 2 shown]
	v_pk_mul_f32 v[56:57], v[60:61], v[56:57] op_sel_hi:[0,1]
	v_cndmask_b32_e32 v79, v76, v87, vcc
	v_pk_mul_f32 v[76:77], v[60:61], v[58:59] op_sel_hi:[0,1]
	v_cndmask_b32_e64 v58, v56, v57, s[12:13]
	v_cndmask_b32_e32 v58, v58, v76, vcc
	v_cndmask_b32_e64 v58, v58, v77, s[6:7]
	ds_bpermute_b32 v88, v121, v58
	v_cndmask_b32_e64 v58, v92, v61, s[10:11]
	v_cndmask_b32_e64 v58, v58, v79, s[14:15]
	;; [unrolled: 1-line block ×3, first 2 shown]
	ds_bpermute_b32 v66, v121, v66
	s_waitcnt lgkmcnt(1)
	v_cndmask_b32_e64 v93, v56, v88, s[8:9]
	v_or_b32_e32 v56, 64, v72
	v_cmp_le_i32_e64 s[18:19], s49, v56
	v_cndmask_b32_e64 v57, v57, v88, s[12:13]
	v_cndmask_b32_e64 v59, v77, v88, s[6:7]
	;; [unrolled: 1-line block ×3, first 2 shown]
	v_pk_mul_f32 v[52:53], v[56:57], v[52:53] op_sel_hi:[0,1]
	v_cndmask_b32_e32 v87, v76, v88, vcc
	v_pk_mul_f32 v[76:77], v[56:57], v[54:55] op_sel_hi:[0,1]
	v_cndmask_b32_e64 v54, v52, v53, s[12:13]
	v_cndmask_b32_e32 v54, v54, v76, vcc
	v_cndmask_b32_e64 v54, v54, v77, s[6:7]
	ds_bpermute_b32 v90, v121, v54
	v_cndmask_b32_e64 v54, v93, v57, s[10:11]
	v_cndmask_b32_e64 v54, v54, v87, s[14:15]
	;; [unrolled: 1-line block ×3, first 2 shown]
	ds_bpermute_b32 v62, v121, v62
	s_waitcnt lgkmcnt(1)
	v_cndmask_b32_e64 v95, v52, v90, s[8:9]
	v_or_b32_e32 v52, 0x50, v72
	v_cmp_le_i32_e64 s[18:19], s49, v52
	v_cndmask_b32_e64 v55, v77, v90, s[6:7]
	v_cndmask_b32_e32 v88, v76, v90, vcc
	v_cndmask_b32_e64 v52, 0, v123, s[18:19]
	v_pk_mul_f32 v[96:97], v[52:53], v[48:49] op_sel_hi:[0,1]
	v_pk_mul_f32 v[76:77], v[52:53], v[50:51] op_sel_hi:[0,1]
	v_cndmask_b32_e64 v48, v96, v97, s[12:13]
	v_cndmask_b32_e32 v48, v48, v76, vcc
	v_cndmask_b32_e64 v48, v48, v77, s[6:7]
	ds_bpermute_b32 v49, v121, v48
	v_cndmask_b32_e64 v94, v53, v90, s[12:13]
	v_cndmask_b32_e64 v48, v95, v94, s[10:11]
	;; [unrolled: 1-line block ×4, first 2 shown]
	s_waitcnt lgkmcnt(0)
	v_cndmask_b32_e32 v51, v76, v49, vcc
	v_cmp_ne_u32_e32 vcc, 0, v116
	ds_bpermute_b32 v90, v121, v48
	v_cndmask_b32_e64 v50, v77, v49, s[6:7]
	v_cndmask_b32_e32 v48, v97, v49, vcc
	v_cndmask_b32_e64 v49, v96, v49, s[8:9]
	v_cndmask_b32_e64 v53, v49, v48, s[10:11]
	;; [unrolled: 1-line block ×4, first 2 shown]
	ds_bpermute_b32 v58, v121, v58
	ds_bpermute_b32 v54, v121, v54
	ds_bpermute_b32 v91, v121, v53
	v_add_u32_e32 v53, s73, v118
	v_cmp_gt_u32_e32 vcc, 48, v53
	s_and_saveexec_b64 s[18:19], vcc
	s_cbranch_execz .LBB312_48
; %bb.42:                               ;   in Loop: Header=BB312_7 Depth=1
	v_cmp_eq_u32_e64 s[8:9], 1, v117
	v_cmp_eq_u32_e64 s[10:11], 0, v117
	v_cmp_eq_u32_e32 vcc, 3, v117
	v_cndmask_b32_e64 v69, v69, v66, s[8:9]
	v_cndmask_b32_e64 v76, v85, v66, s[10:11]
	;; [unrolled: 1-line block ×3, first 2 shown]
	s_waitcnt lgkmcnt(2)
	v_cndmask_b32_e64 v61, v61, v58, s[8:9]
	v_cndmask_b32_e64 v85, v92, v58, s[10:11]
	s_waitcnt lgkmcnt(1)
	v_cndmask_b32_e64 v57, v57, v54, s[8:9]
	v_cndmask_b32_e64 v92, v94, v90, s[8:9]
	s_waitcnt lgkmcnt(0)
	v_cndmask_b32_e64 v94, v48, v91, s[8:9]
	s_mul_i32 s8, s71, s21
	s_ashr_i32 s9, s8, 31
	s_lshl_b64 s[8:9], s[8:9], 1
	v_cndmask_b32_e64 v77, v89, v62, s[10:11]
	v_cndmask_b32_e64 v89, v93, v54, s[10:11]
	;; [unrolled: 1-line block ×4, first 2 shown]
	s_add_u32 s10, s40, s8
	s_addc_u32 s11, s41, s9
	s_ashr_i32 s49, s48, 31
	v_cvt_f16_f32_e32 v76, v76
	v_cvt_f16_f32_sdwa v69, v69 dst_sel:WORD_1 dst_unused:UNUSED_PAD src0_sel:DWORD
	v_cvt_f16_f32_e32 v96, v77
	v_cvt_f16_f32_sdwa v65, v65 dst_sel:WORD_1 dst_unused:UNUSED_PAD src0_sel:DWORD
	s_lshl_b64 s[8:9], s[48:49], 1
	s_add_u32 s54, s10, s8
	s_addc_u32 s55, s11, s9
	v_lshl_add_u64 v[48:49], v[74:75], 1, s[54:55]
	v_or_b32_e32 v69, v69, v76
	v_or_b32_e32 v65, v65, v96
	;;#ASMSTART
	global_atomic_pk_add_f16 v[48:49], v69, off
	
	;;#ASMEND
	v_lshl_add_u64 v[76:77], v[48:49], 0, 32
	;;#ASMSTART
	global_atomic_pk_add_f16 v[76:77], v65, off
	
	;;#ASMEND
	v_cvt_f16_f32_e32 v65, v85
	v_cvt_f16_f32_sdwa v61, v61 dst_sel:WORD_1 dst_unused:UNUSED_PAD src0_sel:DWORD
	v_cvt_f16_f32_e32 v69, v89
	v_cvt_f16_f32_sdwa v57, v57 dst_sel:WORD_1 dst_unused:UNUSED_PAD src0_sel:DWORD
	v_lshl_add_u64 v[76:77], v[48:49], 0, 64
	v_or_b32_e32 v61, v61, v65
	;;#ASMSTART
	global_atomic_pk_add_f16 v[76:77], v61, off
	
	;;#ASMEND
	v_or_b32_e32 v57, v57, v69
	v_lshl_add_u64 v[76:77], v[48:49], 0, s[30:31]
	;;#ASMSTART
	global_atomic_pk_add_f16 v[76:77], v57, off
	
	;;#ASMEND
	v_cvt_f16_f32_e32 v57, v93
	v_cvt_f16_f32_sdwa v61, v92 dst_sel:WORD_1 dst_unused:UNUSED_PAD src0_sel:DWORD
	v_cvt_f16_f32_e32 v65, v95
	v_cvt_f16_f32_sdwa v69, v94 dst_sel:WORD_1 dst_unused:UNUSED_PAD src0_sel:DWORD
	v_cmp_eq_u32_e64 s[6:7], 2, v117
	v_lshl_add_u64 v[76:77], v[48:49], 0, s[34:35]
	v_or_b32_e32 v57, v61, v57
	v_cmp_gt_u32_e64 s[8:9], 46, v53
	;;#ASMSTART
	global_atomic_pk_add_f16 v[76:77], v57, off
	
	;;#ASMEND
	v_lshl_add_u64 v[76:77], v[48:49], 0, s[44:45]
	v_or_b32_e32 v57, v69, v65
	;;#ASMSTART
	global_atomic_pk_add_f16 v[76:77], v57, off
	
	;;#ASMEND
	s_and_b64 exec, exec, s[8:9]
	s_cbranch_execz .LBB312_48
; %bb.43:                               ;   in Loop: Header=BB312_7 Depth=1
	v_cndmask_b32_e32 v70, v70, v66, vcc
	v_cndmask_b32_e64 v66, v71, v66, s[6:7]
	v_cvt_f16_f32_e32 v66, v66
	v_cvt_f16_f32_sdwa v70, v70 dst_sel:WORD_1 dst_unused:UNUSED_PAD src0_sel:DWORD
	v_cndmask_b32_e32 v63, v63, v58, vcc
	v_cndmask_b32_e64 v58, v79, v58, s[6:7]
	v_cndmask_b32_e32 v67, v67, v62, vcc
	v_cndmask_b32_e64 v62, v78, v62, s[6:7]
	v_cvt_f16_f32_e32 v58, v58
	v_cvt_f16_f32_sdwa v63, v63 dst_sel:WORD_1 dst_unused:UNUSED_PAD src0_sel:DWORD
	v_cndmask_b32_e32 v76, v50, v91, vcc
	v_or_b32_e32 v50, v70, v66
	v_cvt_f16_f32_e32 v62, v62
	v_cvt_f16_f32_sdwa v66, v67 dst_sel:WORD_1 dst_unused:UNUSED_PAD src0_sel:DWORD
	v_lshl_add_u64 v[48:49], s[28:29], 2, v[48:49]
	v_cndmask_b32_e32 v59, v59, v54, vcc
	v_cndmask_b32_e64 v54, v87, v54, s[6:7]
	v_cndmask_b32_e64 v77, v51, v91, s[6:7]
	;;#ASMSTART
	global_atomic_pk_add_f16 v[48:49], v50, off
	
	;;#ASMEND
	v_lshl_add_u64 v[50:51], v[48:49], 0, 32
	v_or_b32_e32 v58, v63, v58
	v_cndmask_b32_e32 v55, v55, v90, vcc
	v_cndmask_b32_e64 v71, v88, v90, s[6:7]
	v_or_b32_e32 v62, v66, v62
	;;#ASMSTART
	global_atomic_pk_add_f16 v[50:51], v62, off
	
	;;#ASMEND
	v_lshl_add_u64 v[50:51], v[48:49], 0, 64
	;;#ASMSTART
	global_atomic_pk_add_f16 v[50:51], v58, off
	
	;;#ASMEND
	v_cvt_f16_f32_e32 v54, v54
	v_cvt_f16_f32_sdwa v58, v59 dst_sel:WORD_1 dst_unused:UNUSED_PAD src0_sel:DWORD
	v_cvt_f16_f32_e32 v59, v71
	v_cvt_f16_f32_sdwa v55, v55 dst_sel:WORD_1 dst_unused:UNUSED_PAD src0_sel:DWORD
	v_mov_b32_e32 v85, v84
	v_or_b32_e32 v54, v58, v54
	v_lshl_add_u64 v[50:51], v[48:49], 0, s[30:31]
	;;#ASMSTART
	global_atomic_pk_add_f16 v[50:51], v54, off
	
	;;#ASMEND
	v_or_b32_e32 v62, v55, v59
	v_mov_b32_e32 v54, v84
	v_mov_b32_e32 v55, v84
	v_pk_mul_f32 v[58:59], v[84:85], v[44:45]
	v_cmp_eq_u32_e64 s[8:9], 1, v116
	v_pk_mul_f32 v[54:55], v[54:55], v[46:47]
	v_cmp_eq_u32_e32 vcc, 2, v116
	v_cndmask_b32_e64 v44, v58, v59, s[8:9]
	v_cmp_eq_u32_e64 s[6:7], 3, v116
	v_cndmask_b32_e32 v44, v44, v54, vcc
	v_lshl_add_u64 v[50:51], v[48:49], 0, s[34:35]
	v_cndmask_b32_e64 v44, v44, v55, s[6:7]
	v_mov_b32_e32 v69, v68
	ds_bpermute_b32 v63, v121, v44
	;;#ASMSTART
	global_atomic_pk_add_f16 v[50:51], v62, off
	
	;;#ASMEND
	v_mov_b32_e32 v50, v68
	v_mov_b32_e32 v51, v68
	v_pk_mul_f32 v[42:43], v[50:51], v[42:43]
	v_pk_mul_f32 v[50:51], v[68:69], v[40:41]
	s_waitcnt lgkmcnt(0)
	v_cndmask_b32_e64 v46, v55, v63, s[6:7]
	v_cndmask_b32_e64 v40, v50, v51, s[8:9]
	v_cndmask_b32_e32 v40, v40, v42, vcc
	v_cndmask_b32_e64 v40, v40, v43, s[6:7]
	ds_bpermute_b32 v55, v121, v40
	v_cmp_eq_u32_e64 s[10:11], 0, v116
	v_lshl_add_u64 v[44:45], v[48:49], 0, s[44:45]
	v_cndmask_b32_e64 v48, v59, v63, s[8:9]
	v_cndmask_b32_e64 v49, v58, v63, s[10:11]
	v_cmp_eq_u32_e64 s[12:13], 1, v117
	v_cndmask_b32_e32 v47, v54, v63, vcc
	v_cmp_eq_u32_e64 s[14:15], 2, v117
	v_cndmask_b32_e64 v54, v49, v48, s[12:13]
	v_mov_b32_e32 v65, v64
	v_cndmask_b32_e64 v40, v54, v47, s[14:15]
	s_waitcnt lgkmcnt(0)
	v_cndmask_b32_e64 v41, v43, v55, s[6:7]
	v_cndmask_b32_e32 v42, v42, v55, vcc
	v_cndmask_b32_e64 v43, v51, v55, s[8:9]
	v_cndmask_b32_e64 v50, v50, v55, s[10:11]
	v_mov_b32_e32 v54, v64
	v_mov_b32_e32 v55, v64
	v_pk_mul_f32 v[38:39], v[54:55], v[38:39]
	v_pk_mul_f32 v[54:55], v[64:65], v[36:37]
	v_mov_b32_e32 v61, v60
	v_cndmask_b32_e64 v36, v54, v55, s[8:9]
	v_cndmask_b32_e32 v36, v36, v38, vcc
	v_cndmask_b32_e64 v36, v36, v39, s[6:7]
	ds_bpermute_b32 v51, v121, v36
	v_pk_mul_f32 v[58:59], v[60:61], v[32:33]
	v_mov_b32_e32 v57, v56
	v_cndmask_b32_e64 v32, v58, v59, s[8:9]
	v_pk_mul_f32 v[62:63], v[56:57], v[28:29]
	s_waitcnt lgkmcnt(0)
	v_cndmask_b32_e64 v37, v39, v51, s[6:7]
	v_cndmask_b32_e32 v38, v38, v51, vcc
	v_cndmask_b32_e64 v39, v55, v51, s[8:9]
	v_cndmask_b32_e64 v51, v54, v51, s[10:11]
	v_mov_b32_e32 v54, v60
	v_mov_b32_e32 v55, v60
	v_pk_mul_f32 v[34:35], v[54:55], v[34:35]
	v_cndmask_b32_e64 v28, v62, v63, s[8:9]
	v_cndmask_b32_e32 v32, v32, v34, vcc
	v_cndmask_b32_e64 v32, v32, v35, s[6:7]
	ds_bpermute_b32 v55, v121, v32
	v_mov_b32_e32 v53, v52
	v_pk_mul_f32 v[66:67], v[52:53], v[24:25]
	v_cmp_eq_u32_e64 s[16:17], 3, v117
	v_cndmask_b32_e64 v24, v66, v67, s[8:9]
	s_waitcnt lgkmcnt(0)
	v_cndmask_b32_e64 v33, v35, v55, s[6:7]
	v_cndmask_b32_e32 v34, v34, v55, vcc
	v_cndmask_b32_e64 v54, v59, v55, s[8:9]
	v_cndmask_b32_e64 v55, v58, v55, s[10:11]
	v_mov_b32_e32 v58, v56
	v_mov_b32_e32 v59, v56
	v_pk_mul_f32 v[30:31], v[58:59], v[30:31]
	v_cndmask_b32_e64 v36, v50, v43, s[12:13]
	v_cndmask_b32_e32 v28, v28, v30, vcc
	v_cndmask_b32_e64 v28, v28, v31, s[6:7]
	ds_bpermute_b32 v35, v121, v28
	v_cndmask_b32_e64 v32, v51, v39, s[12:13]
	v_cndmask_b32_e64 v28, v55, v54, s[12:13]
	v_cvt_f16_f32_e32 v70, v77
	v_cvt_f16_f32_sdwa v71, v76 dst_sel:WORD_1 dst_unused:UNUSED_PAD src0_sel:DWORD
	s_waitcnt lgkmcnt(0)
	v_cndmask_b32_e64 v58, v63, v35, s[8:9]
	v_cndmask_b32_e64 v59, v62, v35, s[10:11]
	v_mov_b32_e32 v62, v52
	v_mov_b32_e32 v63, v52
	v_pk_mul_f32 v[62:63], v[62:63], v[26:27]
	v_cndmask_b32_e32 v30, v30, v35, vcc
	v_cndmask_b32_e32 v24, v24, v62, vcc
	v_cndmask_b32_e64 v24, v24, v63, s[6:7]
	ds_bpermute_b32 v25, v121, v24
	v_cndmask_b32_e64 v24, v59, v58, s[12:13]
	v_cndmask_b32_e64 v29, v31, v35, s[6:7]
	;; [unrolled: 1-line block ×4, first 2 shown]
	s_waitcnt lgkmcnt(0)
	v_cndmask_b32_e32 v27, v62, v25, vcc
	v_cmp_ne_u32_e32 vcc, 0, v116
	ds_bpermute_b32 v31, v121, v24
	v_cndmask_b32_e64 v26, v63, v25, s[6:7]
	v_cndmask_b32_e32 v24, v67, v25, vcc
	v_cndmask_b32_e64 v25, v66, v25, s[10:11]
	v_cndmask_b32_e64 v35, v25, v24, s[12:13]
	;; [unrolled: 1-line block ×11, first 2 shown]
	ds_bpermute_b32 v40, v121, v40
	ds_bpermute_b32 v36, v121, v36
	;; [unrolled: 1-line block ×5, first 2 shown]
	v_or_b32_e32 v62, v71, v70
	;;#ASMSTART
	global_atomic_pk_add_f16 v[44:45], v62, off
	
	;;#ASMEND
	v_or_b32_e32 v44, 16, v118
	v_add_u32_e32 v44, s73, v44
	v_cmp_gt_u32_e32 vcc, 48, v44
	s_and_b64 exec, exec, vcc
	s_cbranch_execz .LBB312_48
; %bb.44:                               ;   in Loop: Header=BB312_7 Depth=1
	v_cmp_eq_u32_e64 s[8:9], 1, v117
	v_cmp_eq_u32_e64 s[10:11], 0, v117
	v_cmp_eq_u32_e32 vcc, 3, v117
	s_waitcnt lgkmcnt(4)
	v_cndmask_b32_e64 v45, v48, v40, s[8:9]
	v_cndmask_b32_e64 v48, v49, v40, s[10:11]
	s_waitcnt lgkmcnt(3)
	v_cndmask_b32_e64 v49, v50, v36, s[10:11]
	s_waitcnt lgkmcnt(2)
	;; [unrolled: 2-line block ×3, first 2 shown]
	v_cndmask_b32_e64 v51, v54, v28, s[8:9]
	v_cndmask_b32_e64 v54, v55, v28, s[10:11]
	;; [unrolled: 1-line block ×4, first 2 shown]
	s_waitcnt lgkmcnt(0)
	v_cndmask_b32_e64 v59, v24, v35, s[8:9]
	v_cndmask_b32_e64 v62, v25, v35, s[10:11]
	scratch_load_dwordx2 v[24:25], off, off ; 8-byte Folded Reload
	v_cndmask_b32_e64 v43, v43, v36, s[8:9]
	v_cvt_f16_f32_e32 v63, v49
	v_cvt_f16_f32_sdwa v43, v43 dst_sel:WORD_1 dst_unused:UNUSED_PAD src0_sel:DWORD
	v_cvt_f16_f32_e32 v48, v48
	v_cvt_f16_f32_sdwa v45, v45 dst_sel:WORD_1 dst_unused:UNUSED_PAD src0_sel:DWORD
	v_cndmask_b32_e64 v39, v39, v32, s[8:9]
	v_or_b32_e32 v43, v43, v63
	v_cvt_f16_f32_sdwa v39, v39 dst_sel:WORD_1 dst_unused:UNUSED_PAD src0_sel:DWORD
	v_or_b32_e32 v45, v45, v48
	v_cmp_eq_u32_e64 s[6:7], 2, v117
	v_cmp_gt_u32_e64 s[8:9], 46, v44
	s_waitcnt vmcnt(0)
	v_lshl_add_u64 v[24:25], v[24:25], 1, s[54:55]
	;;#ASMSTART
	global_atomic_pk_add_f16 v[24:25], v45, off
	
	;;#ASMEND
	v_lshl_add_u64 v[48:49], v[24:25], 0, 32
	;;#ASMSTART
	global_atomic_pk_add_f16 v[48:49], v43, off
	
	;;#ASMEND
	v_cvt_f16_f32_e32 v43, v50
	v_cvt_f16_f32_e32 v45, v54
	v_cvt_f16_f32_sdwa v50, v51 dst_sel:WORD_1 dst_unused:UNUSED_PAD src0_sel:DWORD
	v_lshl_add_u64 v[48:49], v[24:25], 0, 64
	v_or_b32_e32 v39, v39, v43
	;;#ASMSTART
	global_atomic_pk_add_f16 v[48:49], v39, off
	
	;;#ASMEND
	v_or_b32_e32 v39, v50, v45
	v_lshl_add_u64 v[48:49], v[24:25], 0, s[30:31]
	;;#ASMSTART
	global_atomic_pk_add_f16 v[48:49], v39, off
	
	;;#ASMEND
	v_cvt_f16_f32_e32 v39, v58
	v_cvt_f16_f32_sdwa v43, v55 dst_sel:WORD_1 dst_unused:UNUSED_PAD src0_sel:DWORD
	v_cvt_f16_f32_e32 v45, v62
	v_cvt_f16_f32_sdwa v50, v59 dst_sel:WORD_1 dst_unused:UNUSED_PAD src0_sel:DWORD
	v_lshl_add_u64 v[48:49], v[24:25], 0, s[34:35]
	v_or_b32_e32 v39, v43, v39
	;;#ASMSTART
	global_atomic_pk_add_f16 v[48:49], v39, off
	
	;;#ASMEND
	v_lshl_add_u64 v[48:49], v[24:25], 0, s[44:45]
	v_or_b32_e32 v39, v50, v45
	;;#ASMSTART
	global_atomic_pk_add_f16 v[48:49], v39, off
	
	;;#ASMEND
	s_and_b64 exec, exec, s[8:9]
	s_cbranch_execz .LBB312_48
; %bb.45:                               ;   in Loop: Header=BB312_7 Depth=1
	v_cndmask_b32_e32 v39, v46, v40, vcc
	v_cndmask_b32_e64 v40, v47, v40, s[6:7]
	v_cndmask_b32_e32 v33, v33, v28, vcc
	v_cndmask_b32_e64 v28, v34, v28, s[6:7]
	v_cndmask_b32_e32 v29, v29, v31, vcc
	v_cndmask_b32_e64 v30, v30, v31, s[6:7]
	v_cvt_f16_f32_e32 v31, v40
	v_cvt_f16_f32_sdwa v34, v39 dst_sel:WORD_1 dst_unused:UNUSED_PAD src0_sel:DWORD
	v_cndmask_b32_e32 v41, v41, v36, vcc
	v_cndmask_b32_e64 v36, v42, v36, s[6:7]
	v_cndmask_b32_e32 v37, v37, v32, vcc
	v_cndmask_b32_e64 v32, v38, v32, s[6:7]
	v_cndmask_b32_e32 v38, v26, v35, vcc
	v_or_b32_e32 v26, v34, v31
	v_cvt_f16_f32_e32 v31, v36
	v_cvt_f16_f32_sdwa v34, v41 dst_sel:WORD_1 dst_unused:UNUSED_PAD src0_sel:DWORD
	v_cvt_f16_f32_e32 v32, v32
	v_cvt_f16_f32_sdwa v36, v37 dst_sel:WORD_1 dst_unused:UNUSED_PAD src0_sel:DWORD
	v_lshl_add_u64 v[24:25], s[28:29], 2, v[24:25]
	v_or_b32_e32 v31, v34, v31
	v_cndmask_b32_e64 v35, v27, v35, s[6:7]
	;;#ASMSTART
	global_atomic_pk_add_f16 v[24:25], v26, off
	
	;;#ASMEND
	v_lshl_add_u64 v[26:27], v[24:25], 0, 32
	;;#ASMSTART
	global_atomic_pk_add_f16 v[26:27], v31, off
	
	;;#ASMEND
	v_or_b32_e32 v31, v36, v32
	v_lshl_add_u64 v[26:27], v[24:25], 0, 64
	;;#ASMSTART
	global_atomic_pk_add_f16 v[26:27], v31, off
	
	;;#ASMEND
	v_cvt_f16_f32_e32 v28, v28
	v_cvt_f16_f32_sdwa v31, v33 dst_sel:WORD_1 dst_unused:UNUSED_PAD src0_sel:DWORD
	v_cvt_f16_f32_e32 v30, v30
	v_cvt_f16_f32_sdwa v29, v29 dst_sel:WORD_1 dst_unused:UNUSED_PAD src0_sel:DWORD
	v_lshl_add_u64 v[26:27], v[24:25], 0, s[30:31]
	v_or_b32_e32 v28, v31, v28
	;;#ASMSTART
	global_atomic_pk_add_f16 v[26:27], v28, off
	
	;;#ASMEND
	v_or_b32_e32 v32, v29, v30
	v_mov_b32_e32 v28, v84
	v_mov_b32_e32 v29, v84
	v_pk_mul_f32 v[30:31], v[84:85], v[20:21]
	v_cmp_eq_u32_e64 s[8:9], 1, v116
	v_pk_mul_f32 v[28:29], v[28:29], v[22:23]
	v_cmp_eq_u32_e32 vcc, 2, v116
	v_cndmask_b32_e64 v20, v30, v31, s[8:9]
	v_cmp_eq_u32_e64 s[6:7], 3, v116
	v_cndmask_b32_e32 v20, v20, v28, vcc
	v_lshl_add_u64 v[26:27], v[24:25], 0, s[34:35]
	v_cndmask_b32_e64 v20, v20, v29, s[6:7]
	ds_bpermute_b32 v33, v121, v20
	;;#ASMSTART
	global_atomic_pk_add_f16 v[26:27], v32, off
	
	;;#ASMEND
	v_mov_b32_e32 v26, v68
	v_mov_b32_e32 v27, v68
	v_pk_mul_f32 v[18:19], v[26:27], v[18:19]
	v_pk_mul_f32 v[26:27], v[68:69], v[16:17]
	s_waitcnt lgkmcnt(0)
	v_cndmask_b32_e64 v22, v29, v33, s[6:7]
	v_cndmask_b32_e64 v16, v26, v27, s[8:9]
	v_cndmask_b32_e32 v16, v16, v18, vcc
	v_cndmask_b32_e64 v16, v16, v19, s[6:7]
	ds_bpermute_b32 v29, v121, v16
	v_cmp_eq_u32_e64 s[10:11], 0, v116
	v_lshl_add_u64 v[20:21], v[24:25], 0, s[44:45]
	v_cndmask_b32_e64 v24, v31, v33, s[8:9]
	v_cndmask_b32_e64 v25, v30, v33, s[10:11]
	v_cmp_eq_u32_e64 s[12:13], 1, v117
	v_cndmask_b32_e32 v23, v28, v33, vcc
	v_cmp_eq_u32_e64 s[14:15], 2, v117
	v_cndmask_b32_e64 v28, v25, v24, s[12:13]
	s_waitcnt lgkmcnt(0)
	v_cndmask_b32_e64 v17, v19, v29, s[6:7]
	v_cndmask_b32_e64 v16, v28, v23, s[14:15]
	v_cndmask_b32_e32 v18, v18, v29, vcc
	v_cndmask_b32_e64 v19, v27, v29, s[8:9]
	v_cndmask_b32_e64 v26, v26, v29, s[10:11]
	v_mov_b32_e32 v28, v64
	v_mov_b32_e32 v29, v64
	v_pk_mul_f32 v[10:11], v[28:29], v[10:11]
	v_pk_mul_f32 v[28:29], v[64:65], v[8:9]
	;; [unrolled: 1-line block ×3, first 2 shown]
	v_cndmask_b32_e64 v8, v28, v29, s[8:9]
	v_cndmask_b32_e32 v8, v8, v10, vcc
	v_cndmask_b32_e64 v8, v8, v11, s[6:7]
	ds_bpermute_b32 v27, v121, v8
	v_cndmask_b32_e64 v4, v30, v31, s[8:9]
	v_pk_mul_f32 v[32:33], v[56:57], v[0:1]
	v_cmp_eq_u32_e64 s[16:17], 3, v117
	v_cndmask_b32_e64 v0, v32, v33, s[8:9]
	s_waitcnt lgkmcnt(0)
	v_cndmask_b32_e64 v9, v11, v27, s[6:7]
	v_cndmask_b32_e32 v10, v10, v27, vcc
	v_cndmask_b32_e64 v11, v29, v27, s[8:9]
	v_cndmask_b32_e64 v27, v28, v27, s[10:11]
	v_mov_b32_e32 v28, v60
	v_mov_b32_e32 v29, v60
	v_pk_mul_f32 v[6:7], v[28:29], v[6:7]
	v_cndmask_b32_e64 v8, v26, v19, s[12:13]
	v_cndmask_b32_e32 v4, v4, v6, vcc
	v_cndmask_b32_e64 v4, v4, v7, s[6:7]
	ds_bpermute_b32 v29, v121, v4
	v_cndmask_b32_e64 v4, v27, v11, s[12:13]
	v_cvt_f16_f32_e32 v34, v35
	v_cvt_f16_f32_sdwa v35, v38 dst_sel:WORD_1 dst_unused:UNUSED_PAD src0_sel:DWORD
	v_cndmask_b32_e64 v8, v8, v18, s[14:15]
	s_waitcnt lgkmcnt(0)
	v_cndmask_b32_e64 v5, v7, v29, s[6:7]
	v_cndmask_b32_e32 v6, v6, v29, vcc
	v_cndmask_b32_e64 v28, v31, v29, s[8:9]
	v_cndmask_b32_e64 v29, v30, v29, s[10:11]
	v_mov_b32_e32 v30, v56
	v_mov_b32_e32 v31, v56
	v_pk_mul_f32 v[30:31], v[30:31], v[2:3]
	v_cndmask_b32_e64 v4, v4, v10, s[14:15]
	v_cndmask_b32_e32 v0, v0, v30, vcc
	v_cndmask_b32_e64 v0, v0, v31, s[6:7]
	ds_bpermute_b32 v1, v121, v0
	v_cndmask_b32_e64 v0, v29, v28, s[12:13]
	v_cndmask_b32_e64 v0, v0, v6, s[14:15]
	;; [unrolled: 1-line block ×3, first 2 shown]
	ds_bpermute_b32 v2, v121, v0
	s_waitcnt lgkmcnt(1)
	v_cndmask_b32_e64 v3, v31, v1, s[6:7]
	v_cndmask_b32_e32 v7, v30, v1, vcc
	v_cndmask_b32_e64 v0, v33, v1, s[8:9]
	v_cndmask_b32_e64 v1, v32, v1, s[10:11]
	v_mov_b32_e32 v30, v52
	v_mov_b32_e32 v31, v52
	v_pk_mul_f32 v[32:33], v[52:53], v[12:13]
	v_pk_mul_f32 v[14:15], v[30:31], v[14:15]
	v_cndmask_b32_e64 v12, v32, v33, s[8:9]
	v_cndmask_b32_e32 v12, v12, v14, vcc
	v_cndmask_b32_e64 v12, v12, v15, s[6:7]
	ds_bpermute_b32 v31, v121, v12
	v_cndmask_b32_e64 v12, v1, v0, s[12:13]
	v_cndmask_b32_e64 v12, v12, v7, s[14:15]
	v_cndmask_b32_e64 v16, v16, v22, s[16:17]
	v_cndmask_b32_e64 v8, v8, v17, s[16:17]
	s_waitcnt lgkmcnt(0)
	v_cndmask_b32_e32 v14, v14, v31, vcc
	v_cmp_ne_u32_e32 vcc, 0, v116
	v_cndmask_b32_e64 v13, v15, v31, s[6:7]
	v_cndmask_b32_e64 v4, v4, v9, s[16:17]
	v_cndmask_b32_e32 v30, v33, v31, vcc
	v_cndmask_b32_e64 v31, v32, v31, s[10:11]
	v_cndmask_b32_e64 v15, v31, v30, s[12:13]
	;; [unrolled: 1-line block ×5, first 2 shown]
	ds_bpermute_b32 v16, v121, v16
	ds_bpermute_b32 v8, v121, v8
	;; [unrolled: 1-line block ×5, first 2 shown]
	v_or_b32_e32 v32, v35, v34
	;;#ASMSTART
	global_atomic_pk_add_f16 v[20:21], v32, off
	
	;;#ASMEND
	v_or_b32_e32 v20, 32, v118
	v_add_u32_e32 v20, s73, v20
	v_cmp_gt_u32_e32 vcc, 48, v20
	s_and_b64 exec, exec, vcc
	s_cbranch_execz .LBB312_48
; %bb.46:                               ;   in Loop: Header=BB312_7 Depth=1
	v_cmp_eq_u32_e64 s[8:9], 1, v117
	v_cmp_eq_u32_e64 s[10:11], 0, v117
	v_cmp_eq_u32_e32 vcc, 3, v117
	s_waitcnt lgkmcnt(4)
	v_cndmask_b32_e64 v21, v24, v16, s[8:9]
	v_cndmask_b32_e64 v24, v25, v16, s[10:11]
	s_waitcnt lgkmcnt(3)
	v_cndmask_b32_e64 v25, v26, v8, s[10:11]
	s_waitcnt lgkmcnt(2)
	v_cndmask_b32_e64 v26, v27, v4, s[10:11]
	v_cndmask_b32_e64 v27, v28, v2, s[8:9]
	;; [unrolled: 1-line block ×3, first 2 shown]
	s_waitcnt lgkmcnt(1)
	v_cndmask_b32_e64 v29, v0, v12, s[8:9]
	v_cndmask_b32_e64 v32, v1, v12, s[10:11]
	scratch_load_dwordx2 v[0:1], off, off offset:8 ; 8-byte Folded Reload
	v_cndmask_b32_e64 v19, v19, v8, s[8:9]
	v_cvt_f16_f32_e32 v33, v25
	v_cvt_f16_f32_sdwa v19, v19 dst_sel:WORD_1 dst_unused:UNUSED_PAD src0_sel:DWORD
	v_cvt_f16_f32_e32 v24, v24
	v_cvt_f16_f32_sdwa v21, v21 dst_sel:WORD_1 dst_unused:UNUSED_PAD src0_sel:DWORD
	v_cndmask_b32_e64 v11, v11, v4, s[8:9]
	v_or_b32_e32 v19, v19, v33
	v_cvt_f16_f32_sdwa v11, v11 dst_sel:WORD_1 dst_unused:UNUSED_PAD src0_sel:DWORD
	v_or_b32_e32 v21, v21, v24
	s_waitcnt lgkmcnt(0)
	v_cndmask_b32_e64 v30, v30, v15, s[8:9]
	v_cndmask_b32_e64 v31, v31, v15, s[10:11]
	v_cmp_eq_u32_e64 s[6:7], 2, v117
	v_cmp_gt_u32_e64 s[8:9], 46, v20
	s_waitcnt vmcnt(0)
	v_lshl_add_u64 v[0:1], v[0:1], 1, s[54:55]
	;;#ASMSTART
	global_atomic_pk_add_f16 v[0:1], v21, off
	
	;;#ASMEND
	v_lshl_add_u64 v[24:25], v[0:1], 0, 32
	;;#ASMSTART
	global_atomic_pk_add_f16 v[24:25], v19, off
	
	;;#ASMEND
	v_cvt_f16_f32_e32 v19, v26
	v_cvt_f16_f32_e32 v21, v28
	v_cvt_f16_f32_sdwa v26, v27 dst_sel:WORD_1 dst_unused:UNUSED_PAD src0_sel:DWORD
	v_lshl_add_u64 v[24:25], v[0:1], 0, 64
	v_or_b32_e32 v11, v11, v19
	;;#ASMSTART
	global_atomic_pk_add_f16 v[24:25], v11, off
	
	;;#ASMEND
	v_or_b32_e32 v11, v26, v21
	v_lshl_add_u64 v[24:25], v[0:1], 0, s[30:31]
	;;#ASMSTART
	global_atomic_pk_add_f16 v[24:25], v11, off
	
	;;#ASMEND
	v_cvt_f16_f32_e32 v11, v32
	v_cvt_f16_f32_sdwa v19, v29 dst_sel:WORD_1 dst_unused:UNUSED_PAD src0_sel:DWORD
	v_cvt_f16_f32_e32 v21, v31
	v_cvt_f16_f32_sdwa v26, v30 dst_sel:WORD_1 dst_unused:UNUSED_PAD src0_sel:DWORD
	v_lshl_add_u64 v[24:25], v[0:1], 0, s[34:35]
	v_or_b32_e32 v11, v19, v11
	;;#ASMSTART
	global_atomic_pk_add_f16 v[24:25], v11, off
	
	;;#ASMEND
	v_lshl_add_u64 v[24:25], v[0:1], 0, s[44:45]
	v_or_b32_e32 v11, v26, v21
	;;#ASMSTART
	global_atomic_pk_add_f16 v[24:25], v11, off
	
	;;#ASMEND
	s_and_b64 exec, exec, s[8:9]
	s_cbranch_execz .LBB312_48
; %bb.47:                               ;   in Loop: Header=BB312_7 Depth=1
	v_cndmask_b32_e32 v11, v22, v16, vcc
	v_cndmask_b32_e64 v16, v23, v16, s[6:7]
	v_cndmask_b32_e32 v17, v17, v8, vcc
	v_cndmask_b32_e64 v8, v18, v8, s[6:7]
	;; [unrolled: 2-line block ×4, first 2 shown]
	v_cndmask_b32_e32 v10, v3, v12, vcc
	v_cvt_f16_f32_e32 v2, v16
	v_cvt_f16_f32_sdwa v3, v11 dst_sel:WORD_1 dst_unused:UNUSED_PAD src0_sel:DWORD
	v_cvt_f16_f32_e32 v8, v8
	v_cvt_f16_f32_sdwa v11, v17 dst_sel:WORD_1 dst_unused:UNUSED_PAD src0_sel:DWORD
	v_lshl_add_u64 v[0:1], s[28:29], 2, v[0:1]
	v_or_b32_e32 v2, v3, v2
	;;#ASMSTART
	global_atomic_pk_add_f16 v[0:1], v2, off
	
	;;#ASMEND
	v_or_b32_e32 v8, v11, v8
	v_lshl_add_u64 v[2:3], v[0:1], 0, 32
	;;#ASMSTART
	global_atomic_pk_add_f16 v[2:3], v8, off
	
	;;#ASMEND
	v_cvt_f16_f32_e32 v4, v4
	v_cvt_f16_f32_sdwa v8, v9 dst_sel:WORD_1 dst_unused:UNUSED_PAD src0_sel:DWORD
	v_cvt_f16_f32_e32 v6, v6
	v_cvt_f16_f32_sdwa v5, v5 dst_sel:WORD_1 dst_unused:UNUSED_PAD src0_sel:DWORD
	v_cndmask_b32_e64 v7, v7, v12, s[6:7]
	v_or_b32_e32 v4, v8, v4
	v_cndmask_b32_e32 v12, v13, v15, vcc
	v_cndmask_b32_e64 v13, v14, v15, s[6:7]
	v_lshl_add_u64 v[2:3], v[0:1], 0, 64
	;;#ASMSTART
	global_atomic_pk_add_f16 v[2:3], v4, off
	
	;;#ASMEND
	v_or_b32_e32 v4, v5, v6
	v_lshl_add_u64 v[2:3], v[0:1], 0, s[30:31]
	;;#ASMSTART
	global_atomic_pk_add_f16 v[2:3], v4, off
	
	;;#ASMEND
	v_cvt_f16_f32_e32 v4, v7
	v_cvt_f16_f32_sdwa v5, v10 dst_sel:WORD_1 dst_unused:UNUSED_PAD src0_sel:DWORD
	v_cvt_f16_f32_e32 v6, v13
	v_cvt_f16_f32_sdwa v7, v12 dst_sel:WORD_1 dst_unused:UNUSED_PAD src0_sel:DWORD
	v_lshl_add_u64 v[2:3], v[0:1], 0, s[34:35]
	v_or_b32_e32 v4, v5, v4
	;;#ASMSTART
	global_atomic_pk_add_f16 v[2:3], v4, off
	
	;;#ASMEND
	v_lshl_add_u64 v[0:1], v[0:1], 0, s[44:45]
	v_or_b32_e32 v2, v7, v6
	;;#ASMSTART
	global_atomic_pk_add_f16 v[0:1], v2, off
	
	;;#ASMEND
.LBB312_48:                             ;   in Loop: Header=BB312_7 Depth=1
	s_or_b64 exec, exec, s[18:19]
	v_subrev_u32_e32 v122, s74, v122
.LBB312_49:                             ;   in Loop: Header=BB312_7 Depth=1
	s_or_b64 exec, exec, s[52:53]
.LBB312_50:                             ;   in Loop: Header=BB312_7 Depth=1
	s_andn2_saveexec_b64 s[6:7], s[50:51]
	s_cbranch_execz .LBB312_59
; %bb.51:                               ;   in Loop: Header=BB312_7 Depth=1
	s_mul_i32 s16, s74, 6
	v_cmp_gt_i32_e32 vcc, s16, v122
	s_and_saveexec_b64 s[8:9], vcc
	s_cbranch_execz .LBB312_58
; %bb.52:                               ;   in Loop: Header=BB312_7 Depth=1
	s_mul_i32 s10, s48, s23
	s_ashr_i32 s11, s10, 31
	s_waitcnt lgkmcnt(0)
	s_add_u32 s10, s38, s10
	s_addc_u32 s11, s39, s11
	s_ashr_i32 s12, s72, 31
	s_add_u32 s10, s10, s72
	s_addc_u32 s11, s11, s12
	v_lshl_add_u64 v[0:1], s[10:11], 0, v[82:83]
	v_lshl_add_u64 v[8:9], v[0:1], 0, v[80:81]
	s_mov_b64 s[10:11], 0
	s_branch .LBB312_54
.LBB312_53:                             ;   in Loop: Header=BB312_54 Depth=2
	s_or_b64 exec, exec, s[12:13]
	v_lshl_or_b32 v12, v10, 11, v120
	;;#ASMSTART
	s_waitcnt vmcnt(1)
	;;#ASMEND
	ds_write2_b32 v12, v4, v5 offset1:32
	ds_write2_b32 v12, v6, v7 offset0:64 offset1:96
	v_add_u32_e32 v4, 0x400, v12
	v_add_u32_e32 v122, s26, v122
	;;#ASMSTART
	s_waitcnt vmcnt(0)
	;;#ASMEND
	ds_write2_b32 v4, v0, v1 offset1:32
	ds_write2_b32 v4, v2, v3 offset0:64 offset1:96
	v_add_u32_e32 v0, 1, v114
	v_add_u32_e32 v86, s26, v10
	v_cmp_le_i32_e32 vcc, s16, v122
	ds_write_b32 v11, v0 offset:36
	v_add_u32_e32 v0, 2, v114
	s_or_b64 s[10:11], vcc, s[10:11]
	v_cmp_lt_i32_e32 vcc, 17, v86
	s_nop 1
	v_cndmask_b32_e32 v114, v114, v0, vcc
	s_andn2_b64 exec, exec, s[10:11]
	s_cbranch_execz .LBB312_57
.LBB312_54:                             ;   Parent Loop BB312_7 Depth=1
                                        ; =>  This Loop Header: Depth=2
                                        ;       Child Loop BB312_56 Depth 3
	v_not_b32_e32 v0, 17
	v_cmp_gt_i32_e32 vcc, 18, v86
	s_nop 1
	v_cndmask_b32_e64 v0, v0, 0, vcc
	v_add_u32_e32 v10, v0, v86
	v_mul_hi_i32 v0, v122, s58
	v_lshrrev_b32_e32 v1, 31, v0
	v_add_u32_e32 v0, v0, v1
	v_mul_lo_u32 v1, v0, 6
	v_sub_u32_e32 v2, v122, v1
	v_lshlrev_b32_e32 v0, 7, v0
	v_ashrrev_i32_e32 v1, 31, v0
	v_mul_lo_u32 v2, s62, v2
	v_lshl_add_u64 v[0:1], v[8:9], 0, v[0:1]
	v_ashrrev_i32_e32 v3, 31, v2
	v_lshl_add_u64 v[0:1], v[0:1], 0, v[2:3]
	v_lshlrev_b32_e32 v11, 2, v10
	;;#ASMSTART
	global_load_dwordx4 v[4:7], v[0:1], off offset:0   sc0 sc1 nt  
	global_load_dwordx4 v[0:3], v[0:1], off offset:64  sc0 sc1 nt  
	
	;;#ASMEND
	ds_read_b32 v12, v11 offset:55332
	v_add_u32_e32 v11, 0xd800, v11
	s_waitcnt lgkmcnt(0)
	v_cmp_ne_u32_e32 vcc, v12, v114
	s_and_saveexec_b64 s[12:13], vcc
	s_cbranch_execz .LBB312_53
; %bb.55:                               ;   in Loop: Header=BB312_54 Depth=2
	s_mov_b64 s[14:15], 0
.LBB312_56:                             ;   Parent Loop BB312_7 Depth=1
                                        ;     Parent Loop BB312_54 Depth=2
                                        ; =>    This Inner Loop Header: Depth=3
	;;#ASMSTART
	s_sleep 0
	;;#ASMEND
	ds_read_b32 v12, v11 offset:36
	s_waitcnt lgkmcnt(0)
	v_cmp_eq_u32_e32 vcc, v12, v114
	s_or_b64 s[14:15], vcc, s[14:15]
	s_andn2_b64 exec, exec, s[14:15]
	s_cbranch_execnz .LBB312_56
	s_branch .LBB312_53
.LBB312_57:                             ;   in Loop: Header=BB312_7 Depth=1
	s_or_b64 exec, exec, s[10:11]
.LBB312_58:                             ;   in Loop: Header=BB312_7 Depth=1
	s_or_b64 exec, exec, s[8:9]
	v_subrev_u32_e32 v122, s16, v122
.LBB312_59:                             ;   in Loop: Header=BB312_7 Depth=1
	s_or_b64 exec, exec, s[6:7]
.LBB312_60:                             ;   in Loop: Header=BB312_7 Depth=1
	s_andn2_saveexec_b64 s[6:7], s[46:47]
	s_cbranch_execz .LBB312_6
; %bb.61:                               ;   in Loop: Header=BB312_7 Depth=1
	s_mul_i32 s74, s74, 3
	v_cmp_gt_i32_e32 vcc, s74, v122
	s_and_saveexec_b64 s[8:9], vcc
	s_cbranch_execz .LBB312_5
; %bb.62:                               ;   in Loop: Header=BB312_7 Depth=1
	s_mul_i32 s71, s71, s22
	s_ashr_i32 s10, s71, 31
	s_waitcnt lgkmcnt(0)
	s_add_u32 s11, s36, s71
	v_add_u32_e32 v2, s73, v119
	s_addc_u32 s12, s37, s10
	s_ashr_i32 s13, s72, 31
	v_mul_lo_u32 v0, s22, v119
	v_cmp_gt_u32_e32 vcc, 48, v2
	s_add_u32 s10, s11, s72
	s_addc_u32 s11, s12, s13
	v_cndmask_b32_e32 v0, 0, v0, vcc
	v_ashrrev_i32_e32 v1, 31, v0
	v_lshl_add_u64 v[0:1], s[10:11], 0, v[0:1]
	v_lshl_add_u64 v[8:9], v[0:1], 0, v[80:81]
	v_sub_u32_e32 v10, 47, v2
	s_mov_b64 s[10:11], 0
	s_branch .LBB312_64
.LBB312_63:                             ;   in Loop: Header=BB312_64 Depth=2
	s_or_b64 exec, exec, s[12:13]
	v_or_b32_e32 v13, 0x9000, v120
	v_lshl_add_u32 v13, v11, 11, v13
	;;#ASMSTART
	s_waitcnt vmcnt(1)
	;;#ASMEND
	ds_write2_b32 v13, v4, v5 offset1:32
	ds_write2_b32 v13, v6, v7 offset0:64 offset1:96
	v_add_u32_e32 v4, 0x400, v13
	v_add_u32_e32 v122, s25, v122
	;;#ASMSTART
	s_waitcnt vmcnt(0)
	;;#ASMEND
	ds_write2_b32 v4, v0, v1 offset1:32
	ds_write2_b32 v4, v2, v3 offset0:64 offset1:96
	v_add_u32_e32 v0, 1, v114
	v_add_u32_e32 v86, s25, v11
	v_cmp_le_i32_e32 vcc, s74, v122
	ds_write_b32 v12, v0
	v_add_u32_e32 v0, 2, v114
	s_or_b64 s[10:11], vcc, s[10:11]
	v_cmp_lt_i32_e32 vcc, 8, v86
	s_nop 1
	v_cndmask_b32_e32 v114, v114, v0, vcc
	s_andn2_b64 exec, exec, s[10:11]
	s_cbranch_execz .LBB312_4
.LBB312_64:                             ;   Parent Loop BB312_7 Depth=1
                                        ; =>  This Loop Header: Depth=2
                                        ;       Child Loop BB312_66 Depth 3
	v_cmp_gt_i32_e32 vcc, 9, v86
	s_nop 1
	v_cndmask_b32_e64 v0, -9, 0, vcc
	v_add_u32_e32 v11, v0, v86
	v_mul_hi_i32 v0, v122, s70
	v_lshrrev_b32_e32 v1, 31, v0
	v_add_u32_e32 v0, v0, v1
	v_lshl_add_u32 v1, v0, 1, v0
	v_sub_u32_e32 v1, v122, v1
	v_lshlrev_b32_e32 v1, 4, v1
	v_cmp_le_i32_e32 vcc, v1, v10
	v_lshlrev_b32_e32 v0, 7, v0
	v_lshlrev_b32_e32 v12, 2, v11
	v_cndmask_b32_e32 v2, 0, v1, vcc
	v_ashrrev_i32_e32 v1, 31, v0
	v_mul_lo_u32 v2, v2, s22
	v_lshl_add_u64 v[0:1], v[8:9], 0, v[0:1]
	v_ashrrev_i32_e32 v3, 31, v2
	v_lshl_add_u64 v[0:1], v[0:1], 0, v[2:3]
	;;#ASMSTART
	global_load_dwordx4 v[4:7], v[0:1], off offset:0   
	global_load_dwordx4 v[0:3], v[0:1], off offset:64  
	
	;;#ASMEND
	ds_read_b32 v13, v12 offset:55296
	v_add_u32_e32 v12, 0xd800, v12
	s_waitcnt lgkmcnt(0)
	v_cmp_ne_u32_e32 vcc, v13, v114
	s_and_saveexec_b64 s[12:13], vcc
	s_cbranch_execz .LBB312_63
; %bb.65:                               ;   in Loop: Header=BB312_64 Depth=2
	s_mov_b64 s[14:15], 0
.LBB312_66:                             ;   Parent Loop BB312_7 Depth=1
                                        ;     Parent Loop BB312_64 Depth=2
                                        ; =>    This Inner Loop Header: Depth=3
	;;#ASMSTART
	s_sleep 0
	;;#ASMEND
	ds_read_b32 v13, v12
	s_waitcnt lgkmcnt(0)
	v_cmp_eq_u32_e32 vcc, v13, v114
	s_or_b64 s[14:15], vcc, s[14:15]
	s_andn2_b64 exec, exec, s[14:15]
	s_cbranch_execnz .LBB312_66
	s_branch .LBB312_63
.LBB312_67:
	s_endpgm
	.section	.rodata,"a",@progbits
	.p2align	6, 0x0
	.amdhsa_kernel _Z19_skinny_gemm_kernelILi3ELi6ELi3ELi16ELi4EEvPKhS1_P6__halfPKfiiiiiiii
		.amdhsa_group_segment_fixed_size 55404
		.amdhsa_private_segment_fixed_size 20
		.amdhsa_kernarg_size 64
		.amdhsa_user_sgpr_count 2
		.amdhsa_user_sgpr_dispatch_ptr 0
		.amdhsa_user_sgpr_queue_ptr 0
		.amdhsa_user_sgpr_kernarg_segment_ptr 1
		.amdhsa_user_sgpr_dispatch_id 0
		.amdhsa_user_sgpr_kernarg_preload_length 0
		.amdhsa_user_sgpr_kernarg_preload_offset 0
		.amdhsa_user_sgpr_private_segment_size 0
		.amdhsa_uses_dynamic_stack 0
		.amdhsa_enable_private_segment 1
		.amdhsa_system_sgpr_workgroup_id_x 1
		.amdhsa_system_sgpr_workgroup_id_y 0
		.amdhsa_system_sgpr_workgroup_id_z 0
		.amdhsa_system_sgpr_workgroup_info 0
		.amdhsa_system_vgpr_workitem_id 0
		.amdhsa_next_free_vgpr 128
		.amdhsa_next_free_sgpr 75
		.amdhsa_accum_offset 128
		.amdhsa_reserve_vcc 1
		.amdhsa_float_round_mode_32 0
		.amdhsa_float_round_mode_16_64 0
		.amdhsa_float_denorm_mode_32 3
		.amdhsa_float_denorm_mode_16_64 3
		.amdhsa_dx10_clamp 1
		.amdhsa_ieee_mode 1
		.amdhsa_fp16_overflow 0
		.amdhsa_tg_split 0
		.amdhsa_exception_fp_ieee_invalid_op 0
		.amdhsa_exception_fp_denorm_src 0
		.amdhsa_exception_fp_ieee_div_zero 0
		.amdhsa_exception_fp_ieee_overflow 0
		.amdhsa_exception_fp_ieee_underflow 0
		.amdhsa_exception_fp_ieee_inexact 0
		.amdhsa_exception_int_div_zero 0
	.end_amdhsa_kernel
	.section	.text._Z19_skinny_gemm_kernelILi3ELi6ELi3ELi16ELi4EEvPKhS1_P6__halfPKfiiiiiiii,"axG",@progbits,_Z19_skinny_gemm_kernelILi3ELi6ELi3ELi16ELi4EEvPKhS1_P6__halfPKfiiiiiiii,comdat
.Lfunc_end312:
	.size	_Z19_skinny_gemm_kernelILi3ELi6ELi3ELi16ELi4EEvPKhS1_P6__halfPKfiiiiiiii, .Lfunc_end312-_Z19_skinny_gemm_kernelILi3ELi6ELi3ELi16ELi4EEvPKhS1_P6__halfPKfiiiiiiii
                                        ; -- End function
	.set _Z19_skinny_gemm_kernelILi3ELi6ELi3ELi16ELi4EEvPKhS1_P6__halfPKfiiiiiiii.num_vgpr, 128
	.set _Z19_skinny_gemm_kernelILi3ELi6ELi3ELi16ELi4EEvPKhS1_P6__halfPKfiiiiiiii.num_agpr, 0
	.set _Z19_skinny_gemm_kernelILi3ELi6ELi3ELi16ELi4EEvPKhS1_P6__halfPKfiiiiiiii.numbered_sgpr, 75
	.set _Z19_skinny_gemm_kernelILi3ELi6ELi3ELi16ELi4EEvPKhS1_P6__halfPKfiiiiiiii.num_named_barrier, 0
	.set _Z19_skinny_gemm_kernelILi3ELi6ELi3ELi16ELi4EEvPKhS1_P6__halfPKfiiiiiiii.private_seg_size, 20
	.set _Z19_skinny_gemm_kernelILi3ELi6ELi3ELi16ELi4EEvPKhS1_P6__halfPKfiiiiiiii.uses_vcc, 1
	.set _Z19_skinny_gemm_kernelILi3ELi6ELi3ELi16ELi4EEvPKhS1_P6__halfPKfiiiiiiii.uses_flat_scratch, 0
	.set _Z19_skinny_gemm_kernelILi3ELi6ELi3ELi16ELi4EEvPKhS1_P6__halfPKfiiiiiiii.has_dyn_sized_stack, 0
	.set _Z19_skinny_gemm_kernelILi3ELi6ELi3ELi16ELi4EEvPKhS1_P6__halfPKfiiiiiiii.has_recursion, 0
	.set _Z19_skinny_gemm_kernelILi3ELi6ELi3ELi16ELi4EEvPKhS1_P6__halfPKfiiiiiiii.has_indirect_call, 0
	.section	.AMDGPU.csdata,"",@progbits
; Kernel info:
; codeLenInByte = 9164
; TotalNumSgprs: 81
; NumVgprs: 128
; NumAgprs: 0
; TotalNumVgprs: 128
; ScratchSize: 20
; MemoryBound: 0
; FloatMode: 240
; IeeeMode: 1
; LDSByteSize: 55404 bytes/workgroup (compile time only)
; SGPRBlocks: 10
; VGPRBlocks: 15
; NumSGPRsForWavesPerEU: 81
; NumVGPRsForWavesPerEU: 128
; AccumOffset: 128
; Occupancy: 4
; WaveLimiterHint : 0
; COMPUTE_PGM_RSRC2:SCRATCH_EN: 1
; COMPUTE_PGM_RSRC2:USER_SGPR: 2
; COMPUTE_PGM_RSRC2:TRAP_HANDLER: 0
; COMPUTE_PGM_RSRC2:TGID_X_EN: 1
; COMPUTE_PGM_RSRC2:TGID_Y_EN: 0
; COMPUTE_PGM_RSRC2:TGID_Z_EN: 0
; COMPUTE_PGM_RSRC2:TIDIG_COMP_CNT: 0
; COMPUTE_PGM_RSRC3_GFX90A:ACCUM_OFFSET: 31
; COMPUTE_PGM_RSRC3_GFX90A:TG_SPLIT: 0
	.section	.text._Z19_skinny_gemm_kernelILi3ELi6ELi3ELi32ELi4EEvPKhS1_P6__halfPKfiiiiiiii,"axG",@progbits,_Z19_skinny_gemm_kernelILi3ELi6ELi3ELi32ELi4EEvPKhS1_P6__halfPKfiiiiiiii,comdat
	.protected	_Z19_skinny_gemm_kernelILi3ELi6ELi3ELi32ELi4EEvPKhS1_P6__halfPKfiiiiiiii ; -- Begin function _Z19_skinny_gemm_kernelILi3ELi6ELi3ELi32ELi4EEvPKhS1_P6__halfPKfiiiiiiii
	.globl	_Z19_skinny_gemm_kernelILi3ELi6ELi3ELi32ELi4EEvPKhS1_P6__halfPKfiiiiiiii
	.p2align	8
	.type	_Z19_skinny_gemm_kernelILi3ELi6ELi3ELi32ELi4EEvPKhS1_P6__halfPKfiiiiiiii,@function
_Z19_skinny_gemm_kernelILi3ELi6ELi3ELi32ELi4EEvPKhS1_P6__halfPKfiiiiiiii: ; @_Z19_skinny_gemm_kernelILi3ELi6ELi3ELi32ELi4EEvPKhS1_P6__halfPKfiiiiiiii
; %bb.0:
	v_cmp_gt_u32_e32 vcc, 27, v0
	s_and_saveexec_b64 s[4:5], vcc
; %bb.1:
	v_lshlrev_b32_e32 v1, 2, v0
	v_mov_b32_e32 v2, 0
	ds_write_b32 v1, v2 offset:55296
; %bb.2:
	s_or_b64 exec, exec, s[4:5]
	s_load_dwordx8 s[52:59], s[0:1], 0x20
	s_waitcnt lgkmcnt(0)
	s_barrier
	s_add_i32 s3, s52, 0x5f
	s_mul_hi_i32 s3, s3, 0x2aaaaaab
	s_add_i32 s4, s53, 0xbf
	s_lshr_b32 s5, s3, 31
	s_ashr_i32 s3, s3, 4
	s_add_i32 s11, s3, s5
	s_mul_hi_i32 s3, s4, 0x2aaaaaab
	s_lshr_b32 s4, s3, 31
	s_ashr_i32 s3, s3, 5
	s_add_i32 s12, s3, s4
	s_mul_i32 s3, s12, s11
	s_mul_i32 s3, s3, s56
	s_add_i32 s4, s3, 0x12f
	s_mul_hi_i32 s4, s4, 0x6bca1af3
	s_lshr_b32 s5, s4, 31
	s_ashr_i32 s4, s4, 7
	s_add_i32 s4, s4, s5
	s_add_i32 s5, s2, 1
	s_mul_i32 s5, s4, s5
	v_cvt_f64_i32_e32 v[2:3], s3
	v_cvt_f64_u32_e32 v[4:5], s5
	v_min_f64 v[2:3], v[2:3], v[4:5]
	v_cvt_i32_f64_e32 v14, v[2:3]
	s_mul_i32 s33, s4, s2
	v_cmp_ge_i32_e32 vcc, s33, v14
	s_cbranch_vccnz .LBB313_58
; %bb.3:
	s_load_dwordx8 s[16:23], s[0:1], 0x0
	v_lshrrev_b32_e32 v1, 6, v0
	s_add_i32 s0, s58, s57
	v_cmp_le_i32_e64 s[14:15], s0, v1
	v_mov_b32_e32 v2, s57
	v_cmp_le_i32_e64 s[24:25], s57, v1
	v_mov_b32_e32 v3, s58
	v_cndmask_b32_e64 v3, 0, v3, s[14:15]
	v_cndmask_b32_e64 v2, 0, v2, s[24:25]
	s_abs_i32 s1, s56
	v_add_u32_e32 v2, v2, v3
	v_cvt_f32_u32_e32 v3, s1
	v_sub_u32_e32 v104, v1, v2
	s_ashr_i32 s2, s54, 31
	s_lshr_b32 s2, s2, 26
	v_rcp_iflag_f32_e32 v2, v3
	s_sub_i32 s5, 0, s1
	s_add_i32 s2, s54, s2
	s_ashr_i32 s2, s2, 6
	v_mul_f32_e32 v2, 0x4f7ffffe, v2
	v_cvt_u32_f32_e32 v2, v2
	s_abs_i32 s4, s2
	s_xor_b32 s3, s2, s56
	s_ashr_i32 s3, s3, 31
	v_readfirstlane_b32 s6, v2
	s_mul_i32 s5, s5, s6
	s_mul_hi_u32 s5, s6, s5
	s_add_i32 s6, s6, s5
	s_mul_hi_u32 s5, s4, s6
	s_mul_i32 s6, s5, s1
	s_sub_i32 s4, s4, s6
	s_add_i32 s6, s5, 1
	s_sub_i32 s7, s4, s1
	s_cmp_ge_u32 s4, s1
	s_cselect_b32 s5, s6, s5
	s_cselect_b32 s4, s7, s4
	s_add_i32 s6, s5, 1
	s_cmp_ge_u32 s4, s1
	s_cselect_b32 s1, s6, s5
	s_add_i32 s0, s0, s59
	v_and_b32_e32 v120, 31, v0
	v_lshrrev_b32_e32 v2, 3, v0
	v_cmp_gt_i32_e64 s[28:29], s0, v1
	v_lshlrev_b32_e32 v1, 2, v120
	v_and_b32_e32 v3, 4, v2
	v_lshlrev_b32_e32 v2, 6, v3
	v_or_b32_e32 v4, 0x9000, v1
	v_and_b32_e32 v5, 1, v0
	v_or_b32_e32 v116, v4, v2
	v_or_b32_e32 v117, v1, v2
	v_lshlrev_b32_e32 v2, 1, v5
	v_sub_u32_e32 v2, v0, v2
	v_add_u32_e32 v2, 1, v2
	v_and_b32_e32 v6, 63, v2
	v_bitop3_b32 v2, v0, 1, v0 bitop3:0xc
	scratch_store_dword off, v2, off offset:48 ; 4-byte Folded Spill
	v_bitop3_b32 v2, v0, 3, 1 bitop3:0x6c
	scratch_store_dword off, v2, off offset:52 ; 4-byte Folded Spill
	;; [unrolled: 2-line block ×5, first 2 shown]
	v_bitop3_b32 v2, v0, 11, 1 bitop3:0x6c
	v_lshrrev_b32_e32 v7, 1, v0
	s_abs_i32 s30, s11
                                        ; implicit-def: $vgpr126 : SGPR spill to VGPR lane
	scratch_store_dword off, v2, off offset:68 ; 4-byte Folded Spill
	v_bitop3_b32 v2, v0, 13, 1 bitop3:0x6c
	v_and_b32_e32 v16, 16, v7
	v_cvt_f32_u32_e32 v7, s30
	v_writelane_b32 v126, s11, 0
	scratch_store_dword off, v2, off offset:72 ; 4-byte Folded Spill
	v_bitop3_b32 v2, v0, 15, 1 bitop3:0x6c
	v_writelane_b32 v126, s12, 1
	scratch_store_dword off, v2, off offset:76 ; 4-byte Folded Spill
	v_and_b32_e32 v2, 30, v0
	v_lshlrev_b32_e32 v0, 4, v0
	s_waitcnt lgkmcnt(0)
	v_writelane_b32 v126, s16, 2
	v_and_b32_e32 v0, 0x200, v0
	v_or_b32_e32 v15, v1, v0
	v_writelane_b32 v126, s17, 3
	v_rcp_iflag_f32_e32 v1, v7
	v_writelane_b32 v126, s18, 4
	v_writelane_b32 v126, s19, 5
	;; [unrolled: 1-line block ×3, first 2 shown]
	s_abs_i32 s34, s12
	v_writelane_b32 v126, s21, 7
	v_or_b32_e32 v124, v4, v0
	v_mul_f32_e32 v0, 0x4f7ffffe, v1
	v_cvt_f32_u32_e32 v1, s34
	v_writelane_b32 v126, s22, 8
	v_writelane_b32 v126, s23, 9
	v_cndmask_b32_e64 v111, 0, 1, s[14:15]
	v_writelane_b32 v126, s14, 10
	s_xor_b32 s1, s1, s3
	v_cvt_u32_f32_e32 v0, v0
	v_writelane_b32 v126, s15, 11
	v_rcp_iflag_f32_e32 v1, v1
	v_writelane_b32 v126, s24, 12
	s_sub_i32 s13, s1, s3
	s_add_i32 s26, s56, -1
	v_writelane_b32 v126, s25, 13
	s_mul_i32 s1, s13, s26
	v_writelane_b32 v126, s13, 14
	s_sub_i32 s27, s2, s1
	v_writelane_b32 v126, s26, 15
	v_readfirstlane_b32 s1, v0
	v_mul_f32_e32 v0, 0x4f7ffffe, v1
	v_writelane_b32 v126, s27, 16
	v_cvt_u32_f32_e32 v0, v0
	v_writelane_b32 v126, s28, 17
	s_sub_i32 s0, 0, s30
	s_lshl_b32 s31, s55, 5
	v_writelane_b32 v126, s29, 18
	s_mul_i32 s0, s0, s1
	v_writelane_b32 v126, s30, 19
	s_mul_hi_u32 s0, s1, s0
	v_writelane_b32 v126, s31, 20
	s_ashr_i32 s35, s11, 31
	s_add_i32 s36, s1, s0
	s_sub_i32 s0, 0, s34
	v_readfirstlane_b32 s1, v0
	v_writelane_b32 v126, s34, 21
	s_mul_i32 s0, s0, s1
	v_writelane_b32 v126, s35, 22
	s_ashr_i32 s37, s12, 31
	s_mul_hi_u32 s0, s1, s0
	v_writelane_b32 v126, s36, 23
	s_add_i32 s38, s1, s0
	v_writelane_b32 v126, s37, 24
	v_writelane_b32 v126, s38, 25
	v_mul_lo_u32 v8, s55, v120
	v_writelane_b32 v126, s52, 26
	v_mbcnt_lo_u32_b32 v0, -1, 0
	v_mbcnt_hi_u32_b32 v0, -1, v0
	v_writelane_b32 v126, s53, 27
	v_writelane_b32 v126, s54, 28
	;; [unrolled: 1-line block ×5, first 2 shown]
	v_mov_b32_e32 v119, 0
	v_and_or_b32 v0, v0, 64, v6
	v_writelane_b32 v126, s58, 32
	v_ashrrev_i32_e32 v9, 31, v8
	v_mov_b32_e32 v17, v119
	v_lshlrev_b32_e32 v118, 1, v2
	v_lshlrev_b32_e32 v0, 2, v0
	v_mov_b32_e32 v101, v104
	v_writelane_b32 v126, s59, 33
	scratch_store_dwordx2 off, v[8:9], off offset:88 ; 8-byte Folded Spill
	v_or_b32_e32 v100, v5, v3
	scratch_store_dword off, v0, off offset:104 ; 4-byte Folded Spill
	scratch_store_dword off, v14, off offset:32 ; 4-byte Folded Spill
	;; [unrolled: 1-line block ×5, first 2 shown]
	scratch_store_dwordx2 off, v[16:17], off offset:80 ; 8-byte Folded Spill
	scratch_store_dword off, v15, off offset:96 ; 4-byte Folded Spill
	scratch_store_dword off, v100, off offset:100 ; 4-byte Folded Spill
	s_branch .LBB313_7
.LBB313_4:                              ;   in Loop: Header=BB313_7 Depth=1
	s_or_b64 exec, exec, s[4:5]
.LBB313_5:                              ;   in Loop: Header=BB313_7 Depth=1
	s_or_b64 exec, exec, s[2:3]
	v_subrev_u32_e32 v101, s10, v101
.LBB313_6:                              ;   in Loop: Header=BB313_7 Depth=1
	s_or_b64 exec, exec, s[0:1]
	s_add_i32 s33, s33, 1
	s_waitcnt vmcnt(3)
	v_cmp_ge_i32_e32 vcc, s33, v14
	s_cbranch_vccnz .LBB313_58
.LBB313_7:                              ; =>This Loop Header: Depth=1
                                        ;     Child Loop BB313_13 Depth 2
                                        ;       Child Loop BB313_15 Depth 3
                                        ;       Child Loop BB313_18 Depth 3
	;; [unrolled: 1-line block ×7, first 2 shown]
                                        ;     Child Loop BB313_37 Depth 2
                                        ;     Child Loop BB313_45 Depth 2
                                        ;       Child Loop BB313_47 Depth 3
                                        ;     Child Loop BB313_55 Depth 2
                                        ;       Child Loop BB313_57 Depth 3
	s_abs_i32 s1, s33
	s_mul_hi_u32 s2, s1, s36
	s_mul_i32 s3, s2, s30
	s_ashr_i32 s0, s33, 31
	s_sub_i32 s1, s1, s3
	s_xor_b32 s0, s0, s35
	s_add_i32 s3, s2, 1
	s_sub_i32 s4, s1, s30
	s_cmp_ge_u32 s1, s30
	s_cselect_b32 s2, s3, s2
	s_cselect_b32 s1, s4, s1
	s_add_i32 s3, s2, 1
	s_cmp_ge_u32 s1, s30
	s_cselect_b32 s1, s3, s2
	s_xor_b32 s1, s1, s0
	s_sub_i32 s0, s1, s0
	s_abs_i32 s2, s0
	s_mul_i32 s1, s0, s11
	s_mul_hi_u32 s3, s2, s38
	s_sub_i32 s1, s33, s1
	s_mul_i32 s4, s3, s34
	s_mul_i32 s39, s1, 0x60
	s_ashr_i32 s1, s0, 31
	s_sub_i32 s2, s2, s4
	s_xor_b32 s1, s1, s37
	s_add_i32 s4, s3, 1
	s_sub_i32 s5, s2, s34
	s_cmp_ge_u32 s2, s34
	s_cselect_b32 s3, s4, s3
	s_cselect_b32 s2, s5, s2
	s_add_i32 s4, s3, 1
	s_cmp_ge_u32 s2, s34
	s_cselect_b32 s2, s4, s3
	s_xor_b32 s2, s2, s1
	s_sub_i32 s1, s2, s1
	s_mul_i32 s2, s1, s13
	s_lshl_b32 s40, s2, 6
	s_cmp_eq_u32 s1, s26
	s_cselect_b32 s41, s27, s13
	s_sub_i32 s2, s39, s52
	s_addk_i32 s2, 0x60
	s_max_i32 s92, s2, 0
	s_and_saveexec_b64 s[2:3], s[24:25]
	s_xor_b64 s[42:43], exec, s[2:3]
	s_cbranch_execz .LBB313_51
; %bb.8:                                ;   in Loop: Header=BB313_7 Depth=1
	s_mul_i32 s1, s1, s12
	s_sub_i32 s0, s0, s1
	s_mulk_i32 s0, 0xc0
	s_sub_i32 s8, s0, s53
	s_addk_i32 s8, 0xc0
	s_max_i32 s1, s8, 0
	s_sub_i32 s44, s0, s1
	s_and_saveexec_b64 s[0:1], s[14:15]
	s_xor_b64 s[46:47], exec, s[0:1]
	s_cbranch_execz .LBB313_41
; %bb.9:                                ;   in Loop: Header=BB313_7 Depth=1
	s_and_saveexec_b64 s[48:49], s[28:29]
	s_cbranch_execz .LBB313_40
; %bb.10:                               ;   in Loop: Header=BB313_7 Depth=1
	global_load_dword v96, v119, s[22:23]
	v_mov_b32_e32 v95, 0
	v_cmp_gt_i32_e32 vcc, s41, v101
	v_mov_b32_e32 v94, v95
	v_mov_b32_e32 v93, v95
	v_mov_b32_e32 v92, v95
	v_mov_b32_e32 v91, v95
	v_mov_b32_e32 v90, v95
	v_mov_b32_e32 v89, v95
	v_mov_b32_e32 v88, v95
	v_mov_b32_e32 v87, v95
	v_mov_b32_e32 v86, v95
	v_mov_b32_e32 v85, v95
	v_mov_b32_e32 v84, v95
	v_mov_b32_e32 v83, v95
	v_mov_b32_e32 v82, v95
	v_mov_b32_e32 v81, v95
	v_mov_b32_e32 v80, v95
	v_mov_b32_e32 v79, v95
	v_mov_b32_e32 v78, v95
	v_mov_b32_e32 v77, v95
	v_mov_b32_e32 v76, v95
	v_mov_b32_e32 v75, v95
	v_mov_b32_e32 v74, v95
	v_mov_b32_e32 v73, v95
	v_mov_b32_e32 v72, v95
	v_mov_b32_e32 v71, v95
	v_mov_b32_e32 v70, v95
	v_mov_b32_e32 v69, v95
	v_mov_b32_e32 v68, v95
	v_mov_b32_e32 v67, v95
	v_mov_b32_e32 v66, v95
	v_mov_b32_e32 v65, v95
	v_mov_b32_e32 v64, v95
	v_mov_b32_e32 v63, v95
	v_mov_b32_e32 v62, v95
	v_mov_b32_e32 v61, v95
	v_mov_b32_e32 v60, v95
	v_mov_b32_e32 v59, v95
	v_mov_b32_e32 v58, v95
	v_mov_b32_e32 v57, v95
	v_mov_b32_e32 v56, v95
	v_mov_b32_e32 v55, v95
	v_mov_b32_e32 v54, v95
	v_mov_b32_e32 v53, v95
	v_mov_b32_e32 v52, v95
	v_mov_b32_e32 v51, v95
	v_mov_b32_e32 v50, v95
	v_mov_b32_e32 v49, v95
	v_mov_b32_e32 v48, v95
	v_mov_b32_e32 v47, v95
	v_mov_b32_e32 v46, v95
	v_mov_b32_e32 v45, v95
	v_mov_b32_e32 v44, v95
	v_mov_b32_e32 v43, v95
	v_mov_b32_e32 v42, v95
	v_mov_b32_e32 v41, v95
	v_mov_b32_e32 v40, v95
	v_mov_b32_e32 v39, v95
	v_mov_b32_e32 v38, v95
	v_mov_b32_e32 v37, v95
	v_mov_b32_e32 v36, v95
	v_mov_b32_e32 v35, v95
	v_mov_b32_e32 v34, v95
	v_mov_b32_e32 v33, v95
	v_mov_b32_e32 v32, v95
	v_mov_b32_e32 v31, v95
	v_mov_b32_e32 v30, v95
	v_mov_b32_e32 v29, v95
	v_mov_b32_e32 v28, v95
	v_mov_b32_e32 v27, v95
	v_mov_b32_e32 v26, v95
	v_mov_b32_e32 v25, v95
	v_mov_b32_e32 v24, v95
	v_mov_b32_e32 v23, v95
	v_mov_b32_e32 v22, v95
	v_mov_b32_e32 v21, v95
	v_mov_b32_e32 v20, v95
	v_mov_b32_e32 v19, v95
	v_mov_b32_e32 v18, v95
	s_waitcnt vmcnt(2)
	v_mov_b32_e32 v17, v95
	v_mov_b32_e32 v16, v95
	s_waitcnt vmcnt(1)
	v_mov_b32_e32 v15, v95
	v_mov_b32_e32 v14, v95
	;; [unrolled: 1-line block ×16, first 2 shown]
	s_and_saveexec_b64 s[0:1], vcc
	s_cbranch_execz .LBB313_35
; %bb.11:                               ;   in Loop: Header=BB313_7 Depth=1
	v_mov_b32_e32 v0, 0
	s_mov_b64 s[2:3], 0
	v_mov_b32_e32 v1, v0
	v_mov_b32_e32 v2, v0
	;; [unrolled: 1-line block ×95, first 2 shown]
	s_branch .LBB313_13
.LBB313_12:                             ;   in Loop: Header=BB313_13 Depth=2
	s_or_b64 exec, exec, s[4:5]
	v_add_u32_e32 v114, 0x2800, v110
	ds_read2_b32 v[112:113], v114 offset1:32
	v_add_u32_e32 v101, s59, v101
	s_waitcnt lgkmcnt(0)
	v_mfma_f32_32x32x16_fp8_fp8 v[0:15], v[108:109], v[112:113], v[0:15]
	ds_read2_b32 v[108:109], v114 offset0:128 offset1:160
	s_waitcnt lgkmcnt(0)
	v_mfma_f32_32x32x16_fp8_fp8 v[0:15], v[106:107], v[108:109], v[0:15]
	v_add_u32_e32 v108, 0x2c00, v110
	ds_read2_b32 v[106:107], v108 offset1:32
	ds_read2_b32 v[108:109], v108 offset0:128 offset1:160
	ds_write_b32 v98, v99 offset:55340
	s_waitcnt lgkmcnt(2)
	v_mfma_f32_32x32x16_fp8_fp8 v[0:15], v[104:105], v[106:107], v[0:15]
	v_add_u32_e32 v104, s59, v97
	v_add_u32_e32 v97, 2, v111
	v_cmp_lt_i32_e32 vcc, 2, v104
	s_nop 1
	v_cndmask_b32_e32 v111, v111, v97, vcc
	v_cmp_le_i32_e32 vcc, s41, v101
	s_waitcnt lgkmcnt(1)
	v_mfma_f32_32x32x16_fp8_fp8 v[0:15], v[102:103], v[108:109], v[0:15]
	s_or_b64 s[2:3], vcc, s[2:3]
	s_andn2_b64 exec, exec, s[2:3]
	s_cbranch_execz .LBB313_34
.LBB313_13:                             ;   Parent Loop BB313_7 Depth=1
                                        ; =>  This Loop Header: Depth=2
                                        ;       Child Loop BB313_15 Depth 3
                                        ;       Child Loop BB313_18 Depth 3
	;; [unrolled: 1-line block ×7, first 2 shown]
	v_cmp_gt_i32_e32 vcc, 3, v104
	s_nop 1
	v_cndmask_b32_e64 v97, -3, 0, vcc
	v_add_u32_e32 v97, v97, v104
	v_mul_lo_u32 v98, v97, 48
	ds_read_b32 v99, v98 offset:55296
	s_waitcnt lgkmcnt(0)
	v_cmp_ne_u32_e32 vcc, v99, v111
	s_and_saveexec_b64 s[4:5], vcc
	s_cbranch_execz .LBB313_16
; %bb.14:                               ;   in Loop: Header=BB313_13 Depth=2
	s_mov_b64 s[6:7], 0
.LBB313_15:                             ;   Parent Loop BB313_7 Depth=1
                                        ;     Parent Loop BB313_13 Depth=2
                                        ; =>    This Inner Loop Header: Depth=3
	;;#ASMSTART
	s_sleep 0
	;;#ASMEND
	ds_read_b32 v99, v98 offset:55296
	s_waitcnt lgkmcnt(0)
	v_cmp_eq_u32_e32 vcc, v99, v111
	s_or_b64 s[6:7], vcc, s[6:7]
	s_andn2_b64 exec, exec, s[6:7]
	s_cbranch_execnz .LBB313_15
.LBB313_16:                             ;   in Loop: Header=BB313_13 Depth=2
	s_or_b64 exec, exec, s[4:5]
	v_lshl_add_u32 v99, v97, 11, v116
	ds_read2_b32 v[108:109], v99 offset1:32
	ds_read2_b32 v[106:107], v99 offset0:128 offset1:160
	v_add_u32_e32 v99, 0x400, v99
	ds_read2_b32 v[104:105], v99 offset1:32
	ds_read_b32 v110, v98 offset:55300
	ds_read2_b32 v[102:103], v99 offset0:128 offset1:160
	v_add_u32_e32 v99, 1, v111
	ds_write_b32 v98, v99 offset:55296
	s_waitcnt lgkmcnt(2)
	v_cmp_ne_u32_e32 vcc, v110, v111
	s_and_saveexec_b64 s[4:5], vcc
	s_cbranch_execz .LBB313_19
; %bb.17:                               ;   in Loop: Header=BB313_13 Depth=2
	s_mov_b64 s[6:7], 0
.LBB313_18:                             ;   Parent Loop BB313_7 Depth=1
                                        ;     Parent Loop BB313_13 Depth=2
                                        ; =>    This Inner Loop Header: Depth=3
	;;#ASMSTART
	s_sleep 0
	;;#ASMEND
	ds_read_b32 v110, v98 offset:55300
	s_waitcnt lgkmcnt(0)
	v_cmp_eq_u32_e32 vcc, v110, v111
	s_or_b64 s[6:7], vcc, s[6:7]
	s_andn2_b64 exec, exec, s[6:7]
	s_cbranch_execnz .LBB313_18
.LBB313_19:                             ;   in Loop: Header=BB313_13 Depth=2
	s_or_b64 exec, exec, s[4:5]
	s_movk_i32 s4, 0x3000
	v_mul_lo_u32 v110, v97, s4
	v_or_b32_e32 v114, v117, v110
	ds_read2_b32 v[112:113], v114 offset1:32
	ds_write_b32 v98, v99 offset:55300
	s_waitcnt lgkmcnt(1)
	v_mfma_f32_32x32x16_fp8_fp8 v[80:95], v[108:109], v[112:113], v[80:95]
	ds_read2_b32 v[112:113], v114 offset0:128 offset1:160
	v_add_u32_e32 v114, 0x400, v114
	s_waitcnt lgkmcnt(0)
	v_mfma_f32_32x32x16_fp8_fp8 v[80:95], v[106:107], v[112:113], v[80:95]
	ds_read2_b32 v[112:113], v114 offset1:32
	s_waitcnt lgkmcnt(0)
	v_mfma_f32_32x32x16_fp8_fp8 v[80:95], v[104:105], v[112:113], v[80:95]
	ds_read2_b32 v[112:113], v114 offset0:128 offset1:160
	ds_read_b32 v114, v98 offset:55308
	s_waitcnt lgkmcnt(0)
	v_cmp_ne_u32_e32 vcc, v114, v111
	v_mfma_f32_32x32x16_fp8_fp8 v[80:95], v[102:103], v[112:113], v[80:95]
	s_and_saveexec_b64 s[4:5], vcc
	s_cbranch_execz .LBB313_22
; %bb.20:                               ;   in Loop: Header=BB313_13 Depth=2
	s_mov_b64 s[6:7], 0
.LBB313_21:                             ;   Parent Loop BB313_7 Depth=1
                                        ;     Parent Loop BB313_13 Depth=2
                                        ; =>    This Inner Loop Header: Depth=3
	;;#ASMSTART
	s_sleep 0
	;;#ASMEND
	ds_read_b32 v112, v98 offset:55308
	s_waitcnt lgkmcnt(0)
	v_cmp_eq_u32_e32 vcc, v112, v111
	s_or_b64 s[6:7], vcc, s[6:7]
	s_andn2_b64 exec, exec, s[6:7]
	s_cbranch_execnz .LBB313_21
.LBB313_22:                             ;   in Loop: Header=BB313_13 Depth=2
	s_or_b64 exec, exec, s[4:5]
	v_add_u32_e32 v110, v117, v110
	v_add_u32_e32 v114, 0x800, v110
	ds_read2_b32 v[112:113], v114 offset1:32
	ds_write_b32 v98, v99 offset:55308
	s_waitcnt lgkmcnt(1)
	v_mfma_f32_32x32x16_fp8_fp8 v[64:79], v[108:109], v[112:113], v[64:79]
	ds_read2_b32 v[112:113], v114 offset0:128 offset1:160
	v_add_u32_e32 v114, 0xc00, v110
	s_waitcnt lgkmcnt(0)
	v_mfma_f32_32x32x16_fp8_fp8 v[64:79], v[106:107], v[112:113], v[64:79]
	ds_read2_b32 v[112:113], v114 offset1:32
	s_waitcnt lgkmcnt(0)
	v_mfma_f32_32x32x16_fp8_fp8 v[64:79], v[104:105], v[112:113], v[64:79]
	ds_read2_b32 v[112:113], v114 offset0:128 offset1:160
	ds_read_b32 v114, v98 offset:55316
	s_waitcnt lgkmcnt(0)
	v_cmp_ne_u32_e32 vcc, v114, v111
	v_mfma_f32_32x32x16_fp8_fp8 v[64:79], v[102:103], v[112:113], v[64:79]
	s_and_saveexec_b64 s[4:5], vcc
	s_cbranch_execz .LBB313_25
; %bb.23:                               ;   in Loop: Header=BB313_13 Depth=2
	s_mov_b64 s[6:7], 0
.LBB313_24:                             ;   Parent Loop BB313_7 Depth=1
                                        ;     Parent Loop BB313_13 Depth=2
                                        ; =>    This Inner Loop Header: Depth=3
	;;#ASMSTART
	s_sleep 0
	;;#ASMEND
	ds_read_b32 v112, v98 offset:55316
	s_waitcnt lgkmcnt(0)
	v_cmp_eq_u32_e32 vcc, v112, v111
	s_or_b64 s[6:7], vcc, s[6:7]
	s_andn2_b64 exec, exec, s[6:7]
	s_cbranch_execnz .LBB313_24
.LBB313_25:                             ;   in Loop: Header=BB313_13 Depth=2
	s_or_b64 exec, exec, s[4:5]
	v_add_u32_e32 v114, 0x1000, v110
	ds_read2_b32 v[112:113], v114 offset1:32
	s_waitcnt lgkmcnt(0)
	v_mfma_f32_32x32x16_fp8_fp8 v[48:63], v[108:109], v[112:113], v[48:63]
	ds_read2_b32 v[112:113], v114 offset0:128 offset1:160
	v_add_u32_e32 v114, 0x1400, v110
	s_waitcnt lgkmcnt(0)
	v_mfma_f32_32x32x16_fp8_fp8 v[48:63], v[106:107], v[112:113], v[48:63]
	ds_read2_b32 v[112:113], v114 offset1:32
	s_waitcnt lgkmcnt(0)
	v_mfma_f32_32x32x16_fp8_fp8 v[48:63], v[104:105], v[112:113], v[48:63]
	ds_read_b32 v115, v98 offset:55324
	ds_read2_b32 v[112:113], v114 offset0:128 offset1:160
	ds_write_b32 v98, v99 offset:55316
	s_waitcnt lgkmcnt(2)
	v_cmp_ne_u32_e32 vcc, v115, v111
	s_waitcnt lgkmcnt(1)
	v_mfma_f32_32x32x16_fp8_fp8 v[48:63], v[102:103], v[112:113], v[48:63]
	s_and_saveexec_b64 s[4:5], vcc
	s_cbranch_execz .LBB313_28
; %bb.26:                               ;   in Loop: Header=BB313_13 Depth=2
	s_mov_b64 s[6:7], 0
.LBB313_27:                             ;   Parent Loop BB313_7 Depth=1
                                        ;     Parent Loop BB313_13 Depth=2
                                        ; =>    This Inner Loop Header: Depth=3
	;;#ASMSTART
	s_sleep 0
	;;#ASMEND
	ds_read_b32 v112, v98 offset:55324
	s_waitcnt lgkmcnt(0)
	v_cmp_eq_u32_e32 vcc, v112, v111
	s_or_b64 s[6:7], vcc, s[6:7]
	s_andn2_b64 exec, exec, s[6:7]
	s_cbranch_execnz .LBB313_27
.LBB313_28:                             ;   in Loop: Header=BB313_13 Depth=2
	s_or_b64 exec, exec, s[4:5]
	v_add_u32_e32 v114, 0x1800, v110
	ds_read2_b32 v[112:113], v114 offset1:32
	s_waitcnt lgkmcnt(0)
	v_mfma_f32_32x32x16_fp8_fp8 v[32:47], v[108:109], v[112:113], v[32:47]
	ds_read2_b32 v[112:113], v114 offset0:128 offset1:160
	v_add_u32_e32 v114, 0x1c00, v110
	s_waitcnt lgkmcnt(0)
	v_mfma_f32_32x32x16_fp8_fp8 v[32:47], v[106:107], v[112:113], v[32:47]
	ds_read2_b32 v[112:113], v114 offset1:32
	s_waitcnt lgkmcnt(0)
	v_mfma_f32_32x32x16_fp8_fp8 v[32:47], v[104:105], v[112:113], v[32:47]
	ds_read_b32 v115, v98 offset:55332
	ds_read2_b32 v[112:113], v114 offset0:128 offset1:160
	ds_write_b32 v98, v99 offset:55324
	s_waitcnt lgkmcnt(2)
	v_cmp_ne_u32_e32 vcc, v115, v111
	s_waitcnt lgkmcnt(1)
	;; [unrolled: 36-line block ×3, first 2 shown]
	v_mfma_f32_32x32x16_fp8_fp8 v[16:31], v[102:103], v[112:113], v[16:31]
	s_and_saveexec_b64 s[4:5], vcc
	s_cbranch_execz .LBB313_12
; %bb.32:                               ;   in Loop: Header=BB313_13 Depth=2
	s_mov_b64 s[6:7], 0
.LBB313_33:                             ;   Parent Loop BB313_7 Depth=1
                                        ;     Parent Loop BB313_13 Depth=2
                                        ; =>    This Inner Loop Header: Depth=3
	;;#ASMSTART
	s_sleep 0
	;;#ASMEND
	ds_read_b32 v112, v98 offset:55340
	s_waitcnt lgkmcnt(0)
	v_cmp_eq_u32_e32 vcc, v112, v111
	s_or_b64 s[6:7], vcc, s[6:7]
	s_andn2_b64 exec, exec, s[6:7]
	s_cbranch_execnz .LBB313_33
	s_branch .LBB313_12
.LBB313_34:                             ;   in Loop: Header=BB313_7 Depth=1
	s_or_b64 exec, exec, s[2:3]
.LBB313_35:                             ;   in Loop: Header=BB313_7 Depth=1
	v_writelane_b32 v126, s48, 34
	s_nop 1
	v_writelane_b32 v126, s49, 35
	v_writelane_b32 v126, s46, 36
	s_nop 1
	v_writelane_b32 v126, s47, 37
	;; [unrolled: 3-line block ×4, first 2 shown]
	v_writelane_b32 v126, s41, 42
	v_writelane_b32 v126, s40, 43
	;; [unrolled: 1-line block ×3, first 2 shown]
	s_or_b64 exec, exec, s[0:1]
	scratch_load_dword v100, off, off offset:48 ; 4-byte Folded Reload
	scratch_load_dword v108, off, off offset:104 ; 4-byte Folded Reload
	v_cmp_le_i32_e32 vcc, s8, v120
	v_or_b32_e32 v97, 32, v120
	scratch_store_dwordx2 off, v[118:119], off ; 8-byte Folded Spill
	s_waitcnt vmcnt(3)
	v_cndmask_b32_e32 v98, 0, v96, vcc
	v_cmp_le_i32_e32 vcc, s8, v97
	v_or_b32_e32 v97, 64, v120
	v_pk_mul_f32 v[118:119], v[98:99], v[94:95] op_sel_hi:[0,1]
	v_pk_mul_f32 v[92:93], v[98:99], v[92:93] op_sel_hi:[0,1]
	;; [unrolled: 1-line block ×8, first 2 shown]
	v_cndmask_b32_e32 v98, 0, v96, vcc
	v_cmp_le_i32_e32 vcc, s8, v97
	v_or_b32_e32 v97, 0x60, v120
	v_pk_mul_f32 v[102:103], v[98:99], v[66:67] op_sel_hi:[0,1]
	v_cndmask_b32_e32 v66, 0, v96, vcc
	v_cmp_le_i32_e32 vcc, s8, v97
	v_or_b32_e32 v97, 0x80, v120
	v_pk_mul_f32 v[116:117], v[66:67], v[48:49] op_sel_hi:[0,1]
	;; [unrolled: 4-line block ×3, first 2 shown]
	v_pk_mul_f32 v[44:45], v[48:49], v[44:45] op_sel_hi:[0,1]
	v_pk_mul_f32 v[42:43], v[48:49], v[42:43] op_sel_hi:[0,1]
	;; [unrolled: 1-line block ×7, first 2 shown]
	v_cndmask_b32_e32 v48, 0, v96, vcc
	v_cmp_le_i32_e32 vcc, s8, v97
	v_pk_mul_f32 v[30:31], v[48:49], v[30:31] op_sel_hi:[0,1]
	v_pk_mul_f32 v[28:29], v[48:49], v[28:29] op_sel_hi:[0,1]
	;; [unrolled: 1-line block ×8, first 2 shown]
	v_cndmask_b32_e32 v48, 0, v96, vcc
	v_pk_mul_f32 v[14:15], v[48:49], v[14:15] op_sel_hi:[0,1]
	v_pk_mul_f32 v[12:13], v[48:49], v[12:13] op_sel_hi:[0,1]
	;; [unrolled: 1-line block ×22, first 2 shown]
                                        ; implicit-def: $vgpr127 : SGPR spill to VGPR lane
	s_waitcnt vmcnt(2)
	v_cmp_eq_u32_e64 s[6:7], 1, v100
	s_nop 1
	v_cndmask_b32_e64 v48, v80, v81, s[6:7]
	v_cmp_eq_u32_e64 s[40:41], 2, v100
	v_cmp_eq_u32_e64 s[42:43], 3, v100
	v_cmp_eq_u32_e32 vcc, 4, v100
	v_cndmask_b32_e64 v48, v48, v82, s[40:41]
	v_cndmask_b32_e64 v48, v48, v83, s[42:43]
	v_cndmask_b32_e32 v48, v48, v84, vcc
	v_cmp_eq_u32_e64 s[0:1], 5, v100
	v_cmp_eq_u32_e64 s[2:3], 6, v100
	v_cmp_eq_u32_e64 s[30:31], 7, v100
	v_cndmask_b32_e64 v48, v48, v85, s[0:1]
	v_cndmask_b32_e64 v48, v48, v86, s[2:3]
	v_cndmask_b32_e64 v48, v48, v87, s[30:31]
	v_cmp_eq_u32_e64 s[26:27], 8, v100
	v_cmp_eq_u32_e64 s[24:25], 9, v100
	v_cmp_eq_u32_e64 s[22:23], 10, v100
	v_cndmask_b32_e64 v48, v48, v88, s[26:27]
	v_cndmask_b32_e64 v48, v48, v89, s[24:25]
	v_cndmask_b32_e64 v48, v48, v90, s[22:23]
	;; [unrolled: 6-line block ×3, first 2 shown]
	v_cmp_eq_u32_e64 s[12:13], 14, v100
	v_cmp_eq_u32_e64 s[10:11], 15, v100
	v_cmp_eq_u32_e64 s[46:47], 0, v100
	v_cndmask_b32_e64 v48, v48, v118, s[12:13]
	v_cndmask_b32_e64 v48, v48, v119, s[10:11]
	s_waitcnt vmcnt(1)
	ds_bpermute_b32 v48, v108, v48
	s_waitcnt lgkmcnt(0)
	v_cndmask_b32_e64 v75, v87, v48, s[30:31]
	scratch_load_dword v87, off, off offset:52 ; 4-byte Folded Reload
	v_cndmask_b32_e64 v50, v118, v48, s[12:13]
	v_cndmask_b32_e64 v81, v81, v48, s[6:7]
	;; [unrolled: 1-line block ×3, first 2 shown]
	scratch_load_dword v118, off, off offset:56 ; 4-byte Folded Reload
	v_cndmask_b32_e64 v49, v119, v48, s[10:11]
	v_cndmask_b32_e64 v51, v93, v48, s[14:15]
	;; [unrolled: 1-line block ×9, first 2 shown]
	v_cndmask_b32_e32 v84, v84, v48, vcc
	v_cndmask_b32_e64 v83, v83, v48, s[42:43]
	v_cndmask_b32_e64 v82, v82, v48, s[40:41]
	s_waitcnt vmcnt(1)
	v_cmp_eq_u32_e64 s[4:5], 1, v87
	s_nop 1
	v_cndmask_b32_e64 v48, v80, v81, s[4:5]
	v_cmp_eq_u32_e64 s[28:29], 2, v87
	v_cmp_eq_u32_e64 s[34:35], 3, v87
	v_cmp_eq_u32_e64 s[36:37], 4, v87
	v_cndmask_b32_e64 v48, v48, v82, s[28:29]
	v_cndmask_b32_e64 v48, v48, v83, s[34:35]
	v_cndmask_b32_e64 v48, v48, v84, s[36:37]
	v_cmp_eq_u32_e64 s[38:39], 5, v87
	v_cmp_eq_u32_e64 s[48:49], 6, v87
	v_cmp_eq_u32_e64 s[52:53], 7, v87
	v_cndmask_b32_e64 v48, v48, v85, s[38:39]
	v_cndmask_b32_e64 v48, v48, v77, s[48:49]
	;; [unrolled: 6-line block ×5, first 2 shown]
	ds_bpermute_b32 v86, v108, v48
	s_waitcnt vmcnt(0)
	v_cmp_eq_u32_e64 s[44:45], 1, v118
	v_cmp_eq_u32_e64 s[8:9], 3, v118
	s_waitcnt lgkmcnt(0)
	v_cndmask_b32_e64 v121, v50, v86, s[80:81]
	v_cndmask_b32_e64 v50, v94, v95, s[6:7]
	;; [unrolled: 1-line block ×4, first 2 shown]
	v_cndmask_b32_e32 v50, v50, v114, vcc
	v_cndmask_b32_e64 v50, v50, v115, s[0:1]
	v_cndmask_b32_e64 v50, v50, v70, s[2:3]
	;; [unrolled: 1-line block ×13, first 2 shown]
	ds_bpermute_b32 v82, v108, v50
	v_cndmask_b32_e64 v76, v74, v86, s[56:57]
	v_cndmask_b32_e64 v74, v75, v86, s[52:53]
	;; [unrolled: 1-line block ×4, first 2 shown]
	s_waitcnt lgkmcnt(0)
	v_cndmask_b32_e64 v77, v107, v82, s[14:15]
	v_cndmask_b32_e64 v107, v112, v82, s[22:23]
	;; [unrolled: 1-line block ×6, first 2 shown]
	v_cndmask_b32_e32 v70, v70, v52, vcc
	v_cndmask_b32_e64 v70, v70, v53, s[0:1]
	v_cndmask_b32_e64 v70, v70, v54, s[2:3]
	;; [unrolled: 1-line block ×11, first 2 shown]
	ds_bpermute_b32 v70, v108, v70
	v_cndmask_b32_e64 v119, v73, v82, s[24:25]
	v_cndmask_b32_e64 v123, v66, v86, s[72:73]
	;; [unrolled: 1-line block ×4, first 2 shown]
	s_waitcnt lgkmcnt(0)
	v_cndmask_b32_e32 v96, v52, v70, vcc
	v_cndmask_b32_e64 v52, v32, v33, s[6:7]
	v_cndmask_b32_e64 v52, v52, v34, s[40:41]
	;; [unrolled: 1-line block ×3, first 2 shown]
	v_cndmask_b32_e32 v52, v52, v36, vcc
	v_cndmask_b32_e64 v52, v52, v37, s[0:1]
	v_cndmask_b32_e64 v52, v52, v38, s[2:3]
	;; [unrolled: 1-line block ×12, first 2 shown]
	ds_bpermute_b32 v59, v108, v52
	v_cndmask_b32_e64 v67, v69, v86, s[60:61]
	v_cndmask_b32_e64 v68, v85, v86, s[38:39]
	;; [unrolled: 1-line block ×4, first 2 shown]
	s_waitcnt lgkmcnt(0)
	v_cndmask_b32_e64 v73, v33, v59, s[6:7]
	scratch_load_dword v33, off, off offset:60 ; 4-byte Folded Reload
	v_cndmask_b32_e64 v51, v81, v86, s[4:5]
	v_cndmask_b32_e64 v50, v80, v86, s[16:17]
	;; [unrolled: 1-line block ×9, first 2 shown]
	v_cndmask_b32_e32 v114, v114, v82, vcc
	v_cndmask_b32_e64 v85, v103, v82, s[42:43]
	v_cndmask_b32_e64 v86, v102, v82, s[40:41]
	;; [unrolled: 1-line block ×8, first 2 shown]
	v_cndmask_b32_e32 v35, v35, v20, vcc
	v_cndmask_b32_e64 v35, v35, v21, s[0:1]
	v_cndmask_b32_e64 v35, v35, v22, s[2:3]
	;; [unrolled: 1-line block ×11, first 2 shown]
	ds_bpermute_b32 v35, v108, v35
	v_cndmask_b32_e64 v102, v117, v70, s[6:7]
	v_cndmask_b32_e64 v72, v32, v59, s[46:47]
	;; [unrolled: 1-line block ×4, first 2 shown]
	s_waitcnt lgkmcnt(0)
	v_cndmask_b32_e64 v80, v16, v35, s[46:47]
	v_cndmask_b32_e64 v16, v0, v1, s[6:7]
	;; [unrolled: 1-line block ×4, first 2 shown]
	v_cndmask_b32_e32 v16, v16, v4, vcc
	v_cndmask_b32_e64 v16, v16, v5, s[0:1]
	v_cndmask_b32_e64 v16, v16, v6, s[2:3]
	;; [unrolled: 1-line block ×11, first 2 shown]
	ds_bpermute_b32 v16, v108, v16
	v_cndmask_b32_e64 v17, v17, v35, s[6:7]
	v_cmp_eq_u32_e64 s[6:7], 2, v118
	scratch_store_dword off, v17, off offset:28 ; 4-byte Folded Spill
	v_cndmask_b32_e64 v47, v47, v59, s[10:11]
	v_cndmask_b32_e64 v17, v32, v49, s[6:7]
	;; [unrolled: 1-line block ×4, first 2 shown]
	s_waitcnt lgkmcnt(0)
	v_cndmask_b32_e64 v15, v15, v16, s[10:11]
	v_cmp_eq_u32_e64 s[10:11], 4, v118
	v_cndmask_b32_e64 v90, v62, v70, s[12:13]
	v_cndmask_b32_e64 v46, v46, v59, s[12:13]
	;; [unrolled: 1-line block ×6, first 2 shown]
	v_cmp_eq_u32_e64 s[12:13], 5, v118
	v_cndmask_b32_e64 v91, v61, v70, s[14:15]
	v_cndmask_b32_e64 v45, v45, v59, s[14:15]
	scratch_store_dword off, v37, off offset:8 ; 4-byte Folded Spill
	v_cndmask_b32_e64 v37, v29, v35, s[14:15]
	v_cndmask_b32_e64 v17, v17, v68, s[12:13]
	;; [unrolled: 1-line block ×3, first 2 shown]
	v_cmp_eq_u32_e64 s[14:15], 6, v118
	v_cndmask_b32_e64 v92, v60, v70, s[18:19]
	v_cndmask_b32_e64 v99, v64, v70, s[40:41]
	;; [unrolled: 1-line block ×7, first 2 shown]
	v_cmp_eq_u32_e64 s[18:19], 7, v118
	v_cndmask_b32_e64 v95, v57, v70, s[24:25]
	v_cndmask_b32_e64 v57, v43, v59, s[20:21]
	;; [unrolled: 1-line block ×5, first 2 shown]
	v_cmp_eq_u32_e64 s[20:21], 8, v118
	v_cndmask_b32_e64 v94, v58, v70, s[22:23]
	v_cndmask_b32_e64 v58, v42, v59, s[22:23]
	;; [unrolled: 1-line block ×5, first 2 shown]
	v_cmp_eq_u32_e64 s[22:23], 9, v118
	v_cndmask_b32_e64 v52, v41, v59, s[24:25]
	v_cndmask_b32_e64 v60, v40, v59, s[26:27]
	;; [unrolled: 1-line block ×3, first 2 shown]
	v_cndmask_b32_e32 v36, v36, v59, vcc
	v_cndmask_b32_e64 v81, v34, v59, s[40:41]
	v_cndmask_b32_e64 v59, v25, v35, s[24:25]
	;; [unrolled: 1-line block ×4, first 2 shown]
	v_cmp_eq_u32_e64 s[24:25], 10, v118
	v_cndmask_b32_e64 v56, v56, v70, s[26:27]
	v_cndmask_b32_e64 v61, v24, v35, s[26:27]
	;; [unrolled: 1-line block ×4, first 2 shown]
	v_cmp_eq_u32_e64 s[26:27], 11, v118
	v_cndmask_b32_e64 v55, v55, v70, s[30:31]
	v_cndmask_b32_e64 v103, v116, v70, s[46:47]
	;; [unrolled: 1-line block ×5, first 2 shown]
	v_cmp_eq_u32_e64 s[30:31], 12, v118
	v_cndmask_b32_e64 v54, v54, v70, s[2:3]
	v_cndmask_b32_e64 v63, v22, v35, s[2:3]
	;; [unrolled: 1-line block ×4, first 2 shown]
	v_cmp_eq_u32_e64 s[2:3], 13, v118
	v_cndmask_b32_e64 v53, v53, v70, s[0:1]
	v_cndmask_b32_e64 v97, v65, v70, s[42:43]
	;; [unrolled: 1-line block ×5, first 2 shown]
	v_cmp_eq_u32_e64 s[0:1], 14, v118
	v_cndmask_b32_e32 v20, v20, v35, vcc
	v_cndmask_b32_e32 v4, v4, v16, vcc
	v_cndmask_b32_e64 v6, v6, v121, s[0:1]
	v_cmp_eq_u32_e32 vcc, 15, v118
	v_cndmask_b32_e64 v19, v19, v35, s[42:43]
	v_cndmask_b32_e64 v18, v18, v35, s[40:41]
	v_cndmask_b32_e32 v6, v6, v98, vcc
	ds_bpermute_b32 v7, v108, v6
	v_cndmask_b32_e64 v6, v3, v16, s[42:43]
	v_cmp_eq_u32_e64 s[42:43], 0, v118
	s_waitcnt vmcnt(2)
	v_cmp_eq_u32_e64 s[58:59], 1, v33
	v_cndmask_b32_e64 v71, v0, v16, s[46:47]
	s_waitcnt lgkmcnt(0)
	v_cndmask_b32_e32 v8, v98, v7, vcc
	v_cndmask_b32_e64 v27, v51, v7, s[44:45]
	v_writelane_b32 v126, s42, 45
	v_cndmask_b32_e64 v98, v2, v16, s[40:41]
	v_cmp_ne_u32_e64 s[40:41], 0, v100
	v_cndmask_b32_e64 v32, v50, v7, s[42:43]
	v_cndmask_b32_e64 v26, v49, v7, s[6:7]
	;; [unrolled: 1-line block ×4, first 2 shown]
	v_cmp_eq_u32_e64 s[40:41], 2, v33
	v_cndmask_b32_e64 v25, v48, v7, s[8:9]
	v_cmp_eq_u32_e64 s[46:47], 3, v33
	v_cndmask_b32_e64 v0, v1, v26, s[40:41]
	v_cndmask_b32_e64 v24, v69, v7, s[10:11]
	;; [unrolled: 1-line block ×3, first 2 shown]
	v_cmp_eq_u32_e64 s[50:51], 4, v33
	v_cndmask_b32_e64 v23, v68, v7, s[12:13]
	v_cmp_eq_u32_e64 s[54:55], 5, v33
	v_cndmask_b32_e64 v0, v0, v24, s[50:51]
	v_cndmask_b32_e64 v22, v75, v7, s[14:15]
	;; [unrolled: 1-line block ×3, first 2 shown]
	v_cmp_eq_u32_e64 s[62:63], 6, v33
	v_cndmask_b32_e64 v21, v74, v7, s[18:19]
	v_cmp_eq_u32_e64 s[66:67], 7, v33
	v_cndmask_b32_e64 v0, v0, v22, s[62:63]
	scratch_store_dword off, v20, off offset:16 ; 4-byte Folded Spill
	v_cndmask_b32_e64 v20, v76, v7, s[20:21]
	v_cndmask_b32_e64 v0, v0, v21, s[66:67]
	v_cmp_eq_u32_e64 s[70:71], 8, v33
	scratch_store_dword off, v19, off offset:20 ; 4-byte Folded Spill
	v_cndmask_b32_e64 v19, v67, v7, s[22:23]
	v_cndmask_b32_e64 v0, v0, v20, s[70:71]
	v_cmp_eq_u32_e64 s[74:75], 9, v33
	;; [unrolled: 4-line block ×3, first 2 shown]
	v_cndmask_b32_e64 v17, v125, v7, s[26:27]
	v_cmp_eq_u32_e64 s[82:83], 11, v33
	v_cndmask_b32_e64 v0, v0, v18, s[78:79]
	v_cndmask_b32_e64 v11, v123, v7, s[30:31]
	;; [unrolled: 1-line block ×3, first 2 shown]
	v_cmp_eq_u32_e64 s[86:87], 12, v33
	v_cndmask_b32_e64 v10, v122, v7, s[2:3]
	s_mov_b64 s[96:97], s[40:41]
	v_cndmask_b32_e64 v0, v0, v11, s[86:87]
	v_cmp_eq_u32_e64 s[40:41], 13, v33
	v_cndmask_b32_e64 v9, v121, v7, s[0:1]
	v_writelane_b32 v126, s43, 46
	v_cndmask_b32_e64 v0, v0, v10, s[40:41]
	v_cmp_eq_u32_e64 s[42:43], 14, v33
	v_cmp_eq_u32_e64 s[98:99], 15, v33
	v_writelane_b32 v126, s96, 47
	v_cndmask_b32_e64 v0, v0, v9, s[42:43]
	v_cndmask_b32_e64 v0, v0, v8, s[98:99]
	ds_bpermute_b32 v16, v108, v0
	v_writelane_b32 v126, s97, 48
	scratch_store_dword off, v36, off offset:12 ; 4-byte Folded Spill
	s_waitcnt lgkmcnt(0)
	v_cndmask_b32_e64 v2, v9, v16, s[42:43]
	v_cndmask_b32_e64 v9, v17, v16, s[82:83]
	;; [unrolled: 1-line block ×4, first 2 shown]
	v_cmp_eq_u32_e64 s[96:97], 0, v33
	v_cndmask_b32_e64 v1, v8, v16, s[98:99]
	v_cndmask_b32_e64 v7, v10, v16, s[40:41]
	;; [unrolled: 1-line block ×13, first 2 shown]
	v_writelane_b32 v126, s96, 49
	v_cndmask_b32_e64 v17, v17, v85, s[34:35]
	v_cndmask_b32_e64 v17, v17, v114, s[36:37]
	;; [unrolled: 1-line block ×28, first 2 shown]
	ds_bpermute_b32 v18, v108, v17
	v_cndmask_b32_e64 v16, v16, v89, s[84:85]
	ds_bpermute_b32 v42, v108, v16
	v_writelane_b32 v126, s97, 50
	s_waitcnt lgkmcnt(1)
	v_cndmask_b32_e64 v121, v88, v18, s[16:17]
	scratch_load_dword v88, off, off offset:12 ; 4-byte Folded Reload
	s_waitcnt lgkmcnt(0)
	v_cndmask_b32_e64 v122, v89, v42, s[84:85]
	v_cndmask_b32_e64 v32, v90, v42, s[80:81]
	;; [unrolled: 1-line block ×5, first 2 shown]
	scratch_load_dword v89, off, off offset:28 ; 4-byte Folded Reload
	scratch_load_dword v90, off, off offset:24 ; 4-byte Folded Reload
	;; [unrolled: 1-line block ×5, first 2 shown]
	v_cndmask_b32_e64 v21, v53, v42, s[38:39]
	v_cndmask_b32_e64 v53, v72, v73, s[4:5]
	;; [unrolled: 1-line block ×29, first 2 shown]
	s_waitcnt vmcnt(5)
	v_cndmask_b32_e64 v53, v53, v88, s[36:37]
	s_waitcnt vmcnt(0)
	v_cndmask_b32_e64 v53, v53, v93, s[38:39]
	v_cndmask_b32_e64 v53, v53, v64, s[48:49]
	;; [unrolled: 1-line block ×11, first 2 shown]
	ds_bpermute_b32 v85, v108, v53
	v_cndmask_b32_e64 v53, v80, v89, s[4:5]
	v_cndmask_b32_e64 v53, v53, v90, s[28:29]
	;; [unrolled: 1-line block ×15, first 2 shown]
	ds_bpermute_b32 v86, v108, v53
	v_cndmask_b32_e64 v53, v71, v3, s[4:5]
	v_cndmask_b32_e64 v53, v53, v98, s[28:29]
	;; [unrolled: 1-line block ×15, first 2 shown]
	ds_bpermute_b32 v87, v108, v53
	s_waitcnt lgkmcnt(1)
	v_cndmask_b32_e64 v55, v37, v86, s[76:77]
	v_cndmask_b32_e64 v56, v38, v86, s[72:73]
	;; [unrolled: 1-line block ×4, first 2 shown]
	s_waitcnt lgkmcnt(0)
	v_cndmask_b32_e64 v107, v13, v87, s[76:77]
	scratch_load_dword v13, off, off offset:64 ; 4-byte Folded Reload
	v_cndmask_b32_e64 v114, v116, v87, s[52:53]
	v_cndmask_b32_e64 v64, v65, v86, s[38:39]
	;; [unrolled: 1-line block ×40, first 2 shown]
	v_readlane_b32 s84, v126, 45
	v_cndmask_b32_e64 v52, v52, v85, s[60:61]
	v_cndmask_b32_e64 v59, v59, v86, s[60:61]
	;; [unrolled: 1-line block ×3, first 2 shown]
	v_readlane_b32 s85, v126, 46
	s_waitcnt vmcnt(0)
	v_cmp_eq_u32_e64 s[38:39], 1, v13
	s_nop 1
	v_cndmask_b32_e64 v12, v74, v51, s[38:39]
	v_cmp_eq_u32_e64 s[28:29], 2, v13
	v_cmp_eq_u32_e64 s[48:49], 3, v13
	v_cmp_eq_u32_e64 s[52:53], 4, v13
	v_cndmask_b32_e64 v12, v12, v50, s[28:29]
	v_cndmask_b32_e64 v12, v12, v49, s[48:49]
	v_cndmask_b32_e64 v12, v12, v48, s[52:53]
	v_cmp_eq_u32_e64 s[56:57], 5, v13
	v_cmp_eq_u32_e64 s[64:65], 6, v13
	v_cmp_eq_u32_e64 s[68:69], 7, v13
	v_cndmask_b32_e64 v12, v12, v68, s[56:57]
	v_cndmask_b32_e64 v12, v12, v70, s[64:65]
	;; [unrolled: 6-line block ×5, first 2 shown]
	ds_bpermute_b32 v12, v108, v12
	s_waitcnt lgkmcnt(0)
	v_cndmask_b32_e64 v81, v1, v12, s[4:5]
	v_cndmask_b32_e64 v1, v42, v41, s[44:45]
	;; [unrolled: 1-line block ×15, first 2 shown]
	v_cndmask_b32_e32 v1, v1, v122, vcc
	ds_bpermute_b32 v1, v108, v1
	v_cndmask_b32_e64 v90, v0, v12, s[72:73]
	v_cndmask_b32_e64 v0, v121, v27, s[44:45]
	;; [unrolled: 1-line block ×4, first 2 shown]
	s_waitcnt lgkmcnt(0)
	v_cndmask_b32_e64 v14, v35, v1, s[30:31]
	scratch_load_dword v35, off, off offset:68 ; 4-byte Folded Reload
	v_cndmask_b32_e64 v0, v0, v43, s[10:11]
	v_cndmask_b32_e64 v0, v0, v24, s[12:13]
	;; [unrolled: 1-line block ×11, first 2 shown]
	v_cndmask_b32_e32 v0, v0, v75, vcc
	ds_bpermute_b32 v0, v108, v0
	v_cndmask_b32_e64 v87, v9, v12, s[36:37]
	v_cndmask_b32_e64 v88, v10, v12, s[80:81]
	;; [unrolled: 1-line block ×6, first 2 shown]
	s_waitcnt lgkmcnt(0)
	v_cndmask_b32_e32 v68, v75, v0, vcc
	v_cndmask_b32_e64 v69, v76, v0, s[0:1]
	v_cndmask_b32_e64 v70, v77, v0, s[2:3]
	;; [unrolled: 1-line block ×29, first 2 shown]
	v_cndmask_b32_e32 v0, v0, v47, vcc
	v_cndmask_b32_e64 v82, v2, v12, s[96:97]
	v_cndmask_b32_e64 v83, v7, v12, s[34:35]
	;; [unrolled: 1-line block ×8, first 2 shown]
	v_cndmask_b32_e32 v11, v122, v1, vcc
	v_cndmask_b32_e64 v12, v32, v1, s[0:1]
	v_cndmask_b32_e64 v13, v33, v1, s[2:3]
	;; [unrolled: 1-line block ×14, first 2 shown]
	ds_bpermute_b32 v1, v108, v0
	v_cndmask_b32_e64 v0, v3, v103, s[44:45]
	v_cndmask_b32_e64 v0, v0, v102, s[6:7]
	v_cndmask_b32_e64 v0, v0, v99, s[8:9]
	v_cndmask_b32_e64 v0, v0, v65, s[10:11]
	v_cndmask_b32_e64 v0, v0, v64, s[12:13]
	v_cndmask_b32_e64 v0, v0, v63, s[14:15]
	v_cndmask_b32_e64 v0, v0, v62, s[18:19]
	v_cndmask_b32_e64 v0, v0, v61, s[20:21]
	v_cndmask_b32_e64 v0, v0, v59, s[22:23]
	v_cndmask_b32_e64 v0, v0, v58, s[24:25]
	v_cndmask_b32_e64 v0, v0, v57, s[26:27]
	v_cndmask_b32_e64 v0, v0, v56, s[30:31]
	v_cndmask_b32_e64 v0, v0, v55, s[2:3]
	v_cndmask_b32_e64 v0, v0, v54, s[0:1]
	v_cndmask_b32_e32 v0, v0, v53, vcc
	ds_bpermute_b32 v32, v108, v0
	v_cndmask_b32_e64 v0, v6, v120, s[44:45]
	v_cndmask_b32_e64 v0, v0, v118, s[6:7]
	;; [unrolled: 1-line block ×14, first 2 shown]
	v_cndmask_b32_e32 v0, v0, v105, vcc
	ds_bpermute_b32 v33, v108, v0
	s_waitcnt lgkmcnt(2)
	v_cndmask_b32_e64 v28, v31, v1, s[0:1]
	s_waitcnt lgkmcnt(1)
	v_cndmask_b32_e64 v41, v54, v32, s[0:1]
	v_cndmask_b32_e32 v27, v47, v1, vcc
	v_cndmask_b32_e64 v29, v30, v1, s[2:3]
	s_waitcnt lgkmcnt(0)
	v_cndmask_b32_e64 v54, v106, v33, s[0:1]
	s_waitcnt vmcnt(0)
	v_cmp_eq_u32_e64 s[0:1], 1, v35
	v_cndmask_b32_e64 v42, v55, v32, s[2:3]
	v_cndmask_b32_e64 v55, v107, v33, s[2:3]
	;; [unrolled: 1-line block ×9, first 2 shown]
	s_mov_b64 s[2:3], s[84:85]
	v_cndmask_b32_e64 v34, v80, v86, s[0:1]
	s_mov_b64 s[10:11], s[0:1]
	v_cmp_eq_u32_e64 s[0:1], 2, v35
	v_cndmask_b32_e32 v40, v53, v32, vcc
	v_cndmask_b32_e64 v30, v44, v1, s[30:31]
	v_cndmask_b32_e64 v43, v56, v32, s[30:31]
	;; [unrolled: 1-line block ×20, first 2 shown]
	s_mov_b64 s[6:7], s[0:1]
	v_cmp_eq_u32_e64 s[0:1], 3, v35
	v_cndmask_b32_e64 v37, v37, v1, s[12:13]
	v_cndmask_b32_e64 v63, v116, v33, s[12:13]
	;; [unrolled: 1-line block ×3, first 2 shown]
	s_mov_b64 s[12:13], s[0:1]
	v_cmp_eq_u32_e64 s[0:1], 4, v35
	v_cndmask_b32_e64 v62, v115, v33, s[14:15]
	s_mov_b64 s[14:15], s[0:1]
	v_cndmask_b32_e64 v32, v32, v94, s[0:1]
	v_cmp_eq_u32_e64 s[0:1], 5, v35
	s_mov_b64 s[18:19], s[0:1]
	v_cndmask_b32_e64 v56, v119, v33, s[30:31]
	v_cndmask_b32_e64 v32, v32, v93, s[0:1]
	v_cmp_eq_u32_e64 s[0:1], 6, v35
	v_cndmask_b32_e64 v119, v60, v1, s[20:21]
	v_cndmask_b32_e64 v60, v113, v33, s[20:21]
	;; [unrolled: 1-line block ×3, first 2 shown]
	s_mov_b64 s[20:21], s[0:1]
	v_cmp_eq_u32_e64 s[0:1], 7, v35
	v_cndmask_b32_e64 v59, v112, v33, s[22:23]
	s_mov_b64 s[22:23], s[0:1]
	v_cndmask_b32_e64 v32, v32, v91, s[0:1]
	v_cmp_eq_u32_e64 s[0:1], 8, v35
	v_cndmask_b32_e64 v58, v110, v33, s[24:25]
	s_mov_b64 s[24:25], s[0:1]
	v_cndmask_b32_e64 v32, v32, v90, s[0:1]
	v_cmp_eq_u32_e64 s[0:1], 9, v35
	s_mov_b64 s[26:27], s[0:1]
	v_cndmask_b32_e64 v0, v98, v1, s[44:45]
	v_cndmask_b32_e64 v32, v32, v89, s[0:1]
	v_cmp_eq_u32_e64 s[0:1], 10, v35
	s_mov_b64 s[30:31], s[0:1]
	v_cndmask_b32_e64 v5, v120, v33, s[44:45]
	v_cndmask_b32_e64 v32, v32, v88, s[0:1]
	v_cmp_eq_u32_e64 s[0:1], 11, v35
	s_mov_b64 s[44:45], s[0:1]
	v_writelane_b32 v126, s44, 51
	v_cndmask_b32_e64 v32, v32, v87, s[0:1]
	v_cmp_eq_u32_e64 s[0:1], 12, v35
	v_writelane_b32 v126, s45, 52
	s_mov_b64 s[84:85], s[0:1]
	v_writelane_b32 v126, s84, 53
	v_cndmask_b32_e64 v32, v32, v84, s[0:1]
	v_cmp_eq_u32_e64 s[0:1], 13, v35
	v_writelane_b32 v126, s85, 54
	v_cndmask_b32_e64 v1, v96, v1, s[2:3]
	v_writelane_b32 v126, s0, 55
	v_cndmask_b32_e64 v6, v6, v33, s[2:3]
	v_cmp_eq_u32_e64 s[2:3], 14, v35
	v_writelane_b32 v126, s1, 56
	v_cndmask_b32_e64 v32, v32, v83, s[0:1]
	v_writelane_b32 v126, s2, 45
	v_cndmask_b32_e64 v65, v100, v33, s[8:9]
	v_cmp_eq_u32_e64 s[8:9], 15, v35
	v_writelane_b32 v126, s3, 46
	v_cndmask_b32_e64 v32, v32, v82, s[2:3]
	v_writelane_b32 v126, s8, 57
	v_cndmask_b32_e32 v53, v105, v33, vcc
	v_cndmask_b32_e64 v33, v10, v9, s[58:59]
	v_cndmask_b32_e64 v32, v32, v81, s[8:9]
	ds_bpermute_b32 v32, v108, v32
	v_writelane_b32 v126, s9, 58
	s_waitcnt lgkmcnt(0)
	v_cndmask_b32_e64 v82, v82, v32, s[2:3]
	v_readlane_b32 s2, v126, 47
	v_readlane_b32 s3, v126, 48
	v_cndmask_b32_e64 v83, v83, v32, s[0:1]
	v_cmp_eq_u32_e64 s[0:1], 0, v35
	v_cndmask_b32_e64 v33, v33, v67, s[2:3]
	v_cndmask_b32_e64 v33, v33, v66, s[46:47]
	;; [unrolled: 1-line block ×4, first 2 shown]
	v_writelane_b32 v126, s0, 59
	v_cndmask_b32_e64 v81, v81, v32, s[8:9]
	v_cndmask_b32_e64 v84, v84, v32, s[84:85]
	;; [unrolled: 1-line block ×14, first 2 shown]
	v_writelane_b32 v126, s1, 60
	v_cndmask_b32_e64 v80, v80, v32, s[0:1]
	v_cndmask_b32_e64 v32, v26, v25, s[58:59]
	s_mov_b64 s[0:1], s[2:3]
	v_cndmask_b32_e64 v33, v33, v76, s[66:67]
	v_cndmask_b32_e64 v32, v32, v24, s[0:1]
	;; [unrolled: 1-line block ×18, first 2 shown]
	ds_bpermute_b32 v33, v108, v33
	v_cndmask_b32_e64 v32, v32, v15, s[82:83]
	v_cndmask_b32_e64 v32, v32, v14, s[86:87]
	;; [unrolled: 1-line block ×5, first 2 shown]
	s_waitcnt lgkmcnt(0)
	v_cndmask_b32_e64 v123, v73, v33, s[78:79]
	ds_bpermute_b32 v73, v108, v32
	v_cndmask_b32_e64 v32, v9, v33, s[58:59]
	v_cndmask_b32_e64 v9, v1, v0, s[58:59]
	;; [unrolled: 1-line block ×4, first 2 shown]
	s_waitcnt lgkmcnt(0)
	v_cndmask_b32_e64 v36, v19, v73, s[66:67]
	scratch_load_dword v19, off, off offset:72 ; 4-byte Folded Reload
	v_cndmask_b32_e64 v9, v9, v38, s[50:51]
	v_cndmask_b32_e64 v9, v9, v37, s[54:55]
	;; [unrolled: 1-line block ×10, first 2 shown]
	v_readlane_b32 s2, v126, 49
	v_cndmask_b32_e64 v9, v9, v28, s[42:43]
	v_readlane_b32 s3, v126, 50
	v_cndmask_b32_e64 v9, v9, v27, s[98:99]
	v_cndmask_b32_e64 v68, v68, v33, s[98:99]
	v_cndmask_b32_e64 v69, v69, v33, s[42:43]
	v_cndmask_b32_e64 v70, v70, v33, s[40:41]
	v_cndmask_b32_e64 v71, v71, v33, s[86:87]
	v_cndmask_b32_e64 v72, v72, v33, s[82:83]
	v_cndmask_b32_e64 v125, v74, v33, s[74:75]
	v_cndmask_b32_e64 v75, v75, v33, s[70:71]
	v_cndmask_b32_e64 v76, v76, v33, s[66:67]
	v_cndmask_b32_e64 v77, v77, v33, s[62:63]
	v_cndmask_b32_e64 v78, v78, v33, s[54:55]
	v_cndmask_b32_e64 v79, v79, v33, s[50:51]
	v_cndmask_b32_e64 v66, v66, v33, s[46:47]
	v_cndmask_b32_e64 v67, v67, v33, s[0:1]
	v_cndmask_b32_e64 v10, v10, v33, s[2:3]
	v_cndmask_b32_e64 v33, v16, v73, s[78:79]
	ds_bpermute_b32 v16, v108, v9
	v_cndmask_b32_e64 v9, v3, v2, s[58:59]
	v_cndmask_b32_e64 v9, v9, v8, s[0:1]
	v_cndmask_b32_e64 v9, v9, v52, s[46:47]
	v_cndmask_b32_e64 v9, v9, v51, s[50:51]
	v_cndmask_b32_e64 v9, v9, v50, s[54:55]
	v_cndmask_b32_e64 v9, v9, v49, s[62:63]
	v_cndmask_b32_e64 v9, v9, v48, s[66:67]
	v_cndmask_b32_e64 v9, v9, v47, s[70:71]
	v_cndmask_b32_e64 v9, v9, v46, s[74:75]
	v_cndmask_b32_e64 v9, v9, v45, s[78:79]
	v_cndmask_b32_e64 v9, v9, v44, s[82:83]
	v_cndmask_b32_e64 v9, v9, v43, s[86:87]
	v_cndmask_b32_e64 v9, v9, v42, s[40:41]
	v_cndmask_b32_e64 v9, v9, v41, s[42:43]
	v_cndmask_b32_e64 v9, v9, v40, s[98:99]
	v_cndmask_b32_e64 v34, v17, v73, s[74:75]
	ds_bpermute_b32 v17, v108, v9
	;; [unrolled: 17-line block ×3, first 2 shown]
	v_cndmask_b32_e64 v24, v24, v73, s[0:1]
	s_waitcnt lgkmcnt(2)
	v_cndmask_b32_e64 v9, v7, v16, s[0:1]
	s_waitcnt lgkmcnt(1)
	v_cndmask_b32_e64 v8, v8, v17, s[0:1]
	v_cndmask_b32_e64 v7, v2, v17, s[58:59]
	s_waitcnt lgkmcnt(0)
	v_cndmask_b32_e64 v113, v56, v18, s[86:87]
	v_cndmask_b32_e64 v56, v109, v16, s[66:67]
	;; [unrolled: 1-line block ×4, first 2 shown]
	s_mov_b64 s[0:1], s[2:3]
	v_cndmask_b32_e64 v4, v0, v16, s[58:59]
	v_cndmask_b32_e64 v2, v1, v16, s[0:1]
	v_cndmask_b32_e64 v3, v3, v17, s[0:1]
	v_cndmask_b32_e64 v6, v6, v18, s[0:1]
	v_cndmask_b32_e64 v22, v22, v73, s[50:51]
	v_cndmask_b32_e64 v100, v59, v18, s[74:75]
	s_waitcnt vmcnt(0)
	v_cmp_eq_u32_e64 s[8:9], 1, v19
	v_cmp_eq_u32_e64 s[0:1], 2, v19
	v_cndmask_b32_e64 v122, v63, v18, s[54:55]
	v_cndmask_b32_e64 v0, v80, v86, s[8:9]
	;; [unrolled: 1-line block ×6, first 2 shown]
	s_mov_b64 s[50:51], s[0:1]
	v_cmp_eq_u32_e64 s[0:1], 3, v19
	v_cndmask_b32_e64 v21, v21, v73, s[54:55]
	v_cndmask_b32_e64 v117, v58, v18, s[78:79]
	;; [unrolled: 1-line block ×6, first 2 shown]
	s_mov_b64 s[54:55], s[0:1]
	v_cmp_eq_u32_e64 s[0:1], 4, v19
	v_cndmask_b32_e64 v25, v25, v73, s[58:59]
	v_cndmask_b32_e64 v5, v5, v18, s[58:59]
	;; [unrolled: 1-line block ×3, first 2 shown]
	s_mov_b64 s[58:59], s[0:1]
	v_cmp_eq_u32_e64 s[0:1], 5, v19
	v_cndmask_b32_e64 v20, v20, v73, s[62:63]
	v_cndmask_b32_e64 v116, v57, v18, s[82:83]
	;; [unrolled: 1-line block ×6, first 2 shown]
	s_mov_b64 s[62:63], s[0:1]
	v_cmp_eq_u32_e64 s[0:1], 6, v19
	s_mov_b64 s[66:67], s[0:1]
	v_cndmask_b32_e64 v112, v55, v18, s[40:41]
	v_cndmask_b32_e64 v0, v0, v92, s[0:1]
	v_cmp_eq_u32_e64 s[0:1], 7, v19
	v_cndmask_b32_e64 v55, v119, v16, s[70:71]
	v_cndmask_b32_e64 v119, v47, v17, s[70:71]
	v_cndmask_b32_e64 v118, v60, v18, s[70:71]
	v_cndmask_b32_e64 v0, v0, v91, s[0:1]
	s_mov_b64 s[70:71], s[0:1]
	v_cmp_eq_u32_e64 s[0:1], 8, v19
	v_cndmask_b32_e64 v110, v54, v18, s[42:43]
	v_cndmask_b32_e64 v54, v107, v16, s[74:75]
	v_cndmask_b32_e64 v107, v46, v17, s[74:75]
	v_cndmask_b32_e64 v0, v0, v90, s[0:1]
	s_mov_b64 s[74:75], s[0:1]
	;; [unrolled: 6-line block ×4, first 2 shown]
	v_cmp_eq_u32_e64 s[0:1], 11, v19
	s_mov_b64 s[84:85], s[0:1]
	v_cndmask_b32_e64 v14, v14, v73, s[86:87]
	v_cndmask_b32_e64 v0, v0, v87, s[0:1]
	v_cmp_eq_u32_e64 s[0:1], 12, v19
	v_cndmask_b32_e64 v30, v30, v16, s[86:87]
	v_cndmask_b32_e64 v103, v43, v17, s[86:87]
	;; [unrolled: 1-line block ×3, first 2 shown]
	s_mov_b64 s[86:87], s[0:1]
	v_cmp_eq_u32_e64 s[0:1], 13, v19
	v_cndmask_b32_e64 v11, v11, v73, s[98:99]
	v_cndmask_b32_e64 v27, v27, v16, s[98:99]
	;; [unrolled: 1-line block ×3, first 2 shown]
	v_writelane_b32 v126, s0, 47
	v_cmp_eq_u32_e64 s[98:99], 14, v19
	v_cndmask_b32_e64 v23, v23, v73, s[46:47]
	v_cndmask_b32_e64 v0, v0, v83, s[0:1]
	;; [unrolled: 1-line block ×5, first 2 shown]
	s_mov_b64 s[46:47], s[8:9]
	v_writelane_b32 v126, s1, 48
	v_cndmask_b32_e64 v0, v0, v82, s[98:99]
	v_cmp_eq_u32_e64 s[8:9], 15, v19
	v_cndmask_b32_e64 v28, v28, v16, s[42:43]
	v_cndmask_b32_e64 v29, v29, v16, s[40:41]
	v_writelane_b32 v126, s8, 49
	v_cndmask_b32_e64 v26, v26, v73, s[2:3]
	v_cndmask_b32_e64 v13, v13, v73, s[40:41]
	;; [unrolled: 1-line block ×3, first 2 shown]
	ds_bpermute_b32 v16, v108, v0
	v_cndmask_b32_e64 v0, v10, v32, s[38:39]
	v_cndmask_b32_e64 v0, v0, v67, s[28:29]
	;; [unrolled: 1-line block ×14, first 2 shown]
	v_writelane_b32 v126, s9, 50
	s_waitcnt lgkmcnt(0)
	v_cndmask_b32_e64 v83, v83, v16, s[0:1]
	v_cndmask_b32_e64 v0, v0, v68, s[4:5]
	v_cmp_eq_u32_e64 s[0:1], 0, v19
	v_cndmask_b32_e64 v81, v81, v16, s[8:9]
	v_cndmask_b32_e64 v82, v82, v16, s[98:99]
	;; [unrolled: 1-line block ×12, first 2 shown]
	ds_bpermute_b32 v37, v108, v0
	v_cndmask_b32_e64 v0, v85, v16, s[50:51]
	v_cndmask_b32_e64 v1, v86, v16, s[46:47]
	v_writelane_b32 v126, s0, 61
	v_cndmask_b32_e64 v12, v12, v73, s[42:43]
	v_cndmask_b32_e64 v102, v42, v17, s[40:41]
	;; [unrolled: 1-line block ×18, first 2 shown]
	ds_bpermute_b32 v49, v108, v16
	v_cndmask_b32_e64 v97, v41, v17, s[42:43]
	s_waitcnt lgkmcnt(1)
	v_cndmask_b32_e64 v74, v69, v37, s[96:97]
	v_cndmask_b32_e64 v69, v75, v37, s[72:73]
	;; [unrolled: 1-line block ×3, first 2 shown]
	s_waitcnt lgkmcnt(0)
	v_cndmask_b32_e64 v47, v11, v49, s[4:5]
	v_cndmask_b32_e64 v46, v12, v49, s[96:97]
	;; [unrolled: 1-line block ×32, first 2 shown]
	ds_bpermute_b32 v11, v108, v11
	ds_bpermute_b32 v12, v108, v12
	v_cndmask_b32_e64 v10, v2, v4, s[38:39]
	v_cndmask_b32_e64 v10, v10, v9, s[28:29]
	;; [unrolled: 1-line block ×3, first 2 shown]
	s_waitcnt lgkmcnt(1)
	v_cndmask_b32_e64 v80, v97, v11, s[96:97]
	s_waitcnt lgkmcnt(0)
	v_cndmask_b32_e64 v97, v112, v12, s[34:35]
	v_cndmask_b32_e64 v112, v100, v12, s[76:77]
	;; [unrolled: 1-line block ×3, first 2 shown]
	scratch_load_dword v119, off, off offset:76 ; 4-byte Folded Reload
	v_cndmask_b32_e64 v10, v10, v59, s[52:53]
	v_cndmask_b32_e64 v10, v10, v58, s[56:57]
	;; [unrolled: 1-line block ×12, first 2 shown]
	ds_bpermute_b32 v10, v108, v10
	v_cndmask_b32_e64 v45, v13, v49, s[34:35]
	v_cndmask_b32_e64 v13, v99, v12, s[4:5]
	;; [unrolled: 1-line block ×5, first 2 shown]
	scratch_store_dword off, v13, off offset:8 ; 4-byte Folded Spill
	v_cndmask_b32_e64 v13, v110, v12, s[96:97]
	v_cndmask_b32_e64 v110, v102, v11, s[34:35]
	s_waitcnt lgkmcnt(0)
	v_cndmask_b32_e64 v52, v31, v10, s[36:37]
	v_cndmask_b32_e64 v68, v105, v11, s[36:37]
	;; [unrolled: 1-line block ×58, first 2 shown]
	s_waitcnt vmcnt(1)
	v_cmp_eq_u32_e64 s[36:37], 1, v119
	v_cmp_eq_u32_e64 s[38:39], 2, v119
	v_cmp_eq_u32_e64 s[40:41], 3, v119
	v_cndmask_b32_e64 v2, v65, v1, s[36:37]
	v_cndmask_b32_e64 v2, v2, v0, s[38:39]
	v_cndmask_b32_e64 v2, v2, v114, s[40:41]
	v_cmp_eq_u32_e64 s[42:43], 4, v119
	v_cmp_eq_u32_e64 s[44:45], 5, v119
	v_cmp_eq_u32_e64 s[48:49], 6, v119
	v_cndmask_b32_e64 v2, v2, v94, s[42:43]
	v_cndmask_b32_e64 v2, v2, v93, s[44:45]
	v_cndmask_b32_e64 v2, v2, v92, s[48:49]
	;; [unrolled: 6-line block ×4, first 2 shown]
	v_cmp_eq_u32_e64 s[76:77], 13, v119
	v_cmp_eq_u32_e64 s[80:81], 14, v119
	v_cmp_eq_u32_e32 vcc, 15, v119
	v_cndmask_b32_e64 v2, v2, v83, s[76:77]
	v_cndmask_b32_e64 v2, v2, v82, s[80:81]
	v_cndmask_b32_e32 v2, v2, v81, vcc
	ds_bpermute_b32 v20, v108, v2
	s_mov_b64 s[16:17], s[10:11]
	s_mov_b64 s[8:9], s[6:7]
	v_cndmask_b32_e64 v61, v9, v10, s[28:29]
	v_cndmask_b32_e64 v77, v8, v11, s[28:29]
	s_waitcnt lgkmcnt(0)
	v_cndmask_b32_e64 v2, v0, v20, s[38:39]
	v_cndmask_b32_e64 v0, v75, v78, s[16:17]
	;; [unrolled: 1-line block ×3, first 2 shown]
	s_mov_b64 s[28:29], s[12:13]
	v_cndmask_b32_e64 v50, v29, v10, s[34:35]
	v_cndmask_b32_e64 v0, v0, v16, s[28:29]
	s_mov_b64 s[34:35], s[14:15]
	v_cndmask_b32_e64 v32, v28, v10, s[96:97]
	v_cndmask_b32_e64 v0, v0, v123, s[34:35]
	s_mov_b64 s[96:97], s[18:19]
	v_cndmask_b32_e64 v0, v0, v125, s[96:97]
	s_mov_b64 s[6:7], s[20:21]
	;; [unrolled: 2-line block ×4, first 2 shown]
	v_writelane_b32 v126, s1, 62
	v_cndmask_b32_e64 v0, v0, v69, s[12:13]
	s_mov_b64 s[14:15], s[26:27]
	v_cndmask_b32_e64 v0, v0, v70, s[14:15]
	s_mov_b64 s[18:19], s[30:31]
	v_readlane_b32 s20, v126, 51
	v_cndmask_b32_e64 v0, v0, v71, s[18:19]
	v_readlane_b32 s21, v126, 52
	v_readlane_b32 s22, v126, 53
	v_readlane_b32 s23, v126, 54
	v_cndmask_b32_e64 v0, v0, v72, s[20:21]
	v_readlane_b32 s88, v126, 55
	v_cndmask_b32_e64 v0, v0, v19, s[22:23]
	v_readlane_b32 s89, v126, 56
	v_readlane_b32 s26, v126, 45
	v_readlane_b32 s27, v126, 46
	v_cndmask_b32_e64 v0, v0, v73, s[88:89]
	;; [unrolled: 6-line block ×3, first 2 shown]
	ds_bpermute_b32 v0, v108, v0
	v_cndmask_b32_e64 v66, v27, v10, s[4:5]
	v_cndmask_b32_e64 v96, v96, v11, s[4:5]
	s_mov_b64 s[4:5], s[46:47]
	s_mov_b64 s[46:47], s[50:51]
	s_waitcnt lgkmcnt(0)
	v_cndmask_b32_e64 v18, v18, v0, s[30:31]
	v_cndmask_b32_e64 v21, v74, v0, s[26:27]
	v_cndmask_b32_e64 v22, v73, v0, s[88:89]
	v_cndmask_b32_e64 v19, v19, v0, s[22:23]
	v_cndmask_b32_e64 v23, v72, v0, s[20:21]
	v_cndmask_b32_e64 v24, v71, v0, s[18:19]
	v_cndmask_b32_e64 v25, v70, v0, s[14:15]
	v_cndmask_b32_e64 v26, v69, v0, s[12:13]
	v_cndmask_b32_e64 v27, v86, v0, s[10:11]
	v_cndmask_b32_e64 v28, v85, v0, s[6:7]
	v_cndmask_b32_e64 v29, v125, v0, s[96:97]
	v_cndmask_b32_e64 v30, v123, v0, s[34:35]
	v_cndmask_b32_e64 v16, v16, v0, s[28:29]
	v_cndmask_b32_e64 v17, v17, v0, s[8:9]
	v_cndmask_b32_e64 v31, v78, v0, s[16:17]
	v_cndmask_b32_e64 v0, v75, v0, s[2:3]
	v_cndmask_b32_e64 v69, v0, v31, s[4:5]
	v_cndmask_b32_e64 v69, v69, v17, s[46:47]
	s_mov_b64 s[50:51], s[54:55]
	v_cndmask_b32_e64 v69, v69, v16, s[50:51]
	s_mov_b64 s[54:55], s[58:59]
	v_cndmask_b32_e64 v69, v69, v30, s[54:55]
	;; [unrolled: 2-line block ×9, first 2 shown]
	s_mov_b64 s[84:85], s[86:87]
	v_readlane_b32 s86, v126, 47
	v_cndmask_b32_e64 v69, v69, v19, s[84:85]
	v_readlane_b32 s87, v126, 48
	v_readlane_b32 s0, v126, 49
	;; [unrolled: 1-line block ×3, first 2 shown]
	v_cndmask_b32_e64 v69, v69, v22, s[86:87]
	v_cndmask_b32_e64 v69, v69, v21, s[98:99]
	;; [unrolled: 1-line block ×3, first 2 shown]
	ds_bpermute_b32 v69, v108, v69
	s_mov_b64 s[24:25], s[18:19]
	s_mov_b64 s[18:19], s[10:11]
	v_readlane_b32 s10, v126, 61
	v_readlane_b32 s11, v126, 62
	s_waitcnt lgkmcnt(0)
	v_cndmask_b32_e64 v18, v18, v69, s[0:1]
	v_cndmask_b32_e64 v21, v21, v69, s[98:99]
	;; [unrolled: 1-line block ×30, first 2 shown]
	v_cndmask_b32_e32 v0, v0, v18, vcc
	ds_bpermute_b32 v78, v108, v0
	s_mov_b64 s[94:95], s[26:27]
	s_mov_b64 s[26:27], s[20:21]
	s_mov_b64 s[20:21], s[12:13]
	s_mov_b64 s[12:13], s[8:9]
	s_waitcnt lgkmcnt(0)
	v_cndmask_b32_e64 v28, v19, v78, s[72:73]
	v_cndmask_b32_e64 v19, v16, v78, s[40:41]
	;; [unrolled: 1-line block ×9, first 2 shown]
	s_mov_b64 s[90:91], s[30:31]
	s_mov_b64 s[30:31], s[22:23]
	;; [unrolled: 1-line block ×3, first 2 shown]
	v_cndmask_b32_e64 v16, v16, v42, s[20:21]
	v_cndmask_b32_e64 v16, v16, v41, s[22:23]
	;; [unrolled: 1-line block ×6, first 2 shown]
	s_mov_b64 s[14:15], s[94:95]
	v_cndmask_b32_e64 v16, v16, v46, s[14:15]
	s_mov_b64 s[94:95], s[90:91]
	v_cndmask_b32_e64 v16, v16, v47, s[94:95]
	ds_bpermute_b32 v16, v108, v16
	s_mov_b64 s[8:9], s[2:3]
	v_cmp_eq_u32_e64 s[0:1], 0, v119
	v_cndmask_b32_e64 v27, v23, v78, s[68:69]
	v_cndmask_b32_e64 v26, v24, v78, s[64:65]
	s_waitcnt lgkmcnt(0)
	v_cndmask_b32_e64 v47, v47, v16, s[94:95]
	v_cndmask_b32_e64 v46, v46, v16, s[14:15]
	v_cndmask_b32_e64 v45, v45, v16, s[88:89]
	v_cndmask_b32_e64 v38, v38, v16, s[30:31]
	v_cndmask_b32_e64 v39, v39, v16, s[26:27]
	v_cndmask_b32_e64 v40, v40, v16, s[24:25]
	v_cndmask_b32_e64 v41, v41, v16, s[22:23]
	v_cndmask_b32_e64 v42, v42, v16, s[20:21]
	v_cndmask_b32_e64 v43, v43, v16, s[18:19]
	v_cndmask_b32_e64 v44, v44, v16, s[6:7]
	v_cndmask_b32_e64 v37, v37, v16, s[96:97]
	v_cndmask_b32_e64 v36, v36, v16, s[34:35]
	v_cndmask_b32_e64 v35, v35, v16, s[28:29]
	v_cndmask_b32_e64 v34, v34, v16, s[12:13]
	v_cndmask_b32_e64 v33, v33, v16, s[16:17]
	v_cndmask_b32_e64 v16, v49, v16, s[2:3]
	s_mov_b64 s[2:3], s[4:5]
	v_cndmask_b32_e64 v49, v16, v33, s[2:3]
	v_cndmask_b32_e64 v49, v49, v34, s[46:47]
	;; [unrolled: 1-line block ×13, first 2 shown]
	v_readlane_b32 s4, v126, 49
	v_cndmask_b32_e64 v49, v49, v46, s[98:99]
	v_readlane_b32 s5, v126, 50
	s_mov_b64 s[14:15], s[6:7]
	s_mov_b64 s[6:7], s[10:11]
	v_cndmask_b32_e64 v49, v49, v47, s[4:5]
	ds_bpermute_b32 v49, v108, v49
	v_cndmask_b32_e64 v0, v65, v20, s[0:1]
	v_cndmask_b32_e64 v24, v70, v78, s[56:57]
	v_cndmask_b32_e64 v23, v71, v78, s[52:53]
	s_mov_b64 s[88:89], s[98:99]
	s_waitcnt lgkmcnt(0)
	v_cndmask_b32_e64 v47, v47, v49, s[4:5]
	v_cndmask_b32_e64 v46, v46, v49, s[98:99]
	;; [unrolled: 1-line block ×21, first 2 shown]
	s_mov_b64 s[98:99], s[86:87]
	s_mov_b64 s[86:87], s[84:85]
	;; [unrolled: 1-line block ×10, first 2 shown]
	v_cndmask_b32_e64 v16, v16, v71, s[48:49]
	s_mov_b64 s[54:55], s[52:53]
	v_cndmask_b32_e64 v16, v16, v70, s[54:55]
	v_cndmask_b32_e64 v16, v16, v65, s[56:57]
	;; [unrolled: 1-line block ×8, first 2 shown]
	v_cndmask_b32_e32 v15, v81, v20, vcc
	v_cndmask_b32_e32 v31, v18, v78, vcc
	v_writelane_b32 v126, vcc_lo, 63
	v_cndmask_b32_e64 v29, v22, v78, s[76:77]
	v_cndmask_b32_e64 v22, v72, v78, s[48:49]
	v_cndmask_b32_e32 v16, v16, v47, vcc
	ds_bpermute_b32 v72, v108, v16
	s_mov_b64 s[4:5], s[2:3]
	s_mov_b64 s[2:3], s[12:13]
	v_cndmask_b32_e64 v16, v69, v78, s[0:1]
	s_mov_b64 s[90:91], s[0:1]
	s_waitcnt lgkmcnt(0)
	v_cndmask_b32_e64 v42, v40, v72, s[64:65]
	v_cndmask_b32_e64 v40, v65, v72, s[56:57]
	;; [unrolled: 1-line block ×7, first 2 shown]
	s_mov_b64 s[0:1], s[14:15]
	v_cndmask_b32_e64 v65, v65, v57, s[0:1]
	s_mov_b64 s[10:11], s[18:19]
	v_cndmask_b32_e64 v65, v65, v56, s[10:11]
	;; [unrolled: 2-line block ×6, first 2 shown]
	s_mov_b64 s[22:23], s[30:31]
	v_readlane_b32 s24, v126, 55
	scratch_store_dword off, v13, off offset:12 ; 4-byte Folded Spill
	v_cndmask_b32_e64 v14, v82, v20, s[80:81]
	v_cndmask_b32_e64 v13, v83, v20, s[76:77]
	;; [unrolled: 1-line block ×19, first 2 shown]
	s_mov_b64 s[52:53], s[44:45]
	v_cndmask_b32_e64 v36, v36, v72, s[42:43]
	s_mov_b64 s[44:45], s[42:43]
	v_cndmask_b32_e64 v35, v35, v72, s[40:41]
	;; [unrolled: 2-line block ×5, first 2 shown]
	v_readlane_b32 s25, v126, 56
	v_readlane_b32 s36, v126, 45
	;; [unrolled: 1-line block ×3, first 2 shown]
	v_cndmask_b32_e64 v65, v65, v50, s[24:25]
	s_mov_b64 s[26:27], s[22:23]
	v_cndmask_b32_e64 v65, v65, v32, s[36:37]
	v_cndmask_b32_e64 v65, v65, v66, s[94:95]
	ds_bpermute_b32 v65, v108, v65
	v_cndmask_b32_e64 v25, v25, v78, s[60:61]
	v_cndmask_b32_e64 v44, v38, v72, s[72:73]
	;; [unrolled: 1-line block ×4, first 2 shown]
	s_waitcnt lgkmcnt(0)
	v_cndmask_b32_e64 v62, v62, v65, s[16:17]
	v_cndmask_b32_e64 v63, v63, v65, s[8:9]
	;; [unrolled: 1-line block ×28, first 2 shown]
	s_mov_b64 s[22:23], s[18:19]
	s_mov_b64 s[18:19], s[12:13]
	;; [unrolled: 1-line block ×4, first 2 shown]
	v_cndmask_b32_e64 v65, v65, v50, s[98:99]
	v_readlane_b32 s8, v126, 49
	v_cndmask_b32_e64 v65, v65, v32, s[88:89]
	v_readlane_b32 s9, v126, 50
	v_cndmask_b32_e64 v38, v71, v72, s[48:49]
	v_writelane_b32 v127, vcc_hi, 0
	v_cndmask_b32_e64 v65, v65, v66, s[8:9]
	ds_bpermute_b32 v65, v108, v65
	v_cndmask_b32_e32 v47, v47, v72, vcc
	v_cndmask_b32_e64 v46, v46, v72, s[80:81]
	s_mov_b64 vcc, s[80:81]
	v_cndmask_b32_e64 v45, v45, v72, s[76:77]
	s_waitcnt lgkmcnt(0)
	v_cndmask_b32_e64 v66, v66, v65, s[8:9]
	v_cndmask_b32_e64 v69, v32, v65, s[88:89]
	;; [unrolled: 1-line block ×22, first 2 shown]
	s_mov_b64 s[80:81], s[76:77]
	s_mov_b64 s[76:77], s[72:73]
	;; [unrolled: 1-line block ×4, first 2 shown]
	v_cndmask_b32_e64 v41, v41, v72, s[60:61]
	s_mov_b64 s[64:65], s[60:61]
	s_mov_b64 s[60:61], s[56:57]
	v_cndmask_b32_e64 v32, v32, v70, s[54:55]
	v_cndmask_b32_e64 v32, v32, v55, s[60:61]
	;; [unrolled: 1-line block ×7, first 2 shown]
	v_readlane_b32 s56, v126, 63
	v_cndmask_b32_e32 v32, v32, v69, vcc
	v_readlane_b32 s57, v127, 0
	s_mov_b64 s[30:31], s[24:25]
	s_mov_b64 s[24:25], s[20:21]
	v_cndmask_b32_e64 v32, v32, v66, s[56:57]
	ds_bpermute_b32 v82, v108, v32
	s_mov_b64 s[20:21], s[14:15]
	s_mov_b64 s[14:15], s[10:11]
	;; [unrolled: 1-line block ×4, first 2 shown]
	s_waitcnt lgkmcnt(0)
	v_cndmask_b32_e64 v63, v66, v82, s[56:57]
	v_cndmask_b32_e64 v66, v79, v48, s[16:17]
	;; [unrolled: 1-line block ×5, first 2 shown]
	s_mov_b64 s[6:7], s[90:91]
	s_mov_b64 s[90:91], s[56:57]
	v_cndmask_b32_e64 v66, v66, v121, s[96:97]
	s_mov_b64 s[56:57], s[12:13]
	v_cndmask_b32_e64 v66, v66, v120, s[56:57]
	;; [unrolled: 2-line block ×10, first 2 shown]
	v_cndmask_b32_e64 v66, v66, v96, s[94:95]
	ds_bpermute_b32 v66, v108, v66
	v_writelane_b32 v127, s6, 1
	v_cndmask_b32_e32 v62, v69, v82, vcc
	v_cndmask_b32_e64 v61, v50, v82, s[80:81]
	v_writelane_b32 v127, s7, 2
	v_cndmask_b32_e64 v32, v49, v72, s[6:7]
	v_cndmask_b32_e64 v60, v51, v82, s[76:77]
	;; [unrolled: 1-line block ×13, first 2 shown]
	s_waitcnt lgkmcnt(0)
	v_cndmask_b32_e64 v69, v96, v66, s[94:95]
	v_cndmask_b32_e64 v70, v80, v66, s[30:31]
	v_cndmask_b32_e64 v71, v110, v66, s[26:27]
	v_cndmask_b32_e64 v67, v67, v66, s[24:25]
	v_cndmask_b32_e64 v68, v68, v66, s[22:23]
	v_cndmask_b32_e64 v72, v116, v66, s[20:21]
	v_cndmask_b32_e64 v73, v117, v66, s[18:19]
	v_cndmask_b32_e64 v74, v100, v66, s[14:15]
	v_cndmask_b32_e64 v75, v118, v66, s[12:13]
	v_cndmask_b32_e64 v78, v120, v66, s[56:57]
	v_cndmask_b32_e64 v80, v121, v66, s[96:97]
	v_cndmask_b32_e64 v81, v122, v66, s[34:35]
	v_cndmask_b32_e64 v76, v76, v66, s[28:29]
	v_cndmask_b32_e64 v77, v77, v66, s[10:11]
	v_cndmask_b32_e64 v48, v48, v66, s[16:17]
	v_cndmask_b32_e64 v66, v79, v66, s[0:1]
	v_writelane_b32 v127, s4, 3
	s_mov_b64 s[0:1], s[88:89]
	scratch_load_dwordx2 v[118:119], off, off ; 8-byte Folded Reload
	v_writelane_b32 v127, s5, 4
	v_cndmask_b32_e64 v79, v66, v48, s[4:5]
	v_writelane_b32 v127, s46, 5
	v_readlane_b32 s36, v126, 23
	v_readlane_b32 s37, v126, 24
	v_cndmask_b32_e64 v79, v79, v77, s[46:47]
	v_cndmask_b32_e64 v79, v79, v76, s[50:51]
	;; [unrolled: 1-line block ×14, first 2 shown]
	ds_bpermute_b32 v79, v108, v79
	v_writelane_b32 v127, s47, 6
	s_waitcnt lgkmcnt(0)
	v_cndmask_b32_e64 v86, v80, v79, s[62:63]
	v_cndmask_b32_e64 v90, v48, v79, s[4:5]
	;; [unrolled: 1-line block ×10, first 2 shown]
	s_mov_b64 s[46:47], s[52:53]
	v_cndmask_b32_e64 v85, v78, v79, s[66:67]
	v_cndmask_b32_e64 v48, v48, v86, s[46:47]
	;; [unrolled: 1-line block ×19, first 2 shown]
	v_cndmask_b32_e32 v48, v48, v70, vcc
	v_cndmask_b32_e64 v48, v48, v69, s[90:91]
	ds_bpermute_b32 v81, v108, v48
	v_cndmask_b32_e64 v48, v65, v82, s[6:7]
	v_cndmask_b32_e64 v82, v115, v109, s[16:17]
	;; [unrolled: 1-line block ×4, first 2 shown]
	s_waitcnt lgkmcnt(0)
	v_cndmask_b32_e64 v77, v71, v81, s[80:81]
	v_cndmask_b32_e64 v71, v84, v81, s[54:55]
	scratch_load_dword v84, off, off offset:12 ; 4-byte Folded Reload
	v_cndmask_b32_e64 v74, v72, v81, s[68:69]
	v_cndmask_b32_e64 v72, v83, v81, s[60:61]
	scratch_load_dword v83, off, off offset:8 ; 4-byte Folded Reload
	scratch_load_dword v116, off, off offset:40 ; 4-byte Folded Reload
	;; [unrolled: 1-line block ×4, first 2 shown]
	v_cndmask_b32_e64 v82, v82, v95, s[34:35]
	v_cndmask_b32_e64 v82, v82, v107, s[96:97]
	;; [unrolled: 1-line block ×11, first 2 shown]
	v_cndmask_b32_e32 v78, v70, v81, vcc
	v_cndmask_b32_e64 v76, v67, v81, s[76:77]
	v_cndmask_b32_e64 v75, v68, v81, s[72:73]
	;; [unrolled: 1-line block ×8, first 2 shown]
	s_mov_b64 s[52:53], s[60:61]
	s_mov_b64 s[60:61], s[38:39]
	v_readlane_b32 s39, v126, 44
	v_cndmask_b32_e64 v73, v73, v81, s[64:65]
	s_mov_b32 s6, 0
	s_mov_b32 s7, 0
	v_readlane_b32 s38, v126, 25
	s_waitcnt vmcnt(4)
	v_cndmask_b32_e64 v82, v82, v84, s[30:31]
	s_waitcnt vmcnt(3)
	v_cndmask_b32_e64 v82, v82, v83, s[94:95]
	ds_bpermute_b32 v82, v108, v82
	s_waitcnt lgkmcnt(0)
	v_cndmask_b32_e64 v94, v95, v82, s[34:35]
	v_cndmask_b32_e64 v95, v98, v82, s[10:11]
	v_readlane_b32 s10, v126, 59
	v_cndmask_b32_e64 v91, v105, v82, s[12:13]
	v_readlane_b32 s11, v126, 60
	v_readlane_b32 s12, v127, 3
	v_cndmask_b32_e64 v83, v83, v82, s[94:95]
	v_cndmask_b32_e64 v84, v84, v82, s[30:31]
	;; [unrolled: 1-line block ×13, first 2 shown]
	v_readlane_b32 s13, v127, 4
	v_readlane_b32 s10, v127, 5
	;; [unrolled: 1-line block ×3, first 2 shown]
	v_cndmask_b32_e64 v97, v82, v96, s[12:13]
	v_readlane_b32 s16, v126, 2
	v_cndmask_b32_e64 v97, v97, v95, s[10:11]
	v_cndmask_b32_e64 v97, v97, v64, s[50:51]
	;; [unrolled: 1-line block ×14, first 2 shown]
	ds_bpermute_b32 v97, v108, v97
	v_readlane_b32 s20, v126, 6
	v_readlane_b32 s21, v126, 7
	;; [unrolled: 1-line block ×4, first 2 shown]
	s_waitcnt lgkmcnt(0)
	v_cndmask_b32_e64 v83, v83, v97, s[8:9]
	v_cndmask_b32_e64 v84, v84, v97, s[0:1]
	;; [unrolled: 1-line block ×29, first 2 shown]
	v_cndmask_b32_e32 v64, v64, v84, vcc
	v_cndmask_b32_e64 v64, v64, v83, s[90:91]
	ds_bpermute_b32 v108, v108, v64
	v_readlane_b32 s8, v127, 1
	v_readlane_b32 s9, v127, 2
	;; [unrolled: 1-line block ×4, first 2 shown]
	s_waitcnt lgkmcnt(0)
	v_cndmask_b32_e64 v91, v87, v108, s[72:73]
	v_cndmask_b32_e64 v90, v88, v108, s[68:69]
	v_cndmask_b32_e64 v88, v98, v108, s[52:53]
	v_cndmask_b32_e64 v87, v99, v108, s[54:55]
	v_readlane_b32 s52, v126, 26
	v_readlane_b32 s53, v126, 27
	s_mul_i32 s0, s39, s53
	s_ashr_i32 s1, s0, 31
	v_cndmask_b32_e32 v94, v84, v108, vcc
	v_cndmask_b32_e64 v84, v105, v108, s[44:45]
	s_lshl_b64 s[0:1], s[0:1], 1
	v_readlane_b32 s44, v126, 38
	s_add_u32 s2, s20, s0
	v_readlane_b32 s45, v126, 39
	s_addc_u32 s3, s21, s1
	s_ashr_i32 s45, s44, 31
	s_lshl_b64 s[0:1], s[44:45], 1
	s_add_u32 s0, s2, s0
	v_cndmask_b32_e64 v95, v83, v108, s[90:91]
	v_cndmask_b32_e64 v93, v85, v108, s[80:81]
	;; [unrolled: 1-line block ×7, first 2 shown]
	s_addc_u32 s1, s3, s1
	v_readlane_b32 s41, v126, 42
	v_readlane_b32 s42, v126, 40
	;; [unrolled: 1-line block ×4, first 2 shown]
	v_cndmask_b32_e64 v64, v80, v81, s[8:9]
	v_cndmask_b32_e64 v89, v89, v108, s[64:65]
	v_readlane_b32 s54, v126, 28
	v_readlane_b32 s55, v126, 29
	;; [unrolled: 1-line block ×9, first 2 shown]
	v_subrev_u32_e32 v101, s41, v101
	v_cndmask_b32_e64 v81, v96, v108, s[60:61]
	v_cndmask_b32_e64 v80, v97, v108, s[8:9]
	v_lshl_add_u64 v[102:103], s[0:1], 0, v[118:119]
	s_mov_b64 s[0:1], 0
	v_readlane_b32 s11, v126, 0
	v_readlane_b32 s12, v126, 1
	;; [unrolled: 1-line block ×17, first 2 shown]
                                        ; implicit-def: $sgpr2_sgpr3
	s_branch .LBB313_37
.LBB313_36:                             ;   in Loop: Header=BB313_37 Depth=2
	s_or_b64 exec, exec, s[4:5]
	s_and_b64 s[4:5], exec, s[2:3]
	s_or_b64 s[0:1], s[4:5], s[0:1]
	s_andn2_b64 exec, exec, s[0:1]
	s_cbranch_execz .LBB313_39
.LBB313_37:                             ;   Parent Loop BB313_7 Depth=1
                                        ; =>  This Inner Loop Header: Depth=2
	s_and_b32 s4, s7, 2
	s_and_b32 s5, s6, 24
	s_or_b32 s4, s5, s4
	s_waitcnt vmcnt(0)
	v_or_b32_e32 v96, s4, v100
	v_add_u32_e32 v97, s92, v96
	v_cmp_gt_u32_e32 vcc, 32, v97
	s_or_b64 s[2:3], s[2:3], exec
	s_and_saveexec_b64 s[4:5], vcc
	s_cbranch_execz .LBB313_36
; %bb.38:                               ;   in Loop: Header=BB313_37 Depth=2
	s_add_i32 s10, s7, 1
	s_set_gpr_idx_on s7, gpr_idx(SRC0)
	v_mov_b32_e32 v97, v0
	s_set_gpr_idx_off
	v_cvt_f16_f32_e32 v98, v97
	s_set_gpr_idx_on s10, gpr_idx(SRC0)
	v_mov_b32_e32 v97, v0
	s_set_gpr_idx_off
	v_cvt_f16_f32_sdwa v99, v97 dst_sel:WORD_1 dst_unused:UNUSED_PAD src0_sel:DWORD
	v_mul_lo_u32 v96, v96, s53
	v_ashrrev_i32_e32 v97, 31, v96
	v_lshl_add_u64 v[96:97], v[96:97], 1, v[102:103]
	v_or_b32_e32 v98, v99, v98
	;;#ASMSTART
	global_atomic_pk_add_f16 v[96:97], v98, off
	
	;;#ASMEND
	s_set_gpr_idx_on s7, gpr_idx(SRC0)
	v_mov_b32_e32 v98, v16
	s_set_gpr_idx_off
	v_cvt_f16_f32_e32 v105, v98
	s_set_gpr_idx_on s10, gpr_idx(SRC0)
	v_mov_b32_e32 v98, v16
	s_set_gpr_idx_off
	v_cvt_f16_f32_sdwa v106, v98 dst_sel:WORD_1 dst_unused:UNUSED_PAD src0_sel:DWORD
	v_lshl_add_u64 v[98:99], v[96:97], 0, 64
	s_mov_b64 s[8:9], 0x80
	s_add_i32 s6, s6, 4
	v_or_b32_e32 v105, v106, v105
	;;#ASMSTART
	global_atomic_pk_add_f16 v[98:99], v105, off
	
	;;#ASMEND
	s_set_gpr_idx_on s7, gpr_idx(SRC0)
	v_mov_b32_e32 v98, v32
	s_set_gpr_idx_off
	v_cvt_f16_f32_e32 v105, v98
	s_set_gpr_idx_on s10, gpr_idx(SRC0)
	v_mov_b32_e32 v98, v32
	s_set_gpr_idx_off
	v_cvt_f16_f32_sdwa v106, v98 dst_sel:WORD_1 dst_unused:UNUSED_PAD src0_sel:DWORD
	v_lshl_add_u64 v[98:99], v[96:97], 0, s[8:9]
	s_mov_b64 s[8:9], 0xc0
	v_or_b32_e32 v105, v106, v105
	;;#ASMSTART
	global_atomic_pk_add_f16 v[98:99], v105, off
	
	;;#ASMEND
	s_set_gpr_idx_on s7, gpr_idx(SRC0)
	v_mov_b32_e32 v98, v48
	s_set_gpr_idx_off
	v_cvt_f16_f32_e32 v105, v98
	s_set_gpr_idx_on s10, gpr_idx(SRC0)
	v_mov_b32_e32 v98, v48
	s_set_gpr_idx_off
	v_cvt_f16_f32_sdwa v106, v98 dst_sel:WORD_1 dst_unused:UNUSED_PAD src0_sel:DWORD
	v_lshl_add_u64 v[98:99], v[96:97], 0, s[8:9]
	s_mov_b64 s[8:9], 0x100
	;; [unrolled: 15-line block ×3, first 2 shown]
	v_lshl_add_u64 v[96:97], v[96:97], 0, s[8:9]
	v_or_b32_e32 v105, v106, v105
	;;#ASMSTART
	global_atomic_pk_add_f16 v[98:99], v105, off
	
	;;#ASMEND
	s_set_gpr_idx_on s7, gpr_idx(SRC0)
	v_mov_b32_e32 v98, v80
	s_set_gpr_idx_off
	v_cvt_f16_f32_e32 v98, v98
	s_set_gpr_idx_on s10, gpr_idx(SRC0)
	v_mov_b32_e32 v99, v80
	s_set_gpr_idx_off
	s_add_i32 s7, s7, 2
	v_cvt_f16_f32_sdwa v99, v99 dst_sel:WORD_1 dst_unused:UNUSED_PAD src0_sel:DWORD
	s_cmp_eq_u32 s7, 16
	s_cselect_b64 s[8:9], -1, 0
	s_andn2_b64 s[2:3], s[2:3], exec
	s_and_b64 s[8:9], s[8:9], exec
	s_or_b64 s[2:3], s[2:3], s[8:9]
	v_or_b32_e32 v98, v99, v98
	;;#ASMSTART
	global_atomic_pk_add_f16 v[96:97], v98, off
	
	;;#ASMEND
	s_branch .LBB313_36
.LBB313_39:                             ;   in Loop: Header=BB313_7 Depth=1
	s_or_b64 exec, exec, s[0:1]
	scratch_load_dword v14, off, off offset:32 ; 4-byte Folded Reload
	scratch_load_dword v120, off, off offset:36 ; 4-byte Folded Reload
	scratch_load_dwordx2 v[16:17], off, off offset:80 ; 8-byte Folded Reload
	scratch_load_dword v15, off, off offset:96 ; 4-byte Folded Reload
.LBB313_40:                             ;   in Loop: Header=BB313_7 Depth=1
	s_or_b64 exec, exec, s[48:49]
.LBB313_41:                             ;   in Loop: Header=BB313_7 Depth=1
	s_andn2_saveexec_b64 s[0:1], s[46:47]
	s_cbranch_execz .LBB313_50
; %bb.42:                               ;   in Loop: Header=BB313_7 Depth=1
	s_mul_i32 s10, s41, 6
	v_cmp_gt_i32_e32 vcc, s10, v101
	s_and_saveexec_b64 s[2:3], vcc
	s_cbranch_execz .LBB313_49
; %bb.43:                               ;   in Loop: Header=BB313_7 Depth=1
	scratch_load_dwordx2 v[0:1], off, off offset:88 ; 8-byte Folded Reload
	s_mul_i32 s4, s44, s55
	s_ashr_i32 s5, s4, 31
	s_add_u32 s4, s18, s4
	s_addc_u32 s5, s19, s5
	s_ashr_i32 s6, s40, 31
	s_add_u32 s4, s4, s40
	s_addc_u32 s5, s5, s6
	s_waitcnt vmcnt(0)
	v_lshl_add_u64 v[0:1], s[4:5], 0, v[0:1]
	v_lshl_add_u64 v[8:9], v[0:1], 0, v[16:17]
	s_mov_b64 s[4:5], 0
	s_branch .LBB313_45
.LBB313_44:                             ;   in Loop: Header=BB313_45 Depth=2
	s_or_b64 exec, exec, s[6:7]
	v_lshl_or_b32 v12, v10, 11, v15
	;;#ASMSTART
	s_waitcnt vmcnt(1)
	;;#ASMEND
	ds_write2_b32 v12, v4, v5 offset1:32
	ds_write2_b32 v12, v6, v7 offset0:64 offset1:96
	v_add_u32_e32 v4, 0x400, v12
	v_add_u32_e32 v101, s58, v101
	;;#ASMSTART
	s_waitcnt vmcnt(0)
	;;#ASMEND
	ds_write2_b32 v4, v0, v1 offset1:32
	ds_write2_b32 v4, v2, v3 offset0:64 offset1:96
	v_add_u32_e32 v0, 1, v111
	v_add_u32_e32 v104, s58, v10
	v_cmp_le_i32_e32 vcc, s10, v101
	ds_write_b32 v11, v0 offset:36
	v_add_u32_e32 v0, 2, v111
	s_or_b64 s[4:5], vcc, s[4:5]
	v_cmp_lt_i32_e32 vcc, 17, v104
	s_nop 1
	v_cndmask_b32_e32 v111, v111, v0, vcc
	s_andn2_b64 exec, exec, s[4:5]
	s_cbranch_execz .LBB313_48
.LBB313_45:                             ;   Parent Loop BB313_7 Depth=1
                                        ; =>  This Loop Header: Depth=2
                                        ;       Child Loop BB313_47 Depth 3
	v_not_b32_e32 v0, 17
	v_cmp_gt_i32_e32 vcc, 18, v104
	s_mov_b32 s6, 0x2aaaaaab
	s_nop 0
	v_cndmask_b32_e64 v0, v0, 0, vcc
	v_add_u32_e32 v10, v0, v104
	v_mul_hi_i32 v0, v101, s6
	v_lshrrev_b32_e32 v1, 31, v0
	v_add_u32_e32 v0, v0, v1
	v_mul_lo_u32 v1, v0, 6
	v_sub_u32_e32 v2, v101, v1
	v_lshlrev_b32_e32 v0, 6, v0
	v_ashrrev_i32_e32 v1, 31, v0
	v_mul_lo_u32 v2, s31, v2
	v_lshl_add_u64 v[0:1], v[8:9], 0, v[0:1]
	v_ashrrev_i32_e32 v3, 31, v2
	v_lshl_add_u64 v[0:1], v[0:1], 0, v[2:3]
	v_lshlrev_b32_e32 v11, 2, v10
	;;#ASMSTART
	global_load_dwordx4 v[4:7], v[0:1], off offset:0   sc0 sc1 nt  
	global_load_dwordx4 v[0:3], v[0:1], off offset:32  sc0 sc1 nt  
	
	;;#ASMEND
	ds_read_b32 v12, v11 offset:55332
	v_add_u32_e32 v11, 0xd800, v11
	s_waitcnt lgkmcnt(0)
	v_cmp_ne_u32_e32 vcc, v12, v111
	s_and_saveexec_b64 s[6:7], vcc
	s_cbranch_execz .LBB313_44
; %bb.46:                               ;   in Loop: Header=BB313_45 Depth=2
	s_mov_b64 s[8:9], 0
.LBB313_47:                             ;   Parent Loop BB313_7 Depth=1
                                        ;     Parent Loop BB313_45 Depth=2
                                        ; =>    This Inner Loop Header: Depth=3
	;;#ASMSTART
	s_sleep 0
	;;#ASMEND
	ds_read_b32 v12, v11 offset:36
	s_waitcnt lgkmcnt(0)
	v_cmp_eq_u32_e32 vcc, v12, v111
	s_or_b64 s[8:9], vcc, s[8:9]
	s_andn2_b64 exec, exec, s[8:9]
	s_cbranch_execnz .LBB313_47
	s_branch .LBB313_44
.LBB313_48:                             ;   in Loop: Header=BB313_7 Depth=1
	s_or_b64 exec, exec, s[4:5]
.LBB313_49:                             ;   in Loop: Header=BB313_7 Depth=1
	s_or_b64 exec, exec, s[2:3]
	v_subrev_u32_e32 v101, s10, v101
.LBB313_50:                             ;   in Loop: Header=BB313_7 Depth=1
	s_or_b64 exec, exec, s[0:1]
.LBB313_51:                             ;   in Loop: Header=BB313_7 Depth=1
	s_andn2_saveexec_b64 s[0:1], s[42:43]
	s_cbranch_execz .LBB313_6
; %bb.52:                               ;   in Loop: Header=BB313_7 Depth=1
	s_mul_i32 s10, s41, 3
	v_cmp_gt_i32_e32 vcc, s10, v101
	s_and_saveexec_b64 s[2:3], vcc
	s_cbranch_execz .LBB313_5
; %bb.53:                               ;   in Loop: Header=BB313_7 Depth=1
	s_mul_i32 s4, s39, s54
	s_ashr_i32 s5, s4, 31
	s_add_u32 s4, s16, s4
	s_addc_u32 s5, s17, s5
	s_ashr_i32 s6, s40, 31
	s_add_u32 s4, s4, s40
	s_addc_u32 s5, s5, s6
	s_waitcnt vmcnt(2)
	v_add_u32_e32 v2, s92, v120
	s_movk_i32 s6, 0x60
	v_mul_lo_u32 v0, s54, v120
	v_cmp_gt_u32_e32 vcc, s6, v2
	v_sub_u32_e32 v10, 0x5f, v2
	s_nop 0
	v_cndmask_b32_e32 v0, 0, v0, vcc
	v_ashrrev_i32_e32 v1, 31, v0
	v_lshl_add_u64 v[0:1], s[4:5], 0, v[0:1]
	s_waitcnt vmcnt(1)
	v_lshl_add_u64 v[8:9], v[0:1], 0, v[16:17]
	s_mov_b64 s[4:5], 0
	s_branch .LBB313_55
.LBB313_54:                             ;   in Loop: Header=BB313_55 Depth=2
	s_or_b64 exec, exec, s[6:7]
	v_lshl_add_u32 v13, v11, 11, v124
	;;#ASMSTART
	s_waitcnt vmcnt(1)
	;;#ASMEND
	ds_write2_b32 v13, v4, v5 offset1:32
	ds_write2_b32 v13, v6, v7 offset0:64 offset1:96
	v_add_u32_e32 v4, 0x400, v13
	v_add_u32_e32 v101, s57, v101
	;;#ASMSTART
	s_waitcnt vmcnt(0)
	;;#ASMEND
	ds_write2_b32 v4, v0, v1 offset1:32
	ds_write2_b32 v4, v2, v3 offset0:64 offset1:96
	v_add_u32_e32 v0, 1, v111
	v_add_u32_e32 v104, s57, v11
	v_cmp_le_i32_e32 vcc, s10, v101
	ds_write_b32 v12, v0
	v_add_u32_e32 v0, 2, v111
	s_or_b64 s[4:5], vcc, s[4:5]
	v_cmp_lt_i32_e32 vcc, 8, v104
	s_nop 1
	v_cndmask_b32_e32 v111, v111, v0, vcc
	s_andn2_b64 exec, exec, s[4:5]
	s_cbranch_execz .LBB313_4
.LBB313_55:                             ;   Parent Loop BB313_7 Depth=1
                                        ; =>  This Loop Header: Depth=2
                                        ;       Child Loop BB313_57 Depth 3
	v_cmp_gt_i32_e32 vcc, 9, v104
	s_mov_b32 s6, 0x55555556
	s_nop 0
	v_cndmask_b32_e64 v0, -9, 0, vcc
	v_add_u32_e32 v11, v0, v104
	v_mul_hi_i32 v0, v101, s6
	v_lshrrev_b32_e32 v1, 31, v0
	v_add_u32_e32 v0, v0, v1
	v_lshl_add_u32 v1, v0, 1, v0
	v_sub_u32_e32 v1, v101, v1
	v_lshlrev_b32_e32 v1, 5, v1
	v_cmp_le_i32_e32 vcc, v1, v10
	v_lshlrev_b32_e32 v0, 6, v0
	v_lshlrev_b32_e32 v12, 2, v11
	v_cndmask_b32_e32 v2, 0, v1, vcc
	v_ashrrev_i32_e32 v1, 31, v0
	v_mul_lo_u32 v2, v2, s54
	v_lshl_add_u64 v[0:1], v[8:9], 0, v[0:1]
	v_ashrrev_i32_e32 v3, 31, v2
	v_lshl_add_u64 v[0:1], v[0:1], 0, v[2:3]
	;;#ASMSTART
	global_load_dwordx4 v[4:7], v[0:1], off offset:0   
	global_load_dwordx4 v[0:3], v[0:1], off offset:32  
	
	;;#ASMEND
	ds_read_b32 v13, v12 offset:55296
	v_add_u32_e32 v12, 0xd800, v12
	s_waitcnt lgkmcnt(0)
	v_cmp_ne_u32_e32 vcc, v13, v111
	s_and_saveexec_b64 s[6:7], vcc
	s_cbranch_execz .LBB313_54
; %bb.56:                               ;   in Loop: Header=BB313_55 Depth=2
	s_mov_b64 s[8:9], 0
.LBB313_57:                             ;   Parent Loop BB313_7 Depth=1
                                        ;     Parent Loop BB313_55 Depth=2
                                        ; =>    This Inner Loop Header: Depth=3
	;;#ASMSTART
	s_sleep 0
	;;#ASMEND
	ds_read_b32 v13, v12
	s_waitcnt lgkmcnt(0)
	v_cmp_eq_u32_e32 vcc, v13, v111
	s_or_b64 s[8:9], vcc, s[8:9]
	s_andn2_b64 exec, exec, s[8:9]
	s_cbranch_execnz .LBB313_57
	s_branch .LBB313_54
.LBB313_58:
	s_endpgm
	.section	.rodata,"a",@progbits
	.p2align	6, 0x0
	.amdhsa_kernel _Z19_skinny_gemm_kernelILi3ELi6ELi3ELi32ELi4EEvPKhS1_P6__halfPKfiiiiiiii
		.amdhsa_group_segment_fixed_size 55404
		.amdhsa_private_segment_fixed_size 112
		.amdhsa_kernarg_size 64
		.amdhsa_user_sgpr_count 2
		.amdhsa_user_sgpr_dispatch_ptr 0
		.amdhsa_user_sgpr_queue_ptr 0
		.amdhsa_user_sgpr_kernarg_segment_ptr 1
		.amdhsa_user_sgpr_dispatch_id 0
		.amdhsa_user_sgpr_kernarg_preload_length 0
		.amdhsa_user_sgpr_kernarg_preload_offset 0
		.amdhsa_user_sgpr_private_segment_size 0
		.amdhsa_uses_dynamic_stack 0
		.amdhsa_enable_private_segment 1
		.amdhsa_system_sgpr_workgroup_id_x 1
		.amdhsa_system_sgpr_workgroup_id_y 0
		.amdhsa_system_sgpr_workgroup_id_z 0
		.amdhsa_system_sgpr_workgroup_info 0
		.amdhsa_system_vgpr_workitem_id 0
		.amdhsa_next_free_vgpr 128
		.amdhsa_next_free_sgpr 100
		.amdhsa_accum_offset 128
		.amdhsa_reserve_vcc 1
		.amdhsa_float_round_mode_32 0
		.amdhsa_float_round_mode_16_64 0
		.amdhsa_float_denorm_mode_32 3
		.amdhsa_float_denorm_mode_16_64 3
		.amdhsa_dx10_clamp 1
		.amdhsa_ieee_mode 1
		.amdhsa_fp16_overflow 0
		.amdhsa_tg_split 0
		.amdhsa_exception_fp_ieee_invalid_op 0
		.amdhsa_exception_fp_denorm_src 0
		.amdhsa_exception_fp_ieee_div_zero 0
		.amdhsa_exception_fp_ieee_overflow 0
		.amdhsa_exception_fp_ieee_underflow 0
		.amdhsa_exception_fp_ieee_inexact 0
		.amdhsa_exception_int_div_zero 0
	.end_amdhsa_kernel
	.section	.text._Z19_skinny_gemm_kernelILi3ELi6ELi3ELi32ELi4EEvPKhS1_P6__halfPKfiiiiiiii,"axG",@progbits,_Z19_skinny_gemm_kernelILi3ELi6ELi3ELi32ELi4EEvPKhS1_P6__halfPKfiiiiiiii,comdat
.Lfunc_end313:
	.size	_Z19_skinny_gemm_kernelILi3ELi6ELi3ELi32ELi4EEvPKhS1_P6__halfPKfiiiiiiii, .Lfunc_end313-_Z19_skinny_gemm_kernelILi3ELi6ELi3ELi32ELi4EEvPKhS1_P6__halfPKfiiiiiiii
                                        ; -- End function
	.set _Z19_skinny_gemm_kernelILi3ELi6ELi3ELi32ELi4EEvPKhS1_P6__halfPKfiiiiiiii.num_vgpr, 128
	.set _Z19_skinny_gemm_kernelILi3ELi6ELi3ELi32ELi4EEvPKhS1_P6__halfPKfiiiiiiii.num_agpr, 0
	.set _Z19_skinny_gemm_kernelILi3ELi6ELi3ELi32ELi4EEvPKhS1_P6__halfPKfiiiiiiii.numbered_sgpr, 100
	.set _Z19_skinny_gemm_kernelILi3ELi6ELi3ELi32ELi4EEvPKhS1_P6__halfPKfiiiiiiii.num_named_barrier, 0
	.set _Z19_skinny_gemm_kernelILi3ELi6ELi3ELi32ELi4EEvPKhS1_P6__halfPKfiiiiiiii.private_seg_size, 112
	.set _Z19_skinny_gemm_kernelILi3ELi6ELi3ELi32ELi4EEvPKhS1_P6__halfPKfiiiiiiii.uses_vcc, 1
	.set _Z19_skinny_gemm_kernelILi3ELi6ELi3ELi32ELi4EEvPKhS1_P6__halfPKfiiiiiiii.uses_flat_scratch, 0
	.set _Z19_skinny_gemm_kernelILi3ELi6ELi3ELi32ELi4EEvPKhS1_P6__halfPKfiiiiiiii.has_dyn_sized_stack, 0
	.set _Z19_skinny_gemm_kernelILi3ELi6ELi3ELi32ELi4EEvPKhS1_P6__halfPKfiiiiiiii.has_recursion, 0
	.set _Z19_skinny_gemm_kernelILi3ELi6ELi3ELi32ELi4EEvPKhS1_P6__halfPKfiiiiiiii.has_indirect_call, 0
	.section	.AMDGPU.csdata,"",@progbits
; Kernel info:
; codeLenInByte = 20744
; TotalNumSgprs: 106
; NumVgprs: 128
; NumAgprs: 0
; TotalNumVgprs: 128
; ScratchSize: 112
; MemoryBound: 0
; FloatMode: 240
; IeeeMode: 1
; LDSByteSize: 55404 bytes/workgroup (compile time only)
; SGPRBlocks: 13
; VGPRBlocks: 15
; NumSGPRsForWavesPerEU: 106
; NumVGPRsForWavesPerEU: 128
; AccumOffset: 128
; Occupancy: 4
; WaveLimiterHint : 0
; COMPUTE_PGM_RSRC2:SCRATCH_EN: 1
; COMPUTE_PGM_RSRC2:USER_SGPR: 2
; COMPUTE_PGM_RSRC2:TRAP_HANDLER: 0
; COMPUTE_PGM_RSRC2:TGID_X_EN: 1
; COMPUTE_PGM_RSRC2:TGID_Y_EN: 0
; COMPUTE_PGM_RSRC2:TGID_Z_EN: 0
; COMPUTE_PGM_RSRC2:TIDIG_COMP_CNT: 0
; COMPUTE_PGM_RSRC3_GFX90A:ACCUM_OFFSET: 31
; COMPUTE_PGM_RSRC3_GFX90A:TG_SPLIT: 0
	.section	.text._Z19_skinny_gemm_kernelILi4ELi1ELi1ELi16ELi4EEvPKhS1_P6__halfPKfiiiiiiii,"axG",@progbits,_Z19_skinny_gemm_kernelILi4ELi1ELi1ELi16ELi4EEvPKhS1_P6__halfPKfiiiiiiii,comdat
	.protected	_Z19_skinny_gemm_kernelILi4ELi1ELi1ELi16ELi4EEvPKhS1_P6__halfPKfiiiiiiii ; -- Begin function _Z19_skinny_gemm_kernelILi4ELi1ELi1ELi16ELi4EEvPKhS1_P6__halfPKfiiiiiiii
	.globl	_Z19_skinny_gemm_kernelILi4ELi1ELi1ELi16ELi4EEvPKhS1_P6__halfPKfiiiiiiii
	.p2align	8
	.type	_Z19_skinny_gemm_kernelILi4ELi1ELi1ELi16ELi4EEvPKhS1_P6__halfPKfiiiiiiii,@function
_Z19_skinny_gemm_kernelILi4ELi1ELi1ELi16ELi4EEvPKhS1_P6__halfPKfiiiiiiii: ; @_Z19_skinny_gemm_kernelILi4ELi1ELi1ELi16ELi4EEvPKhS1_P6__halfPKfiiiiiiii
; %bb.0:
	v_cmp_gt_u32_e32 vcc, 5, v0
	v_lshlrev_b32_e32 v1, 2, v0
	s_and_saveexec_b64 s[4:5], vcc
; %bb.1:
	v_mov_b32_e32 v2, 0
	ds_write_b32 v1, v2 offset:10240
; %bb.2:
	s_or_b64 exec, exec, s[4:5]
	s_load_dwordx8 s[12:19], s[0:1], 0x20
	s_waitcnt lgkmcnt(0)
	s_barrier
	s_add_i32 s3, s12, 63
	s_ashr_i32 s5, s3, 31
	s_add_i32 s4, s13, 15
	s_lshr_b32 s5, s5, 26
	s_ashr_i32 s6, s4, 31
	s_add_i32 s3, s3, s5
	s_ashr_i32 s33, s3, 6
	s_lshr_b32 s3, s6, 28
	s_add_i32 s4, s4, s3
	s_ashr_i32 s42, s4, 4
	s_mul_i32 s3, s42, s33
	s_mul_i32 s3, s3, s16
	s_add_i32 s4, s3, 0x12f
	s_mul_hi_i32 s4, s4, 0x6bca1af3
	s_lshr_b32 s5, s4, 31
	s_ashr_i32 s4, s4, 7
	s_add_i32 s4, s4, s5
	s_add_i32 s5, s2, 1
	s_mul_i32 s5, s4, s5
	v_cvt_f64_i32_e32 v[2:3], s3
	v_cvt_f64_u32_e32 v[4:5], s5
	v_min_f64 v[2:3], v[2:3], v[4:5]
	v_cvt_i32_f64_e32 v17, v[2:3]
	s_mul_i32 s43, s4, s2
	v_cmp_ge_i32_e32 vcc, s43, v17
	s_cbranch_vccnz .LBB314_57
; %bb.3:
	v_lshrrev_b32_e32 v2, 6, v0
	s_add_i32 s4, s18, s17
	s_load_dwordx8 s[20:27], s[0:1], 0x0
	v_cmp_le_i32_e64 s[0:1], s4, v2
	v_mov_b32_e32 v3, s17
	v_cmp_le_i32_e64 s[2:3], s17, v2
	v_mov_b32_e32 v4, s18
	v_cndmask_b32_e64 v4, 0, v4, s[0:1]
	v_cndmask_b32_e64 v3, 0, v3, s[2:3]
	s_abs_i32 s5, s16
	v_add_u32_e32 v3, v3, v4
	v_cvt_f32_u32_e32 v4, s5
	v_sub_u32_e32 v34, v2, v3
	s_ashr_i32 s6, s14, 31
	s_lshr_b32 s6, s6, 25
	v_rcp_iflag_f32_e32 v3, v4
	s_sub_i32 s9, 0, s5
	s_add_i32 s6, s14, s6
	s_ashr_i32 s6, s6, 7
	v_mul_f32_e32 v3, 0x4f7ffffe, v3
	v_cvt_u32_f32_e32 v3, v3
	s_abs_i32 s8, s6
	s_xor_b32 s7, s6, s16
	s_ashr_i32 s7, s7, 31
	v_readfirstlane_b32 s10, v3
	s_mul_i32 s9, s9, s10
	s_mul_hi_u32 s9, s10, s9
	s_add_i32 s10, s10, s9
	s_mul_hi_u32 s9, s8, s10
	s_mul_i32 s10, s9, s5
	s_sub_i32 s8, s8, s10
	s_add_i32 s10, s9, 1
	s_sub_i32 s11, s8, s5
	s_cmp_ge_u32 s8, s5
	s_cselect_b32 s9, s10, s9
	s_cselect_b32 s8, s11, s8
	s_add_i32 s10, s9, 1
	s_cmp_ge_u32 s8, s5
	s_cselect_b32 s5, s10, s9
	s_xor_b32 s5, s5, s7
	s_sub_i32 s44, s5, s7
	s_add_i32 s16, s16, -1
	s_mul_i32 s5, s44, s16
	s_add_i32 s4, s4, s19
	s_sub_i32 s45, s6, s5
	v_cmp_gt_i32_e64 s[4:5], s4, v2
	v_lshlrev_b32_e32 v2, 1, v0
	v_lshlrev_b32_e32 v3, 4, v0
	v_and_b32_e32 v1, 60, v1
	v_and_b32_e32 v2, 64, v2
	v_and_b32_e32 v4, 0x100, v3
	v_or3_b32 v39, v1, v2, v4
	v_and_b32_e32 v1, 1, v0
	v_lshrrev_b32_e32 v4, 2, v0
	s_abs_i32 s46, s33
	v_and_or_b32 v42, v4, 12, v1
	v_cvt_f32_u32_e32 v4, s46
	v_lshlrev_b32_e32 v2, 1, v1
	v_and_b32_e32 v16, 14, v0
	v_sub_u32_e32 v2, v0, v2
	v_bitop3_b32 v40, v0, 1, v0 bitop3:0xc
	v_bitop3_b32 v41, v0, 3, 1 bitop3:0x6c
	v_and_b32_e32 v26, 48, v3
	v_bfe_u32 v44, v0, 2, 4
	v_and_b32_e32 v1, 60, v0
	v_lshlrev_b32_e32 v3, 8, v0
	v_lshlrev_b32_e32 v0, 6, v0
	v_and_b32_e32 v3, 0x200, v3
	v_and_b32_e32 v0, 64, v0
	v_rcp_iflag_f32_e32 v4, v4
	s_abs_i32 s47, s42
	v_or3_b32 v45, v1, v3, v0
	v_cvt_f32_u32_e32 v1, s47
	v_mul_f32_e32 v0, 0x4f7ffffe, v4
	v_cvt_u32_f32_e32 v0, v0
	v_mad_u64_u32 v[18:19], s[6:7], s13, v42, v[16:17]
	v_rcp_iflag_f32_e32 v1, v1
	s_lshl_b32 s6, s13, 4
	v_add_u32_e32 v20, s6, v18
	v_readfirstlane_b32 s7, v0
	v_mul_f32_e32 v0, 0x4f7ffffe, v1
	v_add_u32_e32 v22, s6, v20
	v_cvt_u32_f32_e32 v0, v0
	v_add_u32_e32 v24, s6, v22
	s_sub_i32 s6, 0, s46
	s_mul_i32 s6, s6, s7
	s_mul_hi_u32 s6, s7, s6
	v_add_u32_e32 v2, 1, v2
	s_add_i32 s49, s7, s6
	s_sub_i32 s6, 0, s47
	v_readfirstlane_b32 s7, v0
	v_mbcnt_lo_u32_b32 v0, -1, 0
	v_and_b32_e32 v2, 63, v2
	s_mul_i32 s6, s6, s7
	v_mbcnt_hi_u32_b32 v0, -1, v0
	v_mul_lo_u32 v28, s15, v44
	s_mul_hi_u32 s6, s7, s6
	v_and_or_b32 v0, v0, 64, v2
	v_cndmask_b32_e64 v38, 0, 1, s[0:1]
	s_ashr_i32 s11, s13, 31
	s_mov_b32 s10, s13
	v_ashrrev_i32_e32 v19, 31, v18
	v_ashrrev_i32_e32 v21, 31, v20
	;; [unrolled: 1-line block ×3, first 2 shown]
	v_or_b32_e32 v43, 48, v42
	v_ashrrev_i32_e32 v25, 31, v24
	v_ashrrev_i32_e32 v29, 31, v28
	v_mov_b32_e32 v27, 0
	v_or_b32_e32 v46, 0x2000, v45
	v_mul_lo_u32 v47, s14, v44
	s_ashr_i32 s48, s33, 31
	s_ashr_i32 s50, s42, 31
	s_add_i32 s51, s7, s6
	v_lshlrev_b32_e32 v48, 2, v0
	v_mov_b32_e32 v49, v34
	s_branch .LBB314_7
.LBB314_4:                              ;   in Loop: Header=BB314_7 Depth=1
	s_or_b64 exec, exec, s[28:29]
.LBB314_5:                              ;   in Loop: Header=BB314_7 Depth=1
	s_or_b64 exec, exec, s[8:9]
	v_subrev_u32_e32 v49, s36, v49
.LBB314_6:                              ;   in Loop: Header=BB314_7 Depth=1
	s_or_b64 exec, exec, s[6:7]
	s_add_i32 s43, s43, 1
	v_cmp_ge_i32_e32 vcc, s43, v17
	s_cbranch_vccnz .LBB314_57
.LBB314_7:                              ; =>This Loop Header: Depth=1
                                        ;     Child Loop BB314_13 Depth 2
                                        ;       Child Loop BB314_15 Depth 3
                                        ;       Child Loop BB314_18 Depth 3
	;; [unrolled: 1-line block ×5, first 2 shown]
                                        ;     Child Loop BB314_44 Depth 2
                                        ;       Child Loop BB314_46 Depth 3
                                        ;     Child Loop BB314_54 Depth 2
                                        ;       Child Loop BB314_56 Depth 3
	s_abs_i32 s7, s43
	s_mul_hi_u32 s8, s7, s49
	s_mul_i32 s9, s8, s46
	s_ashr_i32 s6, s43, 31
	s_sub_i32 s7, s7, s9
	s_xor_b32 s6, s6, s48
	s_add_i32 s9, s8, 1
	s_sub_i32 s28, s7, s46
	s_cmp_ge_u32 s7, s46
	s_cselect_b32 s8, s9, s8
	s_cselect_b32 s7, s28, s7
	s_add_i32 s9, s8, 1
	s_cmp_ge_u32 s7, s46
	s_cselect_b32 s7, s9, s8
	s_xor_b32 s7, s7, s6
	s_sub_i32 s6, s7, s6
	s_abs_i32 s8, s6
	s_mul_i32 s7, s6, s33
	s_mul_hi_u32 s9, s8, s51
	s_sub_i32 s7, s43, s7
	s_mul_i32 s28, s9, s47
	s_lshl_b32 s52, s7, 6
	s_ashr_i32 s7, s6, 31
	s_sub_i32 s8, s8, s28
	s_xor_b32 s7, s7, s50
	s_add_i32 s28, s9, 1
	s_sub_i32 s29, s8, s47
	s_cmp_ge_u32 s8, s47
	s_cselect_b32 s9, s28, s9
	s_cselect_b32 s8, s29, s8
	s_add_i32 s28, s9, 1
	s_cmp_ge_u32 s8, s47
	s_cselect_b32 s8, s28, s9
	s_xor_b32 s8, s8, s7
	s_sub_i32 s7, s8, s7
	s_mul_i32 s8, s7, s44
	s_lshl_b32 s53, s8, 7
	s_cmp_eq_u32 s7, s16
	s_cselect_b32 s55, s45, s44
	s_sub_i32 s8, s52, s12
	s_add_i32 s8, s8, 64
	s_max_i32 s54, s8, 0
	s_and_saveexec_b64 s[8:9], s[2:3]
	s_xor_b64 s[28:29], exec, s[8:9]
	s_cbranch_execz .LBB314_50
; %bb.8:                                ;   in Loop: Header=BB314_7 Depth=1
	s_mul_i32 s7, s7, s42
	s_sub_i32 s6, s6, s7
	s_lshl_b32 s6, s6, 4
	s_sub_i32 s31, s6, s13
	s_add_i32 s31, s31, 16
	s_max_i32 s7, s31, 0
	s_sub_i32 s30, s6, s7
	s_and_saveexec_b64 s[6:7], s[0:1]
	s_xor_b64 s[34:35], exec, s[6:7]
	s_cbranch_execz .LBB314_40
; %bb.9:                                ;   in Loop: Header=BB314_7 Depth=1
	s_and_saveexec_b64 s[36:37], s[4:5]
	s_cbranch_execz .LBB314_39
; %bb.10:                               ;   in Loop: Header=BB314_7 Depth=1
	s_waitcnt lgkmcnt(0)
	global_load_dword v50, v27, s[26:27]
	v_mov_b32_e32 v15, 0
	v_cmp_gt_i32_e32 vcc, s55, v49
	v_mov_b32_e32 v14, v15
	v_mov_b32_e32 v13, v15
	;; [unrolled: 1-line block ×15, first 2 shown]
	s_and_saveexec_b64 s[6:7], vcc
	s_cbranch_execz .LBB314_29
; %bb.11:                               ;   in Loop: Header=BB314_7 Depth=1
	v_mov_b32_e32 v0, 0
	s_mov_b64 s[8:9], 0
	v_mov_b32_e32 v1, v0
	v_mov_b32_e32 v2, v0
	;; [unrolled: 1-line block ×15, first 2 shown]
	s_branch .LBB314_13
.LBB314_12:                             ;   in Loop: Header=BB314_13 Depth=2
	s_or_b64 exec, exec, s[38:39]
	v_add_u32_e32 v55, 0x1800, v54
	ds_read2_b32 v[56:57], v55 offset1:32
	ds_read2_b32 v[58:59], v55 offset0:128 offset1:160
	v_add_u32_e32 v60, 0x1c00, v54
	ds_read2_b32 v[54:55], v60 offset1:32
	v_add_u32_e32 v49, s19, v49
	s_waitcnt lgkmcnt(2)
	v_mfma_f32_16x16x32_fp8_fp8 v[0:3], v[56:57], v[34:35], v[0:3]
	v_add_u32_e32 v34, s19, v51
	v_cmp_le_i32_e32 vcc, s55, v49
	v_add_u32_e32 v35, 2, v38
	s_waitcnt lgkmcnt(1)
	v_mfma_f32_16x16x32_fp8_fp8 v[0:3], v[58:59], v[36:37], v[0:3]
	ds_read2_b32 v[36:37], v60 offset0:128 offset1:160
	s_or_b64 s[8:9], vcc, s[8:9]
	v_cmp_lt_i32_e32 vcc, 0, v34
	s_waitcnt lgkmcnt(1)
	v_mfma_f32_16x16x32_fp8_fp8 v[0:3], v[54:55], v[32:33], v[0:3]
	;;#ASMSTART
	s_waitcnt lgkmcnt(0)
	;;#ASMEND
	ds_write_b32 v53, v52 offset:10252
	v_cndmask_b32_e32 v38, v38, v35, vcc
	s_waitcnt lgkmcnt(1)
	v_mfma_f32_16x16x32_fp8_fp8 v[0:3], v[36:37], v[30:31], v[0:3]
	s_andn2_b64 exec, exec, s[8:9]
	s_cbranch_execz .LBB314_28
.LBB314_13:                             ;   Parent Loop BB314_7 Depth=1
                                        ; =>  This Loop Header: Depth=2
                                        ;       Child Loop BB314_15 Depth 3
                                        ;       Child Loop BB314_18 Depth 3
	;; [unrolled: 1-line block ×5, first 2 shown]
	v_cmp_lt_i32_e32 vcc, 0, v34
	s_nop 1
	v_subbrev_co_u32_e32 v51, vcc, 0, v34, vcc
	v_lshlrev_b32_e32 v30, 2, v51
	ds_read_b32 v31, v30 offset:10256
	v_add_u32_e32 v53, 0x2800, v30
	s_waitcnt lgkmcnt(0)
	v_cmp_ne_u32_e32 vcc, v31, v38
	s_and_saveexec_b64 s[38:39], vcc
	s_cbranch_execz .LBB314_16
; %bb.14:                               ;   in Loop: Header=BB314_13 Depth=2
	s_mov_b64 s[40:41], 0
.LBB314_15:                             ;   Parent Loop BB314_7 Depth=1
                                        ;     Parent Loop BB314_13 Depth=2
                                        ; =>    This Inner Loop Header: Depth=3
	;;#ASMSTART
	s_sleep 0
	;;#ASMEND
	ds_read_b32 v30, v53 offset:16
	s_waitcnt lgkmcnt(0)
	v_cmp_eq_u32_e32 vcc, v30, v38
	s_or_b64 s[40:41], vcc, s[40:41]
	s_andn2_b64 exec, exec, s[40:41]
	s_cbranch_execnz .LBB314_15
.LBB314_16:                             ;   in Loop: Header=BB314_13 Depth=2
	s_or_b64 exec, exec, s[38:39]
	v_or_b32_e32 v30, 0x2000, v39
	v_lshl_add_u32 v30, v51, 11, v30
	ds_read2_b32 v[34:35], v30 offset1:32
	ds_read2_b32 v[36:37], v30 offset0:128 offset1:160
	v_add_u32_e32 v30, 0x400, v30
	v_add_u32_e32 v52, 1, v38
	ds_read2_b32 v[32:33], v30 offset1:32
	ds_read2_b32 v[30:31], v30 offset0:128 offset1:160
	;;#ASMSTART
	s_waitcnt lgkmcnt(0)
	;;#ASMEND
	ds_write_b32 v53, v52 offset:16
	v_lshlrev_b32_e32 v53, 4, v51
	ds_read_b32 v54, v53 offset:10240
	s_waitcnt lgkmcnt(0)
	v_cmp_ne_u32_e32 vcc, v54, v38
	s_and_saveexec_b64 s[38:39], vcc
	s_cbranch_execz .LBB314_19
; %bb.17:                               ;   in Loop: Header=BB314_13 Depth=2
	s_mov_b64 s[40:41], 0
.LBB314_18:                             ;   Parent Loop BB314_7 Depth=1
                                        ;     Parent Loop BB314_13 Depth=2
                                        ; =>    This Inner Loop Header: Depth=3
	;;#ASMSTART
	s_sleep 0
	;;#ASMEND
	ds_read_b32 v54, v53 offset:10240
	s_waitcnt lgkmcnt(0)
	v_cmp_eq_u32_e32 vcc, v54, v38
	s_or_b64 s[40:41], vcc, s[40:41]
	s_andn2_b64 exec, exec, s[40:41]
	s_cbranch_execnz .LBB314_18
.LBB314_19:                             ;   in Loop: Header=BB314_13 Depth=2
	s_or_b64 exec, exec, s[38:39]
	v_lshlrev_b32_e32 v54, 13, v51
	v_or_b32_e32 v55, v39, v54
	ds_read2_b32 v[56:57], v55 offset1:32
	ds_read2_b32 v[58:59], v55 offset0:128 offset1:160
	v_add_u32_e32 v55, 0x400, v55
	s_waitcnt lgkmcnt(1)
	v_mfma_f32_16x16x32_fp8_fp8 v[12:15], v[56:57], v[34:35], v[12:15]
	ds_read2_b32 v[56:57], v55 offset1:32
	s_waitcnt lgkmcnt(1)
	v_mfma_f32_16x16x32_fp8_fp8 v[12:15], v[58:59], v[36:37], v[12:15]
	ds_read2_b32 v[58:59], v55 offset0:128 offset1:160
	;;#ASMSTART
	s_waitcnt lgkmcnt(0)
	;;#ASMEND
	ds_read_b32 v55, v53 offset:10244
	ds_write_b32 v53, v52 offset:10240
	s_waitcnt lgkmcnt(3)
	v_mfma_f32_16x16x32_fp8_fp8 v[12:15], v[56:57], v[32:33], v[12:15]
	s_waitcnt lgkmcnt(1)
	v_cmp_ne_u32_e32 vcc, v55, v38
	v_mfma_f32_16x16x32_fp8_fp8 v[12:15], v[58:59], v[30:31], v[12:15]
	s_and_saveexec_b64 s[38:39], vcc
	s_cbranch_execz .LBB314_22
; %bb.20:                               ;   in Loop: Header=BB314_13 Depth=2
	s_mov_b64 s[40:41], 0
.LBB314_21:                             ;   Parent Loop BB314_7 Depth=1
                                        ;     Parent Loop BB314_13 Depth=2
                                        ; =>    This Inner Loop Header: Depth=3
	;;#ASMSTART
	s_sleep 0
	;;#ASMEND
	ds_read_b32 v55, v53 offset:10244
	s_waitcnt lgkmcnt(0)
	v_cmp_eq_u32_e32 vcc, v55, v38
	s_or_b64 s[40:41], vcc, s[40:41]
	s_andn2_b64 exec, exec, s[40:41]
	s_cbranch_execnz .LBB314_21
.LBB314_22:                             ;   in Loop: Header=BB314_13 Depth=2
	s_or_b64 exec, exec, s[38:39]
	v_add_u32_e32 v54, v39, v54
	v_add_u32_e32 v55, 0x800, v54
	ds_read2_b32 v[56:57], v55 offset1:32
	ds_read2_b32 v[58:59], v55 offset0:128 offset1:160
	v_add_u32_e32 v55, 0xc00, v54
	s_waitcnt lgkmcnt(1)
	v_mfma_f32_16x16x32_fp8_fp8 v[8:11], v[56:57], v[34:35], v[8:11]
	ds_read2_b32 v[56:57], v55 offset1:32
	s_waitcnt lgkmcnt(1)
	v_mfma_f32_16x16x32_fp8_fp8 v[8:11], v[58:59], v[36:37], v[8:11]
	ds_read2_b32 v[58:59], v55 offset0:128 offset1:160
	;;#ASMSTART
	s_waitcnt lgkmcnt(0)
	;;#ASMEND
	ds_read_b32 v55, v53 offset:10248
	ds_write_b32 v53, v52 offset:10244
	s_waitcnt lgkmcnt(3)
	v_mfma_f32_16x16x32_fp8_fp8 v[8:11], v[56:57], v[32:33], v[8:11]
	s_waitcnt lgkmcnt(1)
	v_cmp_ne_u32_e32 vcc, v55, v38
	v_mfma_f32_16x16x32_fp8_fp8 v[8:11], v[58:59], v[30:31], v[8:11]
	s_and_saveexec_b64 s[38:39], vcc
	s_cbranch_execz .LBB314_25
; %bb.23:                               ;   in Loop: Header=BB314_13 Depth=2
	s_mov_b64 s[40:41], 0
.LBB314_24:                             ;   Parent Loop BB314_7 Depth=1
                                        ;     Parent Loop BB314_13 Depth=2
                                        ; =>    This Inner Loop Header: Depth=3
	;;#ASMSTART
	s_sleep 0
	;;#ASMEND
	ds_read_b32 v55, v53 offset:10248
	s_waitcnt lgkmcnt(0)
	v_cmp_eq_u32_e32 vcc, v55, v38
	s_or_b64 s[40:41], vcc, s[40:41]
	s_andn2_b64 exec, exec, s[40:41]
	s_cbranch_execnz .LBB314_24
.LBB314_25:                             ;   in Loop: Header=BB314_13 Depth=2
	s_or_b64 exec, exec, s[38:39]
	v_add_u32_e32 v55, 0x1000, v54
	ds_read2_b32 v[56:57], v55 offset1:32
	ds_read2_b32 v[58:59], v55 offset0:128 offset1:160
	v_add_u32_e32 v55, 0x1400, v54
	s_waitcnt lgkmcnt(1)
	v_mfma_f32_16x16x32_fp8_fp8 v[4:7], v[56:57], v[34:35], v[4:7]
	ds_read2_b32 v[56:57], v55 offset1:32
	s_waitcnt lgkmcnt(1)
	v_mfma_f32_16x16x32_fp8_fp8 v[4:7], v[58:59], v[36:37], v[4:7]
	ds_read2_b32 v[58:59], v55 offset0:128 offset1:160
	;;#ASMSTART
	s_waitcnt lgkmcnt(0)
	;;#ASMEND
	ds_read_b32 v55, v53 offset:10252
	ds_write_b32 v53, v52 offset:10248
	s_waitcnt lgkmcnt(3)
	v_mfma_f32_16x16x32_fp8_fp8 v[4:7], v[56:57], v[32:33], v[4:7]
	s_waitcnt lgkmcnt(1)
	v_cmp_ne_u32_e32 vcc, v55, v38
	v_mfma_f32_16x16x32_fp8_fp8 v[4:7], v[58:59], v[30:31], v[4:7]
	s_and_saveexec_b64 s[38:39], vcc
	s_cbranch_execz .LBB314_12
; %bb.26:                               ;   in Loop: Header=BB314_13 Depth=2
	s_mov_b64 s[40:41], 0
.LBB314_27:                             ;   Parent Loop BB314_7 Depth=1
                                        ;     Parent Loop BB314_13 Depth=2
                                        ; =>    This Inner Loop Header: Depth=3
	;;#ASMSTART
	s_sleep 0
	;;#ASMEND
	ds_read_b32 v55, v53 offset:10252
	s_waitcnt lgkmcnt(0)
	v_cmp_eq_u32_e32 vcc, v55, v38
	s_or_b64 s[40:41], vcc, s[40:41]
	s_andn2_b64 exec, exec, s[40:41]
	s_cbranch_execnz .LBB314_27
	s_branch .LBB314_12
.LBB314_28:                             ;   in Loop: Header=BB314_7 Depth=1
	s_or_b64 exec, exec, s[8:9]
.LBB314_29:                             ;   in Loop: Header=BB314_7 Depth=1
	s_or_b64 exec, exec, s[6:7]
	v_cmp_le_i32_e32 vcc, s31, v16
	v_cmp_eq_u32_e64 s[6:7], 3, v40
	s_waitcnt vmcnt(0)
	v_cndmask_b32_e32 v30, 0, v50, vcc
	v_pk_mul_f32 v[36:37], v[30:31], v[12:13] op_sel_hi:[0,1]
	v_cmp_eq_u32_e32 vcc, 1, v40
	v_pk_mul_f32 v[14:15], v[30:31], v[14:15] op_sel_hi:[0,1]
	v_add_u32_e32 v31, s54, v42
	v_cndmask_b32_e32 v12, v36, v37, vcc
	v_cmp_eq_u32_e32 vcc, 2, v40
	s_nop 1
	v_cndmask_b32_e32 v12, v12, v14, vcc
	v_cndmask_b32_e64 v12, v12, v15, s[6:7]
	ds_bpermute_b32 v13, v48, v12
	s_waitcnt lgkmcnt(0)
	v_cndmask_b32_e32 v14, v14, v13, vcc
	v_cmp_ne_u32_e32 vcc, 0, v40
	v_cndmask_b32_e64 v32, v15, v13, s[6:7]
	s_nop 0
	v_cndmask_b32_e32 v12, v37, v13, vcc
	v_cmp_eq_u32_e32 vcc, 0, v40
	s_nop 1
	v_cndmask_b32_e32 v13, v36, v13, vcc
	v_cmp_eq_u32_e32 vcc, 1, v41
	;; [unrolled: 3-line block ×4, first 2 shown]
	s_nop 1
	v_cndmask_b32_e32 v15, v15, v32, vcc
	ds_bpermute_b32 v15, v48, v15
	v_cmp_gt_u32_e32 vcc, 64, v31
	s_and_saveexec_b64 s[38:39], vcc
	s_cbranch_execz .LBB314_38
; %bb.30:                               ;   in Loop: Header=BB314_7 Depth=1
	v_cmp_eq_u32_e64 s[8:9], 1, v41
	v_cmp_eq_u32_e64 s[6:7], 3, v41
	v_cmp_eq_u32_e32 vcc, 2, v41
	s_waitcnt lgkmcnt(0)
	v_cndmask_b32_e64 v12, v12, v15, s[8:9]
	v_cmp_eq_u32_e64 s[8:9], 0, v41
	v_cvt_f16_f32_sdwa v35, v12 dst_sel:WORD_1 dst_unused:UNUSED_PAD src0_sel:DWORD
	s_nop 0
	v_cndmask_b32_e64 v13, v13, v15, s[8:9]
	s_mul_i32 s8, s52, s13
	s_ashr_i32 s9, s8, 31
	s_lshl_b64 s[8:9], s[8:9], 1
	s_add_u32 s40, s24, s8
	s_addc_u32 s41, s25, s9
	s_ashr_i32 s31, s30, 31
	s_lshl_b64 s[8:9], s[30:31], 1
	v_cvt_f16_f32_e32 v33, v13
	s_add_u32 s40, s40, s8
	s_addc_u32 s41, s41, s9
	v_lshl_add_u64 v[12:13], v[18:19], 1, s[40:41]
	v_cmp_gt_u32_e64 s[8:9], 62, v31
	v_or_b32_e32 v33, v35, v33
	;;#ASMSTART
	global_atomic_pk_add_f16 v[12:13], v33, off
	
	;;#ASMEND
	s_and_b64 exec, exec, s[8:9]
	s_cbranch_execz .LBB314_38
; %bb.31:                               ;   in Loop: Header=BB314_7 Depth=1
	v_mov_b32_e32 v31, v30
	v_cndmask_b32_e64 v35, v32, v15, s[6:7]
	v_mov_b32_e32 v32, v30
	v_mov_b32_e32 v33, v30
	v_pk_mul_f32 v[10:11], v[32:33], v[10:11]
	v_pk_mul_f32 v[32:33], v[30:31], v[8:9]
	v_cmp_eq_u32_e64 s[6:7], 1, v40
	v_cmp_eq_u32_e64 s[8:9], 3, v40
	v_cvt_f16_f32_sdwa v35, v35 dst_sel:WORD_1 dst_unused:UNUSED_PAD src0_sel:DWORD
	v_cndmask_b32_e64 v8, v32, v33, s[6:7]
	v_cmp_eq_u32_e64 s[6:7], 2, v40
	s_nop 1
	v_cndmask_b32_e64 v8, v8, v10, s[6:7]
	v_cndmask_b32_e64 v8, v8, v11, s[8:9]
	ds_bpermute_b32 v9, v48, v8
	v_cndmask_b32_e32 v8, v14, v15, vcc
	v_cmp_ne_u32_e32 vcc, 0, v40
	v_lshl_add_u64 v[14:15], s[10:11], 2, v[12:13]
	v_cvt_f16_f32_e32 v13, v8
	s_waitcnt lgkmcnt(0)
	v_cndmask_b32_e32 v8, v33, v9, vcc
	v_cmp_eq_u32_e32 vcc, 0, v40
	v_cndmask_b32_e64 v12, v11, v9, s[8:9]
	v_cndmask_b32_e64 v10, v10, v9, s[6:7]
	v_cndmask_b32_e32 v9, v32, v9, vcc
	v_cmp_eq_u32_e32 vcc, 1, v41
	v_or_b32_e32 v13, v35, v13
	;;#ASMSTART
	global_atomic_pk_add_f16 v[14:15], v13, off
	
	;;#ASMEND
	v_or_b32_e32 v13, 16, v42
	v_cndmask_b32_e32 v11, v9, v8, vcc
	v_cmp_eq_u32_e32 vcc, 2, v41
	v_add_u32_e32 v13, s54, v13
	s_nop 0
	v_cndmask_b32_e32 v11, v11, v10, vcc
	v_cmp_eq_u32_e32 vcc, 3, v41
	s_nop 1
	v_cndmask_b32_e32 v11, v11, v12, vcc
	ds_bpermute_b32 v11, v48, v11
	v_cmp_gt_u32_e32 vcc, 64, v13
	s_and_b64 exec, exec, vcc
	s_cbranch_execz .LBB314_38
; %bb.32:                               ;   in Loop: Header=BB314_7 Depth=1
	v_cmp_eq_u32_e32 vcc, 1, v41
	v_cmp_eq_u32_e64 s[6:7], 3, v41
	v_cmp_gt_u32_e64 s[8:9], 62, v13
	s_waitcnt lgkmcnt(0)
	v_cndmask_b32_e32 v8, v8, v11, vcc
	v_cmp_eq_u32_e32 vcc, 0, v41
	v_cvt_f16_f32_sdwa v15, v8 dst_sel:WORD_1 dst_unused:UNUSED_PAD src0_sel:DWORD
	s_nop 0
	v_cndmask_b32_e32 v9, v9, v11, vcc
	v_cvt_f16_f32_e32 v14, v9
	v_cmp_eq_u32_e32 vcc, 2, v41
	v_lshl_add_u64 v[8:9], v[20:21], 1, s[40:41]
	v_or_b32_e32 v14, v15, v14
	;;#ASMSTART
	global_atomic_pk_add_f16 v[8:9], v14, off
	
	;;#ASMEND
	s_and_b64 exec, exec, s[8:9]
	s_cbranch_execz .LBB314_38
; %bb.33:                               ;   in Loop: Header=BB314_7 Depth=1
	v_cndmask_b32_e64 v14, v12, v11, s[6:7]
	v_mov_b32_e32 v12, v30
	v_mov_b32_e32 v13, v30
	v_pk_mul_f32 v[6:7], v[12:13], v[6:7]
	v_pk_mul_f32 v[12:13], v[30:31], v[4:5]
	v_cmp_eq_u32_e64 s[6:7], 1, v40
	v_cmp_eq_u32_e64 s[8:9], 3, v40
	v_cvt_f16_f32_sdwa v14, v14 dst_sel:WORD_1 dst_unused:UNUSED_PAD src0_sel:DWORD
	v_cndmask_b32_e64 v4, v12, v13, s[6:7]
	v_cmp_eq_u32_e64 s[6:7], 2, v40
	s_nop 1
	v_cndmask_b32_e64 v4, v4, v6, s[6:7]
	v_cndmask_b32_e64 v4, v4, v7, s[8:9]
	ds_bpermute_b32 v5, v48, v4
	v_cndmask_b32_e32 v4, v10, v11, vcc
	v_cmp_ne_u32_e32 vcc, 0, v40
	v_lshl_add_u64 v[10:11], s[10:11], 2, v[8:9]
	v_cvt_f16_f32_e32 v9, v4
	s_waitcnt lgkmcnt(0)
	v_cndmask_b32_e32 v4, v13, v5, vcc
	v_cmp_eq_u32_e32 vcc, 0, v40
	v_cndmask_b32_e64 v8, v7, v5, s[8:9]
	v_cndmask_b32_e64 v6, v6, v5, s[6:7]
	v_cndmask_b32_e32 v5, v12, v5, vcc
	v_cmp_eq_u32_e32 vcc, 1, v41
	v_or_b32_e32 v9, v14, v9
	;;#ASMSTART
	global_atomic_pk_add_f16 v[10:11], v9, off
	
	;;#ASMEND
	v_or_b32_e32 v9, 32, v42
	v_cndmask_b32_e32 v7, v5, v4, vcc
	v_cmp_eq_u32_e32 vcc, 2, v41
	v_add_u32_e32 v9, s54, v9
	s_nop 0
	v_cndmask_b32_e32 v7, v7, v6, vcc
	v_cmp_eq_u32_e32 vcc, 3, v41
	s_nop 1
	v_cndmask_b32_e32 v7, v7, v8, vcc
	ds_bpermute_b32 v7, v48, v7
	v_cmp_gt_u32_e32 vcc, 64, v9
	s_and_b64 exec, exec, vcc
	s_cbranch_execz .LBB314_38
; %bb.34:                               ;   in Loop: Header=BB314_7 Depth=1
	v_cmp_eq_u32_e32 vcc, 1, v41
	v_cmp_eq_u32_e64 s[6:7], 3, v41
	v_cmp_gt_u32_e64 s[8:9], 62, v9
	s_waitcnt lgkmcnt(0)
	v_cndmask_b32_e32 v4, v4, v7, vcc
	v_cmp_eq_u32_e32 vcc, 0, v41
	v_cvt_f16_f32_sdwa v11, v4 dst_sel:WORD_1 dst_unused:UNUSED_PAD src0_sel:DWORD
	s_nop 0
	v_cndmask_b32_e32 v5, v5, v7, vcc
	v_cvt_f16_f32_e32 v10, v5
	v_cmp_eq_u32_e32 vcc, 2, v41
	v_lshl_add_u64 v[4:5], v[22:23], 1, s[40:41]
	v_or_b32_e32 v10, v11, v10
	;;#ASMSTART
	global_atomic_pk_add_f16 v[4:5], v10, off
	
	;;#ASMEND
	s_and_b64 exec, exec, s[8:9]
	s_cbranch_execz .LBB314_38
; %bb.35:                               ;   in Loop: Header=BB314_7 Depth=1
	v_cndmask_b32_e64 v12, v8, v7, s[6:7]
	v_mov_b32_e32 v8, v30
	v_mov_b32_e32 v9, v30
	v_pk_mul_f32 v[10:11], v[30:31], v[0:1]
	v_cmp_eq_u32_e64 s[6:7], 1, v40
	v_pk_mul_f32 v[8:9], v[8:9], v[2:3]
	v_cmp_eq_u32_e64 s[8:9], 3, v40
	v_cndmask_b32_e64 v0, v10, v11, s[6:7]
	v_cmp_eq_u32_e64 s[6:7], 2, v40
	v_cvt_f16_f32_sdwa v12, v12 dst_sel:WORD_1 dst_unused:UNUSED_PAD src0_sel:DWORD
	s_nop 0
	v_cndmask_b32_e64 v0, v0, v8, s[6:7]
	v_cndmask_b32_e64 v0, v0, v9, s[8:9]
	ds_bpermute_b32 v1, v48, v0
	v_cndmask_b32_e32 v0, v6, v7, vcc
	v_cmp_ne_u32_e32 vcc, 0, v40
	v_lshl_add_u64 v[6:7], s[10:11], 2, v[4:5]
	v_cvt_f16_f32_e32 v5, v0
	s_waitcnt lgkmcnt(0)
	v_cndmask_b32_e32 v0, v11, v1, vcc
	v_cmp_eq_u32_e32 vcc, 0, v40
	v_cndmask_b32_e64 v2, v9, v1, s[8:9]
	v_cndmask_b32_e64 v3, v8, v1, s[6:7]
	v_cndmask_b32_e32 v1, v10, v1, vcc
	v_cmp_eq_u32_e32 vcc, 1, v41
	v_or_b32_e32 v5, v12, v5
	;;#ASMSTART
	global_atomic_pk_add_f16 v[6:7], v5, off
	
	;;#ASMEND
	v_add_u32_e32 v5, s54, v43
	v_cndmask_b32_e32 v4, v1, v0, vcc
	v_cmp_eq_u32_e32 vcc, 2, v41
	s_nop 1
	v_cndmask_b32_e32 v4, v4, v3, vcc
	v_cmp_eq_u32_e32 vcc, 3, v41
	s_nop 1
	v_cndmask_b32_e32 v4, v4, v2, vcc
	ds_bpermute_b32 v4, v48, v4
	v_cmp_gt_u32_e32 vcc, 64, v5
	s_and_b64 exec, exec, vcc
	s_cbranch_execz .LBB314_38
; %bb.36:                               ;   in Loop: Header=BB314_7 Depth=1
	v_cmp_eq_u32_e32 vcc, 1, v41
	v_cmp_eq_u32_e64 s[6:7], 2, v41
	v_cmp_gt_u32_e64 s[8:9], 62, v5
	s_waitcnt lgkmcnt(0)
	v_cndmask_b32_e32 v0, v0, v4, vcc
	v_cmp_eq_u32_e32 vcc, 0, v41
	v_cvt_f16_f32_sdwa v7, v0 dst_sel:WORD_1 dst_unused:UNUSED_PAD src0_sel:DWORD
	s_nop 0
	v_cndmask_b32_e32 v1, v1, v4, vcc
	v_cvt_f16_f32_e32 v6, v1
	v_cmp_eq_u32_e32 vcc, 3, v41
	v_lshl_add_u64 v[0:1], v[24:25], 1, s[40:41]
	v_or_b32_e32 v6, v7, v6
	;;#ASMSTART
	global_atomic_pk_add_f16 v[0:1], v6, off
	
	;;#ASMEND
	s_and_b64 exec, exec, s[8:9]
	s_cbranch_execz .LBB314_38
; %bb.37:                               ;   in Loop: Header=BB314_7 Depth=1
	v_cndmask_b32_e32 v2, v2, v4, vcc
	v_cndmask_b32_e64 v3, v3, v4, s[6:7]
	v_cvt_f16_f32_sdwa v2, v2 dst_sel:WORD_1 dst_unused:UNUSED_PAD src0_sel:DWORD
	v_cvt_f16_f32_e32 v3, v3
	v_lshl_add_u64 v[0:1], s[10:11], 2, v[0:1]
	v_or_b32_e32 v2, v2, v3
	;;#ASMSTART
	global_atomic_pk_add_f16 v[0:1], v2, off
	
	;;#ASMEND
.LBB314_38:                             ;   in Loop: Header=BB314_7 Depth=1
	s_or_b64 exec, exec, s[38:39]
	v_subrev_u32_e32 v49, s55, v49
.LBB314_39:                             ;   in Loop: Header=BB314_7 Depth=1
	s_or_b64 exec, exec, s[36:37]
.LBB314_40:                             ;   in Loop: Header=BB314_7 Depth=1
	s_andn2_saveexec_b64 s[6:7], s[34:35]
	s_cbranch_execz .LBB314_49
; %bb.41:                               ;   in Loop: Header=BB314_7 Depth=1
	v_cmp_gt_i32_e32 vcc, s55, v49
	s_and_saveexec_b64 s[8:9], vcc
	s_cbranch_execz .LBB314_48
; %bb.42:                               ;   in Loop: Header=BB314_7 Depth=1
	s_mul_i32 s30, s30, s15
	s_ashr_i32 s31, s30, 31
	s_waitcnt lgkmcnt(0)
	s_add_u32 s30, s22, s30
	s_addc_u32 s31, s23, s31
	s_ashr_i32 s34, s53, 31
	s_add_u32 s30, s30, s53
	s_addc_u32 s31, s31, s34
	v_lshl_add_u64 v[0:1], s[30:31], 0, v[28:29]
	v_lshl_add_u64 v[8:9], v[0:1], 0, v[26:27]
	s_mov_b64 s[30:31], 0
	s_branch .LBB314_44
.LBB314_43:                             ;   in Loop: Header=BB314_44 Depth=2
	s_or_b64 exec, exec, s[34:35]
	v_lshl_add_u32 v12, v10, 11, v46
	;;#ASMSTART
	s_waitcnt vmcnt(1)
	;;#ASMEND
	ds_write2_b32 v12, v4, v5 offset1:32
	ds_write2_b32 v12, v6, v7 offset0:64 offset1:96
	v_add_u32_e32 v4, 0x400, v12
	v_add_u32_e32 v49, s18, v49
	;;#ASMSTART
	s_waitcnt vmcnt(0)
	;;#ASMEND
	ds_write2_b32 v4, v0, v1 offset1:32
	ds_write2_b32 v4, v2, v3 offset0:64 offset1:96
	v_add_u32_e32 v0, 1, v38
	v_add_u32_e32 v34, s18, v10
	v_cmp_le_i32_e32 vcc, s55, v49
	ds_write_b32 v11, v0 offset:16
	v_add_u32_e32 v0, 2, v38
	s_or_b64 s[30:31], vcc, s[30:31]
	v_cmp_lt_i32_e32 vcc, 0, v34
	s_nop 1
	v_cndmask_b32_e32 v38, v38, v0, vcc
	s_andn2_b64 exec, exec, s[30:31]
	s_cbranch_execz .LBB314_47
.LBB314_44:                             ;   Parent Loop BB314_7 Depth=1
                                        ; =>  This Loop Header: Depth=2
                                        ;       Child Loop BB314_46 Depth 3
	v_cmp_lt_i32_e32 vcc, 0, v34
	v_lshlrev_b32_e32 v0, 7, v49
	v_ashrrev_i32_e32 v1, 31, v0
	v_subbrev_co_u32_e32 v10, vcc, 0, v34, vcc
	v_lshl_add_u64 v[0:1], v[8:9], 0, v[0:1]
	v_lshlrev_b32_e32 v11, 2, v10
	;;#ASMSTART
	global_load_dwordx4 v[4:7], v[0:1], off offset:0   sc0 sc1 nt  
	global_load_dwordx4 v[0:3], v[0:1], off offset:64  sc0 sc1 nt  
	
	;;#ASMEND
	ds_read_b32 v12, v11 offset:10256
	v_add_u32_e32 v11, 0x2800, v11
	s_waitcnt lgkmcnt(0)
	v_cmp_ne_u32_e32 vcc, v12, v38
	s_and_saveexec_b64 s[34:35], vcc
	s_cbranch_execz .LBB314_43
; %bb.45:                               ;   in Loop: Header=BB314_44 Depth=2
	s_mov_b64 s[36:37], 0
.LBB314_46:                             ;   Parent Loop BB314_7 Depth=1
                                        ;     Parent Loop BB314_44 Depth=2
                                        ; =>    This Inner Loop Header: Depth=3
	;;#ASMSTART
	s_sleep 0
	;;#ASMEND
	ds_read_b32 v12, v11 offset:16
	s_waitcnt lgkmcnt(0)
	v_cmp_eq_u32_e32 vcc, v12, v38
	s_or_b64 s[36:37], vcc, s[36:37]
	s_andn2_b64 exec, exec, s[36:37]
	s_cbranch_execnz .LBB314_46
	s_branch .LBB314_43
.LBB314_47:                             ;   in Loop: Header=BB314_7 Depth=1
	s_or_b64 exec, exec, s[30:31]
.LBB314_48:                             ;   in Loop: Header=BB314_7 Depth=1
	s_or_b64 exec, exec, s[8:9]
	v_subrev_u32_e32 v49, s55, v49
.LBB314_49:                             ;   in Loop: Header=BB314_7 Depth=1
	s_or_b64 exec, exec, s[6:7]
.LBB314_50:                             ;   in Loop: Header=BB314_7 Depth=1
	s_andn2_saveexec_b64 s[6:7], s[28:29]
	s_cbranch_execz .LBB314_6
; %bb.51:                               ;   in Loop: Header=BB314_7 Depth=1
	s_lshl_b32 s36, s55, 2
	v_cmp_gt_i32_e32 vcc, s36, v49
	s_and_saveexec_b64 s[8:9], vcc
	s_cbranch_execz .LBB314_5
; %bb.52:                               ;   in Loop: Header=BB314_7 Depth=1
	s_mul_i32 s52, s52, s14
	s_ashr_i32 s28, s52, 31
	s_waitcnt lgkmcnt(0)
	s_add_u32 s29, s20, s52
	v_add_u32_e32 v2, s54, v44
	s_addc_u32 s30, s21, s28
	s_ashr_i32 s31, s53, 31
	v_cmp_gt_u32_e32 vcc, 64, v2
	s_add_u32 s28, s29, s53
	s_addc_u32 s29, s30, s31
	v_cndmask_b32_e32 v0, 0, v47, vcc
	v_ashrrev_i32_e32 v1, 31, v0
	v_lshl_add_u64 v[0:1], s[28:29], 0, v[0:1]
	v_lshl_add_u64 v[8:9], v[0:1], 0, v[26:27]
	v_sub_u32_e32 v10, 63, v2
	s_mov_b64 s[28:29], 0
	s_branch .LBB314_54
.LBB314_53:                             ;   in Loop: Header=BB314_54 Depth=2
	s_or_b64 exec, exec, s[30:31]
	v_lshl_or_b32 v13, v11, 11, v45
	;;#ASMSTART
	s_waitcnt vmcnt(1)
	;;#ASMEND
	ds_write2_b32 v13, v4, v5 offset1:32
	ds_write2_b32 v13, v6, v7 offset0:64 offset1:96
	v_add_u32_e32 v4, 0x400, v13
	v_add_u32_e32 v49, s17, v49
	;;#ASMSTART
	s_waitcnt vmcnt(0)
	;;#ASMEND
	ds_write2_b32 v4, v0, v1 offset1:32
	ds_write2_b32 v4, v2, v3 offset0:64 offset1:96
	v_add_u32_e32 v0, 1, v38
	v_add_u32_e32 v34, s17, v11
	v_cmp_le_i32_e32 vcc, s36, v49
	ds_write_b32 v12, v0
	v_add_u32_e32 v0, 2, v38
	s_or_b64 s[28:29], vcc, s[28:29]
	v_cmp_lt_i32_e32 vcc, 3, v34
	s_nop 1
	v_cndmask_b32_e32 v38, v38, v0, vcc
	s_andn2_b64 exec, exec, s[28:29]
	s_cbranch_execz .LBB314_4
.LBB314_54:                             ;   Parent Loop BB314_7 Depth=1
                                        ; =>  This Loop Header: Depth=2
                                        ;       Child Loop BB314_56 Depth 3
	v_cmp_gt_i32_e32 vcc, 4, v34
	s_nop 1
	v_cndmask_b32_e64 v0, -4, 0, vcc
	v_add_u32_e32 v11, v0, v34
	v_ashrrev_i32_e32 v0, 31, v49
	v_lshrrev_b32_e32 v0, 30, v0
	v_add_u32_e32 v0, v49, v0
	v_and_b32_e32 v1, 0xffffffc, v0
	v_sub_u32_e32 v1, v49, v1
	v_lshlrev_b32_e32 v1, 4, v1
	v_cmp_le_i32_e32 vcc, v1, v10
	v_lshlrev_b32_e32 v0, 5, v0
	v_and_b32_e32 v0, 0xffffff80, v0
	v_cndmask_b32_e32 v2, 0, v1, vcc
	v_ashrrev_i32_e32 v1, 31, v0
	v_mul_lo_u32 v2, v2, s14
	v_lshl_add_u64 v[0:1], v[8:9], 0, v[0:1]
	v_ashrrev_i32_e32 v3, 31, v2
	v_lshl_add_u64 v[0:1], v[0:1], 0, v[2:3]
	v_lshlrev_b32_e32 v12, 2, v11
	;;#ASMSTART
	global_load_dwordx4 v[4:7], v[0:1], off offset:0   
	global_load_dwordx4 v[0:3], v[0:1], off offset:64  
	
	;;#ASMEND
	ds_read_b32 v13, v12 offset:10240
	v_add_u32_e32 v12, 0x2800, v12
	s_waitcnt lgkmcnt(0)
	v_cmp_ne_u32_e32 vcc, v13, v38
	s_and_saveexec_b64 s[30:31], vcc
	s_cbranch_execz .LBB314_53
; %bb.55:                               ;   in Loop: Header=BB314_54 Depth=2
	s_mov_b64 s[34:35], 0
.LBB314_56:                             ;   Parent Loop BB314_7 Depth=1
                                        ;     Parent Loop BB314_54 Depth=2
                                        ; =>    This Inner Loop Header: Depth=3
	;;#ASMSTART
	s_sleep 0
	;;#ASMEND
	ds_read_b32 v13, v12
	s_waitcnt lgkmcnt(0)
	v_cmp_eq_u32_e32 vcc, v13, v38
	s_or_b64 s[34:35], vcc, s[34:35]
	s_andn2_b64 exec, exec, s[34:35]
	s_cbranch_execnz .LBB314_56
	s_branch .LBB314_53
.LBB314_57:
	s_endpgm
	.section	.rodata,"a",@progbits
	.p2align	6, 0x0
	.amdhsa_kernel _Z19_skinny_gemm_kernelILi4ELi1ELi1ELi16ELi4EEvPKhS1_P6__halfPKfiiiiiiii
		.amdhsa_group_segment_fixed_size 10260
		.amdhsa_private_segment_fixed_size 0
		.amdhsa_kernarg_size 64
		.amdhsa_user_sgpr_count 2
		.amdhsa_user_sgpr_dispatch_ptr 0
		.amdhsa_user_sgpr_queue_ptr 0
		.amdhsa_user_sgpr_kernarg_segment_ptr 1
		.amdhsa_user_sgpr_dispatch_id 0
		.amdhsa_user_sgpr_kernarg_preload_length 0
		.amdhsa_user_sgpr_kernarg_preload_offset 0
		.amdhsa_user_sgpr_private_segment_size 0
		.amdhsa_uses_dynamic_stack 0
		.amdhsa_enable_private_segment 0
		.amdhsa_system_sgpr_workgroup_id_x 1
		.amdhsa_system_sgpr_workgroup_id_y 0
		.amdhsa_system_sgpr_workgroup_id_z 0
		.amdhsa_system_sgpr_workgroup_info 0
		.amdhsa_system_vgpr_workitem_id 0
		.amdhsa_next_free_vgpr 61
		.amdhsa_next_free_sgpr 56
		.amdhsa_accum_offset 64
		.amdhsa_reserve_vcc 1
		.amdhsa_float_round_mode_32 0
		.amdhsa_float_round_mode_16_64 0
		.amdhsa_float_denorm_mode_32 3
		.amdhsa_float_denorm_mode_16_64 3
		.amdhsa_dx10_clamp 1
		.amdhsa_ieee_mode 1
		.amdhsa_fp16_overflow 0
		.amdhsa_tg_split 0
		.amdhsa_exception_fp_ieee_invalid_op 0
		.amdhsa_exception_fp_denorm_src 0
		.amdhsa_exception_fp_ieee_div_zero 0
		.amdhsa_exception_fp_ieee_overflow 0
		.amdhsa_exception_fp_ieee_underflow 0
		.amdhsa_exception_fp_ieee_inexact 0
		.amdhsa_exception_int_div_zero 0
	.end_amdhsa_kernel
	.section	.text._Z19_skinny_gemm_kernelILi4ELi1ELi1ELi16ELi4EEvPKhS1_P6__halfPKfiiiiiiii,"axG",@progbits,_Z19_skinny_gemm_kernelILi4ELi1ELi1ELi16ELi4EEvPKhS1_P6__halfPKfiiiiiiii,comdat
.Lfunc_end314:
	.size	_Z19_skinny_gemm_kernelILi4ELi1ELi1ELi16ELi4EEvPKhS1_P6__halfPKfiiiiiiii, .Lfunc_end314-_Z19_skinny_gemm_kernelILi4ELi1ELi1ELi16ELi4EEvPKhS1_P6__halfPKfiiiiiiii
                                        ; -- End function
	.set _Z19_skinny_gemm_kernelILi4ELi1ELi1ELi16ELi4EEvPKhS1_P6__halfPKfiiiiiiii.num_vgpr, 61
	.set _Z19_skinny_gemm_kernelILi4ELi1ELi1ELi16ELi4EEvPKhS1_P6__halfPKfiiiiiiii.num_agpr, 0
	.set _Z19_skinny_gemm_kernelILi4ELi1ELi1ELi16ELi4EEvPKhS1_P6__halfPKfiiiiiiii.numbered_sgpr, 56
	.set _Z19_skinny_gemm_kernelILi4ELi1ELi1ELi16ELi4EEvPKhS1_P6__halfPKfiiiiiiii.num_named_barrier, 0
	.set _Z19_skinny_gemm_kernelILi4ELi1ELi1ELi16ELi4EEvPKhS1_P6__halfPKfiiiiiiii.private_seg_size, 0
	.set _Z19_skinny_gemm_kernelILi4ELi1ELi1ELi16ELi4EEvPKhS1_P6__halfPKfiiiiiiii.uses_vcc, 1
	.set _Z19_skinny_gemm_kernelILi4ELi1ELi1ELi16ELi4EEvPKhS1_P6__halfPKfiiiiiiii.uses_flat_scratch, 0
	.set _Z19_skinny_gemm_kernelILi4ELi1ELi1ELi16ELi4EEvPKhS1_P6__halfPKfiiiiiiii.has_dyn_sized_stack, 0
	.set _Z19_skinny_gemm_kernelILi4ELi1ELi1ELi16ELi4EEvPKhS1_P6__halfPKfiiiiiiii.has_recursion, 0
	.set _Z19_skinny_gemm_kernelILi4ELi1ELi1ELi16ELi4EEvPKhS1_P6__halfPKfiiiiiiii.has_indirect_call, 0
	.section	.AMDGPU.csdata,"",@progbits
; Kernel info:
; codeLenInByte = 4336
; TotalNumSgprs: 62
; NumVgprs: 61
; NumAgprs: 0
; TotalNumVgprs: 61
; ScratchSize: 0
; MemoryBound: 0
; FloatMode: 240
; IeeeMode: 1
; LDSByteSize: 10260 bytes/workgroup (compile time only)
; SGPRBlocks: 7
; VGPRBlocks: 7
; NumSGPRsForWavesPerEU: 62
; NumVGPRsForWavesPerEU: 61
; AccumOffset: 64
; Occupancy: 8
; WaveLimiterHint : 0
; COMPUTE_PGM_RSRC2:SCRATCH_EN: 0
; COMPUTE_PGM_RSRC2:USER_SGPR: 2
; COMPUTE_PGM_RSRC2:TRAP_HANDLER: 0
; COMPUTE_PGM_RSRC2:TGID_X_EN: 1
; COMPUTE_PGM_RSRC2:TGID_Y_EN: 0
; COMPUTE_PGM_RSRC2:TGID_Z_EN: 0
; COMPUTE_PGM_RSRC2:TIDIG_COMP_CNT: 0
; COMPUTE_PGM_RSRC3_GFX90A:ACCUM_OFFSET: 15
; COMPUTE_PGM_RSRC3_GFX90A:TG_SPLIT: 0
	.section	.text._Z19_skinny_gemm_kernelILi4ELi1ELi1ELi16ELi8EEvPKhS1_P6__halfPKfiiiiiiii,"axG",@progbits,_Z19_skinny_gemm_kernelILi4ELi1ELi1ELi16ELi8EEvPKhS1_P6__halfPKfiiiiiiii,comdat
	.protected	_Z19_skinny_gemm_kernelILi4ELi1ELi1ELi16ELi8EEvPKhS1_P6__halfPKfiiiiiiii ; -- Begin function _Z19_skinny_gemm_kernelILi4ELi1ELi1ELi16ELi8EEvPKhS1_P6__halfPKfiiiiiiii
	.globl	_Z19_skinny_gemm_kernelILi4ELi1ELi1ELi16ELi8EEvPKhS1_P6__halfPKfiiiiiiii
	.p2align	8
	.type	_Z19_skinny_gemm_kernelILi4ELi1ELi1ELi16ELi8EEvPKhS1_P6__halfPKfiiiiiiii,@function
_Z19_skinny_gemm_kernelILi4ELi1ELi1ELi16ELi8EEvPKhS1_P6__halfPKfiiiiiiii: ; @_Z19_skinny_gemm_kernelILi4ELi1ELi1ELi16ELi8EEvPKhS1_P6__halfPKfiiiiiiii
; %bb.0:
	v_cmp_gt_u32_e32 vcc, 5, v0
	v_lshlrev_b32_e32 v1, 2, v0
	s_and_saveexec_b64 s[4:5], vcc
; %bb.1:
	v_mov_b32_e32 v2, 0
	ds_write_b32 v1, v2 offset:20480
; %bb.2:
	s_or_b64 exec, exec, s[4:5]
	s_load_dwordx8 s[12:19], s[0:1], 0x20
	s_waitcnt lgkmcnt(0)
	s_barrier
	s_add_i32 s3, s12, 63
	s_ashr_i32 s5, s3, 31
	s_add_i32 s4, s13, 15
	s_lshr_b32 s5, s5, 26
	s_ashr_i32 s6, s4, 31
	s_add_i32 s3, s3, s5
	s_ashr_i32 s33, s3, 6
	s_lshr_b32 s3, s6, 28
	s_add_i32 s4, s4, s3
	s_ashr_i32 s42, s4, 4
	s_mul_i32 s3, s42, s33
	s_mul_i32 s3, s3, s16
	s_add_i32 s4, s3, 0x12f
	s_mul_hi_i32 s4, s4, 0x6bca1af3
	s_lshr_b32 s5, s4, 31
	s_ashr_i32 s4, s4, 7
	s_add_i32 s4, s4, s5
	s_add_i32 s5, s2, 1
	s_mul_i32 s5, s4, s5
	v_cvt_f64_i32_e32 v[2:3], s3
	v_cvt_f64_u32_e32 v[4:5], s5
	v_min_f64 v[2:3], v[2:3], v[4:5]
	v_cvt_i32_f64_e32 v17, v[2:3]
	s_mul_i32 s43, s4, s2
	v_cmp_ge_i32_e32 vcc, s43, v17
	s_cbranch_vccnz .LBB315_57
; %bb.3:
	v_lshrrev_b32_e32 v2, 6, v0
	s_add_i32 s4, s18, s17
	s_load_dwordx8 s[20:27], s[0:1], 0x0
	v_cmp_le_i32_e64 s[0:1], s4, v2
	v_mov_b32_e32 v3, s17
	v_cmp_le_i32_e64 s[2:3], s17, v2
	v_mov_b32_e32 v4, s18
	v_cndmask_b32_e64 v4, 0, v4, s[0:1]
	v_cndmask_b32_e64 v3, 0, v3, s[2:3]
	s_abs_i32 s5, s16
	v_add_u32_e32 v3, v3, v4
	v_cvt_f32_u32_e32 v4, s5
	v_sub_u32_e32 v32, v2, v3
	s_ashr_i32 s6, s14, 31
	s_lshr_b32 s6, s6, 24
	v_rcp_iflag_f32_e32 v3, v4
	s_sub_i32 s9, 0, s5
	s_add_i32 s6, s14, s6
	s_ashr_i32 s6, s6, 8
	v_mul_f32_e32 v3, 0x4f7ffffe, v3
	v_cvt_u32_f32_e32 v3, v3
	s_abs_i32 s8, s6
	s_xor_b32 s7, s6, s16
	s_ashr_i32 s7, s7, 31
	v_readfirstlane_b32 s10, v3
	s_mul_i32 s9, s9, s10
	s_mul_hi_u32 s9, s10, s9
	s_add_i32 s10, s10, s9
	s_mul_hi_u32 s9, s8, s10
	s_mul_i32 s10, s9, s5
	s_sub_i32 s8, s8, s10
	s_add_i32 s10, s9, 1
	s_sub_i32 s11, s8, s5
	s_cmp_ge_u32 s8, s5
	s_cselect_b32 s9, s10, s9
	s_cselect_b32 s8, s11, s8
	s_add_i32 s10, s9, 1
	s_cmp_ge_u32 s8, s5
	s_cselect_b32 s5, s10, s9
	s_xor_b32 s5, s5, s7
	s_sub_i32 s44, s5, s7
	s_add_i32 s16, s16, -1
	s_mul_i32 s5, s44, s16
	s_add_i32 s4, s4, s19
	s_sub_i32 s45, s6, s5
	v_cmp_gt_i32_e64 s[4:5], s4, v2
	v_lshlrev_b32_e32 v2, 1, v0
	v_lshlrev_b32_e32 v3, 4, v0
	v_and_b32_e32 v1, 60, v1
	v_and_b32_e32 v2, 64, v2
	v_and_b32_e32 v4, 0x100, v3
	v_or3_b32 v47, v1, v2, v4
	v_and_b32_e32 v1, 1, v0
	v_lshrrev_b32_e32 v4, 2, v0
	s_abs_i32 s46, s33
	v_and_or_b32 v50, v4, 12, v1
	v_cvt_f32_u32_e32 v4, s46
	v_lshlrev_b32_e32 v2, 1, v1
	v_and_b32_e32 v16, 14, v0
	v_sub_u32_e32 v2, v0, v2
	v_bitop3_b32 v48, v0, 1, v0 bitop3:0xc
	v_bitop3_b32 v49, v0, 3, 1 bitop3:0x6c
	v_and_b32_e32 v26, 48, v3
	v_bfe_u32 v52, v0, 2, 4
	v_and_b32_e32 v1, 60, v0
	v_lshlrev_b32_e32 v3, 8, v0
	v_lshlrev_b32_e32 v0, 6, v0
	v_and_b32_e32 v3, 0x200, v3
	v_and_b32_e32 v0, 64, v0
	v_rcp_iflag_f32_e32 v4, v4
	s_abs_i32 s47, s42
	v_or3_b32 v53, v1, v3, v0
	v_cvt_f32_u32_e32 v1, s47
	v_mul_f32_e32 v0, 0x4f7ffffe, v4
	v_cvt_u32_f32_e32 v0, v0
	v_mad_u64_u32 v[18:19], s[6:7], s13, v50, v[16:17]
	v_rcp_iflag_f32_e32 v1, v1
	s_lshl_b32 s6, s13, 4
	v_add_u32_e32 v20, s6, v18
	v_readfirstlane_b32 s7, v0
	v_mul_f32_e32 v0, 0x4f7ffffe, v1
	v_add_u32_e32 v22, s6, v20
	v_cvt_u32_f32_e32 v0, v0
	v_add_u32_e32 v24, s6, v22
	s_sub_i32 s6, 0, s46
	s_mul_i32 s6, s6, s7
	s_mul_hi_u32 s6, s7, s6
	v_add_u32_e32 v2, 1, v2
	s_add_i32 s49, s7, s6
	s_sub_i32 s6, 0, s47
	v_readfirstlane_b32 s7, v0
	v_mbcnt_lo_u32_b32 v0, -1, 0
	v_and_b32_e32 v2, 63, v2
	s_mul_i32 s6, s6, s7
	v_mbcnt_hi_u32_b32 v0, -1, v0
	v_mul_lo_u32 v28, s15, v52
	s_mul_hi_u32 s6, s7, s6
	v_and_or_b32 v0, v0, 64, v2
	v_cndmask_b32_e64 v46, 0, 1, s[0:1]
	s_ashr_i32 s11, s13, 31
	s_mov_b32 s10, s13
	v_ashrrev_i32_e32 v19, 31, v18
	v_ashrrev_i32_e32 v21, 31, v20
	;; [unrolled: 1-line block ×3, first 2 shown]
	v_or_b32_e32 v51, 48, v50
	v_ashrrev_i32_e32 v25, 31, v24
	v_ashrrev_i32_e32 v29, 31, v28
	v_mov_b32_e32 v27, 0
	v_or_b32_e32 v54, 0x4000, v53
	v_mul_lo_u32 v55, s14, v52
	s_ashr_i32 s48, s33, 31
	s_ashr_i32 s50, s42, 31
	s_add_i32 s51, s7, s6
	v_lshlrev_b32_e32 v56, 2, v0
	v_mov_b32_e32 v57, v32
	s_branch .LBB315_7
.LBB315_4:                              ;   in Loop: Header=BB315_7 Depth=1
	s_or_b64 exec, exec, s[28:29]
.LBB315_5:                              ;   in Loop: Header=BB315_7 Depth=1
	s_or_b64 exec, exec, s[8:9]
	v_subrev_u32_e32 v57, s36, v57
.LBB315_6:                              ;   in Loop: Header=BB315_7 Depth=1
	s_or_b64 exec, exec, s[6:7]
	s_add_i32 s43, s43, 1
	v_cmp_ge_i32_e32 vcc, s43, v17
	s_cbranch_vccnz .LBB315_57
.LBB315_7:                              ; =>This Loop Header: Depth=1
                                        ;     Child Loop BB315_13 Depth 2
                                        ;       Child Loop BB315_15 Depth 3
                                        ;       Child Loop BB315_18 Depth 3
	;; [unrolled: 1-line block ×5, first 2 shown]
                                        ;     Child Loop BB315_44 Depth 2
                                        ;       Child Loop BB315_46 Depth 3
                                        ;     Child Loop BB315_54 Depth 2
                                        ;       Child Loop BB315_56 Depth 3
	s_abs_i32 s7, s43
	s_mul_hi_u32 s8, s7, s49
	s_mul_i32 s9, s8, s46
	s_ashr_i32 s6, s43, 31
	s_sub_i32 s7, s7, s9
	s_xor_b32 s6, s6, s48
	s_add_i32 s9, s8, 1
	s_sub_i32 s28, s7, s46
	s_cmp_ge_u32 s7, s46
	s_cselect_b32 s8, s9, s8
	s_cselect_b32 s7, s28, s7
	s_add_i32 s9, s8, 1
	s_cmp_ge_u32 s7, s46
	s_cselect_b32 s7, s9, s8
	s_xor_b32 s7, s7, s6
	s_sub_i32 s6, s7, s6
	s_abs_i32 s8, s6
	s_mul_i32 s7, s6, s33
	s_mul_hi_u32 s9, s8, s51
	s_sub_i32 s7, s43, s7
	s_mul_i32 s28, s9, s47
	s_lshl_b32 s52, s7, 6
	s_ashr_i32 s7, s6, 31
	s_sub_i32 s8, s8, s28
	s_xor_b32 s7, s7, s50
	s_add_i32 s28, s9, 1
	s_sub_i32 s29, s8, s47
	s_cmp_ge_u32 s8, s47
	s_cselect_b32 s9, s28, s9
	s_cselect_b32 s8, s29, s8
	s_add_i32 s28, s9, 1
	s_cmp_ge_u32 s8, s47
	s_cselect_b32 s8, s28, s9
	s_xor_b32 s8, s8, s7
	s_sub_i32 s7, s8, s7
	s_mul_i32 s8, s7, s44
	s_lshl_b32 s53, s8, 8
	s_cmp_eq_u32 s7, s16
	s_cselect_b32 s55, s45, s44
	s_sub_i32 s8, s52, s12
	s_add_i32 s8, s8, 64
	s_max_i32 s54, s8, 0
	s_and_saveexec_b64 s[8:9], s[2:3]
	s_xor_b64 s[28:29], exec, s[8:9]
	s_cbranch_execz .LBB315_50
; %bb.8:                                ;   in Loop: Header=BB315_7 Depth=1
	s_mul_i32 s7, s7, s42
	s_sub_i32 s6, s6, s7
	s_lshl_b32 s6, s6, 4
	s_sub_i32 s31, s6, s13
	s_add_i32 s31, s31, 16
	s_max_i32 s7, s31, 0
	s_sub_i32 s30, s6, s7
	s_and_saveexec_b64 s[6:7], s[0:1]
	s_xor_b64 s[34:35], exec, s[6:7]
	s_cbranch_execz .LBB315_40
; %bb.9:                                ;   in Loop: Header=BB315_7 Depth=1
	s_and_saveexec_b64 s[36:37], s[4:5]
	s_cbranch_execz .LBB315_39
; %bb.10:                               ;   in Loop: Header=BB315_7 Depth=1
	s_waitcnt lgkmcnt(0)
	global_load_dword v58, v27, s[26:27]
	v_mov_b32_e32 v15, 0
	v_cmp_gt_i32_e32 vcc, s55, v57
	v_mov_b32_e32 v14, v15
	v_mov_b32_e32 v13, v15
	;; [unrolled: 1-line block ×15, first 2 shown]
	s_and_saveexec_b64 s[6:7], vcc
	s_cbranch_execz .LBB315_29
; %bb.11:                               ;   in Loop: Header=BB315_7 Depth=1
	v_mov_b32_e32 v0, 0
	s_mov_b64 s[8:9], 0
	v_mov_b32_e32 v1, v0
	v_mov_b32_e32 v2, v0
	;; [unrolled: 1-line block ×15, first 2 shown]
	s_branch .LBB315_13
.LBB315_12:                             ;   in Loop: Header=BB315_13 Depth=2
	s_or_b64 exec, exec, s[38:39]
	v_add_u32_e32 v63, 0x3000, v62
	ds_read2_b32 v[64:65], v63 offset1:32
	ds_read2_b32 v[66:67], v63 offset0:128 offset1:160
	v_add_u32_e32 v63, 0x3400, v62
	v_add_u32_e32 v57, s19, v57
	v_cmp_le_i32_e32 vcc, s55, v57
	s_waitcnt lgkmcnt(1)
	v_mfma_f32_16x16x32_fp8_fp8 v[0:3], v[64:65], v[32:33], v[0:3]
	ds_read2_b32 v[32:33], v63 offset1:32
	s_or_b64 s[8:9], vcc, s[8:9]
	s_waitcnt lgkmcnt(1)
	v_mfma_f32_16x16x32_fp8_fp8 v[0:3], v[66:67], v[34:35], v[0:3]
	ds_read2_b32 v[34:35], v63 offset0:128 offset1:160
	v_add_u32_e32 v63, 0x3800, v62
	s_waitcnt lgkmcnt(1)
	v_mfma_f32_16x16x32_fp8_fp8 v[0:3], v[32:33], v[38:39], v[0:3]
	ds_read2_b32 v[32:33], v63 offset1:32
	s_waitcnt lgkmcnt(1)
	v_mfma_f32_16x16x32_fp8_fp8 v[0:3], v[34:35], v[40:41], v[0:3]
	ds_read2_b32 v[34:35], v63 offset0:128 offset1:160
	v_add_u32_e32 v40, 0x3c00, v62
	ds_read2_b32 v[38:39], v40 offset1:32
	s_waitcnt lgkmcnt(2)
	v_mfma_f32_16x16x32_fp8_fp8 v[0:3], v[32:33], v[42:43], v[0:3]
	v_add_u32_e32 v32, s19, v59
	v_add_u32_e32 v33, 2, v46
	v_cmp_lt_i32_e32 vcc, 0, v32
	s_waitcnt lgkmcnt(1)
	v_mfma_f32_16x16x32_fp8_fp8 v[0:3], v[34:35], v[44:45], v[0:3]
	ds_read2_b32 v[34:35], v40 offset0:128 offset1:160
	v_cndmask_b32_e32 v46, v46, v33, vcc
	;;#ASMSTART
	s_waitcnt lgkmcnt(0)
	;;#ASMEND
	s_waitcnt lgkmcnt(1)
	v_mfma_f32_16x16x32_fp8_fp8 v[0:3], v[38:39], v[36:37], v[0:3]
	ds_write_b32 v61, v60 offset:20492
	s_waitcnt lgkmcnt(1)
	v_mfma_f32_16x16x32_fp8_fp8 v[0:3], v[34:35], v[30:31], v[0:3]
	s_andn2_b64 exec, exec, s[8:9]
	s_cbranch_execz .LBB315_28
.LBB315_13:                             ;   Parent Loop BB315_7 Depth=1
                                        ; =>  This Loop Header: Depth=2
                                        ;       Child Loop BB315_15 Depth 3
                                        ;       Child Loop BB315_18 Depth 3
	;; [unrolled: 1-line block ×5, first 2 shown]
	v_cmp_lt_i32_e32 vcc, 0, v32
	s_nop 1
	v_subbrev_co_u32_e32 v59, vcc, 0, v32, vcc
	v_lshlrev_b32_e32 v30, 2, v59
	ds_read_b32 v31, v30 offset:20496
	v_add_u32_e32 v61, 0x5000, v30
	s_waitcnt lgkmcnt(0)
	v_cmp_ne_u32_e32 vcc, v31, v46
	s_and_saveexec_b64 s[38:39], vcc
	s_cbranch_execz .LBB315_16
; %bb.14:                               ;   in Loop: Header=BB315_13 Depth=2
	s_mov_b64 s[40:41], 0
.LBB315_15:                             ;   Parent Loop BB315_7 Depth=1
                                        ;     Parent Loop BB315_13 Depth=2
                                        ; =>    This Inner Loop Header: Depth=3
	;;#ASMSTART
	s_sleep 0
	;;#ASMEND
	ds_read_b32 v30, v61 offset:16
	s_waitcnt lgkmcnt(0)
	v_cmp_eq_u32_e32 vcc, v30, v46
	s_or_b64 s[40:41], vcc, s[40:41]
	s_andn2_b64 exec, exec, s[40:41]
	s_cbranch_execnz .LBB315_15
.LBB315_16:                             ;   in Loop: Header=BB315_13 Depth=2
	s_or_b64 exec, exec, s[38:39]
	v_or_b32_e32 v30, 0x4000, v47
	v_lshl_add_u32 v30, v59, 12, v30
	v_add_u32_e32 v31, 0x400, v30
	ds_read2_b32 v[32:33], v30 offset1:32
	ds_read2_b32 v[34:35], v30 offset0:128 offset1:160
	ds_read2_b32 v[38:39], v31 offset1:32
	ds_read2_b32 v[40:41], v31 offset0:128 offset1:160
	v_add_u32_e32 v31, 0x800, v30
	v_add_u32_e32 v30, 0xc00, v30
	;; [unrolled: 1-line block ×3, first 2 shown]
	ds_read2_b32 v[42:43], v31 offset1:32
	ds_read2_b32 v[44:45], v31 offset0:128 offset1:160
	ds_read2_b32 v[36:37], v30 offset1:32
	ds_read2_b32 v[30:31], v30 offset0:128 offset1:160
	;;#ASMSTART
	s_waitcnt lgkmcnt(0)
	;;#ASMEND
	ds_write_b32 v61, v60 offset:16
	v_lshlrev_b32_e32 v61, 4, v59
	ds_read_b32 v62, v61 offset:20480
	s_waitcnt lgkmcnt(0)
	v_cmp_ne_u32_e32 vcc, v62, v46
	s_and_saveexec_b64 s[38:39], vcc
	s_cbranch_execz .LBB315_19
; %bb.17:                               ;   in Loop: Header=BB315_13 Depth=2
	s_mov_b64 s[40:41], 0
.LBB315_18:                             ;   Parent Loop BB315_7 Depth=1
                                        ;     Parent Loop BB315_13 Depth=2
                                        ; =>    This Inner Loop Header: Depth=3
	;;#ASMSTART
	s_sleep 0
	;;#ASMEND
	ds_read_b32 v62, v61 offset:20480
	s_waitcnt lgkmcnt(0)
	v_cmp_eq_u32_e32 vcc, v62, v46
	s_or_b64 s[40:41], vcc, s[40:41]
	s_andn2_b64 exec, exec, s[40:41]
	s_cbranch_execnz .LBB315_18
.LBB315_19:                             ;   in Loop: Header=BB315_13 Depth=2
	s_or_b64 exec, exec, s[38:39]
	v_lshl_or_b32 v62, v59, 14, v47
	ds_read2_b32 v[64:65], v62 offset1:32
	ds_read2_b32 v[66:67], v62 offset0:128 offset1:160
	v_add_u32_e32 v63, 0x400, v62
	s_waitcnt lgkmcnt(1)
	v_mfma_f32_16x16x32_fp8_fp8 v[12:15], v[64:65], v[32:33], v[12:15]
	ds_read2_b32 v[64:65], v63 offset1:32
	s_waitcnt lgkmcnt(1)
	v_mfma_f32_16x16x32_fp8_fp8 v[12:15], v[66:67], v[34:35], v[12:15]
	ds_read2_b32 v[66:67], v63 offset0:128 offset1:160
	v_add_u32_e32 v63, 0x800, v62
	s_waitcnt lgkmcnt(1)
	v_mfma_f32_16x16x32_fp8_fp8 v[12:15], v[64:65], v[38:39], v[12:15]
	ds_read2_b32 v[64:65], v63 offset1:32
	s_waitcnt lgkmcnt(1)
	v_mfma_f32_16x16x32_fp8_fp8 v[12:15], v[66:67], v[40:41], v[12:15]
	;; [unrolled: 7-line block ×3, first 2 shown]
	ds_read2_b32 v[66:67], v63 offset0:128 offset1:160
	;;#ASMSTART
	s_waitcnt lgkmcnt(0)
	;;#ASMEND
	ds_read_b32 v63, v61 offset:20484
	s_waitcnt lgkmcnt(2)
	v_mfma_f32_16x16x32_fp8_fp8 v[12:15], v[64:65], v[36:37], v[12:15]
	ds_write_b32 v61, v60 offset:20480
	s_waitcnt lgkmcnt(1)
	v_cmp_ne_u32_e32 vcc, v63, v46
	v_mfma_f32_16x16x32_fp8_fp8 v[12:15], v[66:67], v[30:31], v[12:15]
	s_and_saveexec_b64 s[38:39], vcc
	s_cbranch_execz .LBB315_22
; %bb.20:                               ;   in Loop: Header=BB315_13 Depth=2
	s_mov_b64 s[40:41], 0
.LBB315_21:                             ;   Parent Loop BB315_7 Depth=1
                                        ;     Parent Loop BB315_13 Depth=2
                                        ; =>    This Inner Loop Header: Depth=3
	;;#ASMSTART
	s_sleep 0
	;;#ASMEND
	ds_read_b32 v63, v61 offset:20484
	s_waitcnt lgkmcnt(0)
	v_cmp_eq_u32_e32 vcc, v63, v46
	s_or_b64 s[40:41], vcc, s[40:41]
	s_andn2_b64 exec, exec, s[40:41]
	s_cbranch_execnz .LBB315_21
.LBB315_22:                             ;   in Loop: Header=BB315_13 Depth=2
	s_or_b64 exec, exec, s[38:39]
	v_add_u32_e32 v63, 0x1000, v62
	ds_read2_b32 v[64:65], v63 offset1:32
	ds_read2_b32 v[66:67], v63 offset0:128 offset1:160
	v_add_u32_e32 v63, 0x1400, v62
	s_waitcnt lgkmcnt(1)
	v_mfma_f32_16x16x32_fp8_fp8 v[8:11], v[64:65], v[32:33], v[8:11]
	ds_read2_b32 v[64:65], v63 offset1:32
	s_waitcnt lgkmcnt(1)
	v_mfma_f32_16x16x32_fp8_fp8 v[8:11], v[66:67], v[34:35], v[8:11]
	ds_read2_b32 v[66:67], v63 offset0:128 offset1:160
	v_add_u32_e32 v63, 0x1800, v62
	s_waitcnt lgkmcnt(1)
	v_mfma_f32_16x16x32_fp8_fp8 v[8:11], v[64:65], v[38:39], v[8:11]
	ds_read2_b32 v[64:65], v63 offset1:32
	s_waitcnt lgkmcnt(1)
	v_mfma_f32_16x16x32_fp8_fp8 v[8:11], v[66:67], v[40:41], v[8:11]
	;; [unrolled: 7-line block ×3, first 2 shown]
	ds_read2_b32 v[66:67], v63 offset0:128 offset1:160
	;;#ASMSTART
	s_waitcnt lgkmcnt(0)
	;;#ASMEND
	ds_read_b32 v63, v61 offset:20488
	s_waitcnt lgkmcnt(2)
	v_mfma_f32_16x16x32_fp8_fp8 v[8:11], v[64:65], v[36:37], v[8:11]
	ds_write_b32 v61, v60 offset:20484
	s_waitcnt lgkmcnt(1)
	v_cmp_ne_u32_e32 vcc, v63, v46
	v_mfma_f32_16x16x32_fp8_fp8 v[8:11], v[66:67], v[30:31], v[8:11]
	s_and_saveexec_b64 s[38:39], vcc
	s_cbranch_execz .LBB315_25
; %bb.23:                               ;   in Loop: Header=BB315_13 Depth=2
	s_mov_b64 s[40:41], 0
.LBB315_24:                             ;   Parent Loop BB315_7 Depth=1
                                        ;     Parent Loop BB315_13 Depth=2
                                        ; =>    This Inner Loop Header: Depth=3
	;;#ASMSTART
	s_sleep 0
	;;#ASMEND
	ds_read_b32 v63, v61 offset:20488
	s_waitcnt lgkmcnt(0)
	v_cmp_eq_u32_e32 vcc, v63, v46
	s_or_b64 s[40:41], vcc, s[40:41]
	s_andn2_b64 exec, exec, s[40:41]
	s_cbranch_execnz .LBB315_24
.LBB315_25:                             ;   in Loop: Header=BB315_13 Depth=2
	s_or_b64 exec, exec, s[38:39]
	v_add_u32_e32 v63, 0x2000, v62
	ds_read2_b32 v[64:65], v63 offset1:32
	ds_read2_b32 v[66:67], v63 offset0:128 offset1:160
	v_add_u32_e32 v63, 0x2400, v62
	s_waitcnt lgkmcnt(1)
	v_mfma_f32_16x16x32_fp8_fp8 v[4:7], v[64:65], v[32:33], v[4:7]
	ds_read2_b32 v[64:65], v63 offset1:32
	s_waitcnt lgkmcnt(1)
	v_mfma_f32_16x16x32_fp8_fp8 v[4:7], v[66:67], v[34:35], v[4:7]
	ds_read2_b32 v[66:67], v63 offset0:128 offset1:160
	v_add_u32_e32 v63, 0x2800, v62
	s_waitcnt lgkmcnt(1)
	v_mfma_f32_16x16x32_fp8_fp8 v[4:7], v[64:65], v[38:39], v[4:7]
	ds_read2_b32 v[64:65], v63 offset1:32
	s_waitcnt lgkmcnt(1)
	v_mfma_f32_16x16x32_fp8_fp8 v[4:7], v[66:67], v[40:41], v[4:7]
	;; [unrolled: 7-line block ×3, first 2 shown]
	ds_read2_b32 v[66:67], v63 offset0:128 offset1:160
	;;#ASMSTART
	s_waitcnt lgkmcnt(0)
	;;#ASMEND
	ds_read_b32 v63, v61 offset:20492
	s_waitcnt lgkmcnt(2)
	v_mfma_f32_16x16x32_fp8_fp8 v[4:7], v[64:65], v[36:37], v[4:7]
	ds_write_b32 v61, v60 offset:20488
	s_waitcnt lgkmcnt(1)
	v_cmp_ne_u32_e32 vcc, v63, v46
	v_mfma_f32_16x16x32_fp8_fp8 v[4:7], v[66:67], v[30:31], v[4:7]
	s_and_saveexec_b64 s[38:39], vcc
	s_cbranch_execz .LBB315_12
; %bb.26:                               ;   in Loop: Header=BB315_13 Depth=2
	s_mov_b64 s[40:41], 0
.LBB315_27:                             ;   Parent Loop BB315_7 Depth=1
                                        ;     Parent Loop BB315_13 Depth=2
                                        ; =>    This Inner Loop Header: Depth=3
	;;#ASMSTART
	s_sleep 0
	;;#ASMEND
	ds_read_b32 v63, v61 offset:20492
	s_waitcnt lgkmcnt(0)
	v_cmp_eq_u32_e32 vcc, v63, v46
	s_or_b64 s[40:41], vcc, s[40:41]
	s_andn2_b64 exec, exec, s[40:41]
	s_cbranch_execnz .LBB315_27
	s_branch .LBB315_12
.LBB315_28:                             ;   in Loop: Header=BB315_7 Depth=1
	s_or_b64 exec, exec, s[8:9]
.LBB315_29:                             ;   in Loop: Header=BB315_7 Depth=1
	s_or_b64 exec, exec, s[6:7]
	v_cmp_le_i32_e32 vcc, s31, v16
	v_cmp_eq_u32_e64 s[6:7], 3, v48
	s_waitcnt vmcnt(0)
	v_cndmask_b32_e32 v30, 0, v58, vcc
	v_pk_mul_f32 v[34:35], v[30:31], v[12:13] op_sel_hi:[0,1]
	v_cmp_eq_u32_e32 vcc, 1, v48
	v_pk_mul_f32 v[14:15], v[30:31], v[14:15] op_sel_hi:[0,1]
	v_add_u32_e32 v31, s54, v50
	v_cndmask_b32_e32 v12, v34, v35, vcc
	v_cmp_eq_u32_e32 vcc, 2, v48
	s_nop 1
	v_cndmask_b32_e32 v12, v12, v14, vcc
	v_cndmask_b32_e64 v12, v12, v15, s[6:7]
	ds_bpermute_b32 v13, v56, v12
	s_waitcnt lgkmcnt(0)
	v_cndmask_b32_e32 v14, v14, v13, vcc
	v_cmp_ne_u32_e32 vcc, 0, v48
	v_cndmask_b32_e64 v33, v15, v13, s[6:7]
	s_nop 0
	v_cndmask_b32_e32 v12, v35, v13, vcc
	v_cmp_eq_u32_e32 vcc, 0, v48
	s_nop 1
	v_cndmask_b32_e32 v13, v34, v13, vcc
	v_cmp_eq_u32_e32 vcc, 1, v49
	;; [unrolled: 3-line block ×4, first 2 shown]
	s_nop 1
	v_cndmask_b32_e32 v15, v15, v33, vcc
	ds_bpermute_b32 v15, v56, v15
	v_cmp_gt_u32_e32 vcc, 64, v31
	s_and_saveexec_b64 s[38:39], vcc
	s_cbranch_execz .LBB315_38
; %bb.30:                               ;   in Loop: Header=BB315_7 Depth=1
	v_cmp_eq_u32_e64 s[8:9], 1, v49
	v_cmp_eq_u32_e64 s[6:7], 3, v49
	v_cmp_eq_u32_e32 vcc, 2, v49
	s_waitcnt lgkmcnt(0)
	v_cndmask_b32_e64 v12, v12, v15, s[8:9]
	v_cmp_eq_u32_e64 s[8:9], 0, v49
	v_cvt_f16_f32_sdwa v35, v12 dst_sel:WORD_1 dst_unused:UNUSED_PAD src0_sel:DWORD
	s_nop 0
	v_cndmask_b32_e64 v13, v13, v15, s[8:9]
	s_mul_i32 s8, s52, s13
	s_ashr_i32 s9, s8, 31
	s_lshl_b64 s[8:9], s[8:9], 1
	s_add_u32 s40, s24, s8
	s_addc_u32 s41, s25, s9
	s_ashr_i32 s31, s30, 31
	s_lshl_b64 s[8:9], s[30:31], 1
	v_cvt_f16_f32_e32 v34, v13
	s_add_u32 s40, s40, s8
	s_addc_u32 s41, s41, s9
	v_lshl_add_u64 v[12:13], v[18:19], 1, s[40:41]
	v_cmp_gt_u32_e64 s[8:9], 62, v31
	v_or_b32_e32 v34, v35, v34
	;;#ASMSTART
	global_atomic_pk_add_f16 v[12:13], v34, off
	
	;;#ASMEND
	s_and_b64 exec, exec, s[8:9]
	s_cbranch_execz .LBB315_38
; %bb.31:                               ;   in Loop: Header=BB315_7 Depth=1
	v_mov_b32_e32 v31, v30
	v_mov_b32_e32 v34, v30
	;; [unrolled: 1-line block ×3, first 2 shown]
	v_cndmask_b32_e64 v33, v33, v15, s[6:7]
	v_pk_mul_f32 v[10:11], v[34:35], v[10:11]
	v_pk_mul_f32 v[34:35], v[30:31], v[8:9]
	v_cmp_eq_u32_e64 s[6:7], 1, v48
	v_cmp_eq_u32_e64 s[8:9], 3, v48
	v_cvt_f16_f32_sdwa v33, v33 dst_sel:WORD_1 dst_unused:UNUSED_PAD src0_sel:DWORD
	v_cndmask_b32_e64 v8, v34, v35, s[6:7]
	v_cmp_eq_u32_e64 s[6:7], 2, v48
	s_nop 1
	v_cndmask_b32_e64 v8, v8, v10, s[6:7]
	v_cndmask_b32_e64 v8, v8, v11, s[8:9]
	ds_bpermute_b32 v9, v56, v8
	v_cndmask_b32_e32 v8, v14, v15, vcc
	v_cmp_ne_u32_e32 vcc, 0, v48
	v_lshl_add_u64 v[14:15], s[10:11], 2, v[12:13]
	v_cvt_f16_f32_e32 v13, v8
	s_waitcnt lgkmcnt(0)
	v_cndmask_b32_e32 v8, v35, v9, vcc
	v_cmp_eq_u32_e32 vcc, 0, v48
	v_cndmask_b32_e64 v12, v11, v9, s[8:9]
	v_cndmask_b32_e64 v10, v10, v9, s[6:7]
	v_cndmask_b32_e32 v9, v34, v9, vcc
	v_cmp_eq_u32_e32 vcc, 1, v49
	v_or_b32_e32 v13, v33, v13
	;;#ASMSTART
	global_atomic_pk_add_f16 v[14:15], v13, off
	
	;;#ASMEND
	v_or_b32_e32 v13, 16, v50
	v_cndmask_b32_e32 v11, v9, v8, vcc
	v_cmp_eq_u32_e32 vcc, 2, v49
	v_add_u32_e32 v13, s54, v13
	s_nop 0
	v_cndmask_b32_e32 v11, v11, v10, vcc
	v_cmp_eq_u32_e32 vcc, 3, v49
	s_nop 1
	v_cndmask_b32_e32 v11, v11, v12, vcc
	ds_bpermute_b32 v11, v56, v11
	v_cmp_gt_u32_e32 vcc, 64, v13
	s_and_b64 exec, exec, vcc
	s_cbranch_execz .LBB315_38
; %bb.32:                               ;   in Loop: Header=BB315_7 Depth=1
	v_cmp_eq_u32_e32 vcc, 1, v49
	v_cmp_eq_u32_e64 s[6:7], 3, v49
	v_cmp_gt_u32_e64 s[8:9], 62, v13
	s_waitcnt lgkmcnt(0)
	v_cndmask_b32_e32 v8, v8, v11, vcc
	v_cmp_eq_u32_e32 vcc, 0, v49
	v_cvt_f16_f32_sdwa v15, v8 dst_sel:WORD_1 dst_unused:UNUSED_PAD src0_sel:DWORD
	s_nop 0
	v_cndmask_b32_e32 v9, v9, v11, vcc
	v_cvt_f16_f32_e32 v14, v9
	v_cmp_eq_u32_e32 vcc, 2, v49
	v_lshl_add_u64 v[8:9], v[20:21], 1, s[40:41]
	v_or_b32_e32 v14, v15, v14
	;;#ASMSTART
	global_atomic_pk_add_f16 v[8:9], v14, off
	
	;;#ASMEND
	s_and_b64 exec, exec, s[8:9]
	s_cbranch_execz .LBB315_38
; %bb.33:                               ;   in Loop: Header=BB315_7 Depth=1
	v_cndmask_b32_e64 v14, v12, v11, s[6:7]
	v_mov_b32_e32 v12, v30
	v_mov_b32_e32 v13, v30
	v_pk_mul_f32 v[6:7], v[12:13], v[6:7]
	v_pk_mul_f32 v[12:13], v[30:31], v[4:5]
	v_cmp_eq_u32_e64 s[6:7], 1, v48
	v_cmp_eq_u32_e64 s[8:9], 3, v48
	v_cvt_f16_f32_sdwa v14, v14 dst_sel:WORD_1 dst_unused:UNUSED_PAD src0_sel:DWORD
	v_cndmask_b32_e64 v4, v12, v13, s[6:7]
	v_cmp_eq_u32_e64 s[6:7], 2, v48
	s_nop 1
	v_cndmask_b32_e64 v4, v4, v6, s[6:7]
	v_cndmask_b32_e64 v4, v4, v7, s[8:9]
	ds_bpermute_b32 v5, v56, v4
	v_cndmask_b32_e32 v4, v10, v11, vcc
	v_cmp_ne_u32_e32 vcc, 0, v48
	v_lshl_add_u64 v[10:11], s[10:11], 2, v[8:9]
	v_cvt_f16_f32_e32 v9, v4
	s_waitcnt lgkmcnt(0)
	v_cndmask_b32_e32 v4, v13, v5, vcc
	v_cmp_eq_u32_e32 vcc, 0, v48
	v_cndmask_b32_e64 v8, v7, v5, s[8:9]
	v_cndmask_b32_e64 v6, v6, v5, s[6:7]
	v_cndmask_b32_e32 v5, v12, v5, vcc
	v_cmp_eq_u32_e32 vcc, 1, v49
	v_or_b32_e32 v9, v14, v9
	;;#ASMSTART
	global_atomic_pk_add_f16 v[10:11], v9, off
	
	;;#ASMEND
	v_or_b32_e32 v9, 32, v50
	v_cndmask_b32_e32 v7, v5, v4, vcc
	v_cmp_eq_u32_e32 vcc, 2, v49
	v_add_u32_e32 v9, s54, v9
	s_nop 0
	v_cndmask_b32_e32 v7, v7, v6, vcc
	v_cmp_eq_u32_e32 vcc, 3, v49
	s_nop 1
	v_cndmask_b32_e32 v7, v7, v8, vcc
	ds_bpermute_b32 v7, v56, v7
	v_cmp_gt_u32_e32 vcc, 64, v9
	s_and_b64 exec, exec, vcc
	s_cbranch_execz .LBB315_38
; %bb.34:                               ;   in Loop: Header=BB315_7 Depth=1
	v_cmp_eq_u32_e32 vcc, 1, v49
	v_cmp_eq_u32_e64 s[6:7], 3, v49
	v_cmp_gt_u32_e64 s[8:9], 62, v9
	s_waitcnt lgkmcnt(0)
	v_cndmask_b32_e32 v4, v4, v7, vcc
	v_cmp_eq_u32_e32 vcc, 0, v49
	v_cvt_f16_f32_sdwa v11, v4 dst_sel:WORD_1 dst_unused:UNUSED_PAD src0_sel:DWORD
	s_nop 0
	v_cndmask_b32_e32 v5, v5, v7, vcc
	v_cvt_f16_f32_e32 v10, v5
	v_cmp_eq_u32_e32 vcc, 2, v49
	v_lshl_add_u64 v[4:5], v[22:23], 1, s[40:41]
	v_or_b32_e32 v10, v11, v10
	;;#ASMSTART
	global_atomic_pk_add_f16 v[4:5], v10, off
	
	;;#ASMEND
	s_and_b64 exec, exec, s[8:9]
	s_cbranch_execz .LBB315_38
; %bb.35:                               ;   in Loop: Header=BB315_7 Depth=1
	v_cndmask_b32_e64 v12, v8, v7, s[6:7]
	v_mov_b32_e32 v8, v30
	v_mov_b32_e32 v9, v30
	v_pk_mul_f32 v[10:11], v[30:31], v[0:1]
	v_cmp_eq_u32_e64 s[6:7], 1, v48
	v_pk_mul_f32 v[8:9], v[8:9], v[2:3]
	v_cmp_eq_u32_e64 s[8:9], 3, v48
	v_cndmask_b32_e64 v0, v10, v11, s[6:7]
	v_cmp_eq_u32_e64 s[6:7], 2, v48
	v_cvt_f16_f32_sdwa v12, v12 dst_sel:WORD_1 dst_unused:UNUSED_PAD src0_sel:DWORD
	s_nop 0
	v_cndmask_b32_e64 v0, v0, v8, s[6:7]
	v_cndmask_b32_e64 v0, v0, v9, s[8:9]
	ds_bpermute_b32 v1, v56, v0
	v_cndmask_b32_e32 v0, v6, v7, vcc
	v_cmp_ne_u32_e32 vcc, 0, v48
	v_lshl_add_u64 v[6:7], s[10:11], 2, v[4:5]
	v_cvt_f16_f32_e32 v5, v0
	s_waitcnt lgkmcnt(0)
	v_cndmask_b32_e32 v0, v11, v1, vcc
	v_cmp_eq_u32_e32 vcc, 0, v48
	v_cndmask_b32_e64 v2, v9, v1, s[8:9]
	v_cndmask_b32_e64 v3, v8, v1, s[6:7]
	v_cndmask_b32_e32 v1, v10, v1, vcc
	v_cmp_eq_u32_e32 vcc, 1, v49
	v_or_b32_e32 v5, v12, v5
	;;#ASMSTART
	global_atomic_pk_add_f16 v[6:7], v5, off
	
	;;#ASMEND
	v_add_u32_e32 v5, s54, v51
	v_cndmask_b32_e32 v4, v1, v0, vcc
	v_cmp_eq_u32_e32 vcc, 2, v49
	s_nop 1
	v_cndmask_b32_e32 v4, v4, v3, vcc
	v_cmp_eq_u32_e32 vcc, 3, v49
	s_nop 1
	v_cndmask_b32_e32 v4, v4, v2, vcc
	ds_bpermute_b32 v4, v56, v4
	v_cmp_gt_u32_e32 vcc, 64, v5
	s_and_b64 exec, exec, vcc
	s_cbranch_execz .LBB315_38
; %bb.36:                               ;   in Loop: Header=BB315_7 Depth=1
	v_cmp_eq_u32_e32 vcc, 1, v49
	v_cmp_eq_u32_e64 s[6:7], 2, v49
	v_cmp_gt_u32_e64 s[8:9], 62, v5
	s_waitcnt lgkmcnt(0)
	v_cndmask_b32_e32 v0, v0, v4, vcc
	v_cmp_eq_u32_e32 vcc, 0, v49
	v_cvt_f16_f32_sdwa v7, v0 dst_sel:WORD_1 dst_unused:UNUSED_PAD src0_sel:DWORD
	s_nop 0
	v_cndmask_b32_e32 v1, v1, v4, vcc
	v_cvt_f16_f32_e32 v6, v1
	v_cmp_eq_u32_e32 vcc, 3, v49
	v_lshl_add_u64 v[0:1], v[24:25], 1, s[40:41]
	v_or_b32_e32 v6, v7, v6
	;;#ASMSTART
	global_atomic_pk_add_f16 v[0:1], v6, off
	
	;;#ASMEND
	s_and_b64 exec, exec, s[8:9]
	s_cbranch_execz .LBB315_38
; %bb.37:                               ;   in Loop: Header=BB315_7 Depth=1
	v_cndmask_b32_e32 v2, v2, v4, vcc
	v_cndmask_b32_e64 v3, v3, v4, s[6:7]
	v_cvt_f16_f32_sdwa v2, v2 dst_sel:WORD_1 dst_unused:UNUSED_PAD src0_sel:DWORD
	v_cvt_f16_f32_e32 v3, v3
	v_lshl_add_u64 v[0:1], s[10:11], 2, v[0:1]
	v_or_b32_e32 v2, v2, v3
	;;#ASMSTART
	global_atomic_pk_add_f16 v[0:1], v2, off
	
	;;#ASMEND
.LBB315_38:                             ;   in Loop: Header=BB315_7 Depth=1
	s_or_b64 exec, exec, s[38:39]
	v_subrev_u32_e32 v57, s55, v57
.LBB315_39:                             ;   in Loop: Header=BB315_7 Depth=1
	s_or_b64 exec, exec, s[36:37]
.LBB315_40:                             ;   in Loop: Header=BB315_7 Depth=1
	s_andn2_saveexec_b64 s[6:7], s[34:35]
	s_cbranch_execz .LBB315_49
; %bb.41:                               ;   in Loop: Header=BB315_7 Depth=1
	v_cmp_gt_i32_e32 vcc, s55, v57
	s_and_saveexec_b64 s[8:9], vcc
	s_cbranch_execz .LBB315_48
; %bb.42:                               ;   in Loop: Header=BB315_7 Depth=1
	s_mul_i32 s30, s30, s15
	s_ashr_i32 s31, s30, 31
	s_waitcnt lgkmcnt(0)
	s_add_u32 s30, s22, s30
	s_addc_u32 s31, s23, s31
	s_ashr_i32 s34, s53, 31
	s_add_u32 s30, s30, s53
	s_addc_u32 s31, s31, s34
	v_lshl_add_u64 v[0:1], s[30:31], 0, v[28:29]
	v_lshl_add_u64 v[30:31], v[0:1], 0, v[26:27]
	s_mov_b64 s[30:31], 0
	s_branch .LBB315_44
.LBB315_43:                             ;   in Loop: Header=BB315_44 Depth=2
	s_or_b64 exec, exec, s[34:35]
	v_lshl_add_u32 v34, v32, 12, v54
	;;#ASMSTART
	s_waitcnt vmcnt(3)
	;;#ASMEND
	ds_write2_b32 v34, v12, v13 offset1:32
	ds_write2_b32 v34, v14, v15 offset0:64 offset1:96
	v_add_u32_e32 v12, 0x400, v34
	;;#ASMSTART
	s_waitcnt vmcnt(2)
	;;#ASMEND
	ds_write2_b32 v12, v8, v9 offset1:32
	ds_write2_b32 v12, v10, v11 offset0:64 offset1:96
	v_add_u32_e32 v8, 0x800, v34
	;; [unrolled: 6-line block ×3, first 2 shown]
	v_add_u32_e32 v57, s18, v57
	;;#ASMSTART
	s_waitcnt vmcnt(0)
	;;#ASMEND
	ds_write2_b32 v4, v0, v1 offset1:32
	ds_write2_b32 v4, v2, v3 offset0:64 offset1:96
	v_add_u32_e32 v0, 1, v46
	v_add_u32_e32 v32, s18, v32
	v_cmp_le_i32_e32 vcc, s55, v57
	ds_write_b32 v33, v0 offset:16
	v_add_u32_e32 v0, 2, v46
	s_or_b64 s[30:31], vcc, s[30:31]
	v_cmp_lt_i32_e32 vcc, 0, v32
	s_nop 1
	v_cndmask_b32_e32 v46, v46, v0, vcc
	s_andn2_b64 exec, exec, s[30:31]
	s_cbranch_execz .LBB315_47
.LBB315_44:                             ;   Parent Loop BB315_7 Depth=1
                                        ; =>  This Loop Header: Depth=2
                                        ;       Child Loop BB315_46 Depth 3
	v_cmp_lt_i32_e32 vcc, 0, v32
	v_lshlrev_b32_e32 v0, 8, v57
	v_ashrrev_i32_e32 v1, 31, v0
	v_subbrev_co_u32_e32 v32, vcc, 0, v32, vcc
	v_lshl_add_u64 v[0:1], v[30:31], 0, v[0:1]
	v_lshlrev_b32_e32 v33, 2, v32
	;;#ASMSTART
	global_load_dwordx4 v[12:15], v[0:1], off offset:0    sc0 sc1 nt  
	global_load_dwordx4 v[8:11], v[0:1], off offset:64   sc0 sc1 nt  
	global_load_dwordx4 v[4:7], v[0:1], off offset:128  sc0 sc1 nt  
	global_load_dwordx4 v[0:3], v[0:1], off offset:192  sc0 sc1 nt  
	
	;;#ASMEND
	ds_read_b32 v34, v33 offset:20496
	v_add_u32_e32 v33, 0x5000, v33
	s_waitcnt lgkmcnt(0)
	v_cmp_ne_u32_e32 vcc, v34, v46
	s_and_saveexec_b64 s[34:35], vcc
	s_cbranch_execz .LBB315_43
; %bb.45:                               ;   in Loop: Header=BB315_44 Depth=2
	s_mov_b64 s[36:37], 0
.LBB315_46:                             ;   Parent Loop BB315_7 Depth=1
                                        ;     Parent Loop BB315_44 Depth=2
                                        ; =>    This Inner Loop Header: Depth=3
	;;#ASMSTART
	s_sleep 0
	;;#ASMEND
	ds_read_b32 v34, v33 offset:16
	s_waitcnt lgkmcnt(0)
	v_cmp_eq_u32_e32 vcc, v34, v46
	s_or_b64 s[36:37], vcc, s[36:37]
	s_andn2_b64 exec, exec, s[36:37]
	s_cbranch_execnz .LBB315_46
	s_branch .LBB315_43
.LBB315_47:                             ;   in Loop: Header=BB315_7 Depth=1
	s_or_b64 exec, exec, s[30:31]
.LBB315_48:                             ;   in Loop: Header=BB315_7 Depth=1
	s_or_b64 exec, exec, s[8:9]
	v_subrev_u32_e32 v57, s55, v57
.LBB315_49:                             ;   in Loop: Header=BB315_7 Depth=1
	s_or_b64 exec, exec, s[6:7]
.LBB315_50:                             ;   in Loop: Header=BB315_7 Depth=1
	s_andn2_saveexec_b64 s[6:7], s[28:29]
	s_cbranch_execz .LBB315_6
; %bb.51:                               ;   in Loop: Header=BB315_7 Depth=1
	s_lshl_b32 s36, s55, 2
	v_cmp_gt_i32_e32 vcc, s36, v57
	s_and_saveexec_b64 s[8:9], vcc
	s_cbranch_execz .LBB315_5
; %bb.52:                               ;   in Loop: Header=BB315_7 Depth=1
	s_mul_i32 s52, s52, s14
	s_ashr_i32 s28, s52, 31
	s_waitcnt lgkmcnt(0)
	s_add_u32 s29, s20, s52
	v_add_u32_e32 v2, s54, v52
	s_addc_u32 s30, s21, s28
	s_ashr_i32 s31, s53, 31
	v_cmp_gt_u32_e32 vcc, 64, v2
	s_add_u32 s28, s29, s53
	s_addc_u32 s29, s30, s31
	v_cndmask_b32_e32 v0, 0, v55, vcc
	v_ashrrev_i32_e32 v1, 31, v0
	v_lshl_add_u64 v[0:1], s[28:29], 0, v[0:1]
	v_lshl_add_u64 v[30:31], v[0:1], 0, v[26:27]
	v_sub_u32_e32 v33, 63, v2
	s_mov_b64 s[28:29], 0
	s_branch .LBB315_54
.LBB315_53:                             ;   in Loop: Header=BB315_54 Depth=2
	s_or_b64 exec, exec, s[30:31]
	v_lshl_or_b32 v35, v32, 12, v53
	;;#ASMSTART
	s_waitcnt vmcnt(3)
	;;#ASMEND
	ds_write2_b32 v35, v12, v13 offset1:32
	ds_write2_b32 v35, v14, v15 offset0:64 offset1:96
	v_add_u32_e32 v12, 0x400, v35
	;;#ASMSTART
	s_waitcnt vmcnt(2)
	;;#ASMEND
	ds_write2_b32 v12, v8, v9 offset1:32
	ds_write2_b32 v12, v10, v11 offset0:64 offset1:96
	v_add_u32_e32 v8, 0x800, v35
	;; [unrolled: 6-line block ×3, first 2 shown]
	v_add_u32_e32 v57, s17, v57
	;;#ASMSTART
	s_waitcnt vmcnt(0)
	;;#ASMEND
	ds_write2_b32 v4, v0, v1 offset1:32
	ds_write2_b32 v4, v2, v3 offset0:64 offset1:96
	v_add_u32_e32 v0, 1, v46
	v_add_u32_e32 v32, s17, v32
	v_cmp_le_i32_e32 vcc, s36, v57
	ds_write_b32 v34, v0
	v_add_u32_e32 v0, 2, v46
	s_or_b64 s[28:29], vcc, s[28:29]
	v_cmp_lt_i32_e32 vcc, 3, v32
	s_nop 1
	v_cndmask_b32_e32 v46, v46, v0, vcc
	s_andn2_b64 exec, exec, s[28:29]
	s_cbranch_execz .LBB315_4
.LBB315_54:                             ;   Parent Loop BB315_7 Depth=1
                                        ; =>  This Loop Header: Depth=2
                                        ;       Child Loop BB315_56 Depth 3
	v_cmp_gt_i32_e32 vcc, 4, v32
	s_nop 1
	v_cndmask_b32_e64 v0, -4, 0, vcc
	v_add_u32_e32 v32, v0, v32
	v_ashrrev_i32_e32 v0, 31, v57
	v_lshrrev_b32_e32 v0, 30, v0
	v_add_u32_e32 v0, v57, v0
	v_and_b32_e32 v1, 0xffffffc, v0
	v_sub_u32_e32 v1, v57, v1
	v_lshlrev_b32_e32 v1, 4, v1
	v_cmp_le_i32_e32 vcc, v1, v33
	v_lshlrev_b32_e32 v0, 6, v0
	v_and_b32_e32 v0, 0xffffff00, v0
	v_cndmask_b32_e32 v2, 0, v1, vcc
	v_ashrrev_i32_e32 v1, 31, v0
	v_mul_lo_u32 v2, v2, s14
	v_lshl_add_u64 v[0:1], v[30:31], 0, v[0:1]
	v_ashrrev_i32_e32 v3, 31, v2
	v_lshl_add_u64 v[0:1], v[0:1], 0, v[2:3]
	v_lshlrev_b32_e32 v34, 2, v32
	;;#ASMSTART
	global_load_dwordx4 v[12:15], v[0:1], off offset:0    
	global_load_dwordx4 v[8:11], v[0:1], off offset:64   
	;; [unrolled: 1-line block ×4, first 2 shown]
	
	;;#ASMEND
	ds_read_b32 v35, v34 offset:20480
	v_add_u32_e32 v34, 0x5000, v34
	s_waitcnt lgkmcnt(0)
	v_cmp_ne_u32_e32 vcc, v35, v46
	s_and_saveexec_b64 s[30:31], vcc
	s_cbranch_execz .LBB315_53
; %bb.55:                               ;   in Loop: Header=BB315_54 Depth=2
	s_mov_b64 s[34:35], 0
.LBB315_56:                             ;   Parent Loop BB315_7 Depth=1
                                        ;     Parent Loop BB315_54 Depth=2
                                        ; =>    This Inner Loop Header: Depth=3
	;;#ASMSTART
	s_sleep 0
	;;#ASMEND
	ds_read_b32 v35, v34
	s_waitcnt lgkmcnt(0)
	v_cmp_eq_u32_e32 vcc, v35, v46
	s_or_b64 s[34:35], vcc, s[34:35]
	s_andn2_b64 exec, exec, s[34:35]
	s_cbranch_execnz .LBB315_56
	s_branch .LBB315_53
.LBB315_57:
	s_endpgm
	.section	.rodata,"a",@progbits
	.p2align	6, 0x0
	.amdhsa_kernel _Z19_skinny_gemm_kernelILi4ELi1ELi1ELi16ELi8EEvPKhS1_P6__halfPKfiiiiiiii
		.amdhsa_group_segment_fixed_size 20500
		.amdhsa_private_segment_fixed_size 0
		.amdhsa_kernarg_size 64
		.amdhsa_user_sgpr_count 2
		.amdhsa_user_sgpr_dispatch_ptr 0
		.amdhsa_user_sgpr_queue_ptr 0
		.amdhsa_user_sgpr_kernarg_segment_ptr 1
		.amdhsa_user_sgpr_dispatch_id 0
		.amdhsa_user_sgpr_kernarg_preload_length 0
		.amdhsa_user_sgpr_kernarg_preload_offset 0
		.amdhsa_user_sgpr_private_segment_size 0
		.amdhsa_uses_dynamic_stack 0
		.amdhsa_enable_private_segment 0
		.amdhsa_system_sgpr_workgroup_id_x 1
		.amdhsa_system_sgpr_workgroup_id_y 0
		.amdhsa_system_sgpr_workgroup_id_z 0
		.amdhsa_system_sgpr_workgroup_info 0
		.amdhsa_system_vgpr_workitem_id 0
		.amdhsa_next_free_vgpr 68
		.amdhsa_next_free_sgpr 56
		.amdhsa_accum_offset 68
		.amdhsa_reserve_vcc 1
		.amdhsa_float_round_mode_32 0
		.amdhsa_float_round_mode_16_64 0
		.amdhsa_float_denorm_mode_32 3
		.amdhsa_float_denorm_mode_16_64 3
		.amdhsa_dx10_clamp 1
		.amdhsa_ieee_mode 1
		.amdhsa_fp16_overflow 0
		.amdhsa_tg_split 0
		.amdhsa_exception_fp_ieee_invalid_op 0
		.amdhsa_exception_fp_denorm_src 0
		.amdhsa_exception_fp_ieee_div_zero 0
		.amdhsa_exception_fp_ieee_overflow 0
		.amdhsa_exception_fp_ieee_underflow 0
		.amdhsa_exception_fp_ieee_inexact 0
		.amdhsa_exception_int_div_zero 0
	.end_amdhsa_kernel
	.section	.text._Z19_skinny_gemm_kernelILi4ELi1ELi1ELi16ELi8EEvPKhS1_P6__halfPKfiiiiiiii,"axG",@progbits,_Z19_skinny_gemm_kernelILi4ELi1ELi1ELi16ELi8EEvPKhS1_P6__halfPKfiiiiiiii,comdat
.Lfunc_end315:
	.size	_Z19_skinny_gemm_kernelILi4ELi1ELi1ELi16ELi8EEvPKhS1_P6__halfPKfiiiiiiii, .Lfunc_end315-_Z19_skinny_gemm_kernelILi4ELi1ELi1ELi16ELi8EEvPKhS1_P6__halfPKfiiiiiiii
                                        ; -- End function
	.set _Z19_skinny_gemm_kernelILi4ELi1ELi1ELi16ELi8EEvPKhS1_P6__halfPKfiiiiiiii.num_vgpr, 68
	.set _Z19_skinny_gemm_kernelILi4ELi1ELi1ELi16ELi8EEvPKhS1_P6__halfPKfiiiiiiii.num_agpr, 0
	.set _Z19_skinny_gemm_kernelILi4ELi1ELi1ELi16ELi8EEvPKhS1_P6__halfPKfiiiiiiii.numbered_sgpr, 56
	.set _Z19_skinny_gemm_kernelILi4ELi1ELi1ELi16ELi8EEvPKhS1_P6__halfPKfiiiiiiii.num_named_barrier, 0
	.set _Z19_skinny_gemm_kernelILi4ELi1ELi1ELi16ELi8EEvPKhS1_P6__halfPKfiiiiiiii.private_seg_size, 0
	.set _Z19_skinny_gemm_kernelILi4ELi1ELi1ELi16ELi8EEvPKhS1_P6__halfPKfiiiiiiii.uses_vcc, 1
	.set _Z19_skinny_gemm_kernelILi4ELi1ELi1ELi16ELi8EEvPKhS1_P6__halfPKfiiiiiiii.uses_flat_scratch, 0
	.set _Z19_skinny_gemm_kernelILi4ELi1ELi1ELi16ELi8EEvPKhS1_P6__halfPKfiiiiiiii.has_dyn_sized_stack, 0
	.set _Z19_skinny_gemm_kernelILi4ELi1ELi1ELi16ELi8EEvPKhS1_P6__halfPKfiiiiiiii.has_recursion, 0
	.set _Z19_skinny_gemm_kernelILi4ELi1ELi1ELi16ELi8EEvPKhS1_P6__halfPKfiiiiiiii.has_indirect_call, 0
	.section	.AMDGPU.csdata,"",@progbits
; Kernel info:
; codeLenInByte = 4988
; TotalNumSgprs: 62
; NumVgprs: 68
; NumAgprs: 0
; TotalNumVgprs: 68
; ScratchSize: 0
; MemoryBound: 0
; FloatMode: 240
; IeeeMode: 1
; LDSByteSize: 20500 bytes/workgroup (compile time only)
; SGPRBlocks: 7
; VGPRBlocks: 8
; NumSGPRsForWavesPerEU: 62
; NumVGPRsForWavesPerEU: 68
; AccumOffset: 68
; Occupancy: 7
; WaveLimiterHint : 0
; COMPUTE_PGM_RSRC2:SCRATCH_EN: 0
; COMPUTE_PGM_RSRC2:USER_SGPR: 2
; COMPUTE_PGM_RSRC2:TRAP_HANDLER: 0
; COMPUTE_PGM_RSRC2:TGID_X_EN: 1
; COMPUTE_PGM_RSRC2:TGID_Y_EN: 0
; COMPUTE_PGM_RSRC2:TGID_Z_EN: 0
; COMPUTE_PGM_RSRC2:TIDIG_COMP_CNT: 0
; COMPUTE_PGM_RSRC3_GFX90A:ACCUM_OFFSET: 16
; COMPUTE_PGM_RSRC3_GFX90A:TG_SPLIT: 0
	.section	.text._Z19_skinny_gemm_kernelILi4ELi1ELi1ELi32ELi4EEvPKhS1_P6__halfPKfiiiiiiii,"axG",@progbits,_Z19_skinny_gemm_kernelILi4ELi1ELi1ELi32ELi4EEvPKhS1_P6__halfPKfiiiiiiii,comdat
	.protected	_Z19_skinny_gemm_kernelILi4ELi1ELi1ELi32ELi4EEvPKhS1_P6__halfPKfiiiiiiii ; -- Begin function _Z19_skinny_gemm_kernelILi4ELi1ELi1ELi32ELi4EEvPKhS1_P6__halfPKfiiiiiiii
	.globl	_Z19_skinny_gemm_kernelILi4ELi1ELi1ELi32ELi4EEvPKhS1_P6__halfPKfiiiiiiii
	.p2align	8
	.type	_Z19_skinny_gemm_kernelILi4ELi1ELi1ELi32ELi4EEvPKhS1_P6__halfPKfiiiiiiii,@function
_Z19_skinny_gemm_kernelILi4ELi1ELi1ELi32ELi4EEvPKhS1_P6__halfPKfiiiiiiii: ; @_Z19_skinny_gemm_kernelILi4ELi1ELi1ELi32ELi4EEvPKhS1_P6__halfPKfiiiiiiii
; %bb.0:
	v_cmp_gt_u32_e32 vcc, 5, v0
	s_and_saveexec_b64 s[4:5], vcc
; %bb.1:
	v_lshlrev_b32_e32 v1, 2, v0
	v_mov_b32_e32 v2, 0
	ds_write_b32 v1, v2 offset:10240
; %bb.2:
	s_or_b64 exec, exec, s[4:5]
	s_load_dwordx8 s[36:43], s[0:1], 0x20
	s_waitcnt lgkmcnt(0)
	s_barrier
	s_add_i32 s3, s36, 0x7f
	s_ashr_i32 s5, s3, 31
	s_add_i32 s4, s37, 31
	s_lshr_b32 s5, s5, 25
	s_ashr_i32 s6, s4, 31
	s_add_i32 s3, s3, s5
	s_ashr_i32 s33, s3, 7
	s_lshr_b32 s3, s6, 27
	s_add_i32 s4, s4, s3
	s_ashr_i32 s62, s4, 5
	s_mul_i32 s3, s62, s33
	s_mul_i32 s3, s3, s40
	s_add_i32 s4, s3, 0x12f
	s_mul_hi_i32 s4, s4, 0x6bca1af3
	s_lshr_b32 s5, s4, 31
	s_ashr_i32 s4, s4, 7
	s_add_i32 s4, s4, s5
	s_add_i32 s5, s2, 1
	s_mul_i32 s5, s4, s5
	v_cvt_f64_i32_e32 v[2:3], s3
	v_cvt_f64_u32_e32 v[4:5], s5
	v_min_f64 v[2:3], v[2:3], v[4:5]
	v_cvt_i32_f64_e32 v46, v[2:3]
	s_mul_i32 s63, s4, s2
	v_cmp_ge_i32_e32 vcc, s63, v46
	s_cbranch_vccnz .LBB316_48
; %bb.3:
	v_lshrrev_b32_e32 v1, 6, v0
	s_add_i32 s4, s42, s41
	s_load_dwordx8 s[44:51], s[0:1], 0x0
	v_cmp_le_i32_e64 s[0:1], s4, v1
	v_mov_b32_e32 v2, s41
	v_cmp_le_i32_e64 s[2:3], s41, v1
	v_mov_b32_e32 v3, s42
	v_cndmask_b32_e64 v3, 0, v3, s[0:1]
	v_cndmask_b32_e64 v2, 0, v2, s[2:3]
	s_abs_i32 s5, s40
	v_add_u32_e32 v2, v2, v3
	v_cvt_f32_u32_e32 v3, s5
	v_sub_u32_e32 v40, v1, v2
	s_ashr_i32 s6, s38, 31
	s_lshr_b32 s6, s6, 26
	v_rcp_iflag_f32_e32 v2, v3
	s_sub_i32 s9, 0, s5
	s_add_i32 s6, s38, s6
	s_ashr_i32 s6, s6, 6
	v_mul_f32_e32 v2, 0x4f7ffffe, v2
	v_cvt_u32_f32_e32 v2, v2
	s_abs_i32 s8, s6
	s_xor_b32 s7, s6, s40
	s_ashr_i32 s7, s7, 31
	v_readfirstlane_b32 s10, v2
	s_mul_i32 s9, s9, s10
	s_mul_hi_u32 s9, s10, s9
	s_add_i32 s10, s10, s9
	s_mul_hi_u32 s9, s8, s10
	s_mul_i32 s10, s9, s5
	s_sub_i32 s8, s8, s10
	s_add_i32 s10, s9, 1
	s_sub_i32 s11, s8, s5
	s_cmp_ge_u32 s8, s5
	s_cselect_b32 s9, s10, s9
	s_cselect_b32 s8, s11, s8
	s_add_i32 s10, s9, 1
	s_cmp_ge_u32 s8, s5
	s_cselect_b32 s5, s10, s9
	s_xor_b32 s5, s5, s7
	s_sub_i32 s64, s5, s7
	s_add_i32 s40, s40, -1
	s_mul_i32 s5, s64, s40
	s_add_i32 s4, s4, s43
	v_and_b32_e32 v48, 31, v0
	v_lshrrev_b32_e32 v2, 3, v0
	s_sub_i32 s65, s6, s5
	v_cmp_gt_i32_e64 s[4:5], s4, v1
	v_lshlrev_b32_e32 v1, 2, v48
	v_and_b32_e32 v3, 4, v2
	v_and_b32_e32 v5, 1, v0
	v_lshlrev_b32_e32 v2, 6, v3
	v_or_b32_e32 v4, 0x2000, v1
	v_or_b32_e32 v3, v3, v5
	;; [unrolled: 1-line block ×4, first 2 shown]
	v_lshlrev_b32_e32 v2, 1, v5
	v_or_b32_e32 v5, 2, v3
	v_sub_u32_e32 v60, 32, v5
	v_or_b32_e32 v5, 8, v3
	v_sub_u32_e32 v61, 32, v5
	;; [unrolled: 2-line block ×5, first 2 shown]
	v_mul_lo_u32 v18, s37, v3
	v_sub_u32_e32 v64, 32, v5
	v_or_b32_e32 v5, 24, v3
	v_or_b32_e32 v3, 26, v3
	v_sub_u32_e32 v66, 32, v3
	v_lshrrev_b32_e32 v3, 1, v0
	s_abs_i32 s66, s33
	v_and_b32_e32 v34, 16, v3
	v_cvt_f32_u32_e32 v3, s66
	v_sub_u32_e32 v2, v0, v2
	v_add_u32_e32 v2, 1, v2
	v_and_b32_e32 v6, 63, v2
	v_bitop3_b32 v51, v0, 1, v0 bitop3:0xc
	v_bitop3_b32 v52, v0, 3, 1 bitop3:0x6c
	;; [unrolled: 1-line block ×8, first 2 shown]
	v_and_b32_e32 v2, 30, v0
	v_lshlrev_b32_e32 v0, 4, v0
	v_and_b32_e32 v0, 0x200, v0
	v_rcp_iflag_f32_e32 v3, v3
	s_abs_i32 s67, s62
	v_or_b32_e32 v69, v1, v0
	v_cvt_f32_u32_e32 v1, s67
	s_lshl_b32 s6, s37, 1
	v_add_u32_e32 v20, s6, v18
	s_mul_i32 s7, s37, 6
	v_or_b32_e32 v67, v4, v0
	v_mul_f32_e32 v0, 0x4f7ffffe, v3
	v_add_u32_e32 v22, s7, v20
	v_cvt_u32_f32_e32 v0, v0
	v_rcp_iflag_f32_e32 v1, v1
	v_add_u32_e32 v24, s6, v22
	v_add_u32_e32 v26, s7, v24
	;; [unrolled: 1-line block ×4, first 2 shown]
	v_readfirstlane_b32 s7, v0
	v_mul_f32_e32 v0, 0x4f7ffffe, v1
	v_cvt_u32_f32_e32 v0, v0
	v_add_u32_e32 v32, s6, v30
	s_sub_i32 s6, 0, s66
	s_mul_i32 s6, s6, s7
	s_mul_hi_u32 s6, s7, s6
	s_add_i32 s69, s7, s6
	s_sub_i32 s6, 0, s67
	v_readfirstlane_b32 s7, v0
	v_mbcnt_lo_u32_b32 v0, -1, 0
	s_mul_i32 s6, s6, s7
	v_mbcnt_hi_u32_b32 v0, -1, v0
	v_mov_b32_e32 v17, 0
	v_mul_lo_u32 v36, s39, v48
	s_mul_hi_u32 s6, s7, s6
	v_and_or_b32 v0, v0, 64, v6
	v_cndmask_b32_e64 v47, 0, 1, s[0:1]
	v_ashrrev_i32_e32 v19, 31, v18
	v_ashrrev_i32_e32 v21, 31, v20
	;; [unrolled: 1-line block ×6, first 2 shown]
	v_sub_u32_e32 v65, 32, v5
	v_ashrrev_i32_e32 v31, 31, v30
	v_ashrrev_i32_e32 v33, 31, v32
	;; [unrolled: 1-line block ×3, first 2 shown]
	v_mov_b32_e32 v35, v17
	v_mul_lo_u32 v68, s38, v48
	s_ashr_i32 s68, s33, 31
	s_ashr_i32 s70, s62, 31
	s_add_i32 s71, s7, s6
	s_movk_i32 s72, 0x80
	v_lshlrev_b32_e32 v16, 1, v2
	v_lshlrev_b32_e32 v70, 2, v0
	v_mov_b32_e32 v71, v40
	s_branch .LBB316_7
.LBB316_4:                              ;   in Loop: Header=BB316_7 Depth=1
	s_or_b64 exec, exec, s[10:11]
.LBB316_5:                              ;   in Loop: Header=BB316_7 Depth=1
	s_or_b64 exec, exec, s[8:9]
	v_subrev_u32_e32 v71, s16, v71
.LBB316_6:                              ;   in Loop: Header=BB316_7 Depth=1
	s_or_b64 exec, exec, s[6:7]
	s_add_i32 s63, s63, 1
	v_cmp_ge_i32_e32 vcc, s63, v46
	s_cbranch_vccnz .LBB316_48
.LBB316_7:                              ; =>This Loop Header: Depth=1
                                        ;     Child Loop BB316_13 Depth 2
                                        ;       Child Loop BB316_15 Depth 3
                                        ;       Child Loop BB316_18 Depth 3
                                        ;     Child Loop BB316_35 Depth 2
                                        ;       Child Loop BB316_37 Depth 3
                                        ;     Child Loop BB316_45 Depth 2
                                        ;       Child Loop BB316_47 Depth 3
	s_abs_i32 s7, s63
	s_mul_hi_u32 s8, s7, s69
	s_mul_i32 s9, s8, s66
	s_ashr_i32 s6, s63, 31
	s_sub_i32 s7, s7, s9
	s_xor_b32 s6, s6, s68
	s_add_i32 s9, s8, 1
	s_sub_i32 s10, s7, s66
	s_cmp_ge_u32 s7, s66
	s_cselect_b32 s8, s9, s8
	s_cselect_b32 s7, s10, s7
	s_add_i32 s9, s8, 1
	s_cmp_ge_u32 s7, s66
	s_cselect_b32 s7, s9, s8
	s_xor_b32 s7, s7, s6
	s_sub_i32 s6, s7, s6
	s_abs_i32 s8, s6
	s_mul_i32 s7, s6, s33
	s_mul_hi_u32 s9, s8, s71
	s_sub_i32 s7, s63, s7
	s_mul_i32 s10, s9, s67
	s_lshl_b32 s73, s7, 7
	s_ashr_i32 s7, s6, 31
	s_sub_i32 s8, s8, s10
	s_xor_b32 s7, s7, s70
	s_add_i32 s10, s9, 1
	s_sub_i32 s11, s8, s67
	s_cmp_ge_u32 s8, s67
	s_cselect_b32 s9, s10, s9
	s_cselect_b32 s8, s11, s8
	s_add_i32 s10, s9, 1
	s_cmp_ge_u32 s8, s67
	s_cselect_b32 s8, s10, s9
	s_xor_b32 s8, s8, s7
	s_sub_i32 s7, s8, s7
	s_mul_i32 s8, s7, s64
	s_lshl_b32 s74, s8, 6
	s_cmp_eq_u32 s7, s40
	s_cselect_b32 s76, s65, s64
	s_sub_i32 s75, s73, s36
	s_addk_i32 s75, 0x80
	s_and_saveexec_b64 s[8:9], s[2:3]
	s_xor_b64 s[52:53], exec, s[8:9]
	s_cbranch_execz .LBB316_41
; %bb.8:                                ;   in Loop: Header=BB316_7 Depth=1
	s_mul_i32 s7, s7, s62
	s_sub_i32 s6, s6, s7
	s_lshl_b32 s6, s6, 5
	s_sub_i32 s14, s6, s37
	s_add_i32 s14, s14, 32
	s_max_i32 s7, s14, 0
	s_sub_i32 s54, s6, s7
	s_and_saveexec_b64 s[6:7], s[0:1]
	s_xor_b64 s[56:57], exec, s[6:7]
	s_cbranch_execz .LBB316_31
; %bb.9:                                ;   in Loop: Header=BB316_7 Depth=1
	s_and_saveexec_b64 s[58:59], s[4:5]
	s_cbranch_execz .LBB316_30
; %bb.10:                               ;   in Loop: Header=BB316_7 Depth=1
	s_waitcnt lgkmcnt(0)
	global_load_dword v72, v17, s[50:51]
	v_mov_b32_e32 v15, 0
	v_cmp_gt_i32_e32 vcc, s76, v71
	v_mov_b32_e32 v14, v15
	v_mov_b32_e32 v13, v15
	;; [unrolled: 1-line block ×15, first 2 shown]
	s_and_saveexec_b64 s[6:7], vcc
	s_cbranch_execz .LBB316_20
; %bb.11:                               ;   in Loop: Header=BB316_7 Depth=1
	v_mov_b32_e32 v0, 0
	s_mov_b64 s[8:9], 0
	v_mov_b32_e32 v1, v0
	v_mov_b32_e32 v2, v0
	;; [unrolled: 1-line block ×15, first 2 shown]
	s_branch .LBB316_13
.LBB316_12:                             ;   in Loop: Header=BB316_13 Depth=2
	s_or_b64 exec, exec, s[10:11]
	v_add_u32_e32 v78, v50, v76
	ds_read2_b32 v[76:77], v78 offset1:32
	v_add_u32_e32 v71, s43, v71
	s_waitcnt lgkmcnt(0)
	v_mfma_f32_32x32x16_fp8_fp8 v[0:15], v[44:45], v[76:77], v[0:15]
	ds_read2_b32 v[44:45], v78 offset0:128 offset1:160
	s_waitcnt lgkmcnt(0)
	v_mfma_f32_32x32x16_fp8_fp8 v[0:15], v[42:43], v[44:45], v[0:15]
	v_add_u32_e32 v44, 0x400, v78
	ds_read2_b32 v[42:43], v44 offset1:32
	ds_read2_b32 v[44:45], v44 offset0:128 offset1:160
	ds_write_b32 v74, v75 offset:10244
	s_waitcnt lgkmcnt(2)
	v_mfma_f32_32x32x16_fp8_fp8 v[0:15], v[40:41], v[42:43], v[0:15]
	v_add_u32_e32 v40, s43, v73
	v_add_u32_e32 v41, 2, v47
	v_cmp_lt_i32_e32 vcc, 0, v40
	s_nop 1
	v_cndmask_b32_e32 v47, v47, v41, vcc
	v_cmp_le_i32_e32 vcc, s76, v71
	s_waitcnt lgkmcnt(1)
	v_mfma_f32_32x32x16_fp8_fp8 v[0:15], v[38:39], v[44:45], v[0:15]
	s_or_b64 s[8:9], vcc, s[8:9]
	s_andn2_b64 exec, exec, s[8:9]
	s_cbranch_execz .LBB316_19
.LBB316_13:                             ;   Parent Loop BB316_7 Depth=1
                                        ; =>  This Loop Header: Depth=2
                                        ;       Child Loop BB316_15 Depth 3
                                        ;       Child Loop BB316_18 Depth 3
	v_cmp_lt_i32_e32 vcc, 0, v40
	s_nop 1
	v_subbrev_co_u32_e32 v73, vcc, 0, v40, vcc
	v_lshlrev_b32_e32 v74, 3, v73
	ds_read_b32 v38, v74 offset:10240
	s_waitcnt lgkmcnt(0)
	v_cmp_ne_u32_e32 vcc, v38, v47
	s_and_saveexec_b64 s[10:11], vcc
	s_cbranch_execz .LBB316_16
; %bb.14:                               ;   in Loop: Header=BB316_13 Depth=2
	s_mov_b64 s[12:13], 0
.LBB316_15:                             ;   Parent Loop BB316_7 Depth=1
                                        ;     Parent Loop BB316_13 Depth=2
                                        ; =>    This Inner Loop Header: Depth=3
	;;#ASMSTART
	s_sleep 0
	;;#ASMEND
	ds_read_b32 v38, v74 offset:10240
	s_waitcnt lgkmcnt(0)
	v_cmp_eq_u32_e32 vcc, v38, v47
	s_or_b64 s[12:13], vcc, s[12:13]
	s_andn2_b64 exec, exec, s[12:13]
	s_cbranch_execnz .LBB316_15
.LBB316_16:                             ;   in Loop: Header=BB316_13 Depth=2
	s_or_b64 exec, exec, s[10:11]
	v_lshlrev_b32_e32 v76, 11, v73
	v_or_b32_e32 v38, v49, v76
	ds_read2_b32 v[44:45], v38 offset1:32
	ds_read2_b32 v[42:43], v38 offset0:128 offset1:160
	v_add_u32_e32 v38, 0x400, v38
	ds_read2_b32 v[40:41], v38 offset1:32
	ds_read_b32 v77, v74 offset:10244
	ds_read2_b32 v[38:39], v38 offset0:128 offset1:160
	v_add_u32_e32 v75, 1, v47
	ds_write_b32 v74, v75 offset:10240
	s_waitcnt lgkmcnt(2)
	v_cmp_ne_u32_e32 vcc, v77, v47
	s_and_saveexec_b64 s[10:11], vcc
	s_cbranch_execz .LBB316_12
; %bb.17:                               ;   in Loop: Header=BB316_13 Depth=2
	s_mov_b64 s[12:13], 0
.LBB316_18:                             ;   Parent Loop BB316_7 Depth=1
                                        ;     Parent Loop BB316_13 Depth=2
                                        ; =>    This Inner Loop Header: Depth=3
	;;#ASMSTART
	s_sleep 0
	;;#ASMEND
	ds_read_b32 v77, v74 offset:10244
	s_waitcnt lgkmcnt(0)
	v_cmp_eq_u32_e32 vcc, v77, v47
	s_or_b64 s[12:13], vcc, s[12:13]
	s_andn2_b64 exec, exec, s[12:13]
	s_cbranch_execnz .LBB316_18
	s_branch .LBB316_12
.LBB316_19:                             ;   in Loop: Header=BB316_7 Depth=1
	s_or_b64 exec, exec, s[8:9]
.LBB316_20:                             ;   in Loop: Header=BB316_7 Depth=1
	s_or_b64 exec, exec, s[6:7]
	v_cmp_le_i32_e32 vcc, s14, v48
	v_cmp_eq_u32_e64 s[6:7], 3, v51
	v_cmp_eq_u32_e64 s[8:9], 4, v51
	s_waitcnt vmcnt(0)
	v_cndmask_b32_e32 v38, 0, v72, vcc
	s_nop 1
	v_pk_mul_f32 v[0:1], v[38:39], v[0:1] op_sel_hi:[0,1]
	v_cmp_eq_u32_e32 vcc, 1, v51
	v_pk_mul_f32 v[14:15], v[38:39], v[14:15] op_sel_hi:[0,1]
	v_pk_mul_f32 v[12:13], v[38:39], v[12:13] op_sel_hi:[0,1]
	;; [unrolled: 1-line block ×7, first 2 shown]
	v_cndmask_b32_e32 v38, v0, v1, vcc
	v_cmp_eq_u32_e32 vcc, 2, v51
	v_cmp_eq_u32_e64 s[10:11], 5, v51
	v_cmp_eq_u32_e64 s[12:13], 6, v51
	v_cndmask_b32_e32 v38, v38, v2, vcc
	v_cndmask_b32_e64 v38, v38, v3, s[6:7]
	v_cndmask_b32_e64 v38, v38, v4, s[8:9]
	;; [unrolled: 1-line block ×4, first 2 shown]
	v_cmp_eq_u32_e64 s[14:15], 7, v51
	v_cmp_eq_u32_e64 s[16:17], 8, v51
	v_cmp_eq_u32_e64 s[18:19], 9, v51
	v_cndmask_b32_e64 v38, v38, v7, s[14:15]
	v_cndmask_b32_e64 v38, v38, v8, s[16:17]
	v_cndmask_b32_e64 v38, v38, v9, s[18:19]
	v_cmp_eq_u32_e64 s[20:21], 10, v51
	v_cmp_eq_u32_e64 s[22:23], 11, v51
	v_cmp_eq_u32_e64 s[24:25], 12, v51
	v_cndmask_b32_e64 v38, v38, v10, s[20:21]
	v_cndmask_b32_e64 v38, v38, v11, s[22:23]
	v_cndmask_b32_e64 v38, v38, v12, s[24:25]
	;; [unrolled: 6-line block ×3, first 2 shown]
	ds_bpermute_b32 v38, v70, v38
	v_cmp_eq_u32_e64 s[34:35], 15, v52
	s_waitcnt lgkmcnt(0)
	v_cndmask_b32_e32 v2, v2, v38, vcc
	v_cmp_ne_u32_e32 vcc, 0, v51
	v_cndmask_b32_e64 v15, v15, v38, s[30:31]
	v_cndmask_b32_e64 v14, v14, v38, s[28:29]
	v_cndmask_b32_e32 v1, v1, v38, vcc
	v_cmp_eq_u32_e32 vcc, 0, v51
	v_cndmask_b32_e64 v13, v13, v38, s[26:27]
	v_cndmask_b32_e64 v12, v12, v38, s[24:25]
	v_cndmask_b32_e32 v0, v0, v38, vcc
	v_cmp_eq_u32_e32 vcc, 1, v52
	v_cndmask_b32_e64 v11, v11, v38, s[22:23]
	v_cndmask_b32_e64 v10, v10, v38, s[20:21]
	;; [unrolled: 1-line block ×9, first 2 shown]
	v_cndmask_b32_e32 v38, v0, v1, vcc
	v_cmp_eq_u32_e64 s[6:7], 2, v52
	v_cmp_eq_u32_e64 s[8:9], 3, v52
	v_cmp_eq_u32_e64 s[10:11], 4, v52
	v_cndmask_b32_e64 v38, v38, v2, s[6:7]
	v_cndmask_b32_e64 v38, v38, v3, s[8:9]
	v_cndmask_b32_e64 v38, v38, v4, s[10:11]
	v_cmp_eq_u32_e64 s[12:13], 5, v52
	v_cmp_eq_u32_e64 s[14:15], 6, v52
	v_cmp_eq_u32_e64 s[16:17], 7, v52
	v_cndmask_b32_e64 v38, v38, v5, s[12:13]
	v_cndmask_b32_e64 v38, v38, v6, s[14:15]
	v_cndmask_b32_e64 v38, v38, v7, s[16:17]
	;; [unrolled: 6-line block ×4, first 2 shown]
	v_cmp_eq_u32_e64 s[30:31], 14, v52
	s_nop 1
	v_cndmask_b32_e64 v38, v38, v14, s[30:31]
	v_cndmask_b32_e64 v38, v38, v15, s[34:35]
	ds_bpermute_b32 v38, v70, v38
	s_waitcnt lgkmcnt(0)
	v_cndmask_b32_e32 v1, v1, v38, vcc
	v_cmp_eq_u32_e32 vcc, 0, v52
	v_cndmask_b32_e64 v15, v15, v38, s[34:35]
	v_cndmask_b32_e64 v14, v14, v38, s[30:31]
	v_cndmask_b32_e32 v0, v0, v38, vcc
	v_cmp_eq_u32_e32 vcc, 1, v53
	v_cndmask_b32_e64 v13, v13, v38, s[28:29]
	v_cndmask_b32_e64 v12, v12, v38, s[26:27]
	v_cndmask_b32_e64 v11, v11, v38, s[24:25]
	v_cndmask_b32_e64 v10, v10, v38, s[22:23]
	v_cndmask_b32_e64 v9, v9, v38, s[20:21]
	v_cndmask_b32_e64 v8, v8, v38, s[18:19]
	v_cndmask_b32_e64 v7, v7, v38, s[16:17]
	v_cndmask_b32_e64 v6, v6, v38, s[14:15]
	v_cndmask_b32_e64 v5, v5, v38, s[12:13]
	v_cndmask_b32_e64 v4, v4, v38, s[10:11]
	v_cndmask_b32_e64 v3, v3, v38, s[8:9]
	v_cndmask_b32_e64 v2, v2, v38, s[6:7]
	v_cndmask_b32_e32 v38, v0, v1, vcc
	v_cmp_eq_u32_e64 s[6:7], 2, v53
	v_cmp_eq_u32_e64 s[8:9], 3, v53
	v_cmp_eq_u32_e64 s[10:11], 4, v53
	v_cndmask_b32_e64 v38, v38, v2, s[6:7]
	v_cndmask_b32_e64 v38, v38, v3, s[8:9]
	v_cndmask_b32_e64 v38, v38, v4, s[10:11]
	v_cmp_eq_u32_e64 s[12:13], 5, v53
	v_cmp_eq_u32_e64 s[14:15], 6, v53
	v_cmp_eq_u32_e64 s[16:17], 7, v53
	v_cndmask_b32_e64 v38, v38, v5, s[12:13]
	v_cndmask_b32_e64 v38, v38, v6, s[14:15]
	v_cndmask_b32_e64 v38, v38, v7, s[16:17]
	v_cmp_eq_u32_e64 s[18:19], 8, v53
	v_cmp_eq_u32_e64 s[20:21], 9, v53
	v_cmp_eq_u32_e64 s[22:23], 10, v53
	v_cndmask_b32_e64 v38, v38, v8, s[18:19]
	v_cndmask_b32_e64 v38, v38, v9, s[20:21]
	v_cndmask_b32_e64 v38, v38, v10, s[22:23]
	v_cmp_eq_u32_e64 s[24:25], 11, v53
	v_cmp_eq_u32_e64 s[26:27], 12, v53
	v_cmp_eq_u32_e64 s[28:29], 13, v53
	v_cndmask_b32_e64 v38, v38, v11, s[24:25]
	v_cndmask_b32_e64 v38, v38, v12, s[26:27]
	v_cndmask_b32_e64 v38, v38, v13, s[28:29]
	v_cmp_eq_u32_e64 s[30:31], 14, v53
	v_cmp_eq_u32_e64 s[34:35], 15, v53
	s_nop 0
	v_cndmask_b32_e64 v38, v38, v14, s[30:31]
	v_cndmask_b32_e64 v38, v38, v15, s[34:35]
	ds_bpermute_b32 v38, v70, v38
	s_waitcnt lgkmcnt(0)
	v_cndmask_b32_e32 v1, v1, v38, vcc
	v_cmp_eq_u32_e32 vcc, 0, v53
	v_cndmask_b32_e64 v15, v15, v38, s[34:35]
	v_cndmask_b32_e64 v14, v14, v38, s[30:31]
	v_cndmask_b32_e32 v0, v0, v38, vcc
	v_cmp_eq_u32_e32 vcc, 1, v54
	v_cndmask_b32_e64 v13, v13, v38, s[28:29]
	v_cndmask_b32_e64 v12, v12, v38, s[26:27]
	v_cndmask_b32_e64 v11, v11, v38, s[24:25]
	v_cndmask_b32_e64 v10, v10, v38, s[22:23]
	v_cndmask_b32_e64 v9, v9, v38, s[20:21]
	v_cndmask_b32_e64 v8, v8, v38, s[18:19]
	v_cndmask_b32_e64 v7, v7, v38, s[16:17]
	v_cndmask_b32_e64 v6, v6, v38, s[14:15]
	v_cndmask_b32_e64 v5, v5, v38, s[12:13]
	v_cndmask_b32_e64 v4, v4, v38, s[10:11]
	v_cndmask_b32_e64 v3, v3, v38, s[8:9]
	v_cndmask_b32_e64 v2, v2, v38, s[6:7]
	v_cndmask_b32_e32 v38, v0, v1, vcc
	v_cmp_eq_u32_e64 s[6:7], 2, v54
	v_cmp_eq_u32_e64 s[8:9], 3, v54
	v_cmp_eq_u32_e64 s[10:11], 4, v54
	v_cndmask_b32_e64 v38, v38, v2, s[6:7]
	v_cndmask_b32_e64 v38, v38, v3, s[8:9]
	v_cndmask_b32_e64 v38, v38, v4, s[10:11]
	v_cmp_eq_u32_e64 s[12:13], 5, v54
	v_cmp_eq_u32_e64 s[14:15], 6, v54
	v_cmp_eq_u32_e64 s[16:17], 7, v54
	v_cndmask_b32_e64 v38, v38, v5, s[12:13]
	v_cndmask_b32_e64 v38, v38, v6, s[14:15]
	v_cndmask_b32_e64 v38, v38, v7, s[16:17]
	v_cmp_eq_u32_e64 s[18:19], 8, v54
	v_cmp_eq_u32_e64 s[20:21], 9, v54
	v_cmp_eq_u32_e64 s[22:23], 10, v54
	v_cndmask_b32_e64 v38, v38, v8, s[18:19]
	v_cndmask_b32_e64 v38, v38, v9, s[20:21]
	v_cndmask_b32_e64 v38, v38, v10, s[22:23]
	v_cmp_eq_u32_e64 s[24:25], 11, v54
	v_cmp_eq_u32_e64 s[26:27], 12, v54
	v_cmp_eq_u32_e64 s[28:29], 13, v54
	v_cndmask_b32_e64 v38, v38, v11, s[24:25]
	v_cndmask_b32_e64 v38, v38, v12, s[26:27]
	v_cndmask_b32_e64 v38, v38, v13, s[28:29]
	v_cmp_eq_u32_e64 s[30:31], 14, v54
	;; [unrolled: 50-line block ×4, first 2 shown]
	v_cmp_eq_u32_e64 s[34:35], 15, v56
	s_nop 0
	v_cndmask_b32_e64 v38, v38, v14, s[30:31]
	v_cndmask_b32_e64 v38, v38, v15, s[34:35]
	ds_bpermute_b32 v38, v70, v38
	s_waitcnt lgkmcnt(0)
	v_cndmask_b32_e32 v1, v1, v38, vcc
	v_cmp_eq_u32_e32 vcc, 0, v56
	v_cndmask_b32_e64 v15, v15, v38, s[34:35]
	v_cndmask_b32_e64 v14, v14, v38, s[30:31]
	;; [unrolled: 1-line block ×14, first 2 shown]
	v_cndmask_b32_e32 v38, v0, v38, vcc
	v_cmp_eq_u32_e32 vcc, 1, v57
	v_cmp_eq_u32_e64 s[6:7], 2, v57
	v_cmp_eq_u32_e64 s[8:9], 3, v57
	v_cndmask_b32_e32 v0, v38, v1, vcc
	v_cndmask_b32_e64 v0, v0, v73, s[6:7]
	v_cndmask_b32_e64 v0, v0, v72, s[8:9]
	v_cmp_eq_u32_e64 s[10:11], 4, v57
	v_cmp_eq_u32_e64 s[12:13], 5, v57
	v_cmp_eq_u32_e64 s[14:15], 6, v57
	v_cndmask_b32_e64 v0, v0, v45, s[10:11]
	v_cndmask_b32_e64 v0, v0, v44, s[12:13]
	v_cndmask_b32_e64 v0, v0, v43, s[14:15]
	v_cmp_eq_u32_e64 s[16:17], 7, v57
	v_cmp_eq_u32_e64 s[18:19], 8, v57
	v_cmp_eq_u32_e64 s[20:21], 9, v57
	v_cndmask_b32_e64 v0, v0, v42, s[16:17]
	v_cndmask_b32_e64 v0, v0, v41, s[18:19]
	v_cndmask_b32_e64 v0, v0, v39, s[20:21]
	v_cmp_eq_u32_e64 s[22:23], 10, v57
	v_cmp_eq_u32_e64 s[24:25], 11, v57
	v_cmp_eq_u32_e64 s[26:27], 12, v57
	v_cndmask_b32_e64 v0, v0, v10, s[22:23]
	v_cndmask_b32_e64 v0, v0, v11, s[24:25]
	v_cndmask_b32_e64 v0, v0, v12, s[26:27]
	v_cmp_eq_u32_e64 s[28:29], 13, v57
	v_cmp_eq_u32_e64 s[30:31], 14, v57
	v_cmp_eq_u32_e64 s[34:35], 15, v57
	v_cndmask_b32_e64 v0, v0, v13, s[28:29]
	v_cndmask_b32_e64 v0, v0, v14, s[30:31]
	v_cndmask_b32_e64 v0, v0, v15, s[34:35]
	ds_bpermute_b32 v74, v70, v0
	s_waitcnt lgkmcnt(0)
	v_cndmask_b32_e32 v0, v1, v74, vcc
	v_cmp_eq_u32_e32 vcc, 0, v57
	v_cndmask_b32_e64 v4, v15, v74, s[34:35]
	v_cndmask_b32_e64 v15, v73, v74, s[6:7]
	v_cndmask_b32_e32 v1, v38, v74, vcc
	v_cmp_eq_u32_e32 vcc, 1, v58
	v_cndmask_b32_e64 v5, v14, v74, s[30:31]
	v_cndmask_b32_e64 v14, v72, v74, s[8:9]
	;; [unrolled: 4-line block ×7, first 2 shown]
	v_cndmask_b32_e32 v38, v38, v13, vcc
	v_cmp_eq_u32_e32 vcc, 7, v58
	s_nop 1
	v_cndmask_b32_e32 v38, v38, v12, vcc
	v_cmp_eq_u32_e32 vcc, 8, v58
	s_nop 1
	;; [unrolled: 3-line block ×9, first 2 shown]
	v_cndmask_b32_e32 v38, v38, v4, vcc
	ds_bpermute_b32 v38, v70, v38
	v_cmp_lt_i32_e32 vcc, s75, v59
	s_and_saveexec_b64 s[60:61], vcc
	s_cbranch_execz .LBB316_29
; %bb.21:                               ;   in Loop: Header=BB316_7 Depth=1
	s_mul_i32 s6, s73, s37
	s_ashr_i32 s7, s6, 31
	s_lshl_b64 s[6:7], s[6:7], 1
	v_cmp_eq_u32_e64 s[30:31], 1, v58
	s_add_u32 s8, s48, s6
	s_addc_u32 s9, s49, s7
	s_waitcnt lgkmcnt(0)
	v_cndmask_b32_e64 v0, v0, v38, s[30:31]
	v_cmp_eq_u32_e64 s[30:31], 0, v58
	s_ashr_i32 s55, s54, 31
	s_lshl_b64 s[6:7], s[54:55], 1
	v_cndmask_b32_e64 v1, v1, v38, s[30:31]
	v_cvt_f16_f32_e32 v39, v1
	v_cvt_f16_f32_sdwa v41, v0 dst_sel:WORD_1 dst_unused:UNUSED_PAD src0_sel:DWORD
	s_add_u32 s34, s8, s6
	s_addc_u32 s35, s9, s7
	v_cmp_eq_u32_e64 s[8:9], 15, v58
	v_cmp_eq_u32_e64 s[10:11], 14, v58
	;; [unrolled: 1-line block ×10, first 2 shown]
	v_cmp_eq_u32_e32 vcc, 5, v58
	v_cmp_eq_u32_e64 s[6:7], 4, v58
	v_cmp_eq_u32_e64 s[28:29], 3, v58
	;; [unrolled: 1-line block ×3, first 2 shown]
	v_lshl_add_u64 v[0:1], s[34:35], 0, v[16:17]
	v_cmp_lt_i32_e64 s[34:35], s75, v60
	v_lshl_add_u64 v[42:43], v[18:19], 1, v[0:1]
	v_or_b32_e32 v39, v41, v39
	;;#ASMSTART
	global_atomic_pk_add_f16 v[42:43], v39, off
	
	;;#ASMEND
	s_and_b64 exec, exec, s[34:35]
	s_cbranch_execz .LBB316_29
; %bb.22:                               ;   in Loop: Header=BB316_7 Depth=1
	v_cndmask_b32_e64 v14, v14, v38, s[28:29]
	v_cndmask_b32_e64 v15, v15, v38, s[30:31]
	v_cvt_f16_f32_e32 v39, v15
	v_cvt_f16_f32_sdwa v41, v14 dst_sel:WORD_1 dst_unused:UNUSED_PAD src0_sel:DWORD
	v_cndmask_b32_e64 v4, v4, v38, s[8:9]
	v_cndmask_b32_e64 v5, v5, v38, s[10:11]
	;; [unrolled: 1-line block ×10, first 2 shown]
	v_cndmask_b32_e32 v2, v2, v38, vcc
	v_cndmask_b32_e64 v3, v3, v38, s[6:7]
	v_cmp_lt_i32_e32 vcc, s75, v61
	v_lshl_add_u64 v[14:15], v[20:21], 1, v[0:1]
	v_or_b32_e32 v38, v41, v39
	;;#ASMSTART
	global_atomic_pk_add_f16 v[14:15], v38, off
	
	;;#ASMEND
	s_and_b64 exec, exec, vcc
	s_cbranch_execz .LBB316_29
; %bb.23:                               ;   in Loop: Header=BB316_7 Depth=1
	v_cvt_f16_f32_e32 v14, v3
	v_cvt_f16_f32_sdwa v15, v2 dst_sel:WORD_1 dst_unused:UNUSED_PAD src0_sel:DWORD
	v_cmp_lt_i32_e32 vcc, s75, v62
	v_lshl_add_u64 v[2:3], v[22:23], 1, v[0:1]
	v_or_b32_e32 v14, v15, v14
	;;#ASMSTART
	global_atomic_pk_add_f16 v[2:3], v14, off
	
	;;#ASMEND
	s_and_b64 exec, exec, vcc
	s_cbranch_execz .LBB316_29
; %bb.24:                               ;   in Loop: Header=BB316_7 Depth=1
	v_cvt_f16_f32_e32 v13, v13
	v_cvt_f16_f32_sdwa v12, v12 dst_sel:WORD_1 dst_unused:UNUSED_PAD src0_sel:DWORD
	;; [unrolled: 12-line block ×6, first 2 shown]
	v_lshl_add_u64 v[0:1], v[32:33], 1, v[0:1]
	v_or_b32_e32 v2, v3, v2
	;;#ASMSTART
	global_atomic_pk_add_f16 v[0:1], v2, off
	
	;;#ASMEND
.LBB316_29:                             ;   in Loop: Header=BB316_7 Depth=1
	s_or_b64 exec, exec, s[60:61]
	v_subrev_u32_e32 v71, s76, v71
.LBB316_30:                             ;   in Loop: Header=BB316_7 Depth=1
	s_or_b64 exec, exec, s[58:59]
.LBB316_31:                             ;   in Loop: Header=BB316_7 Depth=1
	s_andn2_saveexec_b64 s[6:7], s[56:57]
	s_cbranch_execz .LBB316_40
; %bb.32:                               ;   in Loop: Header=BB316_7 Depth=1
	v_cmp_gt_i32_e32 vcc, s76, v71
	s_and_saveexec_b64 s[8:9], vcc
	s_cbranch_execz .LBB316_39
; %bb.33:                               ;   in Loop: Header=BB316_7 Depth=1
	s_mul_i32 s10, s54, s39
	s_ashr_i32 s11, s10, 31
	s_waitcnt lgkmcnt(0)
	s_add_u32 s10, s46, s10
	s_addc_u32 s11, s47, s11
	s_ashr_i32 s12, s74, 31
	s_add_u32 s10, s10, s74
	s_addc_u32 s11, s11, s12
	v_lshl_add_u64 v[0:1], s[10:11], 0, v[36:37]
	v_lshl_add_u64 v[8:9], v[0:1], 0, v[34:35]
	s_mov_b64 s[10:11], 0
	s_branch .LBB316_35
.LBB316_34:                             ;   in Loop: Header=BB316_35 Depth=2
	s_or_b64 exec, exec, s[12:13]
	v_lshl_add_u32 v12, v10, 11, v67
	;;#ASMSTART
	s_waitcnt vmcnt(1)
	;;#ASMEND
	ds_write2_b32 v12, v4, v5 offset1:32
	ds_write2_b32 v12, v6, v7 offset0:64 offset1:96
	v_add_u32_e32 v4, 0x400, v12
	v_add_u32_e32 v71, s42, v71
	;;#ASMSTART
	s_waitcnt vmcnt(0)
	;;#ASMEND
	ds_write2_b32 v4, v0, v1 offset1:32
	ds_write2_b32 v4, v2, v3 offset0:64 offset1:96
	v_add_u32_e32 v0, 1, v47
	v_add_u32_e32 v40, s42, v10
	v_cmp_le_i32_e32 vcc, s76, v71
	ds_write_b32 v11, v0 offset:16
	v_add_u32_e32 v0, 2, v47
	s_or_b64 s[10:11], vcc, s[10:11]
	v_cmp_lt_i32_e32 vcc, 0, v40
	s_nop 1
	v_cndmask_b32_e32 v47, v47, v0, vcc
	s_andn2_b64 exec, exec, s[10:11]
	s_cbranch_execz .LBB316_38
.LBB316_35:                             ;   Parent Loop BB316_7 Depth=1
                                        ; =>  This Loop Header: Depth=2
                                        ;       Child Loop BB316_37 Depth 3
	v_cmp_lt_i32_e32 vcc, 0, v40
	v_lshlrev_b32_e32 v0, 6, v71
	v_ashrrev_i32_e32 v1, 31, v0
	v_subbrev_co_u32_e32 v10, vcc, 0, v40, vcc
	v_lshl_add_u64 v[0:1], v[8:9], 0, v[0:1]
	v_lshlrev_b32_e32 v11, 2, v10
	;;#ASMSTART
	global_load_dwordx4 v[4:7], v[0:1], off offset:0   sc0 sc1 nt  
	global_load_dwordx4 v[0:3], v[0:1], off offset:32  sc0 sc1 nt  
	
	;;#ASMEND
	ds_read_b32 v12, v11 offset:10256
	v_add_u32_e32 v11, 0x2800, v11
	s_waitcnt lgkmcnt(0)
	v_cmp_ne_u32_e32 vcc, v12, v47
	s_and_saveexec_b64 s[12:13], vcc
	s_cbranch_execz .LBB316_34
; %bb.36:                               ;   in Loop: Header=BB316_35 Depth=2
	s_mov_b64 s[14:15], 0
.LBB316_37:                             ;   Parent Loop BB316_7 Depth=1
                                        ;     Parent Loop BB316_35 Depth=2
                                        ; =>    This Inner Loop Header: Depth=3
	;;#ASMSTART
	s_sleep 0
	;;#ASMEND
	ds_read_b32 v12, v11 offset:16
	s_waitcnt lgkmcnt(0)
	v_cmp_eq_u32_e32 vcc, v12, v47
	s_or_b64 s[14:15], vcc, s[14:15]
	s_andn2_b64 exec, exec, s[14:15]
	s_cbranch_execnz .LBB316_37
	s_branch .LBB316_34
.LBB316_38:                             ;   in Loop: Header=BB316_7 Depth=1
	s_or_b64 exec, exec, s[10:11]
.LBB316_39:                             ;   in Loop: Header=BB316_7 Depth=1
	s_or_b64 exec, exec, s[8:9]
	v_subrev_u32_e32 v71, s76, v71
.LBB316_40:                             ;   in Loop: Header=BB316_7 Depth=1
	s_or_b64 exec, exec, s[6:7]
.LBB316_41:                             ;   in Loop: Header=BB316_7 Depth=1
	s_andn2_saveexec_b64 s[6:7], s[52:53]
	s_cbranch_execz .LBB316_6
; %bb.42:                               ;   in Loop: Header=BB316_7 Depth=1
	s_lshl_b32 s16, s76, 2
	v_cmp_gt_i32_e32 vcc, s16, v71
	s_and_saveexec_b64 s[8:9], vcc
	s_cbranch_execz .LBB316_5
; %bb.43:                               ;   in Loop: Header=BB316_7 Depth=1
	s_mul_i32 s73, s73, s38
	s_max_i32 s12, s75, 0
	s_ashr_i32 s10, s73, 31
	s_waitcnt lgkmcnt(0)
	s_add_u32 s11, s44, s73
	v_add_u32_e32 v2, s12, v48
	s_addc_u32 s13, s45, s10
	s_ashr_i32 s14, s74, 31
	v_cmp_gt_u32_e32 vcc, s72, v2
	s_add_u32 s10, s11, s74
	s_addc_u32 s11, s13, s14
	v_cndmask_b32_e32 v0, 0, v68, vcc
	v_ashrrev_i32_e32 v1, 31, v0
	v_lshl_add_u64 v[0:1], s[10:11], 0, v[0:1]
	v_lshl_add_u64 v[8:9], v[0:1], 0, v[34:35]
	v_sub_u32_e32 v10, 0x7f, v2
	s_mov_b64 s[10:11], 0
	s_branch .LBB316_45
.LBB316_44:                             ;   in Loop: Header=BB316_45 Depth=2
	s_or_b64 exec, exec, s[12:13]
	v_lshl_or_b32 v13, v11, 11, v69
	;;#ASMSTART
	s_waitcnt vmcnt(1)
	;;#ASMEND
	ds_write2_b32 v13, v4, v5 offset1:32
	ds_write2_b32 v13, v6, v7 offset0:64 offset1:96
	v_add_u32_e32 v4, 0x400, v13
	v_add_u32_e32 v71, s41, v71
	;;#ASMSTART
	s_waitcnt vmcnt(0)
	;;#ASMEND
	ds_write2_b32 v4, v0, v1 offset1:32
	ds_write2_b32 v4, v2, v3 offset0:64 offset1:96
	v_add_u32_e32 v0, 1, v47
	v_add_u32_e32 v40, s41, v11
	v_cmp_le_i32_e32 vcc, s16, v71
	ds_write_b32 v12, v0
	v_add_u32_e32 v0, 2, v47
	s_or_b64 s[10:11], vcc, s[10:11]
	v_cmp_lt_i32_e32 vcc, 3, v40
	s_nop 1
	v_cndmask_b32_e32 v47, v47, v0, vcc
	s_andn2_b64 exec, exec, s[10:11]
	s_cbranch_execz .LBB316_4
.LBB316_45:                             ;   Parent Loop BB316_7 Depth=1
                                        ; =>  This Loop Header: Depth=2
                                        ;       Child Loop BB316_47 Depth 3
	v_cmp_gt_i32_e32 vcc, 4, v40
	s_nop 1
	v_cndmask_b32_e64 v0, -4, 0, vcc
	v_add_u32_e32 v11, v0, v40
	v_ashrrev_i32_e32 v0, 31, v71
	v_lshrrev_b32_e32 v0, 30, v0
	v_add_u32_e32 v0, v71, v0
	v_and_b32_e32 v1, 0x7fffffc, v0
	v_sub_u32_e32 v1, v71, v1
	v_lshlrev_b32_e32 v1, 5, v1
	v_cmp_le_i32_e32 vcc, v1, v10
	v_lshlrev_b32_e32 v0, 4, v0
	v_and_b32_e32 v0, 0xffffffc0, v0
	v_cndmask_b32_e32 v2, 0, v1, vcc
	v_ashrrev_i32_e32 v1, 31, v0
	v_mul_lo_u32 v2, v2, s38
	v_lshl_add_u64 v[0:1], v[8:9], 0, v[0:1]
	v_ashrrev_i32_e32 v3, 31, v2
	v_lshl_add_u64 v[0:1], v[0:1], 0, v[2:3]
	v_lshlrev_b32_e32 v12, 2, v11
	;;#ASMSTART
	global_load_dwordx4 v[4:7], v[0:1], off offset:0   
	global_load_dwordx4 v[0:3], v[0:1], off offset:32  
	
	;;#ASMEND
	ds_read_b32 v13, v12 offset:10240
	v_add_u32_e32 v12, 0x2800, v12
	s_waitcnt lgkmcnt(0)
	v_cmp_ne_u32_e32 vcc, v13, v47
	s_and_saveexec_b64 s[12:13], vcc
	s_cbranch_execz .LBB316_44
; %bb.46:                               ;   in Loop: Header=BB316_45 Depth=2
	s_mov_b64 s[14:15], 0
.LBB316_47:                             ;   Parent Loop BB316_7 Depth=1
                                        ;     Parent Loop BB316_45 Depth=2
                                        ; =>    This Inner Loop Header: Depth=3
	;;#ASMSTART
	s_sleep 0
	;;#ASMEND
	ds_read_b32 v13, v12
	s_waitcnt lgkmcnt(0)
	v_cmp_eq_u32_e32 vcc, v13, v47
	s_or_b64 s[14:15], vcc, s[14:15]
	s_andn2_b64 exec, exec, s[14:15]
	s_cbranch_execnz .LBB316_47
	s_branch .LBB316_44
.LBB316_48:
	s_endpgm
	.section	.rodata,"a",@progbits
	.p2align	6, 0x0
	.amdhsa_kernel _Z19_skinny_gemm_kernelILi4ELi1ELi1ELi32ELi4EEvPKhS1_P6__halfPKfiiiiiiii
		.amdhsa_group_segment_fixed_size 10260
		.amdhsa_private_segment_fixed_size 0
		.amdhsa_kernarg_size 64
		.amdhsa_user_sgpr_count 2
		.amdhsa_user_sgpr_dispatch_ptr 0
		.amdhsa_user_sgpr_queue_ptr 0
		.amdhsa_user_sgpr_kernarg_segment_ptr 1
		.amdhsa_user_sgpr_dispatch_id 0
		.amdhsa_user_sgpr_kernarg_preload_length 0
		.amdhsa_user_sgpr_kernarg_preload_offset 0
		.amdhsa_user_sgpr_private_segment_size 0
		.amdhsa_uses_dynamic_stack 0
		.amdhsa_enable_private_segment 0
		.amdhsa_system_sgpr_workgroup_id_x 1
		.amdhsa_system_sgpr_workgroup_id_y 0
		.amdhsa_system_sgpr_workgroup_id_z 0
		.amdhsa_system_sgpr_workgroup_info 0
		.amdhsa_system_vgpr_workitem_id 0
		.amdhsa_next_free_vgpr 79
		.amdhsa_next_free_sgpr 77
		.amdhsa_accum_offset 80
		.amdhsa_reserve_vcc 1
		.amdhsa_float_round_mode_32 0
		.amdhsa_float_round_mode_16_64 0
		.amdhsa_float_denorm_mode_32 3
		.amdhsa_float_denorm_mode_16_64 3
		.amdhsa_dx10_clamp 1
		.amdhsa_ieee_mode 1
		.amdhsa_fp16_overflow 0
		.amdhsa_tg_split 0
		.amdhsa_exception_fp_ieee_invalid_op 0
		.amdhsa_exception_fp_denorm_src 0
		.amdhsa_exception_fp_ieee_div_zero 0
		.amdhsa_exception_fp_ieee_overflow 0
		.amdhsa_exception_fp_ieee_underflow 0
		.amdhsa_exception_fp_ieee_inexact 0
		.amdhsa_exception_int_div_zero 0
	.end_amdhsa_kernel
	.section	.text._Z19_skinny_gemm_kernelILi4ELi1ELi1ELi32ELi4EEvPKhS1_P6__halfPKfiiiiiiii,"axG",@progbits,_Z19_skinny_gemm_kernelILi4ELi1ELi1ELi32ELi4EEvPKhS1_P6__halfPKfiiiiiiii,comdat
.Lfunc_end316:
	.size	_Z19_skinny_gemm_kernelILi4ELi1ELi1ELi32ELi4EEvPKhS1_P6__halfPKfiiiiiiii, .Lfunc_end316-_Z19_skinny_gemm_kernelILi4ELi1ELi1ELi32ELi4EEvPKhS1_P6__halfPKfiiiiiiii
                                        ; -- End function
	.set _Z19_skinny_gemm_kernelILi4ELi1ELi1ELi32ELi4EEvPKhS1_P6__halfPKfiiiiiiii.num_vgpr, 79
	.set _Z19_skinny_gemm_kernelILi4ELi1ELi1ELi32ELi4EEvPKhS1_P6__halfPKfiiiiiiii.num_agpr, 0
	.set _Z19_skinny_gemm_kernelILi4ELi1ELi1ELi32ELi4EEvPKhS1_P6__halfPKfiiiiiiii.numbered_sgpr, 77
	.set _Z19_skinny_gemm_kernelILi4ELi1ELi1ELi32ELi4EEvPKhS1_P6__halfPKfiiiiiiii.num_named_barrier, 0
	.set _Z19_skinny_gemm_kernelILi4ELi1ELi1ELi32ELi4EEvPKhS1_P6__halfPKfiiiiiiii.private_seg_size, 0
	.set _Z19_skinny_gemm_kernelILi4ELi1ELi1ELi32ELi4EEvPKhS1_P6__halfPKfiiiiiiii.uses_vcc, 1
	.set _Z19_skinny_gemm_kernelILi4ELi1ELi1ELi32ELi4EEvPKhS1_P6__halfPKfiiiiiiii.uses_flat_scratch, 0
	.set _Z19_skinny_gemm_kernelILi4ELi1ELi1ELi32ELi4EEvPKhS1_P6__halfPKfiiiiiiii.has_dyn_sized_stack, 0
	.set _Z19_skinny_gemm_kernelILi4ELi1ELi1ELi32ELi4EEvPKhS1_P6__halfPKfiiiiiiii.has_recursion, 0
	.set _Z19_skinny_gemm_kernelILi4ELi1ELi1ELi32ELi4EEvPKhS1_P6__halfPKfiiiiiiii.has_indirect_call, 0
	.section	.AMDGPU.csdata,"",@progbits
; Kernel info:
; codeLenInByte = 6036
; TotalNumSgprs: 83
; NumVgprs: 79
; NumAgprs: 0
; TotalNumVgprs: 79
; ScratchSize: 0
; MemoryBound: 0
; FloatMode: 240
; IeeeMode: 1
; LDSByteSize: 10260 bytes/workgroup (compile time only)
; SGPRBlocks: 10
; VGPRBlocks: 9
; NumSGPRsForWavesPerEU: 83
; NumVGPRsForWavesPerEU: 79
; AccumOffset: 80
; Occupancy: 6
; WaveLimiterHint : 0
; COMPUTE_PGM_RSRC2:SCRATCH_EN: 0
; COMPUTE_PGM_RSRC2:USER_SGPR: 2
; COMPUTE_PGM_RSRC2:TRAP_HANDLER: 0
; COMPUTE_PGM_RSRC2:TGID_X_EN: 1
; COMPUTE_PGM_RSRC2:TGID_Y_EN: 0
; COMPUTE_PGM_RSRC2:TGID_Z_EN: 0
; COMPUTE_PGM_RSRC2:TIDIG_COMP_CNT: 0
; COMPUTE_PGM_RSRC3_GFX90A:ACCUM_OFFSET: 19
; COMPUTE_PGM_RSRC3_GFX90A:TG_SPLIT: 0
	.section	.text._Z19_skinny_gemm_kernelILi4ELi1ELi1ELi32ELi8EEvPKhS1_P6__halfPKfiiiiiiii,"axG",@progbits,_Z19_skinny_gemm_kernelILi4ELi1ELi1ELi32ELi8EEvPKhS1_P6__halfPKfiiiiiiii,comdat
	.protected	_Z19_skinny_gemm_kernelILi4ELi1ELi1ELi32ELi8EEvPKhS1_P6__halfPKfiiiiiiii ; -- Begin function _Z19_skinny_gemm_kernelILi4ELi1ELi1ELi32ELi8EEvPKhS1_P6__halfPKfiiiiiiii
	.globl	_Z19_skinny_gemm_kernelILi4ELi1ELi1ELi32ELi8EEvPKhS1_P6__halfPKfiiiiiiii
	.p2align	8
	.type	_Z19_skinny_gemm_kernelILi4ELi1ELi1ELi32ELi8EEvPKhS1_P6__halfPKfiiiiiiii,@function
_Z19_skinny_gemm_kernelILi4ELi1ELi1ELi32ELi8EEvPKhS1_P6__halfPKfiiiiiiii: ; @_Z19_skinny_gemm_kernelILi4ELi1ELi1ELi32ELi8EEvPKhS1_P6__halfPKfiiiiiiii
; %bb.0:
	v_cmp_gt_u32_e32 vcc, 5, v0
	s_and_saveexec_b64 s[4:5], vcc
; %bb.1:
	v_lshlrev_b32_e32 v1, 2, v0
	v_mov_b32_e32 v2, 0
	ds_write_b32 v1, v2 offset:20480
; %bb.2:
	s_or_b64 exec, exec, s[4:5]
	s_load_dwordx8 s[36:43], s[0:1], 0x20
	s_waitcnt lgkmcnt(0)
	s_barrier
	s_add_i32 s3, s36, 0x7f
	s_ashr_i32 s5, s3, 31
	s_add_i32 s4, s37, 31
	s_lshr_b32 s5, s5, 25
	s_ashr_i32 s6, s4, 31
	s_add_i32 s3, s3, s5
	s_ashr_i32 s33, s3, 7
	s_lshr_b32 s3, s6, 27
	s_add_i32 s4, s4, s3
	s_ashr_i32 s62, s4, 5
	s_mul_i32 s3, s62, s33
	s_mul_i32 s3, s3, s40
	s_add_i32 s4, s3, 0x12f
	s_mul_hi_i32 s4, s4, 0x6bca1af3
	s_lshr_b32 s5, s4, 31
	s_ashr_i32 s4, s4, 7
	s_add_i32 s4, s4, s5
	s_add_i32 s5, s2, 1
	s_mul_i32 s5, s4, s5
	v_cvt_f64_i32_e32 v[2:3], s3
	v_cvt_f64_u32_e32 v[4:5], s5
	v_min_f64 v[2:3], v[2:3], v[4:5]
	v_cvt_i32_f64_e32 v54, v[2:3]
	s_mul_i32 s63, s4, s2
	v_cmp_ge_i32_e32 vcc, s63, v54
	s_cbranch_vccnz .LBB317_48
; %bb.3:
	v_lshrrev_b32_e32 v1, 6, v0
	s_add_i32 s4, s42, s41
	s_load_dwordx8 s[44:51], s[0:1], 0x0
	v_cmp_le_i32_e64 s[0:1], s4, v1
	v_mov_b32_e32 v2, s41
	v_cmp_le_i32_e64 s[2:3], s41, v1
	v_mov_b32_e32 v3, s42
	v_cndmask_b32_e64 v3, 0, v3, s[0:1]
	v_cndmask_b32_e64 v2, 0, v2, s[2:3]
	s_abs_i32 s5, s40
	v_add_u32_e32 v2, v2, v3
	v_cvt_f32_u32_e32 v3, s5
	v_sub_u32_e32 v40, v1, v2
	s_ashr_i32 s6, s38, 31
	s_lshr_b32 s6, s6, 25
	v_rcp_iflag_f32_e32 v2, v3
	s_sub_i32 s9, 0, s5
	s_add_i32 s6, s38, s6
	s_ashr_i32 s6, s6, 7
	v_mul_f32_e32 v2, 0x4f7ffffe, v2
	v_cvt_u32_f32_e32 v2, v2
	s_abs_i32 s8, s6
	s_xor_b32 s7, s6, s40
	s_ashr_i32 s7, s7, 31
	v_readfirstlane_b32 s10, v2
	s_mul_i32 s9, s9, s10
	s_mul_hi_u32 s9, s10, s9
	s_add_i32 s10, s10, s9
	s_mul_hi_u32 s9, s8, s10
	s_mul_i32 s10, s9, s5
	s_sub_i32 s8, s8, s10
	s_add_i32 s10, s9, 1
	s_sub_i32 s11, s8, s5
	s_cmp_ge_u32 s8, s5
	s_cselect_b32 s9, s10, s9
	s_cselect_b32 s8, s11, s8
	s_add_i32 s10, s9, 1
	s_cmp_ge_u32 s8, s5
	s_cselect_b32 s5, s10, s9
	s_xor_b32 s5, s5, s7
	s_sub_i32 s64, s5, s7
	s_add_i32 s40, s40, -1
	s_mul_i32 s5, s64, s40
	s_add_i32 s4, s4, s43
	v_and_b32_e32 v56, 31, v0
	v_lshrrev_b32_e32 v2, 3, v0
	s_sub_i32 s65, s6, s5
	v_cmp_gt_i32_e64 s[4:5], s4, v1
	v_lshlrev_b32_e32 v1, 2, v56
	v_and_b32_e32 v3, 4, v2
	v_and_b32_e32 v5, 1, v0
	v_lshlrev_b32_e32 v2, 6, v3
	v_or_b32_e32 v4, 0x4000, v1
	v_or_b32_e32 v3, v3, v5
	;; [unrolled: 1-line block ×4, first 2 shown]
	v_lshlrev_b32_e32 v2, 1, v5
	v_or_b32_e32 v5, 2, v3
	v_sub_u32_e32 v68, 32, v5
	v_or_b32_e32 v5, 8, v3
	v_sub_u32_e32 v69, 32, v5
	;; [unrolled: 2-line block ×5, first 2 shown]
	v_mul_lo_u32 v18, s37, v3
	v_sub_u32_e32 v72, 32, v5
	v_or_b32_e32 v5, 24, v3
	v_or_b32_e32 v3, 26, v3
	v_sub_u32_e32 v74, 32, v3
	v_lshrrev_b32_e32 v3, 1, v0
	s_abs_i32 s66, s33
	v_and_b32_e32 v34, 16, v3
	v_cvt_f32_u32_e32 v3, s66
	v_sub_u32_e32 v2, v0, v2
	v_add_u32_e32 v2, 1, v2
	v_and_b32_e32 v6, 63, v2
	v_bitop3_b32 v59, v0, 1, v0 bitop3:0xc
	v_bitop3_b32 v60, v0, 3, 1 bitop3:0x6c
	;; [unrolled: 1-line block ×8, first 2 shown]
	v_and_b32_e32 v2, 30, v0
	v_lshlrev_b32_e32 v0, 4, v0
	v_and_b32_e32 v0, 0x200, v0
	v_rcp_iflag_f32_e32 v3, v3
	s_abs_i32 s67, s62
	v_or_b32_e32 v77, v1, v0
	v_cvt_f32_u32_e32 v1, s67
	s_lshl_b32 s6, s37, 1
	v_add_u32_e32 v20, s6, v18
	s_mul_i32 s7, s37, 6
	v_or_b32_e32 v75, v4, v0
	v_mul_f32_e32 v0, 0x4f7ffffe, v3
	v_add_u32_e32 v22, s7, v20
	v_cvt_u32_f32_e32 v0, v0
	v_rcp_iflag_f32_e32 v1, v1
	v_add_u32_e32 v24, s6, v22
	v_add_u32_e32 v26, s7, v24
	;; [unrolled: 1-line block ×4, first 2 shown]
	v_readfirstlane_b32 s7, v0
	v_mul_f32_e32 v0, 0x4f7ffffe, v1
	v_cvt_u32_f32_e32 v0, v0
	v_add_u32_e32 v32, s6, v30
	s_sub_i32 s6, 0, s66
	s_mul_i32 s6, s6, s7
	s_mul_hi_u32 s6, s7, s6
	s_add_i32 s69, s7, s6
	s_sub_i32 s6, 0, s67
	v_readfirstlane_b32 s7, v0
	v_mbcnt_lo_u32_b32 v0, -1, 0
	s_mul_i32 s6, s6, s7
	v_mbcnt_hi_u32_b32 v0, -1, v0
	v_mov_b32_e32 v17, 0
	v_mul_lo_u32 v36, s39, v56
	s_mul_hi_u32 s6, s7, s6
	v_and_or_b32 v0, v0, 64, v6
	v_cndmask_b32_e64 v55, 0, 1, s[0:1]
	v_ashrrev_i32_e32 v19, 31, v18
	v_ashrrev_i32_e32 v21, 31, v20
	v_ashrrev_i32_e32 v23, 31, v22
	v_ashrrev_i32_e32 v25, 31, v24
	v_ashrrev_i32_e32 v27, 31, v26
	v_ashrrev_i32_e32 v29, 31, v28
	v_sub_u32_e32 v73, 32, v5
	v_ashrrev_i32_e32 v31, 31, v30
	v_ashrrev_i32_e32 v33, 31, v32
	;; [unrolled: 1-line block ×3, first 2 shown]
	v_mov_b32_e32 v35, v17
	v_mul_lo_u32 v76, s38, v56
	s_ashr_i32 s68, s33, 31
	s_ashr_i32 s70, s62, 31
	s_add_i32 s71, s7, s6
	s_movk_i32 s72, 0x80
	v_lshlrev_b32_e32 v16, 1, v2
	v_lshlrev_b32_e32 v78, 2, v0
	v_mov_b32_e32 v79, v40
	s_branch .LBB317_7
.LBB317_4:                              ;   in Loop: Header=BB317_7 Depth=1
	s_or_b64 exec, exec, s[10:11]
.LBB317_5:                              ;   in Loop: Header=BB317_7 Depth=1
	s_or_b64 exec, exec, s[8:9]
	v_subrev_u32_e32 v79, s16, v79
.LBB317_6:                              ;   in Loop: Header=BB317_7 Depth=1
	s_or_b64 exec, exec, s[6:7]
	s_add_i32 s63, s63, 1
	v_cmp_ge_i32_e32 vcc, s63, v54
	s_cbranch_vccnz .LBB317_48
.LBB317_7:                              ; =>This Loop Header: Depth=1
                                        ;     Child Loop BB317_13 Depth 2
                                        ;       Child Loop BB317_15 Depth 3
                                        ;       Child Loop BB317_18 Depth 3
                                        ;     Child Loop BB317_35 Depth 2
                                        ;       Child Loop BB317_37 Depth 3
                                        ;     Child Loop BB317_45 Depth 2
                                        ;       Child Loop BB317_47 Depth 3
	s_abs_i32 s7, s63
	s_mul_hi_u32 s8, s7, s69
	s_mul_i32 s9, s8, s66
	s_ashr_i32 s6, s63, 31
	s_sub_i32 s7, s7, s9
	s_xor_b32 s6, s6, s68
	s_add_i32 s9, s8, 1
	s_sub_i32 s10, s7, s66
	s_cmp_ge_u32 s7, s66
	s_cselect_b32 s8, s9, s8
	s_cselect_b32 s7, s10, s7
	s_add_i32 s9, s8, 1
	s_cmp_ge_u32 s7, s66
	s_cselect_b32 s7, s9, s8
	s_xor_b32 s7, s7, s6
	s_sub_i32 s6, s7, s6
	s_abs_i32 s8, s6
	s_mul_i32 s7, s6, s33
	s_mul_hi_u32 s9, s8, s71
	s_sub_i32 s7, s63, s7
	s_mul_i32 s10, s9, s67
	s_lshl_b32 s73, s7, 7
	s_ashr_i32 s7, s6, 31
	s_sub_i32 s8, s8, s10
	s_xor_b32 s7, s7, s70
	s_add_i32 s10, s9, 1
	s_sub_i32 s11, s8, s67
	s_cmp_ge_u32 s8, s67
	s_cselect_b32 s9, s10, s9
	s_cselect_b32 s8, s11, s8
	s_add_i32 s10, s9, 1
	s_cmp_ge_u32 s8, s67
	s_cselect_b32 s8, s10, s9
	s_xor_b32 s8, s8, s7
	s_sub_i32 s7, s8, s7
	s_mul_i32 s8, s7, s64
	s_lshl_b32 s74, s8, 7
	s_cmp_eq_u32 s7, s40
	s_cselect_b32 s76, s65, s64
	s_sub_i32 s75, s73, s36
	s_addk_i32 s75, 0x80
	s_and_saveexec_b64 s[8:9], s[2:3]
	s_xor_b64 s[52:53], exec, s[8:9]
	s_cbranch_execz .LBB317_41
; %bb.8:                                ;   in Loop: Header=BB317_7 Depth=1
	s_mul_i32 s7, s7, s62
	s_sub_i32 s6, s6, s7
	s_lshl_b32 s6, s6, 5
	s_sub_i32 s14, s6, s37
	s_add_i32 s14, s14, 32
	s_max_i32 s7, s14, 0
	s_sub_i32 s54, s6, s7
	s_and_saveexec_b64 s[6:7], s[0:1]
	s_xor_b64 s[56:57], exec, s[6:7]
	s_cbranch_execz .LBB317_31
; %bb.9:                                ;   in Loop: Header=BB317_7 Depth=1
	s_and_saveexec_b64 s[58:59], s[4:5]
	s_cbranch_execz .LBB317_30
; %bb.10:                               ;   in Loop: Header=BB317_7 Depth=1
	s_waitcnt lgkmcnt(0)
	global_load_dword v80, v17, s[50:51]
	v_mov_b32_e32 v15, 0
	v_cmp_gt_i32_e32 vcc, s76, v79
	v_mov_b32_e32 v14, v15
	v_mov_b32_e32 v13, v15
	;; [unrolled: 1-line block ×15, first 2 shown]
	s_and_saveexec_b64 s[6:7], vcc
	s_cbranch_execz .LBB317_20
; %bb.11:                               ;   in Loop: Header=BB317_7 Depth=1
	v_mov_b32_e32 v0, 0
	s_mov_b64 s[8:9], 0
	v_mov_b32_e32 v1, v0
	v_mov_b32_e32 v2, v0
	;; [unrolled: 1-line block ×15, first 2 shown]
	s_branch .LBB317_13
.LBB317_12:                             ;   in Loop: Header=BB317_13 Depth=2
	s_or_b64 exec, exec, s[10:11]
	v_add_u32_e32 v86, v58, v84
	ds_read2_b32 v[84:85], v86 offset1:32
	v_add_u32_e32 v79, s43, v79
	s_waitcnt lgkmcnt(0)
	v_mfma_f32_32x32x16_fp8_fp8 v[0:15], v[52:53], v[84:85], v[0:15]
	ds_read2_b32 v[52:53], v86 offset0:128 offset1:160
	s_waitcnt lgkmcnt(0)
	v_mfma_f32_32x32x16_fp8_fp8 v[0:15], v[50:51], v[52:53], v[0:15]
	v_add_u32_e32 v52, 0x400, v86
	ds_read2_b32 v[50:51], v52 offset1:32
	s_waitcnt lgkmcnt(0)
	v_mfma_f32_32x32x16_fp8_fp8 v[0:15], v[48:49], v[50:51], v[0:15]
	ds_read2_b32 v[48:49], v52 offset0:128 offset1:160
	s_waitcnt lgkmcnt(0)
	v_mfma_f32_32x32x16_fp8_fp8 v[0:15], v[46:47], v[48:49], v[0:15]
	v_add_u32_e32 v48, 0x800, v86
	ds_read2_b32 v[46:47], v48 offset1:32
	s_waitcnt lgkmcnt(0)
	v_mfma_f32_32x32x16_fp8_fp8 v[0:15], v[44:45], v[46:47], v[0:15]
	ds_read2_b32 v[44:45], v48 offset0:128 offset1:160
	s_waitcnt lgkmcnt(0)
	v_mfma_f32_32x32x16_fp8_fp8 v[0:15], v[42:43], v[44:45], v[0:15]
	v_add_u32_e32 v44, 0xc00, v86
	ds_read2_b32 v[42:43], v44 offset1:32
	ds_read2_b32 v[44:45], v44 offset0:128 offset1:160
	ds_write_b32 v82, v83 offset:20484
	s_waitcnt lgkmcnt(2)
	v_mfma_f32_32x32x16_fp8_fp8 v[0:15], v[40:41], v[42:43], v[0:15]
	v_add_u32_e32 v40, s43, v81
	v_add_u32_e32 v41, 2, v55
	v_cmp_lt_i32_e32 vcc, 0, v40
	s_nop 1
	v_cndmask_b32_e32 v55, v55, v41, vcc
	v_cmp_le_i32_e32 vcc, s76, v79
	s_waitcnt lgkmcnt(1)
	v_mfma_f32_32x32x16_fp8_fp8 v[0:15], v[38:39], v[44:45], v[0:15]
	s_or_b64 s[8:9], vcc, s[8:9]
	s_andn2_b64 exec, exec, s[8:9]
	s_cbranch_execz .LBB317_19
.LBB317_13:                             ;   Parent Loop BB317_7 Depth=1
                                        ; =>  This Loop Header: Depth=2
                                        ;       Child Loop BB317_15 Depth 3
                                        ;       Child Loop BB317_18 Depth 3
	v_cmp_lt_i32_e32 vcc, 0, v40
	s_nop 1
	v_subbrev_co_u32_e32 v81, vcc, 0, v40, vcc
	v_lshlrev_b32_e32 v82, 3, v81
	ds_read_b32 v38, v82 offset:20480
	s_waitcnt lgkmcnt(0)
	v_cmp_ne_u32_e32 vcc, v38, v55
	s_and_saveexec_b64 s[10:11], vcc
	s_cbranch_execz .LBB317_16
; %bb.14:                               ;   in Loop: Header=BB317_13 Depth=2
	s_mov_b64 s[12:13], 0
.LBB317_15:                             ;   Parent Loop BB317_7 Depth=1
                                        ;     Parent Loop BB317_13 Depth=2
                                        ; =>    This Inner Loop Header: Depth=3
	;;#ASMSTART
	s_sleep 0
	;;#ASMEND
	ds_read_b32 v38, v82 offset:20480
	s_waitcnt lgkmcnt(0)
	v_cmp_eq_u32_e32 vcc, v38, v55
	s_or_b64 s[12:13], vcc, s[12:13]
	s_andn2_b64 exec, exec, s[12:13]
	s_cbranch_execnz .LBB317_15
.LBB317_16:                             ;   in Loop: Header=BB317_13 Depth=2
	s_or_b64 exec, exec, s[10:11]
	v_lshlrev_b32_e32 v84, 12, v81
	v_or_b32_e32 v38, v57, v84
	v_add_u32_e32 v39, 0x400, v38
	ds_read2_b32 v[52:53], v38 offset1:32
	ds_read2_b32 v[50:51], v38 offset0:128 offset1:160
	ds_read2_b32 v[48:49], v39 offset1:32
	ds_read2_b32 v[46:47], v39 offset0:128 offset1:160
	v_add_u32_e32 v39, 0x800, v38
	v_add_u32_e32 v38, 0xc00, v38
	ds_read2_b32 v[44:45], v39 offset1:32
	ds_read2_b32 v[42:43], v39 offset0:128 offset1:160
	ds_read2_b32 v[40:41], v38 offset1:32
	ds_read_b32 v85, v82 offset:20484
	ds_read2_b32 v[38:39], v38 offset0:128 offset1:160
	v_add_u32_e32 v83, 1, v55
	ds_write_b32 v82, v83 offset:20480
	s_waitcnt lgkmcnt(2)
	v_cmp_ne_u32_e32 vcc, v85, v55
	s_and_saveexec_b64 s[10:11], vcc
	s_cbranch_execz .LBB317_12
; %bb.17:                               ;   in Loop: Header=BB317_13 Depth=2
	s_mov_b64 s[12:13], 0
.LBB317_18:                             ;   Parent Loop BB317_7 Depth=1
                                        ;     Parent Loop BB317_13 Depth=2
                                        ; =>    This Inner Loop Header: Depth=3
	;;#ASMSTART
	s_sleep 0
	;;#ASMEND
	ds_read_b32 v85, v82 offset:20484
	s_waitcnt lgkmcnt(0)
	v_cmp_eq_u32_e32 vcc, v85, v55
	s_or_b64 s[12:13], vcc, s[12:13]
	s_andn2_b64 exec, exec, s[12:13]
	s_cbranch_execnz .LBB317_18
	s_branch .LBB317_12
.LBB317_19:                             ;   in Loop: Header=BB317_7 Depth=1
	s_or_b64 exec, exec, s[8:9]
.LBB317_20:                             ;   in Loop: Header=BB317_7 Depth=1
	s_or_b64 exec, exec, s[6:7]
	v_cmp_le_i32_e32 vcc, s14, v56
	v_cmp_eq_u32_e64 s[6:7], 3, v59
	v_cmp_eq_u32_e64 s[8:9], 4, v59
	s_waitcnt vmcnt(0)
	v_cndmask_b32_e32 v38, 0, v80, vcc
	s_nop 1
	v_pk_mul_f32 v[0:1], v[38:39], v[0:1] op_sel_hi:[0,1]
	v_cmp_eq_u32_e32 vcc, 1, v59
	v_pk_mul_f32 v[14:15], v[38:39], v[14:15] op_sel_hi:[0,1]
	v_pk_mul_f32 v[12:13], v[38:39], v[12:13] op_sel_hi:[0,1]
	;; [unrolled: 1-line block ×7, first 2 shown]
	v_cndmask_b32_e32 v38, v0, v1, vcc
	v_cmp_eq_u32_e32 vcc, 2, v59
	v_cmp_eq_u32_e64 s[10:11], 5, v59
	v_cmp_eq_u32_e64 s[12:13], 6, v59
	v_cndmask_b32_e32 v38, v38, v2, vcc
	v_cndmask_b32_e64 v38, v38, v3, s[6:7]
	v_cndmask_b32_e64 v38, v38, v4, s[8:9]
	;; [unrolled: 1-line block ×4, first 2 shown]
	v_cmp_eq_u32_e64 s[14:15], 7, v59
	v_cmp_eq_u32_e64 s[16:17], 8, v59
	v_cmp_eq_u32_e64 s[18:19], 9, v59
	v_cndmask_b32_e64 v38, v38, v7, s[14:15]
	v_cndmask_b32_e64 v38, v38, v8, s[16:17]
	v_cndmask_b32_e64 v38, v38, v9, s[18:19]
	v_cmp_eq_u32_e64 s[20:21], 10, v59
	v_cmp_eq_u32_e64 s[22:23], 11, v59
	v_cmp_eq_u32_e64 s[24:25], 12, v59
	v_cndmask_b32_e64 v38, v38, v10, s[20:21]
	v_cndmask_b32_e64 v38, v38, v11, s[22:23]
	v_cndmask_b32_e64 v38, v38, v12, s[24:25]
	;; [unrolled: 6-line block ×3, first 2 shown]
	ds_bpermute_b32 v38, v78, v38
	v_cmp_eq_u32_e64 s[34:35], 15, v60
	s_waitcnt lgkmcnt(0)
	v_cndmask_b32_e32 v2, v2, v38, vcc
	v_cmp_ne_u32_e32 vcc, 0, v59
	v_cndmask_b32_e64 v15, v15, v38, s[30:31]
	v_cndmask_b32_e64 v14, v14, v38, s[28:29]
	v_cndmask_b32_e32 v1, v1, v38, vcc
	v_cmp_eq_u32_e32 vcc, 0, v59
	v_cndmask_b32_e64 v13, v13, v38, s[26:27]
	v_cndmask_b32_e64 v12, v12, v38, s[24:25]
	v_cndmask_b32_e32 v0, v0, v38, vcc
	v_cmp_eq_u32_e32 vcc, 1, v60
	v_cndmask_b32_e64 v11, v11, v38, s[22:23]
	v_cndmask_b32_e64 v10, v10, v38, s[20:21]
	;; [unrolled: 1-line block ×9, first 2 shown]
	v_cndmask_b32_e32 v38, v0, v1, vcc
	v_cmp_eq_u32_e64 s[6:7], 2, v60
	v_cmp_eq_u32_e64 s[8:9], 3, v60
	v_cmp_eq_u32_e64 s[10:11], 4, v60
	v_cndmask_b32_e64 v38, v38, v2, s[6:7]
	v_cndmask_b32_e64 v38, v38, v3, s[8:9]
	v_cndmask_b32_e64 v38, v38, v4, s[10:11]
	v_cmp_eq_u32_e64 s[12:13], 5, v60
	v_cmp_eq_u32_e64 s[14:15], 6, v60
	v_cmp_eq_u32_e64 s[16:17], 7, v60
	v_cndmask_b32_e64 v38, v38, v5, s[12:13]
	v_cndmask_b32_e64 v38, v38, v6, s[14:15]
	v_cndmask_b32_e64 v38, v38, v7, s[16:17]
	;; [unrolled: 6-line block ×4, first 2 shown]
	v_cmp_eq_u32_e64 s[30:31], 14, v60
	s_nop 1
	v_cndmask_b32_e64 v38, v38, v14, s[30:31]
	v_cndmask_b32_e64 v38, v38, v15, s[34:35]
	ds_bpermute_b32 v38, v78, v38
	s_waitcnt lgkmcnt(0)
	v_cndmask_b32_e32 v1, v1, v38, vcc
	v_cmp_eq_u32_e32 vcc, 0, v60
	v_cndmask_b32_e64 v15, v15, v38, s[34:35]
	v_cndmask_b32_e64 v14, v14, v38, s[30:31]
	v_cndmask_b32_e32 v0, v0, v38, vcc
	v_cmp_eq_u32_e32 vcc, 1, v61
	v_cndmask_b32_e64 v13, v13, v38, s[28:29]
	v_cndmask_b32_e64 v12, v12, v38, s[26:27]
	v_cndmask_b32_e64 v11, v11, v38, s[24:25]
	v_cndmask_b32_e64 v10, v10, v38, s[22:23]
	v_cndmask_b32_e64 v9, v9, v38, s[20:21]
	v_cndmask_b32_e64 v8, v8, v38, s[18:19]
	v_cndmask_b32_e64 v7, v7, v38, s[16:17]
	v_cndmask_b32_e64 v6, v6, v38, s[14:15]
	v_cndmask_b32_e64 v5, v5, v38, s[12:13]
	v_cndmask_b32_e64 v4, v4, v38, s[10:11]
	v_cndmask_b32_e64 v3, v3, v38, s[8:9]
	v_cndmask_b32_e64 v2, v2, v38, s[6:7]
	v_cndmask_b32_e32 v38, v0, v1, vcc
	v_cmp_eq_u32_e64 s[6:7], 2, v61
	v_cmp_eq_u32_e64 s[8:9], 3, v61
	v_cmp_eq_u32_e64 s[10:11], 4, v61
	v_cndmask_b32_e64 v38, v38, v2, s[6:7]
	v_cndmask_b32_e64 v38, v38, v3, s[8:9]
	v_cndmask_b32_e64 v38, v38, v4, s[10:11]
	v_cmp_eq_u32_e64 s[12:13], 5, v61
	v_cmp_eq_u32_e64 s[14:15], 6, v61
	v_cmp_eq_u32_e64 s[16:17], 7, v61
	v_cndmask_b32_e64 v38, v38, v5, s[12:13]
	v_cndmask_b32_e64 v38, v38, v6, s[14:15]
	v_cndmask_b32_e64 v38, v38, v7, s[16:17]
	v_cmp_eq_u32_e64 s[18:19], 8, v61
	v_cmp_eq_u32_e64 s[20:21], 9, v61
	v_cmp_eq_u32_e64 s[22:23], 10, v61
	v_cndmask_b32_e64 v38, v38, v8, s[18:19]
	v_cndmask_b32_e64 v38, v38, v9, s[20:21]
	v_cndmask_b32_e64 v38, v38, v10, s[22:23]
	v_cmp_eq_u32_e64 s[24:25], 11, v61
	v_cmp_eq_u32_e64 s[26:27], 12, v61
	v_cmp_eq_u32_e64 s[28:29], 13, v61
	v_cndmask_b32_e64 v38, v38, v11, s[24:25]
	v_cndmask_b32_e64 v38, v38, v12, s[26:27]
	v_cndmask_b32_e64 v38, v38, v13, s[28:29]
	v_cmp_eq_u32_e64 s[30:31], 14, v61
	v_cmp_eq_u32_e64 s[34:35], 15, v61
	s_nop 0
	v_cndmask_b32_e64 v38, v38, v14, s[30:31]
	v_cndmask_b32_e64 v38, v38, v15, s[34:35]
	ds_bpermute_b32 v38, v78, v38
	s_waitcnt lgkmcnt(0)
	v_cndmask_b32_e32 v1, v1, v38, vcc
	v_cmp_eq_u32_e32 vcc, 0, v61
	v_cndmask_b32_e64 v15, v15, v38, s[34:35]
	v_cndmask_b32_e64 v14, v14, v38, s[30:31]
	v_cndmask_b32_e32 v0, v0, v38, vcc
	v_cmp_eq_u32_e32 vcc, 1, v62
	v_cndmask_b32_e64 v13, v13, v38, s[28:29]
	v_cndmask_b32_e64 v12, v12, v38, s[26:27]
	v_cndmask_b32_e64 v11, v11, v38, s[24:25]
	v_cndmask_b32_e64 v10, v10, v38, s[22:23]
	v_cndmask_b32_e64 v9, v9, v38, s[20:21]
	v_cndmask_b32_e64 v8, v8, v38, s[18:19]
	v_cndmask_b32_e64 v7, v7, v38, s[16:17]
	v_cndmask_b32_e64 v6, v6, v38, s[14:15]
	v_cndmask_b32_e64 v5, v5, v38, s[12:13]
	v_cndmask_b32_e64 v4, v4, v38, s[10:11]
	v_cndmask_b32_e64 v3, v3, v38, s[8:9]
	v_cndmask_b32_e64 v2, v2, v38, s[6:7]
	v_cndmask_b32_e32 v38, v0, v1, vcc
	v_cmp_eq_u32_e64 s[6:7], 2, v62
	v_cmp_eq_u32_e64 s[8:9], 3, v62
	v_cmp_eq_u32_e64 s[10:11], 4, v62
	v_cndmask_b32_e64 v38, v38, v2, s[6:7]
	v_cndmask_b32_e64 v38, v38, v3, s[8:9]
	v_cndmask_b32_e64 v38, v38, v4, s[10:11]
	v_cmp_eq_u32_e64 s[12:13], 5, v62
	v_cmp_eq_u32_e64 s[14:15], 6, v62
	v_cmp_eq_u32_e64 s[16:17], 7, v62
	v_cndmask_b32_e64 v38, v38, v5, s[12:13]
	v_cndmask_b32_e64 v38, v38, v6, s[14:15]
	v_cndmask_b32_e64 v38, v38, v7, s[16:17]
	v_cmp_eq_u32_e64 s[18:19], 8, v62
	v_cmp_eq_u32_e64 s[20:21], 9, v62
	v_cmp_eq_u32_e64 s[22:23], 10, v62
	v_cndmask_b32_e64 v38, v38, v8, s[18:19]
	v_cndmask_b32_e64 v38, v38, v9, s[20:21]
	v_cndmask_b32_e64 v38, v38, v10, s[22:23]
	v_cmp_eq_u32_e64 s[24:25], 11, v62
	v_cmp_eq_u32_e64 s[26:27], 12, v62
	v_cmp_eq_u32_e64 s[28:29], 13, v62
	v_cndmask_b32_e64 v38, v38, v11, s[24:25]
	v_cndmask_b32_e64 v38, v38, v12, s[26:27]
	v_cndmask_b32_e64 v38, v38, v13, s[28:29]
	v_cmp_eq_u32_e64 s[30:31], 14, v62
	;; [unrolled: 50-line block ×4, first 2 shown]
	v_cmp_eq_u32_e64 s[34:35], 15, v64
	s_nop 0
	v_cndmask_b32_e64 v38, v38, v14, s[30:31]
	v_cndmask_b32_e64 v38, v38, v15, s[34:35]
	ds_bpermute_b32 v38, v78, v38
	s_waitcnt lgkmcnt(0)
	v_cndmask_b32_e32 v1, v1, v38, vcc
	v_cmp_eq_u32_e32 vcc, 0, v64
	v_cndmask_b32_e64 v15, v15, v38, s[34:35]
	v_cndmask_b32_e64 v14, v14, v38, s[30:31]
	;; [unrolled: 1-line block ×14, first 2 shown]
	v_cndmask_b32_e32 v38, v0, v38, vcc
	v_cmp_eq_u32_e32 vcc, 1, v65
	v_cmp_eq_u32_e64 s[6:7], 2, v65
	v_cmp_eq_u32_e64 s[8:9], 3, v65
	v_cndmask_b32_e32 v0, v38, v1, vcc
	v_cndmask_b32_e64 v0, v0, v47, s[6:7]
	v_cndmask_b32_e64 v0, v0, v46, s[8:9]
	v_cmp_eq_u32_e64 s[10:11], 4, v65
	v_cmp_eq_u32_e64 s[12:13], 5, v65
	v_cmp_eq_u32_e64 s[14:15], 6, v65
	v_cndmask_b32_e64 v0, v0, v45, s[10:11]
	v_cndmask_b32_e64 v0, v0, v44, s[12:13]
	v_cndmask_b32_e64 v0, v0, v43, s[14:15]
	v_cmp_eq_u32_e64 s[16:17], 7, v65
	v_cmp_eq_u32_e64 s[18:19], 8, v65
	v_cmp_eq_u32_e64 s[20:21], 9, v65
	v_cndmask_b32_e64 v0, v0, v42, s[16:17]
	;; [unrolled: 6-line block ×4, first 2 shown]
	v_cndmask_b32_e64 v0, v0, v14, s[30:31]
	v_cndmask_b32_e64 v0, v0, v15, s[34:35]
	ds_bpermute_b32 v48, v78, v0
	s_waitcnt lgkmcnt(0)
	v_cndmask_b32_e32 v0, v1, v48, vcc
	v_cmp_eq_u32_e32 vcc, 0, v65
	v_cndmask_b32_e64 v4, v15, v48, s[34:35]
	v_cndmask_b32_e64 v15, v47, v48, s[6:7]
	v_cndmask_b32_e32 v1, v38, v48, vcc
	v_cmp_eq_u32_e32 vcc, 1, v66
	v_cndmask_b32_e64 v5, v14, v48, s[30:31]
	v_cndmask_b32_e64 v14, v46, v48, s[8:9]
	;; [unrolled: 4-line block ×7, first 2 shown]
	v_cndmask_b32_e32 v38, v38, v13, vcc
	v_cmp_eq_u32_e32 vcc, 7, v66
	s_nop 1
	v_cndmask_b32_e32 v38, v38, v12, vcc
	v_cmp_eq_u32_e32 vcc, 8, v66
	s_nop 1
	;; [unrolled: 3-line block ×9, first 2 shown]
	v_cndmask_b32_e32 v38, v38, v4, vcc
	ds_bpermute_b32 v38, v78, v38
	v_cmp_lt_i32_e32 vcc, s75, v67
	s_and_saveexec_b64 s[60:61], vcc
	s_cbranch_execz .LBB317_29
; %bb.21:                               ;   in Loop: Header=BB317_7 Depth=1
	s_mul_i32 s6, s73, s37
	s_ashr_i32 s7, s6, 31
	s_lshl_b64 s[6:7], s[6:7], 1
	v_cmp_eq_u32_e64 s[30:31], 1, v66
	s_add_u32 s8, s48, s6
	s_addc_u32 s9, s49, s7
	s_waitcnt lgkmcnt(0)
	v_cndmask_b32_e64 v0, v0, v38, s[30:31]
	v_cmp_eq_u32_e64 s[30:31], 0, v66
	s_ashr_i32 s55, s54, 31
	s_lshl_b64 s[6:7], s[54:55], 1
	v_cndmask_b32_e64 v1, v1, v38, s[30:31]
	v_cvt_f16_f32_e32 v39, v1
	v_cvt_f16_f32_sdwa v41, v0 dst_sel:WORD_1 dst_unused:UNUSED_PAD src0_sel:DWORD
	s_add_u32 s34, s8, s6
	s_addc_u32 s35, s9, s7
	v_cmp_eq_u32_e64 s[8:9], 15, v66
	v_cmp_eq_u32_e64 s[10:11], 14, v66
	;; [unrolled: 1-line block ×10, first 2 shown]
	v_cmp_eq_u32_e32 vcc, 5, v66
	v_cmp_eq_u32_e64 s[6:7], 4, v66
	v_cmp_eq_u32_e64 s[28:29], 3, v66
	;; [unrolled: 1-line block ×3, first 2 shown]
	v_lshl_add_u64 v[0:1], s[34:35], 0, v[16:17]
	v_cmp_lt_i32_e64 s[34:35], s75, v68
	v_lshl_add_u64 v[42:43], v[18:19], 1, v[0:1]
	v_or_b32_e32 v39, v41, v39
	;;#ASMSTART
	global_atomic_pk_add_f16 v[42:43], v39, off
	
	;;#ASMEND
	s_and_b64 exec, exec, s[34:35]
	s_cbranch_execz .LBB317_29
; %bb.22:                               ;   in Loop: Header=BB317_7 Depth=1
	v_cndmask_b32_e64 v14, v14, v38, s[28:29]
	v_cndmask_b32_e64 v15, v15, v38, s[30:31]
	v_cvt_f16_f32_e32 v39, v15
	v_cvt_f16_f32_sdwa v41, v14 dst_sel:WORD_1 dst_unused:UNUSED_PAD src0_sel:DWORD
	v_cndmask_b32_e64 v4, v4, v38, s[8:9]
	v_cndmask_b32_e64 v5, v5, v38, s[10:11]
	;; [unrolled: 1-line block ×10, first 2 shown]
	v_cndmask_b32_e32 v2, v2, v38, vcc
	v_cndmask_b32_e64 v3, v3, v38, s[6:7]
	v_cmp_lt_i32_e32 vcc, s75, v69
	v_lshl_add_u64 v[14:15], v[20:21], 1, v[0:1]
	v_or_b32_e32 v38, v41, v39
	;;#ASMSTART
	global_atomic_pk_add_f16 v[14:15], v38, off
	
	;;#ASMEND
	s_and_b64 exec, exec, vcc
	s_cbranch_execz .LBB317_29
; %bb.23:                               ;   in Loop: Header=BB317_7 Depth=1
	v_cvt_f16_f32_e32 v14, v3
	v_cvt_f16_f32_sdwa v15, v2 dst_sel:WORD_1 dst_unused:UNUSED_PAD src0_sel:DWORD
	v_cmp_lt_i32_e32 vcc, s75, v70
	v_lshl_add_u64 v[2:3], v[22:23], 1, v[0:1]
	v_or_b32_e32 v14, v15, v14
	;;#ASMSTART
	global_atomic_pk_add_f16 v[2:3], v14, off
	
	;;#ASMEND
	s_and_b64 exec, exec, vcc
	s_cbranch_execz .LBB317_29
; %bb.24:                               ;   in Loop: Header=BB317_7 Depth=1
	v_cvt_f16_f32_e32 v13, v13
	v_cvt_f16_f32_sdwa v12, v12 dst_sel:WORD_1 dst_unused:UNUSED_PAD src0_sel:DWORD
	;; [unrolled: 12-line block ×6, first 2 shown]
	v_lshl_add_u64 v[0:1], v[32:33], 1, v[0:1]
	v_or_b32_e32 v2, v3, v2
	;;#ASMSTART
	global_atomic_pk_add_f16 v[0:1], v2, off
	
	;;#ASMEND
.LBB317_29:                             ;   in Loop: Header=BB317_7 Depth=1
	s_or_b64 exec, exec, s[60:61]
	v_subrev_u32_e32 v79, s76, v79
.LBB317_30:                             ;   in Loop: Header=BB317_7 Depth=1
	s_or_b64 exec, exec, s[58:59]
.LBB317_31:                             ;   in Loop: Header=BB317_7 Depth=1
	s_andn2_saveexec_b64 s[6:7], s[56:57]
	s_cbranch_execz .LBB317_40
; %bb.32:                               ;   in Loop: Header=BB317_7 Depth=1
	v_cmp_gt_i32_e32 vcc, s76, v79
	s_and_saveexec_b64 s[8:9], vcc
	s_cbranch_execz .LBB317_39
; %bb.33:                               ;   in Loop: Header=BB317_7 Depth=1
	s_mul_i32 s10, s54, s39
	s_ashr_i32 s11, s10, 31
	s_waitcnt lgkmcnt(0)
	s_add_u32 s10, s46, s10
	s_addc_u32 s11, s47, s11
	s_ashr_i32 s12, s74, 31
	s_add_u32 s10, s10, s74
	s_addc_u32 s11, s11, s12
	v_lshl_add_u64 v[0:1], s[10:11], 0, v[36:37]
	v_lshl_add_u64 v[38:39], v[0:1], 0, v[34:35]
	s_mov_b64 s[10:11], 0
	s_branch .LBB317_35
.LBB317_34:                             ;   in Loop: Header=BB317_35 Depth=2
	s_or_b64 exec, exec, s[12:13]
	v_lshl_add_u32 v42, v40, 12, v75
	;;#ASMSTART
	s_waitcnt vmcnt(3)
	;;#ASMEND
	ds_write2_b32 v42, v12, v13 offset1:32
	ds_write2_b32 v42, v14, v15 offset0:64 offset1:96
	v_add_u32_e32 v12, 0x400, v42
	;;#ASMSTART
	s_waitcnt vmcnt(2)
	;;#ASMEND
	ds_write2_b32 v12, v8, v9 offset1:32
	ds_write2_b32 v12, v10, v11 offset0:64 offset1:96
	v_add_u32_e32 v8, 0x800, v42
	;; [unrolled: 6-line block ×3, first 2 shown]
	v_add_u32_e32 v79, s42, v79
	;;#ASMSTART
	s_waitcnt vmcnt(0)
	;;#ASMEND
	ds_write2_b32 v4, v0, v1 offset1:32
	ds_write2_b32 v4, v2, v3 offset0:64 offset1:96
	v_add_u32_e32 v0, 1, v55
	v_add_u32_e32 v40, s42, v40
	v_cmp_le_i32_e32 vcc, s76, v79
	ds_write_b32 v41, v0 offset:16
	v_add_u32_e32 v0, 2, v55
	s_or_b64 s[10:11], vcc, s[10:11]
	v_cmp_lt_i32_e32 vcc, 0, v40
	s_nop 1
	v_cndmask_b32_e32 v55, v55, v0, vcc
	s_andn2_b64 exec, exec, s[10:11]
	s_cbranch_execz .LBB317_38
.LBB317_35:                             ;   Parent Loop BB317_7 Depth=1
                                        ; =>  This Loop Header: Depth=2
                                        ;       Child Loop BB317_37 Depth 3
	v_cmp_lt_i32_e32 vcc, 0, v40
	v_lshlrev_b32_e32 v0, 7, v79
	v_ashrrev_i32_e32 v1, 31, v0
	v_subbrev_co_u32_e32 v40, vcc, 0, v40, vcc
	v_lshl_add_u64 v[0:1], v[38:39], 0, v[0:1]
	v_lshlrev_b32_e32 v41, 2, v40
	;;#ASMSTART
	global_load_dwordx4 v[12:15], v[0:1], off offset:0   sc0 sc1 nt  
	global_load_dwordx4 v[8:11], v[0:1], off offset:32  sc0 sc1 nt  
	global_load_dwordx4 v[4:7], v[0:1], off offset:64  sc0 sc1 nt  
	;; [unrolled: 1-line block ×3, first 2 shown]
	
	;;#ASMEND
	ds_read_b32 v42, v41 offset:20496
	v_add_u32_e32 v41, 0x5000, v41
	s_waitcnt lgkmcnt(0)
	v_cmp_ne_u32_e32 vcc, v42, v55
	s_and_saveexec_b64 s[12:13], vcc
	s_cbranch_execz .LBB317_34
; %bb.36:                               ;   in Loop: Header=BB317_35 Depth=2
	s_mov_b64 s[14:15], 0
.LBB317_37:                             ;   Parent Loop BB317_7 Depth=1
                                        ;     Parent Loop BB317_35 Depth=2
                                        ; =>    This Inner Loop Header: Depth=3
	;;#ASMSTART
	s_sleep 0
	;;#ASMEND
	ds_read_b32 v42, v41 offset:16
	s_waitcnt lgkmcnt(0)
	v_cmp_eq_u32_e32 vcc, v42, v55
	s_or_b64 s[14:15], vcc, s[14:15]
	s_andn2_b64 exec, exec, s[14:15]
	s_cbranch_execnz .LBB317_37
	s_branch .LBB317_34
.LBB317_38:                             ;   in Loop: Header=BB317_7 Depth=1
	s_or_b64 exec, exec, s[10:11]
.LBB317_39:                             ;   in Loop: Header=BB317_7 Depth=1
	s_or_b64 exec, exec, s[8:9]
	v_subrev_u32_e32 v79, s76, v79
.LBB317_40:                             ;   in Loop: Header=BB317_7 Depth=1
	s_or_b64 exec, exec, s[6:7]
.LBB317_41:                             ;   in Loop: Header=BB317_7 Depth=1
	s_andn2_saveexec_b64 s[6:7], s[52:53]
	s_cbranch_execz .LBB317_6
; %bb.42:                               ;   in Loop: Header=BB317_7 Depth=1
	s_lshl_b32 s16, s76, 2
	v_cmp_gt_i32_e32 vcc, s16, v79
	s_and_saveexec_b64 s[8:9], vcc
	s_cbranch_execz .LBB317_5
; %bb.43:                               ;   in Loop: Header=BB317_7 Depth=1
	s_mul_i32 s73, s73, s38
	s_max_i32 s12, s75, 0
	s_ashr_i32 s10, s73, 31
	s_waitcnt lgkmcnt(0)
	s_add_u32 s11, s44, s73
	v_add_u32_e32 v2, s12, v56
	s_addc_u32 s13, s45, s10
	s_ashr_i32 s14, s74, 31
	v_cmp_gt_u32_e32 vcc, s72, v2
	s_add_u32 s10, s11, s74
	s_addc_u32 s11, s13, s14
	v_cndmask_b32_e32 v0, 0, v76, vcc
	v_ashrrev_i32_e32 v1, 31, v0
	v_lshl_add_u64 v[0:1], s[10:11], 0, v[0:1]
	v_lshl_add_u64 v[38:39], v[0:1], 0, v[34:35]
	v_sub_u32_e32 v41, 0x7f, v2
	s_mov_b64 s[10:11], 0
	s_branch .LBB317_45
.LBB317_44:                             ;   in Loop: Header=BB317_45 Depth=2
	s_or_b64 exec, exec, s[12:13]
	v_lshl_or_b32 v43, v40, 12, v77
	;;#ASMSTART
	s_waitcnt vmcnt(3)
	;;#ASMEND
	ds_write2_b32 v43, v12, v13 offset1:32
	ds_write2_b32 v43, v14, v15 offset0:64 offset1:96
	v_add_u32_e32 v12, 0x400, v43
	;;#ASMSTART
	s_waitcnt vmcnt(2)
	;;#ASMEND
	ds_write2_b32 v12, v8, v9 offset1:32
	ds_write2_b32 v12, v10, v11 offset0:64 offset1:96
	v_add_u32_e32 v8, 0x800, v43
	;; [unrolled: 6-line block ×3, first 2 shown]
	v_add_u32_e32 v79, s41, v79
	;;#ASMSTART
	s_waitcnt vmcnt(0)
	;;#ASMEND
	ds_write2_b32 v4, v0, v1 offset1:32
	ds_write2_b32 v4, v2, v3 offset0:64 offset1:96
	v_add_u32_e32 v0, 1, v55
	v_add_u32_e32 v40, s41, v40
	v_cmp_le_i32_e32 vcc, s16, v79
	ds_write_b32 v42, v0
	v_add_u32_e32 v0, 2, v55
	s_or_b64 s[10:11], vcc, s[10:11]
	v_cmp_lt_i32_e32 vcc, 3, v40
	s_nop 1
	v_cndmask_b32_e32 v55, v55, v0, vcc
	s_andn2_b64 exec, exec, s[10:11]
	s_cbranch_execz .LBB317_4
.LBB317_45:                             ;   Parent Loop BB317_7 Depth=1
                                        ; =>  This Loop Header: Depth=2
                                        ;       Child Loop BB317_47 Depth 3
	v_cmp_gt_i32_e32 vcc, 4, v40
	s_nop 1
	v_cndmask_b32_e64 v0, -4, 0, vcc
	v_add_u32_e32 v40, v0, v40
	v_ashrrev_i32_e32 v0, 31, v79
	v_lshrrev_b32_e32 v0, 30, v0
	v_add_u32_e32 v0, v79, v0
	v_and_b32_e32 v1, 0x7fffffc, v0
	v_sub_u32_e32 v1, v79, v1
	v_lshlrev_b32_e32 v1, 5, v1
	v_cmp_le_i32_e32 vcc, v1, v41
	v_lshlrev_b32_e32 v0, 5, v0
	v_and_b32_e32 v0, 0xffffff80, v0
	v_cndmask_b32_e32 v2, 0, v1, vcc
	v_ashrrev_i32_e32 v1, 31, v0
	v_mul_lo_u32 v2, v2, s38
	v_lshl_add_u64 v[0:1], v[38:39], 0, v[0:1]
	v_ashrrev_i32_e32 v3, 31, v2
	v_lshl_add_u64 v[0:1], v[0:1], 0, v[2:3]
	v_lshlrev_b32_e32 v42, 2, v40
	;;#ASMSTART
	global_load_dwordx4 v[12:15], v[0:1], off offset:0   
	global_load_dwordx4 v[8:11], v[0:1], off offset:32  
	;; [unrolled: 1-line block ×4, first 2 shown]
	
	;;#ASMEND
	ds_read_b32 v43, v42 offset:20480
	v_add_u32_e32 v42, 0x5000, v42
	s_waitcnt lgkmcnt(0)
	v_cmp_ne_u32_e32 vcc, v43, v55
	s_and_saveexec_b64 s[12:13], vcc
	s_cbranch_execz .LBB317_44
; %bb.46:                               ;   in Loop: Header=BB317_45 Depth=2
	s_mov_b64 s[14:15], 0
.LBB317_47:                             ;   Parent Loop BB317_7 Depth=1
                                        ;     Parent Loop BB317_45 Depth=2
                                        ; =>    This Inner Loop Header: Depth=3
	;;#ASMSTART
	s_sleep 0
	;;#ASMEND
	ds_read_b32 v43, v42
	s_waitcnt lgkmcnt(0)
	v_cmp_eq_u32_e32 vcc, v43, v55
	s_or_b64 s[14:15], vcc, s[14:15]
	s_andn2_b64 exec, exec, s[14:15]
	s_cbranch_execnz .LBB317_47
	s_branch .LBB317_44
.LBB317_48:
	s_endpgm
	.section	.rodata,"a",@progbits
	.p2align	6, 0x0
	.amdhsa_kernel _Z19_skinny_gemm_kernelILi4ELi1ELi1ELi32ELi8EEvPKhS1_P6__halfPKfiiiiiiii
		.amdhsa_group_segment_fixed_size 20500
		.amdhsa_private_segment_fixed_size 0
		.amdhsa_kernarg_size 64
		.amdhsa_user_sgpr_count 2
		.amdhsa_user_sgpr_dispatch_ptr 0
		.amdhsa_user_sgpr_queue_ptr 0
		.amdhsa_user_sgpr_kernarg_segment_ptr 1
		.amdhsa_user_sgpr_dispatch_id 0
		.amdhsa_user_sgpr_kernarg_preload_length 0
		.amdhsa_user_sgpr_kernarg_preload_offset 0
		.amdhsa_user_sgpr_private_segment_size 0
		.amdhsa_uses_dynamic_stack 0
		.amdhsa_enable_private_segment 0
		.amdhsa_system_sgpr_workgroup_id_x 1
		.amdhsa_system_sgpr_workgroup_id_y 0
		.amdhsa_system_sgpr_workgroup_id_z 0
		.amdhsa_system_sgpr_workgroup_info 0
		.amdhsa_system_vgpr_workitem_id 0
		.amdhsa_next_free_vgpr 87
		.amdhsa_next_free_sgpr 77
		.amdhsa_accum_offset 88
		.amdhsa_reserve_vcc 1
		.amdhsa_float_round_mode_32 0
		.amdhsa_float_round_mode_16_64 0
		.amdhsa_float_denorm_mode_32 3
		.amdhsa_float_denorm_mode_16_64 3
		.amdhsa_dx10_clamp 1
		.amdhsa_ieee_mode 1
		.amdhsa_fp16_overflow 0
		.amdhsa_tg_split 0
		.amdhsa_exception_fp_ieee_invalid_op 0
		.amdhsa_exception_fp_denorm_src 0
		.amdhsa_exception_fp_ieee_div_zero 0
		.amdhsa_exception_fp_ieee_overflow 0
		.amdhsa_exception_fp_ieee_underflow 0
		.amdhsa_exception_fp_ieee_inexact 0
		.amdhsa_exception_int_div_zero 0
	.end_amdhsa_kernel
	.section	.text._Z19_skinny_gemm_kernelILi4ELi1ELi1ELi32ELi8EEvPKhS1_P6__halfPKfiiiiiiii,"axG",@progbits,_Z19_skinny_gemm_kernelILi4ELi1ELi1ELi32ELi8EEvPKhS1_P6__halfPKfiiiiiiii,comdat
.Lfunc_end317:
	.size	_Z19_skinny_gemm_kernelILi4ELi1ELi1ELi32ELi8EEvPKhS1_P6__halfPKfiiiiiiii, .Lfunc_end317-_Z19_skinny_gemm_kernelILi4ELi1ELi1ELi32ELi8EEvPKhS1_P6__halfPKfiiiiiiii
                                        ; -- End function
	.set _Z19_skinny_gemm_kernelILi4ELi1ELi1ELi32ELi8EEvPKhS1_P6__halfPKfiiiiiiii.num_vgpr, 87
	.set _Z19_skinny_gemm_kernelILi4ELi1ELi1ELi32ELi8EEvPKhS1_P6__halfPKfiiiiiiii.num_agpr, 0
	.set _Z19_skinny_gemm_kernelILi4ELi1ELi1ELi32ELi8EEvPKhS1_P6__halfPKfiiiiiiii.numbered_sgpr, 77
	.set _Z19_skinny_gemm_kernelILi4ELi1ELi1ELi32ELi8EEvPKhS1_P6__halfPKfiiiiiiii.num_named_barrier, 0
	.set _Z19_skinny_gemm_kernelILi4ELi1ELi1ELi32ELi8EEvPKhS1_P6__halfPKfiiiiiiii.private_seg_size, 0
	.set _Z19_skinny_gemm_kernelILi4ELi1ELi1ELi32ELi8EEvPKhS1_P6__halfPKfiiiiiiii.uses_vcc, 1
	.set _Z19_skinny_gemm_kernelILi4ELi1ELi1ELi32ELi8EEvPKhS1_P6__halfPKfiiiiiiii.uses_flat_scratch, 0
	.set _Z19_skinny_gemm_kernelILi4ELi1ELi1ELi32ELi8EEvPKhS1_P6__halfPKfiiiiiiii.has_dyn_sized_stack, 0
	.set _Z19_skinny_gemm_kernelILi4ELi1ELi1ELi32ELi8EEvPKhS1_P6__halfPKfiiiiiiii.has_recursion, 0
	.set _Z19_skinny_gemm_kernelILi4ELi1ELi1ELi32ELi8EEvPKhS1_P6__halfPKfiiiiiiii.has_indirect_call, 0
	.section	.AMDGPU.csdata,"",@progbits
; Kernel info:
; codeLenInByte = 6404
; TotalNumSgprs: 83
; NumVgprs: 87
; NumAgprs: 0
; TotalNumVgprs: 87
; ScratchSize: 0
; MemoryBound: 0
; FloatMode: 240
; IeeeMode: 1
; LDSByteSize: 20500 bytes/workgroup (compile time only)
; SGPRBlocks: 10
; VGPRBlocks: 10
; NumSGPRsForWavesPerEU: 83
; NumVGPRsForWavesPerEU: 87
; AccumOffset: 88
; Occupancy: 5
; WaveLimiterHint : 0
; COMPUTE_PGM_RSRC2:SCRATCH_EN: 0
; COMPUTE_PGM_RSRC2:USER_SGPR: 2
; COMPUTE_PGM_RSRC2:TRAP_HANDLER: 0
; COMPUTE_PGM_RSRC2:TGID_X_EN: 1
; COMPUTE_PGM_RSRC2:TGID_Y_EN: 0
; COMPUTE_PGM_RSRC2:TGID_Z_EN: 0
; COMPUTE_PGM_RSRC2:TIDIG_COMP_CNT: 0
; COMPUTE_PGM_RSRC3_GFX90A:ACCUM_OFFSET: 21
; COMPUTE_PGM_RSRC3_GFX90A:TG_SPLIT: 0
	.section	.text._Z19_skinny_gemm_kernelILi4ELi1ELi2ELi16ELi4EEvPKhS1_P6__halfPKfiiiiiiii,"axG",@progbits,_Z19_skinny_gemm_kernelILi4ELi1ELi2ELi16ELi4EEvPKhS1_P6__halfPKfiiiiiiii,comdat
	.protected	_Z19_skinny_gemm_kernelILi4ELi1ELi2ELi16ELi4EEvPKhS1_P6__halfPKfiiiiiiii ; -- Begin function _Z19_skinny_gemm_kernelILi4ELi1ELi2ELi16ELi4EEvPKhS1_P6__halfPKfiiiiiiii
	.globl	_Z19_skinny_gemm_kernelILi4ELi1ELi2ELi16ELi4EEvPKhS1_P6__halfPKfiiiiiiii
	.p2align	8
	.type	_Z19_skinny_gemm_kernelILi4ELi1ELi2ELi16ELi4EEvPKhS1_P6__halfPKfiiiiiiii,@function
_Z19_skinny_gemm_kernelILi4ELi1ELi2ELi16ELi4EEvPKhS1_P6__halfPKfiiiiiiii: ; @_Z19_skinny_gemm_kernelILi4ELi1ELi2ELi16ELi4EEvPKhS1_P6__halfPKfiiiiiiii
; %bb.0:
	v_cmp_gt_u32_e32 vcc, 10, v0
	v_lshlrev_b32_e32 v1, 2, v0
	s_and_saveexec_b64 s[4:5], vcc
; %bb.1:
	v_mov_b32_e32 v2, 0
	ds_write_b32 v1, v2 offset:20480
; %bb.2:
	s_or_b64 exec, exec, s[4:5]
	s_load_dwordx8 s[12:19], s[0:1], 0x20
	s_waitcnt lgkmcnt(0)
	s_barrier
	s_add_i32 s3, s12, 63
	s_ashr_i32 s5, s3, 31
	s_add_i32 s4, s13, 15
	s_lshr_b32 s5, s5, 26
	s_ashr_i32 s6, s4, 31
	s_add_i32 s3, s3, s5
	s_ashr_i32 s33, s3, 6
	s_lshr_b32 s3, s6, 28
	s_add_i32 s4, s4, s3
	s_ashr_i32 s42, s4, 4
	s_mul_i32 s3, s42, s33
	s_mul_i32 s3, s3, s16
	s_add_i32 s4, s3, 0x12f
	s_mul_hi_i32 s4, s4, 0x6bca1af3
	s_lshr_b32 s5, s4, 31
	s_ashr_i32 s4, s4, 7
	s_add_i32 s4, s4, s5
	s_add_i32 s5, s2, 1
	s_mul_i32 s5, s4, s5
	v_cvt_f64_i32_e32 v[2:3], s3
	v_cvt_f64_u32_e32 v[4:5], s5
	v_min_f64 v[2:3], v[2:3], v[4:5]
	v_cvt_i32_f64_e32 v17, v[2:3]
	s_mul_i32 s43, s4, s2
	v_cmp_ge_i32_e32 vcc, s43, v17
	s_cbranch_vccnz .LBB318_57
; %bb.3:
	v_lshrrev_b32_e32 v2, 6, v0
	s_add_i32 s4, s18, s17
	s_load_dwordx8 s[20:27], s[0:1], 0x0
	v_cmp_le_i32_e64 s[0:1], s4, v2
	v_mov_b32_e32 v3, s17
	v_cmp_le_i32_e64 s[2:3], s17, v2
	v_mov_b32_e32 v4, s18
	v_cndmask_b32_e64 v4, 0, v4, s[0:1]
	v_cndmask_b32_e64 v3, 0, v3, s[2:3]
	s_abs_i32 s5, s16
	v_add_u32_e32 v3, v3, v4
	v_cvt_f32_u32_e32 v4, s5
	v_sub_u32_e32 v34, v2, v3
	s_ashr_i32 s6, s14, 31
	s_lshr_b32 s6, s6, 25
	v_rcp_iflag_f32_e32 v3, v4
	s_sub_i32 s9, 0, s5
	s_add_i32 s6, s14, s6
	s_ashr_i32 s6, s6, 7
	v_mul_f32_e32 v3, 0x4f7ffffe, v3
	v_cvt_u32_f32_e32 v3, v3
	s_abs_i32 s8, s6
	s_xor_b32 s7, s6, s16
	s_ashr_i32 s7, s7, 31
	v_readfirstlane_b32 s10, v3
	s_mul_i32 s9, s9, s10
	s_mul_hi_u32 s9, s10, s9
	s_add_i32 s10, s10, s9
	s_mul_hi_u32 s9, s8, s10
	s_mul_i32 s10, s9, s5
	s_sub_i32 s8, s8, s10
	s_add_i32 s10, s9, 1
	s_sub_i32 s11, s8, s5
	s_cmp_ge_u32 s8, s5
	s_cselect_b32 s9, s10, s9
	s_cselect_b32 s8, s11, s8
	s_add_i32 s10, s9, 1
	s_cmp_ge_u32 s8, s5
	s_cselect_b32 s5, s10, s9
	s_xor_b32 s5, s5, s7
	s_sub_i32 s44, s5, s7
	s_add_i32 s16, s16, -1
	s_mul_i32 s5, s44, s16
	s_add_i32 s4, s4, s19
	s_sub_i32 s45, s6, s5
	v_cmp_gt_i32_e64 s[4:5], s4, v2
	v_lshlrev_b32_e32 v2, 1, v0
	v_lshlrev_b32_e32 v3, 4, v0
	v_and_b32_e32 v1, 60, v1
	v_and_b32_e32 v2, 64, v2
	;; [unrolled: 1-line block ×3, first 2 shown]
	v_or3_b32 v39, v1, v2, v4
	v_and_b32_e32 v1, 1, v0
	v_lshrrev_b32_e32 v4, 2, v0
	s_abs_i32 s46, s33
	v_and_or_b32 v42, v4, 12, v1
	v_cvt_f32_u32_e32 v4, s46
	v_lshlrev_b32_e32 v2, 1, v1
	v_and_b32_e32 v16, 14, v0
	v_sub_u32_e32 v2, v0, v2
	v_bitop3_b32 v40, v0, 1, v0 bitop3:0xc
	v_bitop3_b32 v41, v0, 3, 1 bitop3:0x6c
	v_and_b32_e32 v26, 48, v3
	v_bfe_u32 v44, v0, 2, 4
	v_and_b32_e32 v1, 60, v0
	v_lshlrev_b32_e32 v3, 8, v0
	v_lshlrev_b32_e32 v0, 6, v0
	v_and_b32_e32 v3, 0x200, v3
	v_and_b32_e32 v0, 64, v0
	v_rcp_iflag_f32_e32 v4, v4
	s_abs_i32 s47, s42
	v_or3_b32 v45, v1, v3, v0
	v_cvt_f32_u32_e32 v1, s47
	v_mul_f32_e32 v0, 0x4f7ffffe, v4
	v_cvt_u32_f32_e32 v0, v0
	v_mad_u64_u32 v[18:19], s[6:7], s13, v42, v[16:17]
	v_rcp_iflag_f32_e32 v1, v1
	s_lshl_b32 s6, s13, 4
	v_add_u32_e32 v20, s6, v18
	v_readfirstlane_b32 s7, v0
	v_mul_f32_e32 v0, 0x4f7ffffe, v1
	v_add_u32_e32 v22, s6, v20
	v_cvt_u32_f32_e32 v0, v0
	v_add_u32_e32 v24, s6, v22
	s_sub_i32 s6, 0, s46
	s_mul_i32 s6, s6, s7
	s_mul_hi_u32 s6, s7, s6
	v_add_u32_e32 v2, 1, v2
	s_add_i32 s49, s7, s6
	s_sub_i32 s6, 0, s47
	v_readfirstlane_b32 s7, v0
	v_mbcnt_lo_u32_b32 v0, -1, 0
	v_and_b32_e32 v2, 63, v2
	s_mul_i32 s6, s6, s7
	v_mbcnt_hi_u32_b32 v0, -1, v0
	v_mul_lo_u32 v28, s15, v44
	s_mul_hi_u32 s6, s7, s6
	v_and_or_b32 v0, v0, 64, v2
	v_cndmask_b32_e64 v38, 0, 1, s[0:1]
	s_ashr_i32 s11, s13, 31
	s_mov_b32 s10, s13
	v_ashrrev_i32_e32 v19, 31, v18
	v_ashrrev_i32_e32 v21, 31, v20
	;; [unrolled: 1-line block ×3, first 2 shown]
	v_or_b32_e32 v43, 48, v42
	v_ashrrev_i32_e32 v25, 31, v24
	v_ashrrev_i32_e32 v29, 31, v28
	v_mov_b32_e32 v27, 0
	v_or_b32_e32 v46, 0x4000, v45
	v_mul_lo_u32 v47, s14, v44
	s_ashr_i32 s48, s33, 31
	s_ashr_i32 s50, s42, 31
	s_add_i32 s51, s7, s6
	v_lshlrev_b32_e32 v48, 2, v0
	v_mov_b32_e32 v49, v34
	s_branch .LBB318_7
.LBB318_4:                              ;   in Loop: Header=BB318_7 Depth=1
	s_or_b64 exec, exec, s[28:29]
.LBB318_5:                              ;   in Loop: Header=BB318_7 Depth=1
	s_or_b64 exec, exec, s[8:9]
	v_subrev_u32_e32 v49, s36, v49
.LBB318_6:                              ;   in Loop: Header=BB318_7 Depth=1
	s_or_b64 exec, exec, s[6:7]
	s_add_i32 s43, s43, 1
	v_cmp_ge_i32_e32 vcc, s43, v17
	s_cbranch_vccnz .LBB318_57
.LBB318_7:                              ; =>This Loop Header: Depth=1
                                        ;     Child Loop BB318_13 Depth 2
                                        ;       Child Loop BB318_15 Depth 3
                                        ;       Child Loop BB318_18 Depth 3
	;; [unrolled: 1-line block ×5, first 2 shown]
                                        ;     Child Loop BB318_44 Depth 2
                                        ;       Child Loop BB318_46 Depth 3
                                        ;     Child Loop BB318_54 Depth 2
                                        ;       Child Loop BB318_56 Depth 3
	s_abs_i32 s7, s43
	s_mul_hi_u32 s8, s7, s49
	s_mul_i32 s9, s8, s46
	s_ashr_i32 s6, s43, 31
	s_sub_i32 s7, s7, s9
	s_xor_b32 s6, s6, s48
	s_add_i32 s9, s8, 1
	s_sub_i32 s28, s7, s46
	s_cmp_ge_u32 s7, s46
	s_cselect_b32 s8, s9, s8
	s_cselect_b32 s7, s28, s7
	s_add_i32 s9, s8, 1
	s_cmp_ge_u32 s7, s46
	s_cselect_b32 s7, s9, s8
	s_xor_b32 s7, s7, s6
	s_sub_i32 s6, s7, s6
	s_abs_i32 s8, s6
	s_mul_i32 s7, s6, s33
	s_mul_hi_u32 s9, s8, s51
	s_sub_i32 s7, s43, s7
	s_mul_i32 s28, s9, s47
	s_lshl_b32 s52, s7, 6
	s_ashr_i32 s7, s6, 31
	s_sub_i32 s8, s8, s28
	s_xor_b32 s7, s7, s50
	s_add_i32 s28, s9, 1
	s_sub_i32 s29, s8, s47
	s_cmp_ge_u32 s8, s47
	s_cselect_b32 s9, s28, s9
	s_cselect_b32 s8, s29, s8
	s_add_i32 s28, s9, 1
	s_cmp_ge_u32 s8, s47
	s_cselect_b32 s8, s28, s9
	s_xor_b32 s8, s8, s7
	s_sub_i32 s7, s8, s7
	s_mul_i32 s8, s7, s44
	s_lshl_b32 s53, s8, 7
	s_cmp_eq_u32 s7, s16
	s_cselect_b32 s55, s45, s44
	s_sub_i32 s8, s52, s12
	s_add_i32 s8, s8, 64
	s_max_i32 s54, s8, 0
	s_and_saveexec_b64 s[8:9], s[2:3]
	s_xor_b64 s[28:29], exec, s[8:9]
	s_cbranch_execz .LBB318_50
; %bb.8:                                ;   in Loop: Header=BB318_7 Depth=1
	s_mul_i32 s7, s7, s42
	s_sub_i32 s6, s6, s7
	s_lshl_b32 s6, s6, 4
	s_sub_i32 s31, s6, s13
	s_add_i32 s31, s31, 16
	s_max_i32 s7, s31, 0
	s_sub_i32 s30, s6, s7
	s_and_saveexec_b64 s[6:7], s[0:1]
	s_xor_b64 s[34:35], exec, s[6:7]
	s_cbranch_execz .LBB318_40
; %bb.9:                                ;   in Loop: Header=BB318_7 Depth=1
	s_and_saveexec_b64 s[36:37], s[4:5]
	s_cbranch_execz .LBB318_39
; %bb.10:                               ;   in Loop: Header=BB318_7 Depth=1
	s_waitcnt lgkmcnt(0)
	global_load_dword v50, v27, s[26:27]
	v_mov_b32_e32 v15, 0
	v_cmp_gt_i32_e32 vcc, s55, v49
	v_mov_b32_e32 v14, v15
	v_mov_b32_e32 v13, v15
	;; [unrolled: 1-line block ×15, first 2 shown]
	s_and_saveexec_b64 s[6:7], vcc
	s_cbranch_execz .LBB318_29
; %bb.11:                               ;   in Loop: Header=BB318_7 Depth=1
	v_mov_b32_e32 v0, 0
	s_mov_b64 s[8:9], 0
	v_mov_b32_e32 v1, v0
	v_mov_b32_e32 v2, v0
	;; [unrolled: 1-line block ×15, first 2 shown]
	s_branch .LBB318_13
.LBB318_12:                             ;   in Loop: Header=BB318_13 Depth=2
	s_or_b64 exec, exec, s[38:39]
	v_add_u32_e32 v55, 0x1800, v54
	ds_read2_b32 v[56:57], v55 offset1:32
	ds_read2_b32 v[58:59], v55 offset0:128 offset1:160
	v_add_u32_e32 v60, 0x1c00, v54
	ds_read2_b32 v[54:55], v60 offset1:32
	v_add_u32_e32 v49, s19, v49
	s_waitcnt lgkmcnt(2)
	v_mfma_f32_16x16x32_fp8_fp8 v[0:3], v[56:57], v[34:35], v[0:3]
	v_add_u32_e32 v34, s19, v51
	v_cmp_le_i32_e32 vcc, s55, v49
	v_add_u32_e32 v35, 2, v38
	s_waitcnt lgkmcnt(1)
	v_mfma_f32_16x16x32_fp8_fp8 v[0:3], v[58:59], v[36:37], v[0:3]
	ds_read2_b32 v[36:37], v60 offset0:128 offset1:160
	s_or_b64 s[8:9], vcc, s[8:9]
	v_cmp_lt_i32_e32 vcc, 1, v34
	s_waitcnt lgkmcnt(1)
	v_mfma_f32_16x16x32_fp8_fp8 v[0:3], v[54:55], v[32:33], v[0:3]
	;;#ASMSTART
	s_waitcnt lgkmcnt(0)
	;;#ASMEND
	ds_write_b32 v53, v52 offset:20492
	v_cndmask_b32_e32 v38, v38, v35, vcc
	s_waitcnt lgkmcnt(1)
	v_mfma_f32_16x16x32_fp8_fp8 v[0:3], v[36:37], v[30:31], v[0:3]
	s_andn2_b64 exec, exec, s[8:9]
	s_cbranch_execz .LBB318_28
.LBB318_13:                             ;   Parent Loop BB318_7 Depth=1
                                        ; =>  This Loop Header: Depth=2
                                        ;       Child Loop BB318_15 Depth 3
                                        ;       Child Loop BB318_18 Depth 3
	;; [unrolled: 1-line block ×5, first 2 shown]
	v_cmp_gt_i32_e32 vcc, 2, v34
	s_nop 1
	v_cndmask_b32_e64 v30, -2, 0, vcc
	v_add_u32_e32 v51, v30, v34
	v_lshlrev_b32_e32 v30, 2, v51
	ds_read_b32 v31, v30 offset:20512
	v_add_u32_e32 v53, 0x5000, v30
	s_waitcnt lgkmcnt(0)
	v_cmp_ne_u32_e32 vcc, v31, v38
	s_and_saveexec_b64 s[38:39], vcc
	s_cbranch_execz .LBB318_16
; %bb.14:                               ;   in Loop: Header=BB318_13 Depth=2
	s_mov_b64 s[40:41], 0
.LBB318_15:                             ;   Parent Loop BB318_7 Depth=1
                                        ;     Parent Loop BB318_13 Depth=2
                                        ; =>    This Inner Loop Header: Depth=3
	;;#ASMSTART
	s_sleep 0
	;;#ASMEND
	ds_read_b32 v30, v53 offset:32
	s_waitcnt lgkmcnt(0)
	v_cmp_eq_u32_e32 vcc, v30, v38
	s_or_b64 s[40:41], vcc, s[40:41]
	s_andn2_b64 exec, exec, s[40:41]
	s_cbranch_execnz .LBB318_15
.LBB318_16:                             ;   in Loop: Header=BB318_13 Depth=2
	s_or_b64 exec, exec, s[38:39]
	v_or_b32_e32 v30, 0x4000, v39
	v_lshl_add_u32 v30, v51, 11, v30
	ds_read2_b32 v[34:35], v30 offset1:32
	ds_read2_b32 v[36:37], v30 offset0:128 offset1:160
	v_add_u32_e32 v30, 0x400, v30
	v_add_u32_e32 v52, 1, v38
	ds_read2_b32 v[32:33], v30 offset1:32
	ds_read2_b32 v[30:31], v30 offset0:128 offset1:160
	;;#ASMSTART
	s_waitcnt lgkmcnt(0)
	;;#ASMEND
	ds_write_b32 v53, v52 offset:32
	v_lshlrev_b32_e32 v53, 4, v51
	ds_read_b32 v54, v53 offset:20480
	s_waitcnt lgkmcnt(0)
	v_cmp_ne_u32_e32 vcc, v54, v38
	s_and_saveexec_b64 s[38:39], vcc
	s_cbranch_execz .LBB318_19
; %bb.17:                               ;   in Loop: Header=BB318_13 Depth=2
	s_mov_b64 s[40:41], 0
.LBB318_18:                             ;   Parent Loop BB318_7 Depth=1
                                        ;     Parent Loop BB318_13 Depth=2
                                        ; =>    This Inner Loop Header: Depth=3
	;;#ASMSTART
	s_sleep 0
	;;#ASMEND
	ds_read_b32 v54, v53 offset:20480
	s_waitcnt lgkmcnt(0)
	v_cmp_eq_u32_e32 vcc, v54, v38
	s_or_b64 s[40:41], vcc, s[40:41]
	s_andn2_b64 exec, exec, s[40:41]
	s_cbranch_execnz .LBB318_18
.LBB318_19:                             ;   in Loop: Header=BB318_13 Depth=2
	s_or_b64 exec, exec, s[38:39]
	v_lshlrev_b32_e32 v54, 13, v51
	v_or_b32_e32 v55, v39, v54
	ds_read2_b32 v[56:57], v55 offset1:32
	ds_read2_b32 v[58:59], v55 offset0:128 offset1:160
	v_add_u32_e32 v55, 0x400, v55
	s_waitcnt lgkmcnt(1)
	v_mfma_f32_16x16x32_fp8_fp8 v[12:15], v[56:57], v[34:35], v[12:15]
	ds_read2_b32 v[56:57], v55 offset1:32
	s_waitcnt lgkmcnt(1)
	v_mfma_f32_16x16x32_fp8_fp8 v[12:15], v[58:59], v[36:37], v[12:15]
	ds_read2_b32 v[58:59], v55 offset0:128 offset1:160
	;;#ASMSTART
	s_waitcnt lgkmcnt(0)
	;;#ASMEND
	ds_read_b32 v55, v53 offset:20484
	ds_write_b32 v53, v52 offset:20480
	s_waitcnt lgkmcnt(3)
	v_mfma_f32_16x16x32_fp8_fp8 v[12:15], v[56:57], v[32:33], v[12:15]
	s_waitcnt lgkmcnt(1)
	v_cmp_ne_u32_e32 vcc, v55, v38
	v_mfma_f32_16x16x32_fp8_fp8 v[12:15], v[58:59], v[30:31], v[12:15]
	s_and_saveexec_b64 s[38:39], vcc
	s_cbranch_execz .LBB318_22
; %bb.20:                               ;   in Loop: Header=BB318_13 Depth=2
	s_mov_b64 s[40:41], 0
.LBB318_21:                             ;   Parent Loop BB318_7 Depth=1
                                        ;     Parent Loop BB318_13 Depth=2
                                        ; =>    This Inner Loop Header: Depth=3
	;;#ASMSTART
	s_sleep 0
	;;#ASMEND
	ds_read_b32 v55, v53 offset:20484
	s_waitcnt lgkmcnt(0)
	v_cmp_eq_u32_e32 vcc, v55, v38
	s_or_b64 s[40:41], vcc, s[40:41]
	s_andn2_b64 exec, exec, s[40:41]
	s_cbranch_execnz .LBB318_21
.LBB318_22:                             ;   in Loop: Header=BB318_13 Depth=2
	s_or_b64 exec, exec, s[38:39]
	v_add_u32_e32 v54, v39, v54
	v_add_u32_e32 v55, 0x800, v54
	ds_read2_b32 v[56:57], v55 offset1:32
	ds_read2_b32 v[58:59], v55 offset0:128 offset1:160
	v_add_u32_e32 v55, 0xc00, v54
	s_waitcnt lgkmcnt(1)
	v_mfma_f32_16x16x32_fp8_fp8 v[8:11], v[56:57], v[34:35], v[8:11]
	ds_read2_b32 v[56:57], v55 offset1:32
	s_waitcnt lgkmcnt(1)
	v_mfma_f32_16x16x32_fp8_fp8 v[8:11], v[58:59], v[36:37], v[8:11]
	ds_read2_b32 v[58:59], v55 offset0:128 offset1:160
	;;#ASMSTART
	s_waitcnt lgkmcnt(0)
	;;#ASMEND
	ds_read_b32 v55, v53 offset:20488
	ds_write_b32 v53, v52 offset:20484
	s_waitcnt lgkmcnt(3)
	v_mfma_f32_16x16x32_fp8_fp8 v[8:11], v[56:57], v[32:33], v[8:11]
	s_waitcnt lgkmcnt(1)
	v_cmp_ne_u32_e32 vcc, v55, v38
	v_mfma_f32_16x16x32_fp8_fp8 v[8:11], v[58:59], v[30:31], v[8:11]
	s_and_saveexec_b64 s[38:39], vcc
	s_cbranch_execz .LBB318_25
; %bb.23:                               ;   in Loop: Header=BB318_13 Depth=2
	s_mov_b64 s[40:41], 0
.LBB318_24:                             ;   Parent Loop BB318_7 Depth=1
                                        ;     Parent Loop BB318_13 Depth=2
                                        ; =>    This Inner Loop Header: Depth=3
	;;#ASMSTART
	s_sleep 0
	;;#ASMEND
	ds_read_b32 v55, v53 offset:20488
	s_waitcnt lgkmcnt(0)
	v_cmp_eq_u32_e32 vcc, v55, v38
	s_or_b64 s[40:41], vcc, s[40:41]
	s_andn2_b64 exec, exec, s[40:41]
	s_cbranch_execnz .LBB318_24
.LBB318_25:                             ;   in Loop: Header=BB318_13 Depth=2
	s_or_b64 exec, exec, s[38:39]
	v_add_u32_e32 v55, 0x1000, v54
	ds_read2_b32 v[56:57], v55 offset1:32
	ds_read2_b32 v[58:59], v55 offset0:128 offset1:160
	v_add_u32_e32 v55, 0x1400, v54
	s_waitcnt lgkmcnt(1)
	v_mfma_f32_16x16x32_fp8_fp8 v[4:7], v[56:57], v[34:35], v[4:7]
	ds_read2_b32 v[56:57], v55 offset1:32
	s_waitcnt lgkmcnt(1)
	v_mfma_f32_16x16x32_fp8_fp8 v[4:7], v[58:59], v[36:37], v[4:7]
	ds_read2_b32 v[58:59], v55 offset0:128 offset1:160
	;;#ASMSTART
	s_waitcnt lgkmcnt(0)
	;;#ASMEND
	ds_read_b32 v55, v53 offset:20492
	ds_write_b32 v53, v52 offset:20488
	s_waitcnt lgkmcnt(3)
	v_mfma_f32_16x16x32_fp8_fp8 v[4:7], v[56:57], v[32:33], v[4:7]
	s_waitcnt lgkmcnt(1)
	v_cmp_ne_u32_e32 vcc, v55, v38
	v_mfma_f32_16x16x32_fp8_fp8 v[4:7], v[58:59], v[30:31], v[4:7]
	s_and_saveexec_b64 s[38:39], vcc
	s_cbranch_execz .LBB318_12
; %bb.26:                               ;   in Loop: Header=BB318_13 Depth=2
	s_mov_b64 s[40:41], 0
.LBB318_27:                             ;   Parent Loop BB318_7 Depth=1
                                        ;     Parent Loop BB318_13 Depth=2
                                        ; =>    This Inner Loop Header: Depth=3
	;;#ASMSTART
	s_sleep 0
	;;#ASMEND
	ds_read_b32 v55, v53 offset:20492
	s_waitcnt lgkmcnt(0)
	v_cmp_eq_u32_e32 vcc, v55, v38
	s_or_b64 s[40:41], vcc, s[40:41]
	s_andn2_b64 exec, exec, s[40:41]
	s_cbranch_execnz .LBB318_27
	s_branch .LBB318_12
.LBB318_28:                             ;   in Loop: Header=BB318_7 Depth=1
	s_or_b64 exec, exec, s[8:9]
.LBB318_29:                             ;   in Loop: Header=BB318_7 Depth=1
	s_or_b64 exec, exec, s[6:7]
	v_cmp_le_i32_e32 vcc, s31, v16
	v_cmp_eq_u32_e64 s[6:7], 3, v40
	s_waitcnt vmcnt(0)
	v_cndmask_b32_e32 v30, 0, v50, vcc
	v_pk_mul_f32 v[36:37], v[30:31], v[12:13] op_sel_hi:[0,1]
	v_cmp_eq_u32_e32 vcc, 1, v40
	v_pk_mul_f32 v[14:15], v[30:31], v[14:15] op_sel_hi:[0,1]
	v_add_u32_e32 v31, s54, v42
	v_cndmask_b32_e32 v12, v36, v37, vcc
	v_cmp_eq_u32_e32 vcc, 2, v40
	s_nop 1
	v_cndmask_b32_e32 v12, v12, v14, vcc
	v_cndmask_b32_e64 v12, v12, v15, s[6:7]
	ds_bpermute_b32 v13, v48, v12
	s_waitcnt lgkmcnt(0)
	v_cndmask_b32_e32 v14, v14, v13, vcc
	v_cmp_ne_u32_e32 vcc, 0, v40
	v_cndmask_b32_e64 v32, v15, v13, s[6:7]
	s_nop 0
	v_cndmask_b32_e32 v12, v37, v13, vcc
	v_cmp_eq_u32_e32 vcc, 0, v40
	s_nop 1
	v_cndmask_b32_e32 v13, v36, v13, vcc
	v_cmp_eq_u32_e32 vcc, 1, v41
	;; [unrolled: 3-line block ×4, first 2 shown]
	s_nop 1
	v_cndmask_b32_e32 v15, v15, v32, vcc
	ds_bpermute_b32 v15, v48, v15
	v_cmp_gt_u32_e32 vcc, 64, v31
	s_and_saveexec_b64 s[38:39], vcc
	s_cbranch_execz .LBB318_38
; %bb.30:                               ;   in Loop: Header=BB318_7 Depth=1
	v_cmp_eq_u32_e64 s[8:9], 1, v41
	v_cmp_eq_u32_e64 s[6:7], 3, v41
	v_cmp_eq_u32_e32 vcc, 2, v41
	s_waitcnt lgkmcnt(0)
	v_cndmask_b32_e64 v12, v12, v15, s[8:9]
	v_cmp_eq_u32_e64 s[8:9], 0, v41
	v_cvt_f16_f32_sdwa v35, v12 dst_sel:WORD_1 dst_unused:UNUSED_PAD src0_sel:DWORD
	s_nop 0
	v_cndmask_b32_e64 v13, v13, v15, s[8:9]
	s_mul_i32 s8, s52, s13
	s_ashr_i32 s9, s8, 31
	s_lshl_b64 s[8:9], s[8:9], 1
	s_add_u32 s40, s24, s8
	s_addc_u32 s41, s25, s9
	s_ashr_i32 s31, s30, 31
	s_lshl_b64 s[8:9], s[30:31], 1
	v_cvt_f16_f32_e32 v33, v13
	s_add_u32 s40, s40, s8
	s_addc_u32 s41, s41, s9
	v_lshl_add_u64 v[12:13], v[18:19], 1, s[40:41]
	v_cmp_gt_u32_e64 s[8:9], 62, v31
	v_or_b32_e32 v33, v35, v33
	;;#ASMSTART
	global_atomic_pk_add_f16 v[12:13], v33, off
	
	;;#ASMEND
	s_and_b64 exec, exec, s[8:9]
	s_cbranch_execz .LBB318_38
; %bb.31:                               ;   in Loop: Header=BB318_7 Depth=1
	v_mov_b32_e32 v31, v30
	v_cndmask_b32_e64 v35, v32, v15, s[6:7]
	v_mov_b32_e32 v32, v30
	v_mov_b32_e32 v33, v30
	v_pk_mul_f32 v[10:11], v[32:33], v[10:11]
	v_pk_mul_f32 v[32:33], v[30:31], v[8:9]
	v_cmp_eq_u32_e64 s[6:7], 1, v40
	v_cmp_eq_u32_e64 s[8:9], 3, v40
	v_cvt_f16_f32_sdwa v35, v35 dst_sel:WORD_1 dst_unused:UNUSED_PAD src0_sel:DWORD
	v_cndmask_b32_e64 v8, v32, v33, s[6:7]
	v_cmp_eq_u32_e64 s[6:7], 2, v40
	s_nop 1
	v_cndmask_b32_e64 v8, v8, v10, s[6:7]
	v_cndmask_b32_e64 v8, v8, v11, s[8:9]
	ds_bpermute_b32 v9, v48, v8
	v_cndmask_b32_e32 v8, v14, v15, vcc
	v_cmp_ne_u32_e32 vcc, 0, v40
	v_lshl_add_u64 v[14:15], s[10:11], 2, v[12:13]
	v_cvt_f16_f32_e32 v13, v8
	s_waitcnt lgkmcnt(0)
	v_cndmask_b32_e32 v8, v33, v9, vcc
	v_cmp_eq_u32_e32 vcc, 0, v40
	v_cndmask_b32_e64 v12, v11, v9, s[8:9]
	v_cndmask_b32_e64 v10, v10, v9, s[6:7]
	v_cndmask_b32_e32 v9, v32, v9, vcc
	v_cmp_eq_u32_e32 vcc, 1, v41
	v_or_b32_e32 v13, v35, v13
	;;#ASMSTART
	global_atomic_pk_add_f16 v[14:15], v13, off
	
	;;#ASMEND
	v_or_b32_e32 v13, 16, v42
	v_cndmask_b32_e32 v11, v9, v8, vcc
	v_cmp_eq_u32_e32 vcc, 2, v41
	v_add_u32_e32 v13, s54, v13
	s_nop 0
	v_cndmask_b32_e32 v11, v11, v10, vcc
	v_cmp_eq_u32_e32 vcc, 3, v41
	s_nop 1
	v_cndmask_b32_e32 v11, v11, v12, vcc
	ds_bpermute_b32 v11, v48, v11
	v_cmp_gt_u32_e32 vcc, 64, v13
	s_and_b64 exec, exec, vcc
	s_cbranch_execz .LBB318_38
; %bb.32:                               ;   in Loop: Header=BB318_7 Depth=1
	v_cmp_eq_u32_e32 vcc, 1, v41
	v_cmp_eq_u32_e64 s[6:7], 3, v41
	v_cmp_gt_u32_e64 s[8:9], 62, v13
	s_waitcnt lgkmcnt(0)
	v_cndmask_b32_e32 v8, v8, v11, vcc
	v_cmp_eq_u32_e32 vcc, 0, v41
	v_cvt_f16_f32_sdwa v15, v8 dst_sel:WORD_1 dst_unused:UNUSED_PAD src0_sel:DWORD
	s_nop 0
	v_cndmask_b32_e32 v9, v9, v11, vcc
	v_cvt_f16_f32_e32 v14, v9
	v_cmp_eq_u32_e32 vcc, 2, v41
	v_lshl_add_u64 v[8:9], v[20:21], 1, s[40:41]
	v_or_b32_e32 v14, v15, v14
	;;#ASMSTART
	global_atomic_pk_add_f16 v[8:9], v14, off
	
	;;#ASMEND
	s_and_b64 exec, exec, s[8:9]
	s_cbranch_execz .LBB318_38
; %bb.33:                               ;   in Loop: Header=BB318_7 Depth=1
	v_cndmask_b32_e64 v14, v12, v11, s[6:7]
	v_mov_b32_e32 v12, v30
	v_mov_b32_e32 v13, v30
	v_pk_mul_f32 v[6:7], v[12:13], v[6:7]
	v_pk_mul_f32 v[12:13], v[30:31], v[4:5]
	v_cmp_eq_u32_e64 s[6:7], 1, v40
	v_cmp_eq_u32_e64 s[8:9], 3, v40
	v_cvt_f16_f32_sdwa v14, v14 dst_sel:WORD_1 dst_unused:UNUSED_PAD src0_sel:DWORD
	v_cndmask_b32_e64 v4, v12, v13, s[6:7]
	v_cmp_eq_u32_e64 s[6:7], 2, v40
	s_nop 1
	v_cndmask_b32_e64 v4, v4, v6, s[6:7]
	v_cndmask_b32_e64 v4, v4, v7, s[8:9]
	ds_bpermute_b32 v5, v48, v4
	v_cndmask_b32_e32 v4, v10, v11, vcc
	v_cmp_ne_u32_e32 vcc, 0, v40
	v_lshl_add_u64 v[10:11], s[10:11], 2, v[8:9]
	v_cvt_f16_f32_e32 v9, v4
	s_waitcnt lgkmcnt(0)
	v_cndmask_b32_e32 v4, v13, v5, vcc
	v_cmp_eq_u32_e32 vcc, 0, v40
	v_cndmask_b32_e64 v8, v7, v5, s[8:9]
	v_cndmask_b32_e64 v6, v6, v5, s[6:7]
	v_cndmask_b32_e32 v5, v12, v5, vcc
	v_cmp_eq_u32_e32 vcc, 1, v41
	v_or_b32_e32 v9, v14, v9
	;;#ASMSTART
	global_atomic_pk_add_f16 v[10:11], v9, off
	
	;;#ASMEND
	v_or_b32_e32 v9, 32, v42
	v_cndmask_b32_e32 v7, v5, v4, vcc
	v_cmp_eq_u32_e32 vcc, 2, v41
	v_add_u32_e32 v9, s54, v9
	s_nop 0
	v_cndmask_b32_e32 v7, v7, v6, vcc
	v_cmp_eq_u32_e32 vcc, 3, v41
	s_nop 1
	v_cndmask_b32_e32 v7, v7, v8, vcc
	ds_bpermute_b32 v7, v48, v7
	v_cmp_gt_u32_e32 vcc, 64, v9
	s_and_b64 exec, exec, vcc
	s_cbranch_execz .LBB318_38
; %bb.34:                               ;   in Loop: Header=BB318_7 Depth=1
	v_cmp_eq_u32_e32 vcc, 1, v41
	v_cmp_eq_u32_e64 s[6:7], 3, v41
	v_cmp_gt_u32_e64 s[8:9], 62, v9
	s_waitcnt lgkmcnt(0)
	v_cndmask_b32_e32 v4, v4, v7, vcc
	v_cmp_eq_u32_e32 vcc, 0, v41
	v_cvt_f16_f32_sdwa v11, v4 dst_sel:WORD_1 dst_unused:UNUSED_PAD src0_sel:DWORD
	s_nop 0
	v_cndmask_b32_e32 v5, v5, v7, vcc
	v_cvt_f16_f32_e32 v10, v5
	v_cmp_eq_u32_e32 vcc, 2, v41
	v_lshl_add_u64 v[4:5], v[22:23], 1, s[40:41]
	v_or_b32_e32 v10, v11, v10
	;;#ASMSTART
	global_atomic_pk_add_f16 v[4:5], v10, off
	
	;;#ASMEND
	s_and_b64 exec, exec, s[8:9]
	s_cbranch_execz .LBB318_38
; %bb.35:                               ;   in Loop: Header=BB318_7 Depth=1
	v_cndmask_b32_e64 v12, v8, v7, s[6:7]
	v_mov_b32_e32 v8, v30
	v_mov_b32_e32 v9, v30
	v_pk_mul_f32 v[10:11], v[30:31], v[0:1]
	v_cmp_eq_u32_e64 s[6:7], 1, v40
	v_pk_mul_f32 v[8:9], v[8:9], v[2:3]
	v_cmp_eq_u32_e64 s[8:9], 3, v40
	v_cndmask_b32_e64 v0, v10, v11, s[6:7]
	v_cmp_eq_u32_e64 s[6:7], 2, v40
	v_cvt_f16_f32_sdwa v12, v12 dst_sel:WORD_1 dst_unused:UNUSED_PAD src0_sel:DWORD
	s_nop 0
	v_cndmask_b32_e64 v0, v0, v8, s[6:7]
	v_cndmask_b32_e64 v0, v0, v9, s[8:9]
	ds_bpermute_b32 v1, v48, v0
	v_cndmask_b32_e32 v0, v6, v7, vcc
	v_cmp_ne_u32_e32 vcc, 0, v40
	v_lshl_add_u64 v[6:7], s[10:11], 2, v[4:5]
	v_cvt_f16_f32_e32 v5, v0
	s_waitcnt lgkmcnt(0)
	v_cndmask_b32_e32 v0, v11, v1, vcc
	v_cmp_eq_u32_e32 vcc, 0, v40
	v_cndmask_b32_e64 v2, v9, v1, s[8:9]
	v_cndmask_b32_e64 v3, v8, v1, s[6:7]
	v_cndmask_b32_e32 v1, v10, v1, vcc
	v_cmp_eq_u32_e32 vcc, 1, v41
	v_or_b32_e32 v5, v12, v5
	;;#ASMSTART
	global_atomic_pk_add_f16 v[6:7], v5, off
	
	;;#ASMEND
	v_add_u32_e32 v5, s54, v43
	v_cndmask_b32_e32 v4, v1, v0, vcc
	v_cmp_eq_u32_e32 vcc, 2, v41
	s_nop 1
	v_cndmask_b32_e32 v4, v4, v3, vcc
	v_cmp_eq_u32_e32 vcc, 3, v41
	s_nop 1
	v_cndmask_b32_e32 v4, v4, v2, vcc
	ds_bpermute_b32 v4, v48, v4
	v_cmp_gt_u32_e32 vcc, 64, v5
	s_and_b64 exec, exec, vcc
	s_cbranch_execz .LBB318_38
; %bb.36:                               ;   in Loop: Header=BB318_7 Depth=1
	v_cmp_eq_u32_e32 vcc, 1, v41
	v_cmp_eq_u32_e64 s[6:7], 2, v41
	v_cmp_gt_u32_e64 s[8:9], 62, v5
	s_waitcnt lgkmcnt(0)
	v_cndmask_b32_e32 v0, v0, v4, vcc
	v_cmp_eq_u32_e32 vcc, 0, v41
	v_cvt_f16_f32_sdwa v7, v0 dst_sel:WORD_1 dst_unused:UNUSED_PAD src0_sel:DWORD
	s_nop 0
	v_cndmask_b32_e32 v1, v1, v4, vcc
	v_cvt_f16_f32_e32 v6, v1
	v_cmp_eq_u32_e32 vcc, 3, v41
	v_lshl_add_u64 v[0:1], v[24:25], 1, s[40:41]
	v_or_b32_e32 v6, v7, v6
	;;#ASMSTART
	global_atomic_pk_add_f16 v[0:1], v6, off
	
	;;#ASMEND
	s_and_b64 exec, exec, s[8:9]
	s_cbranch_execz .LBB318_38
; %bb.37:                               ;   in Loop: Header=BB318_7 Depth=1
	v_cndmask_b32_e32 v2, v2, v4, vcc
	v_cndmask_b32_e64 v3, v3, v4, s[6:7]
	v_cvt_f16_f32_sdwa v2, v2 dst_sel:WORD_1 dst_unused:UNUSED_PAD src0_sel:DWORD
	v_cvt_f16_f32_e32 v3, v3
	v_lshl_add_u64 v[0:1], s[10:11], 2, v[0:1]
	v_or_b32_e32 v2, v2, v3
	;;#ASMSTART
	global_atomic_pk_add_f16 v[0:1], v2, off
	
	;;#ASMEND
.LBB318_38:                             ;   in Loop: Header=BB318_7 Depth=1
	s_or_b64 exec, exec, s[38:39]
	v_subrev_u32_e32 v49, s55, v49
.LBB318_39:                             ;   in Loop: Header=BB318_7 Depth=1
	s_or_b64 exec, exec, s[36:37]
.LBB318_40:                             ;   in Loop: Header=BB318_7 Depth=1
	s_andn2_saveexec_b64 s[6:7], s[34:35]
	s_cbranch_execz .LBB318_49
; %bb.41:                               ;   in Loop: Header=BB318_7 Depth=1
	v_cmp_gt_i32_e32 vcc, s55, v49
	s_and_saveexec_b64 s[8:9], vcc
	s_cbranch_execz .LBB318_48
; %bb.42:                               ;   in Loop: Header=BB318_7 Depth=1
	s_mul_i32 s30, s30, s15
	s_ashr_i32 s31, s30, 31
	s_waitcnt lgkmcnt(0)
	s_add_u32 s30, s22, s30
	s_addc_u32 s31, s23, s31
	s_ashr_i32 s34, s53, 31
	s_add_u32 s30, s30, s53
	s_addc_u32 s31, s31, s34
	v_lshl_add_u64 v[0:1], s[30:31], 0, v[28:29]
	v_lshl_add_u64 v[8:9], v[0:1], 0, v[26:27]
	s_mov_b64 s[30:31], 0
	s_branch .LBB318_44
.LBB318_43:                             ;   in Loop: Header=BB318_44 Depth=2
	s_or_b64 exec, exec, s[34:35]
	v_lshl_add_u32 v12, v10, 11, v46
	;;#ASMSTART
	s_waitcnt vmcnt(1)
	;;#ASMEND
	ds_write2_b32 v12, v4, v5 offset1:32
	ds_write2_b32 v12, v6, v7 offset0:64 offset1:96
	v_add_u32_e32 v4, 0x400, v12
	v_add_u32_e32 v49, s18, v49
	;;#ASMSTART
	s_waitcnt vmcnt(0)
	;;#ASMEND
	ds_write2_b32 v4, v0, v1 offset1:32
	ds_write2_b32 v4, v2, v3 offset0:64 offset1:96
	v_add_u32_e32 v0, 1, v38
	v_add_u32_e32 v34, s18, v10
	v_cmp_le_i32_e32 vcc, s55, v49
	ds_write_b32 v11, v0 offset:32
	v_add_u32_e32 v0, 2, v38
	s_or_b64 s[30:31], vcc, s[30:31]
	v_cmp_lt_i32_e32 vcc, 1, v34
	s_nop 1
	v_cndmask_b32_e32 v38, v38, v0, vcc
	s_andn2_b64 exec, exec, s[30:31]
	s_cbranch_execz .LBB318_47
.LBB318_44:                             ;   Parent Loop BB318_7 Depth=1
                                        ; =>  This Loop Header: Depth=2
                                        ;       Child Loop BB318_46 Depth 3
	v_cmp_gt_i32_e32 vcc, 2, v34
	s_nop 1
	v_cndmask_b32_e64 v0, -2, 0, vcc
	v_add_u32_e32 v10, v0, v34
	v_lshlrev_b32_e32 v0, 7, v49
	v_ashrrev_i32_e32 v1, 31, v0
	v_lshl_add_u64 v[0:1], v[8:9], 0, v[0:1]
	v_lshlrev_b32_e32 v11, 2, v10
	;;#ASMSTART
	global_load_dwordx4 v[4:7], v[0:1], off offset:0   sc0 sc1 nt  
	global_load_dwordx4 v[0:3], v[0:1], off offset:64  sc0 sc1 nt  
	
	;;#ASMEND
	ds_read_b32 v12, v11 offset:20512
	v_add_u32_e32 v11, 0x5000, v11
	s_waitcnt lgkmcnt(0)
	v_cmp_ne_u32_e32 vcc, v12, v38
	s_and_saveexec_b64 s[34:35], vcc
	s_cbranch_execz .LBB318_43
; %bb.45:                               ;   in Loop: Header=BB318_44 Depth=2
	s_mov_b64 s[36:37], 0
.LBB318_46:                             ;   Parent Loop BB318_7 Depth=1
                                        ;     Parent Loop BB318_44 Depth=2
                                        ; =>    This Inner Loop Header: Depth=3
	;;#ASMSTART
	s_sleep 0
	;;#ASMEND
	ds_read_b32 v12, v11 offset:32
	s_waitcnt lgkmcnt(0)
	v_cmp_eq_u32_e32 vcc, v12, v38
	s_or_b64 s[36:37], vcc, s[36:37]
	s_andn2_b64 exec, exec, s[36:37]
	s_cbranch_execnz .LBB318_46
	s_branch .LBB318_43
.LBB318_47:                             ;   in Loop: Header=BB318_7 Depth=1
	s_or_b64 exec, exec, s[30:31]
.LBB318_48:                             ;   in Loop: Header=BB318_7 Depth=1
	s_or_b64 exec, exec, s[8:9]
	v_subrev_u32_e32 v49, s55, v49
.LBB318_49:                             ;   in Loop: Header=BB318_7 Depth=1
	s_or_b64 exec, exec, s[6:7]
.LBB318_50:                             ;   in Loop: Header=BB318_7 Depth=1
	s_andn2_saveexec_b64 s[6:7], s[28:29]
	s_cbranch_execz .LBB318_6
; %bb.51:                               ;   in Loop: Header=BB318_7 Depth=1
	s_lshl_b32 s36, s55, 2
	v_cmp_gt_i32_e32 vcc, s36, v49
	s_and_saveexec_b64 s[8:9], vcc
	s_cbranch_execz .LBB318_5
; %bb.52:                               ;   in Loop: Header=BB318_7 Depth=1
	s_mul_i32 s52, s52, s14
	s_ashr_i32 s28, s52, 31
	s_waitcnt lgkmcnt(0)
	s_add_u32 s29, s20, s52
	v_add_u32_e32 v2, s54, v44
	s_addc_u32 s30, s21, s28
	s_ashr_i32 s31, s53, 31
	v_cmp_gt_u32_e32 vcc, 64, v2
	s_add_u32 s28, s29, s53
	s_addc_u32 s29, s30, s31
	v_cndmask_b32_e32 v0, 0, v47, vcc
	v_ashrrev_i32_e32 v1, 31, v0
	v_lshl_add_u64 v[0:1], s[28:29], 0, v[0:1]
	v_lshl_add_u64 v[8:9], v[0:1], 0, v[26:27]
	v_sub_u32_e32 v10, 63, v2
	s_mov_b64 s[28:29], 0
	s_branch .LBB318_54
.LBB318_53:                             ;   in Loop: Header=BB318_54 Depth=2
	s_or_b64 exec, exec, s[30:31]
	v_lshl_or_b32 v13, v11, 11, v45
	;;#ASMSTART
	s_waitcnt vmcnt(1)
	;;#ASMEND
	ds_write2_b32 v13, v4, v5 offset1:32
	ds_write2_b32 v13, v6, v7 offset0:64 offset1:96
	v_add_u32_e32 v4, 0x400, v13
	v_add_u32_e32 v49, s17, v49
	;;#ASMSTART
	s_waitcnt vmcnt(0)
	;;#ASMEND
	ds_write2_b32 v4, v0, v1 offset1:32
	ds_write2_b32 v4, v2, v3 offset0:64 offset1:96
	v_add_u32_e32 v0, 1, v38
	v_add_u32_e32 v34, s17, v11
	v_cmp_le_i32_e32 vcc, s36, v49
	ds_write_b32 v12, v0
	v_add_u32_e32 v0, 2, v38
	s_or_b64 s[28:29], vcc, s[28:29]
	v_cmp_lt_i32_e32 vcc, 7, v34
	s_nop 1
	v_cndmask_b32_e32 v38, v38, v0, vcc
	s_andn2_b64 exec, exec, s[28:29]
	s_cbranch_execz .LBB318_4
.LBB318_54:                             ;   Parent Loop BB318_7 Depth=1
                                        ; =>  This Loop Header: Depth=2
                                        ;       Child Loop BB318_56 Depth 3
	v_cmp_gt_i32_e32 vcc, 8, v34
	s_nop 1
	v_cndmask_b32_e64 v0, -8, 0, vcc
	v_add_u32_e32 v11, v0, v34
	v_ashrrev_i32_e32 v0, 31, v49
	v_lshrrev_b32_e32 v0, 30, v0
	v_add_u32_e32 v0, v49, v0
	v_and_b32_e32 v1, 0xffffffc, v0
	v_sub_u32_e32 v1, v49, v1
	v_lshlrev_b32_e32 v1, 4, v1
	v_cmp_le_i32_e32 vcc, v1, v10
	v_lshlrev_b32_e32 v0, 5, v0
	v_and_b32_e32 v0, 0xffffff80, v0
	v_cndmask_b32_e32 v2, 0, v1, vcc
	v_ashrrev_i32_e32 v1, 31, v0
	v_mul_lo_u32 v2, v2, s14
	v_lshl_add_u64 v[0:1], v[8:9], 0, v[0:1]
	v_ashrrev_i32_e32 v3, 31, v2
	v_lshl_add_u64 v[0:1], v[0:1], 0, v[2:3]
	v_lshlrev_b32_e32 v12, 2, v11
	;;#ASMSTART
	global_load_dwordx4 v[4:7], v[0:1], off offset:0   
	global_load_dwordx4 v[0:3], v[0:1], off offset:64  
	
	;;#ASMEND
	ds_read_b32 v13, v12 offset:20480
	v_add_u32_e32 v12, 0x5000, v12
	s_waitcnt lgkmcnt(0)
	v_cmp_ne_u32_e32 vcc, v13, v38
	s_and_saveexec_b64 s[30:31], vcc
	s_cbranch_execz .LBB318_53
; %bb.55:                               ;   in Loop: Header=BB318_54 Depth=2
	s_mov_b64 s[34:35], 0
.LBB318_56:                             ;   Parent Loop BB318_7 Depth=1
                                        ;     Parent Loop BB318_54 Depth=2
                                        ; =>    This Inner Loop Header: Depth=3
	;;#ASMSTART
	s_sleep 0
	;;#ASMEND
	ds_read_b32 v13, v12
	s_waitcnt lgkmcnt(0)
	v_cmp_eq_u32_e32 vcc, v13, v38
	s_or_b64 s[34:35], vcc, s[34:35]
	s_andn2_b64 exec, exec, s[34:35]
	s_cbranch_execnz .LBB318_56
	s_branch .LBB318_53
.LBB318_57:
	s_endpgm
	.section	.rodata,"a",@progbits
	.p2align	6, 0x0
	.amdhsa_kernel _Z19_skinny_gemm_kernelILi4ELi1ELi2ELi16ELi4EEvPKhS1_P6__halfPKfiiiiiiii
		.amdhsa_group_segment_fixed_size 20520
		.amdhsa_private_segment_fixed_size 0
		.amdhsa_kernarg_size 64
		.amdhsa_user_sgpr_count 2
		.amdhsa_user_sgpr_dispatch_ptr 0
		.amdhsa_user_sgpr_queue_ptr 0
		.amdhsa_user_sgpr_kernarg_segment_ptr 1
		.amdhsa_user_sgpr_dispatch_id 0
		.amdhsa_user_sgpr_kernarg_preload_length 0
		.amdhsa_user_sgpr_kernarg_preload_offset 0
		.amdhsa_user_sgpr_private_segment_size 0
		.amdhsa_uses_dynamic_stack 0
		.amdhsa_enable_private_segment 0
		.amdhsa_system_sgpr_workgroup_id_x 1
		.amdhsa_system_sgpr_workgroup_id_y 0
		.amdhsa_system_sgpr_workgroup_id_z 0
		.amdhsa_system_sgpr_workgroup_info 0
		.amdhsa_system_vgpr_workitem_id 0
		.amdhsa_next_free_vgpr 61
		.amdhsa_next_free_sgpr 56
		.amdhsa_accum_offset 64
		.amdhsa_reserve_vcc 1
		.amdhsa_float_round_mode_32 0
		.amdhsa_float_round_mode_16_64 0
		.amdhsa_float_denorm_mode_32 3
		.amdhsa_float_denorm_mode_16_64 3
		.amdhsa_dx10_clamp 1
		.amdhsa_ieee_mode 1
		.amdhsa_fp16_overflow 0
		.amdhsa_tg_split 0
		.amdhsa_exception_fp_ieee_invalid_op 0
		.amdhsa_exception_fp_denorm_src 0
		.amdhsa_exception_fp_ieee_div_zero 0
		.amdhsa_exception_fp_ieee_overflow 0
		.amdhsa_exception_fp_ieee_underflow 0
		.amdhsa_exception_fp_ieee_inexact 0
		.amdhsa_exception_int_div_zero 0
	.end_amdhsa_kernel
	.section	.text._Z19_skinny_gemm_kernelILi4ELi1ELi2ELi16ELi4EEvPKhS1_P6__halfPKfiiiiiiii,"axG",@progbits,_Z19_skinny_gemm_kernelILi4ELi1ELi2ELi16ELi4EEvPKhS1_P6__halfPKfiiiiiiii,comdat
.Lfunc_end318:
	.size	_Z19_skinny_gemm_kernelILi4ELi1ELi2ELi16ELi4EEvPKhS1_P6__halfPKfiiiiiiii, .Lfunc_end318-_Z19_skinny_gemm_kernelILi4ELi1ELi2ELi16ELi4EEvPKhS1_P6__halfPKfiiiiiiii
                                        ; -- End function
	.set _Z19_skinny_gemm_kernelILi4ELi1ELi2ELi16ELi4EEvPKhS1_P6__halfPKfiiiiiiii.num_vgpr, 61
	.set _Z19_skinny_gemm_kernelILi4ELi1ELi2ELi16ELi4EEvPKhS1_P6__halfPKfiiiiiiii.num_agpr, 0
	.set _Z19_skinny_gemm_kernelILi4ELi1ELi2ELi16ELi4EEvPKhS1_P6__halfPKfiiiiiiii.numbered_sgpr, 56
	.set _Z19_skinny_gemm_kernelILi4ELi1ELi2ELi16ELi4EEvPKhS1_P6__halfPKfiiiiiiii.num_named_barrier, 0
	.set _Z19_skinny_gemm_kernelILi4ELi1ELi2ELi16ELi4EEvPKhS1_P6__halfPKfiiiiiiii.private_seg_size, 0
	.set _Z19_skinny_gemm_kernelILi4ELi1ELi2ELi16ELi4EEvPKhS1_P6__halfPKfiiiiiiii.uses_vcc, 1
	.set _Z19_skinny_gemm_kernelILi4ELi1ELi2ELi16ELi4EEvPKhS1_P6__halfPKfiiiiiiii.uses_flat_scratch, 0
	.set _Z19_skinny_gemm_kernelILi4ELi1ELi2ELi16ELi4EEvPKhS1_P6__halfPKfiiiiiiii.has_dyn_sized_stack, 0
	.set _Z19_skinny_gemm_kernelILi4ELi1ELi2ELi16ELi4EEvPKhS1_P6__halfPKfiiiiiiii.has_recursion, 0
	.set _Z19_skinny_gemm_kernelILi4ELi1ELi2ELi16ELi4EEvPKhS1_P6__halfPKfiiiiiiii.has_indirect_call, 0
	.section	.AMDGPU.csdata,"",@progbits
; Kernel info:
; codeLenInByte = 4356
; TotalNumSgprs: 62
; NumVgprs: 61
; NumAgprs: 0
; TotalNumVgprs: 61
; ScratchSize: 0
; MemoryBound: 0
; FloatMode: 240
; IeeeMode: 1
; LDSByteSize: 20520 bytes/workgroup (compile time only)
; SGPRBlocks: 7
; VGPRBlocks: 7
; NumSGPRsForWavesPerEU: 62
; NumVGPRsForWavesPerEU: 61
; AccumOffset: 64
; Occupancy: 8
; WaveLimiterHint : 0
; COMPUTE_PGM_RSRC2:SCRATCH_EN: 0
; COMPUTE_PGM_RSRC2:USER_SGPR: 2
; COMPUTE_PGM_RSRC2:TRAP_HANDLER: 0
; COMPUTE_PGM_RSRC2:TGID_X_EN: 1
; COMPUTE_PGM_RSRC2:TGID_Y_EN: 0
; COMPUTE_PGM_RSRC2:TGID_Z_EN: 0
; COMPUTE_PGM_RSRC2:TIDIG_COMP_CNT: 0
; COMPUTE_PGM_RSRC3_GFX90A:ACCUM_OFFSET: 15
; COMPUTE_PGM_RSRC3_GFX90A:TG_SPLIT: 0
	.section	.text._Z19_skinny_gemm_kernelILi4ELi1ELi2ELi16ELi8EEvPKhS1_P6__halfPKfiiiiiiii,"axG",@progbits,_Z19_skinny_gemm_kernelILi4ELi1ELi2ELi16ELi8EEvPKhS1_P6__halfPKfiiiiiiii,comdat
	.protected	_Z19_skinny_gemm_kernelILi4ELi1ELi2ELi16ELi8EEvPKhS1_P6__halfPKfiiiiiiii ; -- Begin function _Z19_skinny_gemm_kernelILi4ELi1ELi2ELi16ELi8EEvPKhS1_P6__halfPKfiiiiiiii
	.globl	_Z19_skinny_gemm_kernelILi4ELi1ELi2ELi16ELi8EEvPKhS1_P6__halfPKfiiiiiiii
	.p2align	8
	.type	_Z19_skinny_gemm_kernelILi4ELi1ELi2ELi16ELi8EEvPKhS1_P6__halfPKfiiiiiiii,@function
_Z19_skinny_gemm_kernelILi4ELi1ELi2ELi16ELi8EEvPKhS1_P6__halfPKfiiiiiiii: ; @_Z19_skinny_gemm_kernelILi4ELi1ELi2ELi16ELi8EEvPKhS1_P6__halfPKfiiiiiiii
; %bb.0:
	v_cmp_gt_u32_e32 vcc, 10, v0
	v_lshlrev_b32_e32 v1, 2, v0
	s_and_saveexec_b64 s[4:5], vcc
; %bb.1:
	v_mov_b32_e32 v2, 0
	ds_write_b32 v1, v2 offset:40960
; %bb.2:
	s_or_b64 exec, exec, s[4:5]
	s_load_dwordx8 s[12:19], s[0:1], 0x20
	s_waitcnt lgkmcnt(0)
	s_barrier
	s_add_i32 s3, s12, 63
	s_ashr_i32 s5, s3, 31
	s_add_i32 s4, s13, 15
	s_lshr_b32 s5, s5, 26
	s_ashr_i32 s6, s4, 31
	s_add_i32 s3, s3, s5
	s_ashr_i32 s33, s3, 6
	s_lshr_b32 s3, s6, 28
	s_add_i32 s4, s4, s3
	s_ashr_i32 s42, s4, 4
	s_mul_i32 s3, s42, s33
	s_mul_i32 s3, s3, s16
	s_add_i32 s4, s3, 0x12f
	s_mul_hi_i32 s4, s4, 0x6bca1af3
	s_lshr_b32 s5, s4, 31
	s_ashr_i32 s4, s4, 7
	s_add_i32 s4, s4, s5
	s_add_i32 s5, s2, 1
	s_mul_i32 s5, s4, s5
	v_cvt_f64_i32_e32 v[2:3], s3
	v_cvt_f64_u32_e32 v[4:5], s5
	v_min_f64 v[2:3], v[2:3], v[4:5]
	v_cvt_i32_f64_e32 v17, v[2:3]
	s_mul_i32 s43, s4, s2
	v_cmp_ge_i32_e32 vcc, s43, v17
	s_cbranch_vccnz .LBB319_57
; %bb.3:
	v_lshrrev_b32_e32 v2, 6, v0
	s_add_i32 s4, s18, s17
	s_load_dwordx8 s[20:27], s[0:1], 0x0
	v_cmp_le_i32_e64 s[0:1], s4, v2
	v_mov_b32_e32 v3, s17
	v_cmp_le_i32_e64 s[2:3], s17, v2
	v_mov_b32_e32 v4, s18
	v_cndmask_b32_e64 v4, 0, v4, s[0:1]
	v_cndmask_b32_e64 v3, 0, v3, s[2:3]
	s_abs_i32 s5, s16
	v_add_u32_e32 v3, v3, v4
	v_cvt_f32_u32_e32 v4, s5
	v_sub_u32_e32 v32, v2, v3
	s_ashr_i32 s6, s14, 31
	s_lshr_b32 s6, s6, 24
	v_rcp_iflag_f32_e32 v3, v4
	s_sub_i32 s9, 0, s5
	s_add_i32 s6, s14, s6
	s_ashr_i32 s6, s6, 8
	v_mul_f32_e32 v3, 0x4f7ffffe, v3
	v_cvt_u32_f32_e32 v3, v3
	s_abs_i32 s8, s6
	s_xor_b32 s7, s6, s16
	s_ashr_i32 s7, s7, 31
	v_readfirstlane_b32 s10, v3
	s_mul_i32 s9, s9, s10
	s_mul_hi_u32 s9, s10, s9
	s_add_i32 s10, s10, s9
	s_mul_hi_u32 s9, s8, s10
	s_mul_i32 s10, s9, s5
	s_sub_i32 s8, s8, s10
	s_add_i32 s10, s9, 1
	s_sub_i32 s11, s8, s5
	s_cmp_ge_u32 s8, s5
	s_cselect_b32 s9, s10, s9
	s_cselect_b32 s8, s11, s8
	s_add_i32 s10, s9, 1
	s_cmp_ge_u32 s8, s5
	s_cselect_b32 s5, s10, s9
	s_xor_b32 s5, s5, s7
	s_sub_i32 s44, s5, s7
	s_add_i32 s16, s16, -1
	s_mul_i32 s5, s44, s16
	s_add_i32 s4, s4, s19
	s_sub_i32 s45, s6, s5
	v_cmp_gt_i32_e64 s[4:5], s4, v2
	v_lshlrev_b32_e32 v2, 1, v0
	v_lshlrev_b32_e32 v3, 4, v0
	v_and_b32_e32 v1, 60, v1
	v_and_b32_e32 v2, 64, v2
	;; [unrolled: 1-line block ×3, first 2 shown]
	v_or3_b32 v47, v1, v2, v4
	v_and_b32_e32 v1, 1, v0
	v_lshrrev_b32_e32 v4, 2, v0
	s_abs_i32 s46, s33
	v_and_or_b32 v50, v4, 12, v1
	v_cvt_f32_u32_e32 v4, s46
	v_lshlrev_b32_e32 v2, 1, v1
	v_and_b32_e32 v16, 14, v0
	v_sub_u32_e32 v2, v0, v2
	v_bitop3_b32 v48, v0, 1, v0 bitop3:0xc
	v_bitop3_b32 v49, v0, 3, 1 bitop3:0x6c
	v_and_b32_e32 v26, 48, v3
	v_bfe_u32 v52, v0, 2, 4
	v_and_b32_e32 v1, 60, v0
	v_lshlrev_b32_e32 v3, 8, v0
	v_lshlrev_b32_e32 v0, 6, v0
	v_and_b32_e32 v3, 0x200, v3
	v_and_b32_e32 v0, 64, v0
	v_rcp_iflag_f32_e32 v4, v4
	s_abs_i32 s47, s42
	v_or3_b32 v53, v1, v3, v0
	v_cvt_f32_u32_e32 v1, s47
	v_mul_f32_e32 v0, 0x4f7ffffe, v4
	v_cvt_u32_f32_e32 v0, v0
	v_mad_u64_u32 v[18:19], s[6:7], s13, v50, v[16:17]
	v_rcp_iflag_f32_e32 v1, v1
	s_lshl_b32 s6, s13, 4
	v_add_u32_e32 v20, s6, v18
	v_readfirstlane_b32 s7, v0
	v_mul_f32_e32 v0, 0x4f7ffffe, v1
	v_add_u32_e32 v22, s6, v20
	v_cvt_u32_f32_e32 v0, v0
	v_add_u32_e32 v24, s6, v22
	s_sub_i32 s6, 0, s46
	s_mul_i32 s6, s6, s7
	s_mul_hi_u32 s6, s7, s6
	v_add_u32_e32 v2, 1, v2
	s_add_i32 s49, s7, s6
	s_sub_i32 s6, 0, s47
	v_readfirstlane_b32 s7, v0
	v_mbcnt_lo_u32_b32 v0, -1, 0
	v_and_b32_e32 v2, 63, v2
	s_mul_i32 s6, s6, s7
	v_mbcnt_hi_u32_b32 v0, -1, v0
	v_mul_lo_u32 v28, s15, v52
	s_mul_hi_u32 s6, s7, s6
	v_and_or_b32 v0, v0, 64, v2
	v_cndmask_b32_e64 v46, 0, 1, s[0:1]
	s_ashr_i32 s11, s13, 31
	s_mov_b32 s10, s13
	v_ashrrev_i32_e32 v19, 31, v18
	v_ashrrev_i32_e32 v21, 31, v20
	;; [unrolled: 1-line block ×3, first 2 shown]
	v_or_b32_e32 v51, 48, v50
	v_ashrrev_i32_e32 v25, 31, v24
	v_ashrrev_i32_e32 v29, 31, v28
	v_mov_b32_e32 v27, 0
	v_or_b32_e32 v54, 0x8000, v53
	v_mul_lo_u32 v55, s14, v52
	s_ashr_i32 s48, s33, 31
	s_ashr_i32 s50, s42, 31
	s_add_i32 s51, s7, s6
	v_lshlrev_b32_e32 v56, 2, v0
	v_mov_b32_e32 v57, v32
	s_branch .LBB319_7
.LBB319_4:                              ;   in Loop: Header=BB319_7 Depth=1
	s_or_b64 exec, exec, s[28:29]
.LBB319_5:                              ;   in Loop: Header=BB319_7 Depth=1
	s_or_b64 exec, exec, s[8:9]
	v_subrev_u32_e32 v57, s36, v57
.LBB319_6:                              ;   in Loop: Header=BB319_7 Depth=1
	s_or_b64 exec, exec, s[6:7]
	s_add_i32 s43, s43, 1
	v_cmp_ge_i32_e32 vcc, s43, v17
	s_cbranch_vccnz .LBB319_57
.LBB319_7:                              ; =>This Loop Header: Depth=1
                                        ;     Child Loop BB319_13 Depth 2
                                        ;       Child Loop BB319_15 Depth 3
                                        ;       Child Loop BB319_18 Depth 3
	;; [unrolled: 1-line block ×5, first 2 shown]
                                        ;     Child Loop BB319_44 Depth 2
                                        ;       Child Loop BB319_46 Depth 3
                                        ;     Child Loop BB319_54 Depth 2
                                        ;       Child Loop BB319_56 Depth 3
	s_abs_i32 s7, s43
	s_mul_hi_u32 s8, s7, s49
	s_mul_i32 s9, s8, s46
	s_ashr_i32 s6, s43, 31
	s_sub_i32 s7, s7, s9
	s_xor_b32 s6, s6, s48
	s_add_i32 s9, s8, 1
	s_sub_i32 s28, s7, s46
	s_cmp_ge_u32 s7, s46
	s_cselect_b32 s8, s9, s8
	s_cselect_b32 s7, s28, s7
	s_add_i32 s9, s8, 1
	s_cmp_ge_u32 s7, s46
	s_cselect_b32 s7, s9, s8
	s_xor_b32 s7, s7, s6
	s_sub_i32 s6, s7, s6
	s_abs_i32 s8, s6
	s_mul_i32 s7, s6, s33
	s_mul_hi_u32 s9, s8, s51
	s_sub_i32 s7, s43, s7
	s_mul_i32 s28, s9, s47
	s_lshl_b32 s52, s7, 6
	s_ashr_i32 s7, s6, 31
	s_sub_i32 s8, s8, s28
	s_xor_b32 s7, s7, s50
	s_add_i32 s28, s9, 1
	s_sub_i32 s29, s8, s47
	s_cmp_ge_u32 s8, s47
	s_cselect_b32 s9, s28, s9
	s_cselect_b32 s8, s29, s8
	s_add_i32 s28, s9, 1
	s_cmp_ge_u32 s8, s47
	s_cselect_b32 s8, s28, s9
	s_xor_b32 s8, s8, s7
	s_sub_i32 s7, s8, s7
	s_mul_i32 s8, s7, s44
	s_lshl_b32 s53, s8, 8
	s_cmp_eq_u32 s7, s16
	s_cselect_b32 s55, s45, s44
	s_sub_i32 s8, s52, s12
	s_add_i32 s8, s8, 64
	s_max_i32 s54, s8, 0
	s_and_saveexec_b64 s[8:9], s[2:3]
	s_xor_b64 s[28:29], exec, s[8:9]
	s_cbranch_execz .LBB319_50
; %bb.8:                                ;   in Loop: Header=BB319_7 Depth=1
	s_mul_i32 s7, s7, s42
	s_sub_i32 s6, s6, s7
	s_lshl_b32 s6, s6, 4
	s_sub_i32 s31, s6, s13
	s_add_i32 s31, s31, 16
	s_max_i32 s7, s31, 0
	s_sub_i32 s30, s6, s7
	s_and_saveexec_b64 s[6:7], s[0:1]
	s_xor_b64 s[34:35], exec, s[6:7]
	s_cbranch_execz .LBB319_40
; %bb.9:                                ;   in Loop: Header=BB319_7 Depth=1
	s_and_saveexec_b64 s[36:37], s[4:5]
	s_cbranch_execz .LBB319_39
; %bb.10:                               ;   in Loop: Header=BB319_7 Depth=1
	s_waitcnt lgkmcnt(0)
	global_load_dword v58, v27, s[26:27]
	v_mov_b32_e32 v15, 0
	v_cmp_gt_i32_e32 vcc, s55, v57
	v_mov_b32_e32 v14, v15
	v_mov_b32_e32 v13, v15
	;; [unrolled: 1-line block ×15, first 2 shown]
	s_and_saveexec_b64 s[6:7], vcc
	s_cbranch_execz .LBB319_29
; %bb.11:                               ;   in Loop: Header=BB319_7 Depth=1
	v_mov_b32_e32 v0, 0
	s_mov_b64 s[8:9], 0
	v_mov_b32_e32 v1, v0
	v_mov_b32_e32 v2, v0
	;; [unrolled: 1-line block ×15, first 2 shown]
	s_branch .LBB319_13
.LBB319_12:                             ;   in Loop: Header=BB319_13 Depth=2
	s_or_b64 exec, exec, s[38:39]
	v_add_u32_e32 v63, 0x3000, v62
	ds_read2_b32 v[64:65], v63 offset1:32
	ds_read2_b32 v[66:67], v63 offset0:128 offset1:160
	v_add_u32_e32 v63, 0x3400, v62
	v_add_u32_e32 v57, s19, v57
	v_cmp_le_i32_e32 vcc, s55, v57
	s_waitcnt lgkmcnt(1)
	v_mfma_f32_16x16x32_fp8_fp8 v[0:3], v[64:65], v[32:33], v[0:3]
	ds_read2_b32 v[32:33], v63 offset1:32
	s_or_b64 s[8:9], vcc, s[8:9]
	s_waitcnt lgkmcnt(1)
	v_mfma_f32_16x16x32_fp8_fp8 v[0:3], v[66:67], v[34:35], v[0:3]
	ds_read2_b32 v[34:35], v63 offset0:128 offset1:160
	v_add_u32_e32 v63, 0x3800, v62
	s_waitcnt lgkmcnt(1)
	v_mfma_f32_16x16x32_fp8_fp8 v[0:3], v[32:33], v[38:39], v[0:3]
	ds_read2_b32 v[32:33], v63 offset1:32
	s_waitcnt lgkmcnt(1)
	v_mfma_f32_16x16x32_fp8_fp8 v[0:3], v[34:35], v[40:41], v[0:3]
	ds_read2_b32 v[34:35], v63 offset0:128 offset1:160
	v_add_u32_e32 v40, 0x3c00, v62
	ds_read2_b32 v[38:39], v40 offset1:32
	s_waitcnt lgkmcnt(2)
	v_mfma_f32_16x16x32_fp8_fp8 v[0:3], v[32:33], v[42:43], v[0:3]
	v_add_u32_e32 v32, s19, v59
	v_add_u32_e32 v33, 2, v46
	v_cmp_lt_i32_e32 vcc, 1, v32
	s_waitcnt lgkmcnt(1)
	v_mfma_f32_16x16x32_fp8_fp8 v[0:3], v[34:35], v[44:45], v[0:3]
	ds_read2_b32 v[34:35], v40 offset0:128 offset1:160
	v_cndmask_b32_e32 v46, v46, v33, vcc
	;;#ASMSTART
	s_waitcnt lgkmcnt(0)
	;;#ASMEND
	s_waitcnt lgkmcnt(1)
	v_mfma_f32_16x16x32_fp8_fp8 v[0:3], v[38:39], v[36:37], v[0:3]
	ds_write_b32 v61, v60 offset:40972
	s_waitcnt lgkmcnt(1)
	v_mfma_f32_16x16x32_fp8_fp8 v[0:3], v[34:35], v[30:31], v[0:3]
	s_andn2_b64 exec, exec, s[8:9]
	s_cbranch_execz .LBB319_28
.LBB319_13:                             ;   Parent Loop BB319_7 Depth=1
                                        ; =>  This Loop Header: Depth=2
                                        ;       Child Loop BB319_15 Depth 3
                                        ;       Child Loop BB319_18 Depth 3
	;; [unrolled: 1-line block ×5, first 2 shown]
	v_cmp_gt_i32_e32 vcc, 2, v32
	s_nop 1
	v_cndmask_b32_e64 v30, -2, 0, vcc
	v_add_u32_e32 v59, v30, v32
	v_lshlrev_b32_e32 v30, 2, v59
	ds_read_b32 v31, v30 offset:40992
	v_add_u32_e32 v61, 0xa000, v30
	s_waitcnt lgkmcnt(0)
	v_cmp_ne_u32_e32 vcc, v31, v46
	s_and_saveexec_b64 s[38:39], vcc
	s_cbranch_execz .LBB319_16
; %bb.14:                               ;   in Loop: Header=BB319_13 Depth=2
	s_mov_b64 s[40:41], 0
.LBB319_15:                             ;   Parent Loop BB319_7 Depth=1
                                        ;     Parent Loop BB319_13 Depth=2
                                        ; =>    This Inner Loop Header: Depth=3
	;;#ASMSTART
	s_sleep 0
	;;#ASMEND
	ds_read_b32 v30, v61 offset:32
	s_waitcnt lgkmcnt(0)
	v_cmp_eq_u32_e32 vcc, v30, v46
	s_or_b64 s[40:41], vcc, s[40:41]
	s_andn2_b64 exec, exec, s[40:41]
	s_cbranch_execnz .LBB319_15
.LBB319_16:                             ;   in Loop: Header=BB319_13 Depth=2
	s_or_b64 exec, exec, s[38:39]
	v_or_b32_e32 v30, 0x8000, v47
	v_lshl_add_u32 v30, v59, 12, v30
	v_add_u32_e32 v31, 0x400, v30
	ds_read2_b32 v[32:33], v30 offset1:32
	ds_read2_b32 v[34:35], v30 offset0:128 offset1:160
	ds_read2_b32 v[38:39], v31 offset1:32
	ds_read2_b32 v[40:41], v31 offset0:128 offset1:160
	v_add_u32_e32 v31, 0x800, v30
	v_add_u32_e32 v30, 0xc00, v30
	;; [unrolled: 1-line block ×3, first 2 shown]
	ds_read2_b32 v[42:43], v31 offset1:32
	ds_read2_b32 v[44:45], v31 offset0:128 offset1:160
	ds_read2_b32 v[36:37], v30 offset1:32
	ds_read2_b32 v[30:31], v30 offset0:128 offset1:160
	;;#ASMSTART
	s_waitcnt lgkmcnt(0)
	;;#ASMEND
	ds_write_b32 v61, v60 offset:32
	v_lshlrev_b32_e32 v61, 4, v59
	ds_read_b32 v62, v61 offset:40960
	s_waitcnt lgkmcnt(0)
	v_cmp_ne_u32_e32 vcc, v62, v46
	s_and_saveexec_b64 s[38:39], vcc
	s_cbranch_execz .LBB319_19
; %bb.17:                               ;   in Loop: Header=BB319_13 Depth=2
	s_mov_b64 s[40:41], 0
.LBB319_18:                             ;   Parent Loop BB319_7 Depth=1
                                        ;     Parent Loop BB319_13 Depth=2
                                        ; =>    This Inner Loop Header: Depth=3
	;;#ASMSTART
	s_sleep 0
	;;#ASMEND
	ds_read_b32 v62, v61 offset:40960
	s_waitcnt lgkmcnt(0)
	v_cmp_eq_u32_e32 vcc, v62, v46
	s_or_b64 s[40:41], vcc, s[40:41]
	s_andn2_b64 exec, exec, s[40:41]
	s_cbranch_execnz .LBB319_18
.LBB319_19:                             ;   in Loop: Header=BB319_13 Depth=2
	s_or_b64 exec, exec, s[38:39]
	v_lshl_or_b32 v62, v59, 14, v47
	ds_read2_b32 v[64:65], v62 offset1:32
	ds_read2_b32 v[66:67], v62 offset0:128 offset1:160
	v_add_u32_e32 v63, 0x400, v62
	s_waitcnt lgkmcnt(1)
	v_mfma_f32_16x16x32_fp8_fp8 v[12:15], v[64:65], v[32:33], v[12:15]
	ds_read2_b32 v[64:65], v63 offset1:32
	s_waitcnt lgkmcnt(1)
	v_mfma_f32_16x16x32_fp8_fp8 v[12:15], v[66:67], v[34:35], v[12:15]
	ds_read2_b32 v[66:67], v63 offset0:128 offset1:160
	v_add_u32_e32 v63, 0x800, v62
	s_waitcnt lgkmcnt(1)
	v_mfma_f32_16x16x32_fp8_fp8 v[12:15], v[64:65], v[38:39], v[12:15]
	ds_read2_b32 v[64:65], v63 offset1:32
	s_waitcnt lgkmcnt(1)
	v_mfma_f32_16x16x32_fp8_fp8 v[12:15], v[66:67], v[40:41], v[12:15]
	;; [unrolled: 7-line block ×3, first 2 shown]
	ds_read2_b32 v[66:67], v63 offset0:128 offset1:160
	;;#ASMSTART
	s_waitcnt lgkmcnt(0)
	;;#ASMEND
	ds_read_b32 v63, v61 offset:40964
	s_waitcnt lgkmcnt(2)
	v_mfma_f32_16x16x32_fp8_fp8 v[12:15], v[64:65], v[36:37], v[12:15]
	ds_write_b32 v61, v60 offset:40960
	s_waitcnt lgkmcnt(1)
	v_cmp_ne_u32_e32 vcc, v63, v46
	v_mfma_f32_16x16x32_fp8_fp8 v[12:15], v[66:67], v[30:31], v[12:15]
	s_and_saveexec_b64 s[38:39], vcc
	s_cbranch_execz .LBB319_22
; %bb.20:                               ;   in Loop: Header=BB319_13 Depth=2
	s_mov_b64 s[40:41], 0
.LBB319_21:                             ;   Parent Loop BB319_7 Depth=1
                                        ;     Parent Loop BB319_13 Depth=2
                                        ; =>    This Inner Loop Header: Depth=3
	;;#ASMSTART
	s_sleep 0
	;;#ASMEND
	ds_read_b32 v63, v61 offset:40964
	s_waitcnt lgkmcnt(0)
	v_cmp_eq_u32_e32 vcc, v63, v46
	s_or_b64 s[40:41], vcc, s[40:41]
	s_andn2_b64 exec, exec, s[40:41]
	s_cbranch_execnz .LBB319_21
.LBB319_22:                             ;   in Loop: Header=BB319_13 Depth=2
	s_or_b64 exec, exec, s[38:39]
	v_add_u32_e32 v63, 0x1000, v62
	ds_read2_b32 v[64:65], v63 offset1:32
	ds_read2_b32 v[66:67], v63 offset0:128 offset1:160
	v_add_u32_e32 v63, 0x1400, v62
	s_waitcnt lgkmcnt(1)
	v_mfma_f32_16x16x32_fp8_fp8 v[8:11], v[64:65], v[32:33], v[8:11]
	ds_read2_b32 v[64:65], v63 offset1:32
	s_waitcnt lgkmcnt(1)
	v_mfma_f32_16x16x32_fp8_fp8 v[8:11], v[66:67], v[34:35], v[8:11]
	ds_read2_b32 v[66:67], v63 offset0:128 offset1:160
	v_add_u32_e32 v63, 0x1800, v62
	s_waitcnt lgkmcnt(1)
	v_mfma_f32_16x16x32_fp8_fp8 v[8:11], v[64:65], v[38:39], v[8:11]
	ds_read2_b32 v[64:65], v63 offset1:32
	s_waitcnt lgkmcnt(1)
	v_mfma_f32_16x16x32_fp8_fp8 v[8:11], v[66:67], v[40:41], v[8:11]
	;; [unrolled: 7-line block ×3, first 2 shown]
	ds_read2_b32 v[66:67], v63 offset0:128 offset1:160
	;;#ASMSTART
	s_waitcnt lgkmcnt(0)
	;;#ASMEND
	ds_read_b32 v63, v61 offset:40968
	s_waitcnt lgkmcnt(2)
	v_mfma_f32_16x16x32_fp8_fp8 v[8:11], v[64:65], v[36:37], v[8:11]
	ds_write_b32 v61, v60 offset:40964
	s_waitcnt lgkmcnt(1)
	v_cmp_ne_u32_e32 vcc, v63, v46
	v_mfma_f32_16x16x32_fp8_fp8 v[8:11], v[66:67], v[30:31], v[8:11]
	s_and_saveexec_b64 s[38:39], vcc
	s_cbranch_execz .LBB319_25
; %bb.23:                               ;   in Loop: Header=BB319_13 Depth=2
	s_mov_b64 s[40:41], 0
.LBB319_24:                             ;   Parent Loop BB319_7 Depth=1
                                        ;     Parent Loop BB319_13 Depth=2
                                        ; =>    This Inner Loop Header: Depth=3
	;;#ASMSTART
	s_sleep 0
	;;#ASMEND
	ds_read_b32 v63, v61 offset:40968
	s_waitcnt lgkmcnt(0)
	v_cmp_eq_u32_e32 vcc, v63, v46
	s_or_b64 s[40:41], vcc, s[40:41]
	s_andn2_b64 exec, exec, s[40:41]
	s_cbranch_execnz .LBB319_24
.LBB319_25:                             ;   in Loop: Header=BB319_13 Depth=2
	s_or_b64 exec, exec, s[38:39]
	v_add_u32_e32 v63, 0x2000, v62
	ds_read2_b32 v[64:65], v63 offset1:32
	ds_read2_b32 v[66:67], v63 offset0:128 offset1:160
	v_add_u32_e32 v63, 0x2400, v62
	s_waitcnt lgkmcnt(1)
	v_mfma_f32_16x16x32_fp8_fp8 v[4:7], v[64:65], v[32:33], v[4:7]
	ds_read2_b32 v[64:65], v63 offset1:32
	s_waitcnt lgkmcnt(1)
	v_mfma_f32_16x16x32_fp8_fp8 v[4:7], v[66:67], v[34:35], v[4:7]
	ds_read2_b32 v[66:67], v63 offset0:128 offset1:160
	v_add_u32_e32 v63, 0x2800, v62
	s_waitcnt lgkmcnt(1)
	v_mfma_f32_16x16x32_fp8_fp8 v[4:7], v[64:65], v[38:39], v[4:7]
	ds_read2_b32 v[64:65], v63 offset1:32
	s_waitcnt lgkmcnt(1)
	v_mfma_f32_16x16x32_fp8_fp8 v[4:7], v[66:67], v[40:41], v[4:7]
	;; [unrolled: 7-line block ×3, first 2 shown]
	ds_read2_b32 v[66:67], v63 offset0:128 offset1:160
	;;#ASMSTART
	s_waitcnt lgkmcnt(0)
	;;#ASMEND
	ds_read_b32 v63, v61 offset:40972
	s_waitcnt lgkmcnt(2)
	v_mfma_f32_16x16x32_fp8_fp8 v[4:7], v[64:65], v[36:37], v[4:7]
	ds_write_b32 v61, v60 offset:40968
	s_waitcnt lgkmcnt(1)
	v_cmp_ne_u32_e32 vcc, v63, v46
	v_mfma_f32_16x16x32_fp8_fp8 v[4:7], v[66:67], v[30:31], v[4:7]
	s_and_saveexec_b64 s[38:39], vcc
	s_cbranch_execz .LBB319_12
; %bb.26:                               ;   in Loop: Header=BB319_13 Depth=2
	s_mov_b64 s[40:41], 0
.LBB319_27:                             ;   Parent Loop BB319_7 Depth=1
                                        ;     Parent Loop BB319_13 Depth=2
                                        ; =>    This Inner Loop Header: Depth=3
	;;#ASMSTART
	s_sleep 0
	;;#ASMEND
	ds_read_b32 v63, v61 offset:40972
	s_waitcnt lgkmcnt(0)
	v_cmp_eq_u32_e32 vcc, v63, v46
	s_or_b64 s[40:41], vcc, s[40:41]
	s_andn2_b64 exec, exec, s[40:41]
	s_cbranch_execnz .LBB319_27
	s_branch .LBB319_12
.LBB319_28:                             ;   in Loop: Header=BB319_7 Depth=1
	s_or_b64 exec, exec, s[8:9]
.LBB319_29:                             ;   in Loop: Header=BB319_7 Depth=1
	s_or_b64 exec, exec, s[6:7]
	v_cmp_le_i32_e32 vcc, s31, v16
	v_cmp_eq_u32_e64 s[6:7], 3, v48
	s_waitcnt vmcnt(0)
	v_cndmask_b32_e32 v30, 0, v58, vcc
	v_pk_mul_f32 v[34:35], v[30:31], v[12:13] op_sel_hi:[0,1]
	v_cmp_eq_u32_e32 vcc, 1, v48
	v_pk_mul_f32 v[14:15], v[30:31], v[14:15] op_sel_hi:[0,1]
	v_add_u32_e32 v31, s54, v50
	v_cndmask_b32_e32 v12, v34, v35, vcc
	v_cmp_eq_u32_e32 vcc, 2, v48
	s_nop 1
	v_cndmask_b32_e32 v12, v12, v14, vcc
	v_cndmask_b32_e64 v12, v12, v15, s[6:7]
	ds_bpermute_b32 v13, v56, v12
	s_waitcnt lgkmcnt(0)
	v_cndmask_b32_e32 v14, v14, v13, vcc
	v_cmp_ne_u32_e32 vcc, 0, v48
	v_cndmask_b32_e64 v33, v15, v13, s[6:7]
	s_nop 0
	v_cndmask_b32_e32 v12, v35, v13, vcc
	v_cmp_eq_u32_e32 vcc, 0, v48
	s_nop 1
	v_cndmask_b32_e32 v13, v34, v13, vcc
	v_cmp_eq_u32_e32 vcc, 1, v49
	;; [unrolled: 3-line block ×4, first 2 shown]
	s_nop 1
	v_cndmask_b32_e32 v15, v15, v33, vcc
	ds_bpermute_b32 v15, v56, v15
	v_cmp_gt_u32_e32 vcc, 64, v31
	s_and_saveexec_b64 s[38:39], vcc
	s_cbranch_execz .LBB319_38
; %bb.30:                               ;   in Loop: Header=BB319_7 Depth=1
	v_cmp_eq_u32_e64 s[8:9], 1, v49
	v_cmp_eq_u32_e64 s[6:7], 3, v49
	v_cmp_eq_u32_e32 vcc, 2, v49
	s_waitcnt lgkmcnt(0)
	v_cndmask_b32_e64 v12, v12, v15, s[8:9]
	v_cmp_eq_u32_e64 s[8:9], 0, v49
	v_cvt_f16_f32_sdwa v35, v12 dst_sel:WORD_1 dst_unused:UNUSED_PAD src0_sel:DWORD
	s_nop 0
	v_cndmask_b32_e64 v13, v13, v15, s[8:9]
	s_mul_i32 s8, s52, s13
	s_ashr_i32 s9, s8, 31
	s_lshl_b64 s[8:9], s[8:9], 1
	s_add_u32 s40, s24, s8
	s_addc_u32 s41, s25, s9
	s_ashr_i32 s31, s30, 31
	s_lshl_b64 s[8:9], s[30:31], 1
	v_cvt_f16_f32_e32 v34, v13
	s_add_u32 s40, s40, s8
	s_addc_u32 s41, s41, s9
	v_lshl_add_u64 v[12:13], v[18:19], 1, s[40:41]
	v_cmp_gt_u32_e64 s[8:9], 62, v31
	v_or_b32_e32 v34, v35, v34
	;;#ASMSTART
	global_atomic_pk_add_f16 v[12:13], v34, off
	
	;;#ASMEND
	s_and_b64 exec, exec, s[8:9]
	s_cbranch_execz .LBB319_38
; %bb.31:                               ;   in Loop: Header=BB319_7 Depth=1
	v_mov_b32_e32 v31, v30
	v_mov_b32_e32 v34, v30
	;; [unrolled: 1-line block ×3, first 2 shown]
	v_cndmask_b32_e64 v33, v33, v15, s[6:7]
	v_pk_mul_f32 v[10:11], v[34:35], v[10:11]
	v_pk_mul_f32 v[34:35], v[30:31], v[8:9]
	v_cmp_eq_u32_e64 s[6:7], 1, v48
	v_cmp_eq_u32_e64 s[8:9], 3, v48
	v_cvt_f16_f32_sdwa v33, v33 dst_sel:WORD_1 dst_unused:UNUSED_PAD src0_sel:DWORD
	v_cndmask_b32_e64 v8, v34, v35, s[6:7]
	v_cmp_eq_u32_e64 s[6:7], 2, v48
	s_nop 1
	v_cndmask_b32_e64 v8, v8, v10, s[6:7]
	v_cndmask_b32_e64 v8, v8, v11, s[8:9]
	ds_bpermute_b32 v9, v56, v8
	v_cndmask_b32_e32 v8, v14, v15, vcc
	v_cmp_ne_u32_e32 vcc, 0, v48
	v_lshl_add_u64 v[14:15], s[10:11], 2, v[12:13]
	v_cvt_f16_f32_e32 v13, v8
	s_waitcnt lgkmcnt(0)
	v_cndmask_b32_e32 v8, v35, v9, vcc
	v_cmp_eq_u32_e32 vcc, 0, v48
	v_cndmask_b32_e64 v12, v11, v9, s[8:9]
	v_cndmask_b32_e64 v10, v10, v9, s[6:7]
	v_cndmask_b32_e32 v9, v34, v9, vcc
	v_cmp_eq_u32_e32 vcc, 1, v49
	v_or_b32_e32 v13, v33, v13
	;;#ASMSTART
	global_atomic_pk_add_f16 v[14:15], v13, off
	
	;;#ASMEND
	v_or_b32_e32 v13, 16, v50
	v_cndmask_b32_e32 v11, v9, v8, vcc
	v_cmp_eq_u32_e32 vcc, 2, v49
	v_add_u32_e32 v13, s54, v13
	s_nop 0
	v_cndmask_b32_e32 v11, v11, v10, vcc
	v_cmp_eq_u32_e32 vcc, 3, v49
	s_nop 1
	v_cndmask_b32_e32 v11, v11, v12, vcc
	ds_bpermute_b32 v11, v56, v11
	v_cmp_gt_u32_e32 vcc, 64, v13
	s_and_b64 exec, exec, vcc
	s_cbranch_execz .LBB319_38
; %bb.32:                               ;   in Loop: Header=BB319_7 Depth=1
	v_cmp_eq_u32_e32 vcc, 1, v49
	v_cmp_eq_u32_e64 s[6:7], 3, v49
	v_cmp_gt_u32_e64 s[8:9], 62, v13
	s_waitcnt lgkmcnt(0)
	v_cndmask_b32_e32 v8, v8, v11, vcc
	v_cmp_eq_u32_e32 vcc, 0, v49
	v_cvt_f16_f32_sdwa v15, v8 dst_sel:WORD_1 dst_unused:UNUSED_PAD src0_sel:DWORD
	s_nop 0
	v_cndmask_b32_e32 v9, v9, v11, vcc
	v_cvt_f16_f32_e32 v14, v9
	v_cmp_eq_u32_e32 vcc, 2, v49
	v_lshl_add_u64 v[8:9], v[20:21], 1, s[40:41]
	v_or_b32_e32 v14, v15, v14
	;;#ASMSTART
	global_atomic_pk_add_f16 v[8:9], v14, off
	
	;;#ASMEND
	s_and_b64 exec, exec, s[8:9]
	s_cbranch_execz .LBB319_38
; %bb.33:                               ;   in Loop: Header=BB319_7 Depth=1
	v_cndmask_b32_e64 v14, v12, v11, s[6:7]
	v_mov_b32_e32 v12, v30
	v_mov_b32_e32 v13, v30
	v_pk_mul_f32 v[6:7], v[12:13], v[6:7]
	v_pk_mul_f32 v[12:13], v[30:31], v[4:5]
	v_cmp_eq_u32_e64 s[6:7], 1, v48
	v_cmp_eq_u32_e64 s[8:9], 3, v48
	v_cvt_f16_f32_sdwa v14, v14 dst_sel:WORD_1 dst_unused:UNUSED_PAD src0_sel:DWORD
	v_cndmask_b32_e64 v4, v12, v13, s[6:7]
	v_cmp_eq_u32_e64 s[6:7], 2, v48
	s_nop 1
	v_cndmask_b32_e64 v4, v4, v6, s[6:7]
	v_cndmask_b32_e64 v4, v4, v7, s[8:9]
	ds_bpermute_b32 v5, v56, v4
	v_cndmask_b32_e32 v4, v10, v11, vcc
	v_cmp_ne_u32_e32 vcc, 0, v48
	v_lshl_add_u64 v[10:11], s[10:11], 2, v[8:9]
	v_cvt_f16_f32_e32 v9, v4
	s_waitcnt lgkmcnt(0)
	v_cndmask_b32_e32 v4, v13, v5, vcc
	v_cmp_eq_u32_e32 vcc, 0, v48
	v_cndmask_b32_e64 v8, v7, v5, s[8:9]
	v_cndmask_b32_e64 v6, v6, v5, s[6:7]
	v_cndmask_b32_e32 v5, v12, v5, vcc
	v_cmp_eq_u32_e32 vcc, 1, v49
	v_or_b32_e32 v9, v14, v9
	;;#ASMSTART
	global_atomic_pk_add_f16 v[10:11], v9, off
	
	;;#ASMEND
	v_or_b32_e32 v9, 32, v50
	v_cndmask_b32_e32 v7, v5, v4, vcc
	v_cmp_eq_u32_e32 vcc, 2, v49
	v_add_u32_e32 v9, s54, v9
	s_nop 0
	v_cndmask_b32_e32 v7, v7, v6, vcc
	v_cmp_eq_u32_e32 vcc, 3, v49
	s_nop 1
	v_cndmask_b32_e32 v7, v7, v8, vcc
	ds_bpermute_b32 v7, v56, v7
	v_cmp_gt_u32_e32 vcc, 64, v9
	s_and_b64 exec, exec, vcc
	s_cbranch_execz .LBB319_38
; %bb.34:                               ;   in Loop: Header=BB319_7 Depth=1
	v_cmp_eq_u32_e32 vcc, 1, v49
	v_cmp_eq_u32_e64 s[6:7], 3, v49
	v_cmp_gt_u32_e64 s[8:9], 62, v9
	s_waitcnt lgkmcnt(0)
	v_cndmask_b32_e32 v4, v4, v7, vcc
	v_cmp_eq_u32_e32 vcc, 0, v49
	v_cvt_f16_f32_sdwa v11, v4 dst_sel:WORD_1 dst_unused:UNUSED_PAD src0_sel:DWORD
	s_nop 0
	v_cndmask_b32_e32 v5, v5, v7, vcc
	v_cvt_f16_f32_e32 v10, v5
	v_cmp_eq_u32_e32 vcc, 2, v49
	v_lshl_add_u64 v[4:5], v[22:23], 1, s[40:41]
	v_or_b32_e32 v10, v11, v10
	;;#ASMSTART
	global_atomic_pk_add_f16 v[4:5], v10, off
	
	;;#ASMEND
	s_and_b64 exec, exec, s[8:9]
	s_cbranch_execz .LBB319_38
; %bb.35:                               ;   in Loop: Header=BB319_7 Depth=1
	v_cndmask_b32_e64 v12, v8, v7, s[6:7]
	v_mov_b32_e32 v8, v30
	v_mov_b32_e32 v9, v30
	v_pk_mul_f32 v[10:11], v[30:31], v[0:1]
	v_cmp_eq_u32_e64 s[6:7], 1, v48
	v_pk_mul_f32 v[8:9], v[8:9], v[2:3]
	v_cmp_eq_u32_e64 s[8:9], 3, v48
	v_cndmask_b32_e64 v0, v10, v11, s[6:7]
	v_cmp_eq_u32_e64 s[6:7], 2, v48
	v_cvt_f16_f32_sdwa v12, v12 dst_sel:WORD_1 dst_unused:UNUSED_PAD src0_sel:DWORD
	s_nop 0
	v_cndmask_b32_e64 v0, v0, v8, s[6:7]
	v_cndmask_b32_e64 v0, v0, v9, s[8:9]
	ds_bpermute_b32 v1, v56, v0
	v_cndmask_b32_e32 v0, v6, v7, vcc
	v_cmp_ne_u32_e32 vcc, 0, v48
	v_lshl_add_u64 v[6:7], s[10:11], 2, v[4:5]
	v_cvt_f16_f32_e32 v5, v0
	s_waitcnt lgkmcnt(0)
	v_cndmask_b32_e32 v0, v11, v1, vcc
	v_cmp_eq_u32_e32 vcc, 0, v48
	v_cndmask_b32_e64 v2, v9, v1, s[8:9]
	v_cndmask_b32_e64 v3, v8, v1, s[6:7]
	v_cndmask_b32_e32 v1, v10, v1, vcc
	v_cmp_eq_u32_e32 vcc, 1, v49
	v_or_b32_e32 v5, v12, v5
	;;#ASMSTART
	global_atomic_pk_add_f16 v[6:7], v5, off
	
	;;#ASMEND
	v_add_u32_e32 v5, s54, v51
	v_cndmask_b32_e32 v4, v1, v0, vcc
	v_cmp_eq_u32_e32 vcc, 2, v49
	s_nop 1
	v_cndmask_b32_e32 v4, v4, v3, vcc
	v_cmp_eq_u32_e32 vcc, 3, v49
	s_nop 1
	v_cndmask_b32_e32 v4, v4, v2, vcc
	ds_bpermute_b32 v4, v56, v4
	v_cmp_gt_u32_e32 vcc, 64, v5
	s_and_b64 exec, exec, vcc
	s_cbranch_execz .LBB319_38
; %bb.36:                               ;   in Loop: Header=BB319_7 Depth=1
	v_cmp_eq_u32_e32 vcc, 1, v49
	v_cmp_eq_u32_e64 s[6:7], 2, v49
	v_cmp_gt_u32_e64 s[8:9], 62, v5
	s_waitcnt lgkmcnt(0)
	v_cndmask_b32_e32 v0, v0, v4, vcc
	v_cmp_eq_u32_e32 vcc, 0, v49
	v_cvt_f16_f32_sdwa v7, v0 dst_sel:WORD_1 dst_unused:UNUSED_PAD src0_sel:DWORD
	s_nop 0
	v_cndmask_b32_e32 v1, v1, v4, vcc
	v_cvt_f16_f32_e32 v6, v1
	v_cmp_eq_u32_e32 vcc, 3, v49
	v_lshl_add_u64 v[0:1], v[24:25], 1, s[40:41]
	v_or_b32_e32 v6, v7, v6
	;;#ASMSTART
	global_atomic_pk_add_f16 v[0:1], v6, off
	
	;;#ASMEND
	s_and_b64 exec, exec, s[8:9]
	s_cbranch_execz .LBB319_38
; %bb.37:                               ;   in Loop: Header=BB319_7 Depth=1
	v_cndmask_b32_e32 v2, v2, v4, vcc
	v_cndmask_b32_e64 v3, v3, v4, s[6:7]
	v_cvt_f16_f32_sdwa v2, v2 dst_sel:WORD_1 dst_unused:UNUSED_PAD src0_sel:DWORD
	v_cvt_f16_f32_e32 v3, v3
	v_lshl_add_u64 v[0:1], s[10:11], 2, v[0:1]
	v_or_b32_e32 v2, v2, v3
	;;#ASMSTART
	global_atomic_pk_add_f16 v[0:1], v2, off
	
	;;#ASMEND
.LBB319_38:                             ;   in Loop: Header=BB319_7 Depth=1
	s_or_b64 exec, exec, s[38:39]
	v_subrev_u32_e32 v57, s55, v57
.LBB319_39:                             ;   in Loop: Header=BB319_7 Depth=1
	s_or_b64 exec, exec, s[36:37]
.LBB319_40:                             ;   in Loop: Header=BB319_7 Depth=1
	s_andn2_saveexec_b64 s[6:7], s[34:35]
	s_cbranch_execz .LBB319_49
; %bb.41:                               ;   in Loop: Header=BB319_7 Depth=1
	v_cmp_gt_i32_e32 vcc, s55, v57
	s_and_saveexec_b64 s[8:9], vcc
	s_cbranch_execz .LBB319_48
; %bb.42:                               ;   in Loop: Header=BB319_7 Depth=1
	s_mul_i32 s30, s30, s15
	s_ashr_i32 s31, s30, 31
	s_waitcnt lgkmcnt(0)
	s_add_u32 s30, s22, s30
	s_addc_u32 s31, s23, s31
	s_ashr_i32 s34, s53, 31
	s_add_u32 s30, s30, s53
	s_addc_u32 s31, s31, s34
	v_lshl_add_u64 v[0:1], s[30:31], 0, v[28:29]
	v_lshl_add_u64 v[30:31], v[0:1], 0, v[26:27]
	s_mov_b64 s[30:31], 0
	s_branch .LBB319_44
.LBB319_43:                             ;   in Loop: Header=BB319_44 Depth=2
	s_or_b64 exec, exec, s[34:35]
	v_lshl_add_u32 v34, v32, 12, v54
	;;#ASMSTART
	s_waitcnt vmcnt(3)
	;;#ASMEND
	ds_write2_b32 v34, v12, v13 offset1:32
	ds_write2_b32 v34, v14, v15 offset0:64 offset1:96
	v_add_u32_e32 v12, 0x400, v34
	;;#ASMSTART
	s_waitcnt vmcnt(2)
	;;#ASMEND
	ds_write2_b32 v12, v8, v9 offset1:32
	ds_write2_b32 v12, v10, v11 offset0:64 offset1:96
	v_add_u32_e32 v8, 0x800, v34
	;; [unrolled: 6-line block ×3, first 2 shown]
	v_add_u32_e32 v57, s18, v57
	;;#ASMSTART
	s_waitcnt vmcnt(0)
	;;#ASMEND
	ds_write2_b32 v4, v0, v1 offset1:32
	ds_write2_b32 v4, v2, v3 offset0:64 offset1:96
	v_add_u32_e32 v0, 1, v46
	v_add_u32_e32 v32, s18, v32
	v_cmp_le_i32_e32 vcc, s55, v57
	ds_write_b32 v33, v0 offset:32
	v_add_u32_e32 v0, 2, v46
	s_or_b64 s[30:31], vcc, s[30:31]
	v_cmp_lt_i32_e32 vcc, 1, v32
	s_nop 1
	v_cndmask_b32_e32 v46, v46, v0, vcc
	s_andn2_b64 exec, exec, s[30:31]
	s_cbranch_execz .LBB319_47
.LBB319_44:                             ;   Parent Loop BB319_7 Depth=1
                                        ; =>  This Loop Header: Depth=2
                                        ;       Child Loop BB319_46 Depth 3
	v_cmp_gt_i32_e32 vcc, 2, v32
	s_nop 1
	v_cndmask_b32_e64 v0, -2, 0, vcc
	v_add_u32_e32 v32, v0, v32
	v_lshlrev_b32_e32 v0, 8, v57
	v_ashrrev_i32_e32 v1, 31, v0
	v_lshl_add_u64 v[0:1], v[30:31], 0, v[0:1]
	v_lshlrev_b32_e32 v33, 2, v32
	;;#ASMSTART
	global_load_dwordx4 v[12:15], v[0:1], off offset:0    sc0 sc1 nt  
	global_load_dwordx4 v[8:11], v[0:1], off offset:64   sc0 sc1 nt  
	global_load_dwordx4 v[4:7], v[0:1], off offset:128  sc0 sc1 nt  
	global_load_dwordx4 v[0:3], v[0:1], off offset:192  sc0 sc1 nt  
	
	;;#ASMEND
	ds_read_b32 v34, v33 offset:40992
	v_add_u32_e32 v33, 0xa000, v33
	s_waitcnt lgkmcnt(0)
	v_cmp_ne_u32_e32 vcc, v34, v46
	s_and_saveexec_b64 s[34:35], vcc
	s_cbranch_execz .LBB319_43
; %bb.45:                               ;   in Loop: Header=BB319_44 Depth=2
	s_mov_b64 s[36:37], 0
.LBB319_46:                             ;   Parent Loop BB319_7 Depth=1
                                        ;     Parent Loop BB319_44 Depth=2
                                        ; =>    This Inner Loop Header: Depth=3
	;;#ASMSTART
	s_sleep 0
	;;#ASMEND
	ds_read_b32 v34, v33 offset:32
	s_waitcnt lgkmcnt(0)
	v_cmp_eq_u32_e32 vcc, v34, v46
	s_or_b64 s[36:37], vcc, s[36:37]
	s_andn2_b64 exec, exec, s[36:37]
	s_cbranch_execnz .LBB319_46
	s_branch .LBB319_43
.LBB319_47:                             ;   in Loop: Header=BB319_7 Depth=1
	s_or_b64 exec, exec, s[30:31]
.LBB319_48:                             ;   in Loop: Header=BB319_7 Depth=1
	s_or_b64 exec, exec, s[8:9]
	v_subrev_u32_e32 v57, s55, v57
.LBB319_49:                             ;   in Loop: Header=BB319_7 Depth=1
	s_or_b64 exec, exec, s[6:7]
.LBB319_50:                             ;   in Loop: Header=BB319_7 Depth=1
	s_andn2_saveexec_b64 s[6:7], s[28:29]
	s_cbranch_execz .LBB319_6
; %bb.51:                               ;   in Loop: Header=BB319_7 Depth=1
	s_lshl_b32 s36, s55, 2
	v_cmp_gt_i32_e32 vcc, s36, v57
	s_and_saveexec_b64 s[8:9], vcc
	s_cbranch_execz .LBB319_5
; %bb.52:                               ;   in Loop: Header=BB319_7 Depth=1
	s_mul_i32 s52, s52, s14
	s_ashr_i32 s28, s52, 31
	s_waitcnt lgkmcnt(0)
	s_add_u32 s29, s20, s52
	v_add_u32_e32 v2, s54, v52
	s_addc_u32 s30, s21, s28
	s_ashr_i32 s31, s53, 31
	v_cmp_gt_u32_e32 vcc, 64, v2
	s_add_u32 s28, s29, s53
	s_addc_u32 s29, s30, s31
	v_cndmask_b32_e32 v0, 0, v55, vcc
	v_ashrrev_i32_e32 v1, 31, v0
	v_lshl_add_u64 v[0:1], s[28:29], 0, v[0:1]
	v_lshl_add_u64 v[30:31], v[0:1], 0, v[26:27]
	v_sub_u32_e32 v33, 63, v2
	s_mov_b64 s[28:29], 0
	s_branch .LBB319_54
.LBB319_53:                             ;   in Loop: Header=BB319_54 Depth=2
	s_or_b64 exec, exec, s[30:31]
	v_lshl_or_b32 v35, v32, 12, v53
	;;#ASMSTART
	s_waitcnt vmcnt(3)
	;;#ASMEND
	ds_write2_b32 v35, v12, v13 offset1:32
	ds_write2_b32 v35, v14, v15 offset0:64 offset1:96
	v_add_u32_e32 v12, 0x400, v35
	;;#ASMSTART
	s_waitcnt vmcnt(2)
	;;#ASMEND
	ds_write2_b32 v12, v8, v9 offset1:32
	ds_write2_b32 v12, v10, v11 offset0:64 offset1:96
	v_add_u32_e32 v8, 0x800, v35
	;; [unrolled: 6-line block ×3, first 2 shown]
	v_add_u32_e32 v57, s17, v57
	;;#ASMSTART
	s_waitcnt vmcnt(0)
	;;#ASMEND
	ds_write2_b32 v4, v0, v1 offset1:32
	ds_write2_b32 v4, v2, v3 offset0:64 offset1:96
	v_add_u32_e32 v0, 1, v46
	v_add_u32_e32 v32, s17, v32
	v_cmp_le_i32_e32 vcc, s36, v57
	ds_write_b32 v34, v0
	v_add_u32_e32 v0, 2, v46
	s_or_b64 s[28:29], vcc, s[28:29]
	v_cmp_lt_i32_e32 vcc, 7, v32
	s_nop 1
	v_cndmask_b32_e32 v46, v46, v0, vcc
	s_andn2_b64 exec, exec, s[28:29]
	s_cbranch_execz .LBB319_4
.LBB319_54:                             ;   Parent Loop BB319_7 Depth=1
                                        ; =>  This Loop Header: Depth=2
                                        ;       Child Loop BB319_56 Depth 3
	v_cmp_gt_i32_e32 vcc, 8, v32
	s_nop 1
	v_cndmask_b32_e64 v0, -8, 0, vcc
	v_add_u32_e32 v32, v0, v32
	v_ashrrev_i32_e32 v0, 31, v57
	v_lshrrev_b32_e32 v0, 30, v0
	v_add_u32_e32 v0, v57, v0
	v_and_b32_e32 v1, 0xffffffc, v0
	v_sub_u32_e32 v1, v57, v1
	v_lshlrev_b32_e32 v1, 4, v1
	v_cmp_le_i32_e32 vcc, v1, v33
	v_lshlrev_b32_e32 v0, 6, v0
	v_and_b32_e32 v0, 0xffffff00, v0
	v_cndmask_b32_e32 v2, 0, v1, vcc
	v_ashrrev_i32_e32 v1, 31, v0
	v_mul_lo_u32 v2, v2, s14
	v_lshl_add_u64 v[0:1], v[30:31], 0, v[0:1]
	v_ashrrev_i32_e32 v3, 31, v2
	v_lshl_add_u64 v[0:1], v[0:1], 0, v[2:3]
	v_lshlrev_b32_e32 v34, 2, v32
	;;#ASMSTART
	global_load_dwordx4 v[12:15], v[0:1], off offset:0    
	global_load_dwordx4 v[8:11], v[0:1], off offset:64   
	;; [unrolled: 1-line block ×4, first 2 shown]
	
	;;#ASMEND
	ds_read_b32 v35, v34 offset:40960
	v_add_u32_e32 v34, 0xa000, v34
	s_waitcnt lgkmcnt(0)
	v_cmp_ne_u32_e32 vcc, v35, v46
	s_and_saveexec_b64 s[30:31], vcc
	s_cbranch_execz .LBB319_53
; %bb.55:                               ;   in Loop: Header=BB319_54 Depth=2
	s_mov_b64 s[34:35], 0
.LBB319_56:                             ;   Parent Loop BB319_7 Depth=1
                                        ;     Parent Loop BB319_54 Depth=2
                                        ; =>    This Inner Loop Header: Depth=3
	;;#ASMSTART
	s_sleep 0
	;;#ASMEND
	ds_read_b32 v35, v34
	s_waitcnt lgkmcnt(0)
	v_cmp_eq_u32_e32 vcc, v35, v46
	s_or_b64 s[34:35], vcc, s[34:35]
	s_andn2_b64 exec, exec, s[34:35]
	s_cbranch_execnz .LBB319_56
	s_branch .LBB319_53
.LBB319_57:
	s_endpgm
	.section	.rodata,"a",@progbits
	.p2align	6, 0x0
	.amdhsa_kernel _Z19_skinny_gemm_kernelILi4ELi1ELi2ELi16ELi8EEvPKhS1_P6__halfPKfiiiiiiii
		.amdhsa_group_segment_fixed_size 41000
		.amdhsa_private_segment_fixed_size 0
		.amdhsa_kernarg_size 64
		.amdhsa_user_sgpr_count 2
		.amdhsa_user_sgpr_dispatch_ptr 0
		.amdhsa_user_sgpr_queue_ptr 0
		.amdhsa_user_sgpr_kernarg_segment_ptr 1
		.amdhsa_user_sgpr_dispatch_id 0
		.amdhsa_user_sgpr_kernarg_preload_length 0
		.amdhsa_user_sgpr_kernarg_preload_offset 0
		.amdhsa_user_sgpr_private_segment_size 0
		.amdhsa_uses_dynamic_stack 0
		.amdhsa_enable_private_segment 0
		.amdhsa_system_sgpr_workgroup_id_x 1
		.amdhsa_system_sgpr_workgroup_id_y 0
		.amdhsa_system_sgpr_workgroup_id_z 0
		.amdhsa_system_sgpr_workgroup_info 0
		.amdhsa_system_vgpr_workitem_id 0
		.amdhsa_next_free_vgpr 68
		.amdhsa_next_free_sgpr 56
		.amdhsa_accum_offset 68
		.amdhsa_reserve_vcc 1
		.amdhsa_float_round_mode_32 0
		.amdhsa_float_round_mode_16_64 0
		.amdhsa_float_denorm_mode_32 3
		.amdhsa_float_denorm_mode_16_64 3
		.amdhsa_dx10_clamp 1
		.amdhsa_ieee_mode 1
		.amdhsa_fp16_overflow 0
		.amdhsa_tg_split 0
		.amdhsa_exception_fp_ieee_invalid_op 0
		.amdhsa_exception_fp_denorm_src 0
		.amdhsa_exception_fp_ieee_div_zero 0
		.amdhsa_exception_fp_ieee_overflow 0
		.amdhsa_exception_fp_ieee_underflow 0
		.amdhsa_exception_fp_ieee_inexact 0
		.amdhsa_exception_int_div_zero 0
	.end_amdhsa_kernel
	.section	.text._Z19_skinny_gemm_kernelILi4ELi1ELi2ELi16ELi8EEvPKhS1_P6__halfPKfiiiiiiii,"axG",@progbits,_Z19_skinny_gemm_kernelILi4ELi1ELi2ELi16ELi8EEvPKhS1_P6__halfPKfiiiiiiii,comdat
.Lfunc_end319:
	.size	_Z19_skinny_gemm_kernelILi4ELi1ELi2ELi16ELi8EEvPKhS1_P6__halfPKfiiiiiiii, .Lfunc_end319-_Z19_skinny_gemm_kernelILi4ELi1ELi2ELi16ELi8EEvPKhS1_P6__halfPKfiiiiiiii
                                        ; -- End function
	.set _Z19_skinny_gemm_kernelILi4ELi1ELi2ELi16ELi8EEvPKhS1_P6__halfPKfiiiiiiii.num_vgpr, 68
	.set _Z19_skinny_gemm_kernelILi4ELi1ELi2ELi16ELi8EEvPKhS1_P6__halfPKfiiiiiiii.num_agpr, 0
	.set _Z19_skinny_gemm_kernelILi4ELi1ELi2ELi16ELi8EEvPKhS1_P6__halfPKfiiiiiiii.numbered_sgpr, 56
	.set _Z19_skinny_gemm_kernelILi4ELi1ELi2ELi16ELi8EEvPKhS1_P6__halfPKfiiiiiiii.num_named_barrier, 0
	.set _Z19_skinny_gemm_kernelILi4ELi1ELi2ELi16ELi8EEvPKhS1_P6__halfPKfiiiiiiii.private_seg_size, 0
	.set _Z19_skinny_gemm_kernelILi4ELi1ELi2ELi16ELi8EEvPKhS1_P6__halfPKfiiiiiiii.uses_vcc, 1
	.set _Z19_skinny_gemm_kernelILi4ELi1ELi2ELi16ELi8EEvPKhS1_P6__halfPKfiiiiiiii.uses_flat_scratch, 0
	.set _Z19_skinny_gemm_kernelILi4ELi1ELi2ELi16ELi8EEvPKhS1_P6__halfPKfiiiiiiii.has_dyn_sized_stack, 0
	.set _Z19_skinny_gemm_kernelILi4ELi1ELi2ELi16ELi8EEvPKhS1_P6__halfPKfiiiiiiii.has_recursion, 0
	.set _Z19_skinny_gemm_kernelILi4ELi1ELi2ELi16ELi8EEvPKhS1_P6__halfPKfiiiiiiii.has_indirect_call, 0
	.section	.AMDGPU.csdata,"",@progbits
; Kernel info:
; codeLenInByte = 5008
; TotalNumSgprs: 62
; NumVgprs: 68
; NumAgprs: 0
; TotalNumVgprs: 68
; ScratchSize: 0
; MemoryBound: 0
; FloatMode: 240
; IeeeMode: 1
; LDSByteSize: 41000 bytes/workgroup (compile time only)
; SGPRBlocks: 7
; VGPRBlocks: 8
; NumSGPRsForWavesPerEU: 62
; NumVGPRsForWavesPerEU: 68
; AccumOffset: 68
; Occupancy: 7
; WaveLimiterHint : 0
; COMPUTE_PGM_RSRC2:SCRATCH_EN: 0
; COMPUTE_PGM_RSRC2:USER_SGPR: 2
; COMPUTE_PGM_RSRC2:TRAP_HANDLER: 0
; COMPUTE_PGM_RSRC2:TGID_X_EN: 1
; COMPUTE_PGM_RSRC2:TGID_Y_EN: 0
; COMPUTE_PGM_RSRC2:TGID_Z_EN: 0
; COMPUTE_PGM_RSRC2:TIDIG_COMP_CNT: 0
; COMPUTE_PGM_RSRC3_GFX90A:ACCUM_OFFSET: 16
; COMPUTE_PGM_RSRC3_GFX90A:TG_SPLIT: 0
	.section	.text._Z19_skinny_gemm_kernelILi4ELi1ELi2ELi32ELi4EEvPKhS1_P6__halfPKfiiiiiiii,"axG",@progbits,_Z19_skinny_gemm_kernelILi4ELi1ELi2ELi32ELi4EEvPKhS1_P6__halfPKfiiiiiiii,comdat
	.protected	_Z19_skinny_gemm_kernelILi4ELi1ELi2ELi32ELi4EEvPKhS1_P6__halfPKfiiiiiiii ; -- Begin function _Z19_skinny_gemm_kernelILi4ELi1ELi2ELi32ELi4EEvPKhS1_P6__halfPKfiiiiiiii
	.globl	_Z19_skinny_gemm_kernelILi4ELi1ELi2ELi32ELi4EEvPKhS1_P6__halfPKfiiiiiiii
	.p2align	8
	.type	_Z19_skinny_gemm_kernelILi4ELi1ELi2ELi32ELi4EEvPKhS1_P6__halfPKfiiiiiiii,@function
_Z19_skinny_gemm_kernelILi4ELi1ELi2ELi32ELi4EEvPKhS1_P6__halfPKfiiiiiiii: ; @_Z19_skinny_gemm_kernelILi4ELi1ELi2ELi32ELi4EEvPKhS1_P6__halfPKfiiiiiiii
; %bb.0:
	v_cmp_gt_u32_e32 vcc, 10, v0
	s_and_saveexec_b64 s[4:5], vcc
; %bb.1:
	v_lshlrev_b32_e32 v1, 2, v0
	v_mov_b32_e32 v2, 0
	ds_write_b32 v1, v2 offset:20480
; %bb.2:
	s_or_b64 exec, exec, s[4:5]
	s_load_dwordx8 s[36:43], s[0:1], 0x20
	s_waitcnt lgkmcnt(0)
	s_barrier
	s_add_i32 s3, s36, 0x7f
	s_ashr_i32 s5, s3, 31
	s_add_i32 s4, s37, 31
	s_lshr_b32 s5, s5, 25
	s_ashr_i32 s6, s4, 31
	s_add_i32 s3, s3, s5
	s_ashr_i32 s33, s3, 7
	s_lshr_b32 s3, s6, 27
	s_add_i32 s4, s4, s3
	s_ashr_i32 s62, s4, 5
	s_mul_i32 s3, s62, s33
	s_mul_i32 s3, s3, s40
	s_add_i32 s4, s3, 0x12f
	s_mul_hi_i32 s4, s4, 0x6bca1af3
	s_lshr_b32 s5, s4, 31
	s_ashr_i32 s4, s4, 7
	s_add_i32 s4, s4, s5
	s_add_i32 s5, s2, 1
	s_mul_i32 s5, s4, s5
	v_cvt_f64_i32_e32 v[2:3], s3
	v_cvt_f64_u32_e32 v[4:5], s5
	v_min_f64 v[2:3], v[2:3], v[4:5]
	v_cvt_i32_f64_e32 v46, v[2:3]
	s_mul_i32 s63, s4, s2
	v_cmp_ge_i32_e32 vcc, s63, v46
	s_cbranch_vccnz .LBB320_48
; %bb.3:
	v_lshrrev_b32_e32 v1, 6, v0
	s_add_i32 s4, s42, s41
	s_load_dwordx8 s[44:51], s[0:1], 0x0
	v_cmp_le_i32_e64 s[0:1], s4, v1
	v_mov_b32_e32 v2, s41
	v_cmp_le_i32_e64 s[2:3], s41, v1
	v_mov_b32_e32 v3, s42
	v_cndmask_b32_e64 v3, 0, v3, s[0:1]
	v_cndmask_b32_e64 v2, 0, v2, s[2:3]
	s_abs_i32 s5, s40
	v_add_u32_e32 v2, v2, v3
	v_cvt_f32_u32_e32 v3, s5
	v_sub_u32_e32 v40, v1, v2
	s_ashr_i32 s6, s38, 31
	s_lshr_b32 s6, s6, 26
	v_rcp_iflag_f32_e32 v2, v3
	s_sub_i32 s9, 0, s5
	s_add_i32 s6, s38, s6
	s_ashr_i32 s6, s6, 6
	v_mul_f32_e32 v2, 0x4f7ffffe, v2
	v_cvt_u32_f32_e32 v2, v2
	s_abs_i32 s8, s6
	s_xor_b32 s7, s6, s40
	s_ashr_i32 s7, s7, 31
	v_readfirstlane_b32 s10, v2
	s_mul_i32 s9, s9, s10
	s_mul_hi_u32 s9, s10, s9
	s_add_i32 s10, s10, s9
	s_mul_hi_u32 s9, s8, s10
	s_mul_i32 s10, s9, s5
	s_sub_i32 s8, s8, s10
	s_add_i32 s10, s9, 1
	s_sub_i32 s11, s8, s5
	s_cmp_ge_u32 s8, s5
	s_cselect_b32 s9, s10, s9
	s_cselect_b32 s8, s11, s8
	s_add_i32 s10, s9, 1
	s_cmp_ge_u32 s8, s5
	s_cselect_b32 s5, s10, s9
	s_xor_b32 s5, s5, s7
	s_sub_i32 s64, s5, s7
	s_add_i32 s40, s40, -1
	s_mul_i32 s5, s64, s40
	s_add_i32 s4, s4, s43
	v_and_b32_e32 v48, 31, v0
	v_lshrrev_b32_e32 v2, 3, v0
	s_sub_i32 s65, s6, s5
	v_cmp_gt_i32_e64 s[4:5], s4, v1
	v_lshlrev_b32_e32 v1, 2, v48
	v_and_b32_e32 v3, 4, v2
	v_and_b32_e32 v5, 1, v0
	v_lshlrev_b32_e32 v2, 6, v3
	v_or_b32_e32 v4, 0x4000, v1
	v_or_b32_e32 v3, v3, v5
	;; [unrolled: 1-line block ×4, first 2 shown]
	v_lshlrev_b32_e32 v2, 1, v5
	v_or_b32_e32 v5, 2, v3
	v_sub_u32_e32 v60, 32, v5
	v_or_b32_e32 v5, 8, v3
	v_sub_u32_e32 v61, 32, v5
	;; [unrolled: 2-line block ×5, first 2 shown]
	v_mul_lo_u32 v18, s37, v3
	v_sub_u32_e32 v64, 32, v5
	v_or_b32_e32 v5, 24, v3
	v_or_b32_e32 v3, 26, v3
	v_sub_u32_e32 v66, 32, v3
	v_lshrrev_b32_e32 v3, 1, v0
	s_abs_i32 s66, s33
	v_and_b32_e32 v34, 16, v3
	v_cvt_f32_u32_e32 v3, s66
	v_sub_u32_e32 v2, v0, v2
	v_add_u32_e32 v2, 1, v2
	v_and_b32_e32 v6, 63, v2
	v_bitop3_b32 v51, v0, 1, v0 bitop3:0xc
	v_bitop3_b32 v52, v0, 3, 1 bitop3:0x6c
	v_bitop3_b32 v53, v0, 5, 1 bitop3:0x6c
	v_bitop3_b32 v54, v0, 7, 1 bitop3:0x6c
	v_bitop3_b32 v55, v0, 9, 1 bitop3:0x6c
	v_bitop3_b32 v56, v0, 11, 1 bitop3:0x6c
	v_bitop3_b32 v57, v0, 13, 1 bitop3:0x6c
	v_bitop3_b32 v58, v0, 15, 1 bitop3:0x6c
	v_and_b32_e32 v2, 30, v0
	v_lshlrev_b32_e32 v0, 4, v0
	v_and_b32_e32 v0, 0x200, v0
	v_rcp_iflag_f32_e32 v3, v3
	s_abs_i32 s67, s62
	v_or_b32_e32 v69, v1, v0
	v_cvt_f32_u32_e32 v1, s67
	s_lshl_b32 s6, s37, 1
	v_add_u32_e32 v20, s6, v18
	s_mul_i32 s7, s37, 6
	v_or_b32_e32 v67, v4, v0
	v_mul_f32_e32 v0, 0x4f7ffffe, v3
	v_add_u32_e32 v22, s7, v20
	v_cvt_u32_f32_e32 v0, v0
	v_rcp_iflag_f32_e32 v1, v1
	v_add_u32_e32 v24, s6, v22
	v_add_u32_e32 v26, s7, v24
	;; [unrolled: 1-line block ×4, first 2 shown]
	v_readfirstlane_b32 s7, v0
	v_mul_f32_e32 v0, 0x4f7ffffe, v1
	v_cvt_u32_f32_e32 v0, v0
	v_add_u32_e32 v32, s6, v30
	s_sub_i32 s6, 0, s66
	s_mul_i32 s6, s6, s7
	s_mul_hi_u32 s6, s7, s6
	s_add_i32 s69, s7, s6
	s_sub_i32 s6, 0, s67
	v_readfirstlane_b32 s7, v0
	v_mbcnt_lo_u32_b32 v0, -1, 0
	s_mul_i32 s6, s6, s7
	v_mbcnt_hi_u32_b32 v0, -1, v0
	v_mov_b32_e32 v17, 0
	v_mul_lo_u32 v36, s39, v48
	s_mul_hi_u32 s6, s7, s6
	v_and_or_b32 v0, v0, 64, v6
	v_cndmask_b32_e64 v47, 0, 1, s[0:1]
	v_ashrrev_i32_e32 v19, 31, v18
	v_ashrrev_i32_e32 v21, 31, v20
	v_ashrrev_i32_e32 v23, 31, v22
	v_ashrrev_i32_e32 v25, 31, v24
	v_ashrrev_i32_e32 v27, 31, v26
	v_ashrrev_i32_e32 v29, 31, v28
	v_sub_u32_e32 v65, 32, v5
	v_ashrrev_i32_e32 v31, 31, v30
	v_ashrrev_i32_e32 v33, 31, v32
	;; [unrolled: 1-line block ×3, first 2 shown]
	v_mov_b32_e32 v35, v17
	v_mul_lo_u32 v68, s38, v48
	s_ashr_i32 s68, s33, 31
	s_ashr_i32 s70, s62, 31
	s_add_i32 s71, s7, s6
	s_movk_i32 s72, 0x80
	v_lshlrev_b32_e32 v16, 1, v2
	v_lshlrev_b32_e32 v70, 2, v0
	v_mov_b32_e32 v71, v40
	s_branch .LBB320_7
.LBB320_4:                              ;   in Loop: Header=BB320_7 Depth=1
	s_or_b64 exec, exec, s[10:11]
.LBB320_5:                              ;   in Loop: Header=BB320_7 Depth=1
	s_or_b64 exec, exec, s[8:9]
	v_subrev_u32_e32 v71, s16, v71
.LBB320_6:                              ;   in Loop: Header=BB320_7 Depth=1
	s_or_b64 exec, exec, s[6:7]
	s_add_i32 s63, s63, 1
	v_cmp_ge_i32_e32 vcc, s63, v46
	s_cbranch_vccnz .LBB320_48
.LBB320_7:                              ; =>This Loop Header: Depth=1
                                        ;     Child Loop BB320_13 Depth 2
                                        ;       Child Loop BB320_15 Depth 3
                                        ;       Child Loop BB320_18 Depth 3
                                        ;     Child Loop BB320_35 Depth 2
                                        ;       Child Loop BB320_37 Depth 3
                                        ;     Child Loop BB320_45 Depth 2
                                        ;       Child Loop BB320_47 Depth 3
	s_abs_i32 s7, s63
	s_mul_hi_u32 s8, s7, s69
	s_mul_i32 s9, s8, s66
	s_ashr_i32 s6, s63, 31
	s_sub_i32 s7, s7, s9
	s_xor_b32 s6, s6, s68
	s_add_i32 s9, s8, 1
	s_sub_i32 s10, s7, s66
	s_cmp_ge_u32 s7, s66
	s_cselect_b32 s8, s9, s8
	s_cselect_b32 s7, s10, s7
	s_add_i32 s9, s8, 1
	s_cmp_ge_u32 s7, s66
	s_cselect_b32 s7, s9, s8
	s_xor_b32 s7, s7, s6
	s_sub_i32 s6, s7, s6
	s_abs_i32 s8, s6
	s_mul_i32 s7, s6, s33
	s_mul_hi_u32 s9, s8, s71
	s_sub_i32 s7, s63, s7
	s_mul_i32 s10, s9, s67
	s_lshl_b32 s73, s7, 7
	s_ashr_i32 s7, s6, 31
	s_sub_i32 s8, s8, s10
	s_xor_b32 s7, s7, s70
	s_add_i32 s10, s9, 1
	s_sub_i32 s11, s8, s67
	s_cmp_ge_u32 s8, s67
	s_cselect_b32 s9, s10, s9
	s_cselect_b32 s8, s11, s8
	s_add_i32 s10, s9, 1
	s_cmp_ge_u32 s8, s67
	s_cselect_b32 s8, s10, s9
	s_xor_b32 s8, s8, s7
	s_sub_i32 s7, s8, s7
	s_mul_i32 s8, s7, s64
	s_lshl_b32 s74, s8, 6
	s_cmp_eq_u32 s7, s40
	s_cselect_b32 s76, s65, s64
	s_sub_i32 s75, s73, s36
	s_addk_i32 s75, 0x80
	s_and_saveexec_b64 s[8:9], s[2:3]
	s_xor_b64 s[52:53], exec, s[8:9]
	s_cbranch_execz .LBB320_41
; %bb.8:                                ;   in Loop: Header=BB320_7 Depth=1
	s_mul_i32 s7, s7, s62
	s_sub_i32 s6, s6, s7
	s_lshl_b32 s6, s6, 5
	s_sub_i32 s14, s6, s37
	s_add_i32 s14, s14, 32
	s_max_i32 s7, s14, 0
	s_sub_i32 s54, s6, s7
	s_and_saveexec_b64 s[6:7], s[0:1]
	s_xor_b64 s[56:57], exec, s[6:7]
	s_cbranch_execz .LBB320_31
; %bb.9:                                ;   in Loop: Header=BB320_7 Depth=1
	s_and_saveexec_b64 s[58:59], s[4:5]
	s_cbranch_execz .LBB320_30
; %bb.10:                               ;   in Loop: Header=BB320_7 Depth=1
	s_waitcnt lgkmcnt(0)
	global_load_dword v72, v17, s[50:51]
	v_mov_b32_e32 v15, 0
	v_cmp_gt_i32_e32 vcc, s76, v71
	v_mov_b32_e32 v14, v15
	v_mov_b32_e32 v13, v15
	;; [unrolled: 1-line block ×15, first 2 shown]
	s_and_saveexec_b64 s[6:7], vcc
	s_cbranch_execz .LBB320_20
; %bb.11:                               ;   in Loop: Header=BB320_7 Depth=1
	v_mov_b32_e32 v0, 0
	s_mov_b64 s[8:9], 0
	v_mov_b32_e32 v1, v0
	v_mov_b32_e32 v2, v0
	;; [unrolled: 1-line block ×15, first 2 shown]
	s_branch .LBB320_13
.LBB320_12:                             ;   in Loop: Header=BB320_13 Depth=2
	s_or_b64 exec, exec, s[10:11]
	v_add_u32_e32 v78, v50, v76
	ds_read2_b32 v[76:77], v78 offset1:32
	v_add_u32_e32 v71, s43, v71
	s_waitcnt lgkmcnt(0)
	v_mfma_f32_32x32x16_fp8_fp8 v[0:15], v[44:45], v[76:77], v[0:15]
	ds_read2_b32 v[44:45], v78 offset0:128 offset1:160
	s_waitcnt lgkmcnt(0)
	v_mfma_f32_32x32x16_fp8_fp8 v[0:15], v[42:43], v[44:45], v[0:15]
	v_add_u32_e32 v44, 0x400, v78
	ds_read2_b32 v[42:43], v44 offset1:32
	ds_read2_b32 v[44:45], v44 offset0:128 offset1:160
	ds_write_b32 v74, v75 offset:20484
	s_waitcnt lgkmcnt(2)
	v_mfma_f32_32x32x16_fp8_fp8 v[0:15], v[40:41], v[42:43], v[0:15]
	v_add_u32_e32 v40, s43, v73
	v_add_u32_e32 v41, 2, v47
	v_cmp_lt_i32_e32 vcc, 1, v40
	s_nop 1
	v_cndmask_b32_e32 v47, v47, v41, vcc
	v_cmp_le_i32_e32 vcc, s76, v71
	s_waitcnt lgkmcnt(1)
	v_mfma_f32_32x32x16_fp8_fp8 v[0:15], v[38:39], v[44:45], v[0:15]
	s_or_b64 s[8:9], vcc, s[8:9]
	s_andn2_b64 exec, exec, s[8:9]
	s_cbranch_execz .LBB320_19
.LBB320_13:                             ;   Parent Loop BB320_7 Depth=1
                                        ; =>  This Loop Header: Depth=2
                                        ;       Child Loop BB320_15 Depth 3
                                        ;       Child Loop BB320_18 Depth 3
	v_cmp_gt_i32_e32 vcc, 2, v40
	s_nop 1
	v_cndmask_b32_e64 v38, -2, 0, vcc
	v_add_u32_e32 v73, v38, v40
	v_lshlrev_b32_e32 v74, 3, v73
	ds_read_b32 v38, v74 offset:20480
	s_waitcnt lgkmcnt(0)
	v_cmp_ne_u32_e32 vcc, v38, v47
	s_and_saveexec_b64 s[10:11], vcc
	s_cbranch_execz .LBB320_16
; %bb.14:                               ;   in Loop: Header=BB320_13 Depth=2
	s_mov_b64 s[12:13], 0
.LBB320_15:                             ;   Parent Loop BB320_7 Depth=1
                                        ;     Parent Loop BB320_13 Depth=2
                                        ; =>    This Inner Loop Header: Depth=3
	;;#ASMSTART
	s_sleep 0
	;;#ASMEND
	ds_read_b32 v38, v74 offset:20480
	s_waitcnt lgkmcnt(0)
	v_cmp_eq_u32_e32 vcc, v38, v47
	s_or_b64 s[12:13], vcc, s[12:13]
	s_andn2_b64 exec, exec, s[12:13]
	s_cbranch_execnz .LBB320_15
.LBB320_16:                             ;   in Loop: Header=BB320_13 Depth=2
	s_or_b64 exec, exec, s[10:11]
	v_lshlrev_b32_e32 v76, 11, v73
	v_or_b32_e32 v38, v49, v76
	ds_read2_b32 v[44:45], v38 offset1:32
	ds_read2_b32 v[42:43], v38 offset0:128 offset1:160
	v_add_u32_e32 v38, 0x400, v38
	ds_read2_b32 v[40:41], v38 offset1:32
	ds_read_b32 v77, v74 offset:20484
	ds_read2_b32 v[38:39], v38 offset0:128 offset1:160
	v_add_u32_e32 v75, 1, v47
	ds_write_b32 v74, v75 offset:20480
	s_waitcnt lgkmcnt(2)
	v_cmp_ne_u32_e32 vcc, v77, v47
	s_and_saveexec_b64 s[10:11], vcc
	s_cbranch_execz .LBB320_12
; %bb.17:                               ;   in Loop: Header=BB320_13 Depth=2
	s_mov_b64 s[12:13], 0
.LBB320_18:                             ;   Parent Loop BB320_7 Depth=1
                                        ;     Parent Loop BB320_13 Depth=2
                                        ; =>    This Inner Loop Header: Depth=3
	;;#ASMSTART
	s_sleep 0
	;;#ASMEND
	ds_read_b32 v77, v74 offset:20484
	s_waitcnt lgkmcnt(0)
	v_cmp_eq_u32_e32 vcc, v77, v47
	s_or_b64 s[12:13], vcc, s[12:13]
	s_andn2_b64 exec, exec, s[12:13]
	s_cbranch_execnz .LBB320_18
	s_branch .LBB320_12
.LBB320_19:                             ;   in Loop: Header=BB320_7 Depth=1
	s_or_b64 exec, exec, s[8:9]
.LBB320_20:                             ;   in Loop: Header=BB320_7 Depth=1
	s_or_b64 exec, exec, s[6:7]
	v_cmp_le_i32_e32 vcc, s14, v48
	v_cmp_eq_u32_e64 s[6:7], 3, v51
	v_cmp_eq_u32_e64 s[8:9], 4, v51
	s_waitcnt vmcnt(0)
	v_cndmask_b32_e32 v38, 0, v72, vcc
	s_nop 1
	v_pk_mul_f32 v[0:1], v[38:39], v[0:1] op_sel_hi:[0,1]
	v_cmp_eq_u32_e32 vcc, 1, v51
	v_pk_mul_f32 v[14:15], v[38:39], v[14:15] op_sel_hi:[0,1]
	v_pk_mul_f32 v[12:13], v[38:39], v[12:13] op_sel_hi:[0,1]
	;; [unrolled: 1-line block ×7, first 2 shown]
	v_cndmask_b32_e32 v38, v0, v1, vcc
	v_cmp_eq_u32_e32 vcc, 2, v51
	v_cmp_eq_u32_e64 s[10:11], 5, v51
	v_cmp_eq_u32_e64 s[12:13], 6, v51
	v_cndmask_b32_e32 v38, v38, v2, vcc
	v_cndmask_b32_e64 v38, v38, v3, s[6:7]
	v_cndmask_b32_e64 v38, v38, v4, s[8:9]
	;; [unrolled: 1-line block ×4, first 2 shown]
	v_cmp_eq_u32_e64 s[14:15], 7, v51
	v_cmp_eq_u32_e64 s[16:17], 8, v51
	v_cmp_eq_u32_e64 s[18:19], 9, v51
	v_cndmask_b32_e64 v38, v38, v7, s[14:15]
	v_cndmask_b32_e64 v38, v38, v8, s[16:17]
	v_cndmask_b32_e64 v38, v38, v9, s[18:19]
	v_cmp_eq_u32_e64 s[20:21], 10, v51
	v_cmp_eq_u32_e64 s[22:23], 11, v51
	v_cmp_eq_u32_e64 s[24:25], 12, v51
	v_cndmask_b32_e64 v38, v38, v10, s[20:21]
	v_cndmask_b32_e64 v38, v38, v11, s[22:23]
	v_cndmask_b32_e64 v38, v38, v12, s[24:25]
	;; [unrolled: 6-line block ×3, first 2 shown]
	ds_bpermute_b32 v38, v70, v38
	v_cmp_eq_u32_e64 s[34:35], 15, v52
	s_waitcnt lgkmcnt(0)
	v_cndmask_b32_e32 v2, v2, v38, vcc
	v_cmp_ne_u32_e32 vcc, 0, v51
	v_cndmask_b32_e64 v15, v15, v38, s[30:31]
	v_cndmask_b32_e64 v14, v14, v38, s[28:29]
	v_cndmask_b32_e32 v1, v1, v38, vcc
	v_cmp_eq_u32_e32 vcc, 0, v51
	v_cndmask_b32_e64 v13, v13, v38, s[26:27]
	v_cndmask_b32_e64 v12, v12, v38, s[24:25]
	v_cndmask_b32_e32 v0, v0, v38, vcc
	v_cmp_eq_u32_e32 vcc, 1, v52
	v_cndmask_b32_e64 v11, v11, v38, s[22:23]
	v_cndmask_b32_e64 v10, v10, v38, s[20:21]
	;; [unrolled: 1-line block ×9, first 2 shown]
	v_cndmask_b32_e32 v38, v0, v1, vcc
	v_cmp_eq_u32_e64 s[6:7], 2, v52
	v_cmp_eq_u32_e64 s[8:9], 3, v52
	v_cmp_eq_u32_e64 s[10:11], 4, v52
	v_cndmask_b32_e64 v38, v38, v2, s[6:7]
	v_cndmask_b32_e64 v38, v38, v3, s[8:9]
	v_cndmask_b32_e64 v38, v38, v4, s[10:11]
	v_cmp_eq_u32_e64 s[12:13], 5, v52
	v_cmp_eq_u32_e64 s[14:15], 6, v52
	v_cmp_eq_u32_e64 s[16:17], 7, v52
	v_cndmask_b32_e64 v38, v38, v5, s[12:13]
	v_cndmask_b32_e64 v38, v38, v6, s[14:15]
	v_cndmask_b32_e64 v38, v38, v7, s[16:17]
	;; [unrolled: 6-line block ×4, first 2 shown]
	v_cmp_eq_u32_e64 s[30:31], 14, v52
	s_nop 1
	v_cndmask_b32_e64 v38, v38, v14, s[30:31]
	v_cndmask_b32_e64 v38, v38, v15, s[34:35]
	ds_bpermute_b32 v38, v70, v38
	s_waitcnt lgkmcnt(0)
	v_cndmask_b32_e32 v1, v1, v38, vcc
	v_cmp_eq_u32_e32 vcc, 0, v52
	v_cndmask_b32_e64 v15, v15, v38, s[34:35]
	v_cndmask_b32_e64 v14, v14, v38, s[30:31]
	v_cndmask_b32_e32 v0, v0, v38, vcc
	v_cmp_eq_u32_e32 vcc, 1, v53
	v_cndmask_b32_e64 v13, v13, v38, s[28:29]
	v_cndmask_b32_e64 v12, v12, v38, s[26:27]
	v_cndmask_b32_e64 v11, v11, v38, s[24:25]
	v_cndmask_b32_e64 v10, v10, v38, s[22:23]
	v_cndmask_b32_e64 v9, v9, v38, s[20:21]
	v_cndmask_b32_e64 v8, v8, v38, s[18:19]
	v_cndmask_b32_e64 v7, v7, v38, s[16:17]
	v_cndmask_b32_e64 v6, v6, v38, s[14:15]
	v_cndmask_b32_e64 v5, v5, v38, s[12:13]
	v_cndmask_b32_e64 v4, v4, v38, s[10:11]
	v_cndmask_b32_e64 v3, v3, v38, s[8:9]
	v_cndmask_b32_e64 v2, v2, v38, s[6:7]
	v_cndmask_b32_e32 v38, v0, v1, vcc
	v_cmp_eq_u32_e64 s[6:7], 2, v53
	v_cmp_eq_u32_e64 s[8:9], 3, v53
	v_cmp_eq_u32_e64 s[10:11], 4, v53
	v_cndmask_b32_e64 v38, v38, v2, s[6:7]
	v_cndmask_b32_e64 v38, v38, v3, s[8:9]
	v_cndmask_b32_e64 v38, v38, v4, s[10:11]
	v_cmp_eq_u32_e64 s[12:13], 5, v53
	v_cmp_eq_u32_e64 s[14:15], 6, v53
	v_cmp_eq_u32_e64 s[16:17], 7, v53
	v_cndmask_b32_e64 v38, v38, v5, s[12:13]
	v_cndmask_b32_e64 v38, v38, v6, s[14:15]
	v_cndmask_b32_e64 v38, v38, v7, s[16:17]
	v_cmp_eq_u32_e64 s[18:19], 8, v53
	v_cmp_eq_u32_e64 s[20:21], 9, v53
	v_cmp_eq_u32_e64 s[22:23], 10, v53
	v_cndmask_b32_e64 v38, v38, v8, s[18:19]
	v_cndmask_b32_e64 v38, v38, v9, s[20:21]
	v_cndmask_b32_e64 v38, v38, v10, s[22:23]
	v_cmp_eq_u32_e64 s[24:25], 11, v53
	v_cmp_eq_u32_e64 s[26:27], 12, v53
	v_cmp_eq_u32_e64 s[28:29], 13, v53
	v_cndmask_b32_e64 v38, v38, v11, s[24:25]
	v_cndmask_b32_e64 v38, v38, v12, s[26:27]
	v_cndmask_b32_e64 v38, v38, v13, s[28:29]
	v_cmp_eq_u32_e64 s[30:31], 14, v53
	v_cmp_eq_u32_e64 s[34:35], 15, v53
	s_nop 0
	v_cndmask_b32_e64 v38, v38, v14, s[30:31]
	v_cndmask_b32_e64 v38, v38, v15, s[34:35]
	ds_bpermute_b32 v38, v70, v38
	s_waitcnt lgkmcnt(0)
	v_cndmask_b32_e32 v1, v1, v38, vcc
	v_cmp_eq_u32_e32 vcc, 0, v53
	v_cndmask_b32_e64 v15, v15, v38, s[34:35]
	v_cndmask_b32_e64 v14, v14, v38, s[30:31]
	v_cndmask_b32_e32 v0, v0, v38, vcc
	v_cmp_eq_u32_e32 vcc, 1, v54
	v_cndmask_b32_e64 v13, v13, v38, s[28:29]
	v_cndmask_b32_e64 v12, v12, v38, s[26:27]
	v_cndmask_b32_e64 v11, v11, v38, s[24:25]
	v_cndmask_b32_e64 v10, v10, v38, s[22:23]
	v_cndmask_b32_e64 v9, v9, v38, s[20:21]
	v_cndmask_b32_e64 v8, v8, v38, s[18:19]
	v_cndmask_b32_e64 v7, v7, v38, s[16:17]
	v_cndmask_b32_e64 v6, v6, v38, s[14:15]
	v_cndmask_b32_e64 v5, v5, v38, s[12:13]
	v_cndmask_b32_e64 v4, v4, v38, s[10:11]
	v_cndmask_b32_e64 v3, v3, v38, s[8:9]
	v_cndmask_b32_e64 v2, v2, v38, s[6:7]
	v_cndmask_b32_e32 v38, v0, v1, vcc
	v_cmp_eq_u32_e64 s[6:7], 2, v54
	v_cmp_eq_u32_e64 s[8:9], 3, v54
	v_cmp_eq_u32_e64 s[10:11], 4, v54
	v_cndmask_b32_e64 v38, v38, v2, s[6:7]
	v_cndmask_b32_e64 v38, v38, v3, s[8:9]
	v_cndmask_b32_e64 v38, v38, v4, s[10:11]
	v_cmp_eq_u32_e64 s[12:13], 5, v54
	v_cmp_eq_u32_e64 s[14:15], 6, v54
	v_cmp_eq_u32_e64 s[16:17], 7, v54
	v_cndmask_b32_e64 v38, v38, v5, s[12:13]
	v_cndmask_b32_e64 v38, v38, v6, s[14:15]
	v_cndmask_b32_e64 v38, v38, v7, s[16:17]
	v_cmp_eq_u32_e64 s[18:19], 8, v54
	v_cmp_eq_u32_e64 s[20:21], 9, v54
	v_cmp_eq_u32_e64 s[22:23], 10, v54
	v_cndmask_b32_e64 v38, v38, v8, s[18:19]
	v_cndmask_b32_e64 v38, v38, v9, s[20:21]
	v_cndmask_b32_e64 v38, v38, v10, s[22:23]
	v_cmp_eq_u32_e64 s[24:25], 11, v54
	v_cmp_eq_u32_e64 s[26:27], 12, v54
	v_cmp_eq_u32_e64 s[28:29], 13, v54
	v_cndmask_b32_e64 v38, v38, v11, s[24:25]
	v_cndmask_b32_e64 v38, v38, v12, s[26:27]
	v_cndmask_b32_e64 v38, v38, v13, s[28:29]
	v_cmp_eq_u32_e64 s[30:31], 14, v54
	;; [unrolled: 50-line block ×4, first 2 shown]
	v_cmp_eq_u32_e64 s[34:35], 15, v56
	s_nop 0
	v_cndmask_b32_e64 v38, v38, v14, s[30:31]
	v_cndmask_b32_e64 v38, v38, v15, s[34:35]
	ds_bpermute_b32 v38, v70, v38
	s_waitcnt lgkmcnt(0)
	v_cndmask_b32_e32 v1, v1, v38, vcc
	v_cmp_eq_u32_e32 vcc, 0, v56
	v_cndmask_b32_e64 v15, v15, v38, s[34:35]
	v_cndmask_b32_e64 v14, v14, v38, s[30:31]
	;; [unrolled: 1-line block ×14, first 2 shown]
	v_cndmask_b32_e32 v38, v0, v38, vcc
	v_cmp_eq_u32_e32 vcc, 1, v57
	v_cmp_eq_u32_e64 s[6:7], 2, v57
	v_cmp_eq_u32_e64 s[8:9], 3, v57
	v_cndmask_b32_e32 v0, v38, v1, vcc
	v_cndmask_b32_e64 v0, v0, v73, s[6:7]
	v_cndmask_b32_e64 v0, v0, v72, s[8:9]
	v_cmp_eq_u32_e64 s[10:11], 4, v57
	v_cmp_eq_u32_e64 s[12:13], 5, v57
	v_cmp_eq_u32_e64 s[14:15], 6, v57
	v_cndmask_b32_e64 v0, v0, v45, s[10:11]
	v_cndmask_b32_e64 v0, v0, v44, s[12:13]
	v_cndmask_b32_e64 v0, v0, v43, s[14:15]
	v_cmp_eq_u32_e64 s[16:17], 7, v57
	v_cmp_eq_u32_e64 s[18:19], 8, v57
	v_cmp_eq_u32_e64 s[20:21], 9, v57
	v_cndmask_b32_e64 v0, v0, v42, s[16:17]
	;; [unrolled: 6-line block ×4, first 2 shown]
	v_cndmask_b32_e64 v0, v0, v14, s[30:31]
	v_cndmask_b32_e64 v0, v0, v15, s[34:35]
	ds_bpermute_b32 v74, v70, v0
	s_waitcnt lgkmcnt(0)
	v_cndmask_b32_e32 v0, v1, v74, vcc
	v_cmp_eq_u32_e32 vcc, 0, v57
	v_cndmask_b32_e64 v4, v15, v74, s[34:35]
	v_cndmask_b32_e64 v15, v73, v74, s[6:7]
	v_cndmask_b32_e32 v1, v38, v74, vcc
	v_cmp_eq_u32_e32 vcc, 1, v58
	v_cndmask_b32_e64 v5, v14, v74, s[30:31]
	v_cndmask_b32_e64 v14, v72, v74, s[8:9]
	;; [unrolled: 4-line block ×7, first 2 shown]
	v_cndmask_b32_e32 v38, v38, v13, vcc
	v_cmp_eq_u32_e32 vcc, 7, v58
	s_nop 1
	v_cndmask_b32_e32 v38, v38, v12, vcc
	v_cmp_eq_u32_e32 vcc, 8, v58
	s_nop 1
	;; [unrolled: 3-line block ×9, first 2 shown]
	v_cndmask_b32_e32 v38, v38, v4, vcc
	ds_bpermute_b32 v38, v70, v38
	v_cmp_lt_i32_e32 vcc, s75, v59
	s_and_saveexec_b64 s[60:61], vcc
	s_cbranch_execz .LBB320_29
; %bb.21:                               ;   in Loop: Header=BB320_7 Depth=1
	s_mul_i32 s6, s73, s37
	s_ashr_i32 s7, s6, 31
	s_lshl_b64 s[6:7], s[6:7], 1
	v_cmp_eq_u32_e64 s[30:31], 1, v58
	s_add_u32 s8, s48, s6
	s_addc_u32 s9, s49, s7
	s_waitcnt lgkmcnt(0)
	v_cndmask_b32_e64 v0, v0, v38, s[30:31]
	v_cmp_eq_u32_e64 s[30:31], 0, v58
	s_ashr_i32 s55, s54, 31
	s_lshl_b64 s[6:7], s[54:55], 1
	v_cndmask_b32_e64 v1, v1, v38, s[30:31]
	v_cvt_f16_f32_e32 v39, v1
	v_cvt_f16_f32_sdwa v41, v0 dst_sel:WORD_1 dst_unused:UNUSED_PAD src0_sel:DWORD
	s_add_u32 s34, s8, s6
	s_addc_u32 s35, s9, s7
	v_cmp_eq_u32_e64 s[8:9], 15, v58
	v_cmp_eq_u32_e64 s[10:11], 14, v58
	;; [unrolled: 1-line block ×10, first 2 shown]
	v_cmp_eq_u32_e32 vcc, 5, v58
	v_cmp_eq_u32_e64 s[6:7], 4, v58
	v_cmp_eq_u32_e64 s[28:29], 3, v58
	;; [unrolled: 1-line block ×3, first 2 shown]
	v_lshl_add_u64 v[0:1], s[34:35], 0, v[16:17]
	v_cmp_lt_i32_e64 s[34:35], s75, v60
	v_lshl_add_u64 v[42:43], v[18:19], 1, v[0:1]
	v_or_b32_e32 v39, v41, v39
	;;#ASMSTART
	global_atomic_pk_add_f16 v[42:43], v39, off
	
	;;#ASMEND
	s_and_b64 exec, exec, s[34:35]
	s_cbranch_execz .LBB320_29
; %bb.22:                               ;   in Loop: Header=BB320_7 Depth=1
	v_cndmask_b32_e64 v14, v14, v38, s[28:29]
	v_cndmask_b32_e64 v15, v15, v38, s[30:31]
	v_cvt_f16_f32_e32 v39, v15
	v_cvt_f16_f32_sdwa v41, v14 dst_sel:WORD_1 dst_unused:UNUSED_PAD src0_sel:DWORD
	v_cndmask_b32_e64 v4, v4, v38, s[8:9]
	v_cndmask_b32_e64 v5, v5, v38, s[10:11]
	;; [unrolled: 1-line block ×10, first 2 shown]
	v_cndmask_b32_e32 v2, v2, v38, vcc
	v_cndmask_b32_e64 v3, v3, v38, s[6:7]
	v_cmp_lt_i32_e32 vcc, s75, v61
	v_lshl_add_u64 v[14:15], v[20:21], 1, v[0:1]
	v_or_b32_e32 v38, v41, v39
	;;#ASMSTART
	global_atomic_pk_add_f16 v[14:15], v38, off
	
	;;#ASMEND
	s_and_b64 exec, exec, vcc
	s_cbranch_execz .LBB320_29
; %bb.23:                               ;   in Loop: Header=BB320_7 Depth=1
	v_cvt_f16_f32_e32 v14, v3
	v_cvt_f16_f32_sdwa v15, v2 dst_sel:WORD_1 dst_unused:UNUSED_PAD src0_sel:DWORD
	v_cmp_lt_i32_e32 vcc, s75, v62
	v_lshl_add_u64 v[2:3], v[22:23], 1, v[0:1]
	v_or_b32_e32 v14, v15, v14
	;;#ASMSTART
	global_atomic_pk_add_f16 v[2:3], v14, off
	
	;;#ASMEND
	s_and_b64 exec, exec, vcc
	s_cbranch_execz .LBB320_29
; %bb.24:                               ;   in Loop: Header=BB320_7 Depth=1
	v_cvt_f16_f32_e32 v13, v13
	v_cvt_f16_f32_sdwa v12, v12 dst_sel:WORD_1 dst_unused:UNUSED_PAD src0_sel:DWORD
	;; [unrolled: 12-line block ×6, first 2 shown]
	v_lshl_add_u64 v[0:1], v[32:33], 1, v[0:1]
	v_or_b32_e32 v2, v3, v2
	;;#ASMSTART
	global_atomic_pk_add_f16 v[0:1], v2, off
	
	;;#ASMEND
.LBB320_29:                             ;   in Loop: Header=BB320_7 Depth=1
	s_or_b64 exec, exec, s[60:61]
	v_subrev_u32_e32 v71, s76, v71
.LBB320_30:                             ;   in Loop: Header=BB320_7 Depth=1
	s_or_b64 exec, exec, s[58:59]
.LBB320_31:                             ;   in Loop: Header=BB320_7 Depth=1
	s_andn2_saveexec_b64 s[6:7], s[56:57]
	s_cbranch_execz .LBB320_40
; %bb.32:                               ;   in Loop: Header=BB320_7 Depth=1
	v_cmp_gt_i32_e32 vcc, s76, v71
	s_and_saveexec_b64 s[8:9], vcc
	s_cbranch_execz .LBB320_39
; %bb.33:                               ;   in Loop: Header=BB320_7 Depth=1
	s_mul_i32 s10, s54, s39
	s_ashr_i32 s11, s10, 31
	s_waitcnt lgkmcnt(0)
	s_add_u32 s10, s46, s10
	s_addc_u32 s11, s47, s11
	s_ashr_i32 s12, s74, 31
	s_add_u32 s10, s10, s74
	s_addc_u32 s11, s11, s12
	v_lshl_add_u64 v[0:1], s[10:11], 0, v[36:37]
	v_lshl_add_u64 v[8:9], v[0:1], 0, v[34:35]
	s_mov_b64 s[10:11], 0
	s_branch .LBB320_35
.LBB320_34:                             ;   in Loop: Header=BB320_35 Depth=2
	s_or_b64 exec, exec, s[12:13]
	v_lshl_add_u32 v12, v10, 11, v67
	;;#ASMSTART
	s_waitcnt vmcnt(1)
	;;#ASMEND
	ds_write2_b32 v12, v4, v5 offset1:32
	ds_write2_b32 v12, v6, v7 offset0:64 offset1:96
	v_add_u32_e32 v4, 0x400, v12
	v_add_u32_e32 v71, s42, v71
	;;#ASMSTART
	s_waitcnt vmcnt(0)
	;;#ASMEND
	ds_write2_b32 v4, v0, v1 offset1:32
	ds_write2_b32 v4, v2, v3 offset0:64 offset1:96
	v_add_u32_e32 v0, 1, v47
	v_add_u32_e32 v40, s42, v10
	v_cmp_le_i32_e32 vcc, s76, v71
	ds_write_b32 v11, v0 offset:32
	v_add_u32_e32 v0, 2, v47
	s_or_b64 s[10:11], vcc, s[10:11]
	v_cmp_lt_i32_e32 vcc, 1, v40
	s_nop 1
	v_cndmask_b32_e32 v47, v47, v0, vcc
	s_andn2_b64 exec, exec, s[10:11]
	s_cbranch_execz .LBB320_38
.LBB320_35:                             ;   Parent Loop BB320_7 Depth=1
                                        ; =>  This Loop Header: Depth=2
                                        ;       Child Loop BB320_37 Depth 3
	v_cmp_gt_i32_e32 vcc, 2, v40
	s_nop 1
	v_cndmask_b32_e64 v0, -2, 0, vcc
	v_add_u32_e32 v10, v0, v40
	v_lshlrev_b32_e32 v0, 6, v71
	v_ashrrev_i32_e32 v1, 31, v0
	v_lshl_add_u64 v[0:1], v[8:9], 0, v[0:1]
	v_lshlrev_b32_e32 v11, 2, v10
	;;#ASMSTART
	global_load_dwordx4 v[4:7], v[0:1], off offset:0   sc0 sc1 nt  
	global_load_dwordx4 v[0:3], v[0:1], off offset:32  sc0 sc1 nt  
	
	;;#ASMEND
	ds_read_b32 v12, v11 offset:20512
	v_add_u32_e32 v11, 0x5000, v11
	s_waitcnt lgkmcnt(0)
	v_cmp_ne_u32_e32 vcc, v12, v47
	s_and_saveexec_b64 s[12:13], vcc
	s_cbranch_execz .LBB320_34
; %bb.36:                               ;   in Loop: Header=BB320_35 Depth=2
	s_mov_b64 s[14:15], 0
.LBB320_37:                             ;   Parent Loop BB320_7 Depth=1
                                        ;     Parent Loop BB320_35 Depth=2
                                        ; =>    This Inner Loop Header: Depth=3
	;;#ASMSTART
	s_sleep 0
	;;#ASMEND
	ds_read_b32 v12, v11 offset:32
	s_waitcnt lgkmcnt(0)
	v_cmp_eq_u32_e32 vcc, v12, v47
	s_or_b64 s[14:15], vcc, s[14:15]
	s_andn2_b64 exec, exec, s[14:15]
	s_cbranch_execnz .LBB320_37
	s_branch .LBB320_34
.LBB320_38:                             ;   in Loop: Header=BB320_7 Depth=1
	s_or_b64 exec, exec, s[10:11]
.LBB320_39:                             ;   in Loop: Header=BB320_7 Depth=1
	s_or_b64 exec, exec, s[8:9]
	v_subrev_u32_e32 v71, s76, v71
.LBB320_40:                             ;   in Loop: Header=BB320_7 Depth=1
	s_or_b64 exec, exec, s[6:7]
.LBB320_41:                             ;   in Loop: Header=BB320_7 Depth=1
	s_andn2_saveexec_b64 s[6:7], s[52:53]
	s_cbranch_execz .LBB320_6
; %bb.42:                               ;   in Loop: Header=BB320_7 Depth=1
	s_lshl_b32 s16, s76, 2
	v_cmp_gt_i32_e32 vcc, s16, v71
	s_and_saveexec_b64 s[8:9], vcc
	s_cbranch_execz .LBB320_5
; %bb.43:                               ;   in Loop: Header=BB320_7 Depth=1
	s_mul_i32 s73, s73, s38
	s_max_i32 s12, s75, 0
	s_ashr_i32 s10, s73, 31
	s_waitcnt lgkmcnt(0)
	s_add_u32 s11, s44, s73
	v_add_u32_e32 v2, s12, v48
	s_addc_u32 s13, s45, s10
	s_ashr_i32 s14, s74, 31
	v_cmp_gt_u32_e32 vcc, s72, v2
	s_add_u32 s10, s11, s74
	s_addc_u32 s11, s13, s14
	v_cndmask_b32_e32 v0, 0, v68, vcc
	v_ashrrev_i32_e32 v1, 31, v0
	v_lshl_add_u64 v[0:1], s[10:11], 0, v[0:1]
	v_lshl_add_u64 v[8:9], v[0:1], 0, v[34:35]
	v_sub_u32_e32 v10, 0x7f, v2
	s_mov_b64 s[10:11], 0
	s_branch .LBB320_45
.LBB320_44:                             ;   in Loop: Header=BB320_45 Depth=2
	s_or_b64 exec, exec, s[12:13]
	v_lshl_or_b32 v13, v11, 11, v69
	;;#ASMSTART
	s_waitcnt vmcnt(1)
	;;#ASMEND
	ds_write2_b32 v13, v4, v5 offset1:32
	ds_write2_b32 v13, v6, v7 offset0:64 offset1:96
	v_add_u32_e32 v4, 0x400, v13
	v_add_u32_e32 v71, s41, v71
	;;#ASMSTART
	s_waitcnt vmcnt(0)
	;;#ASMEND
	ds_write2_b32 v4, v0, v1 offset1:32
	ds_write2_b32 v4, v2, v3 offset0:64 offset1:96
	v_add_u32_e32 v0, 1, v47
	v_add_u32_e32 v40, s41, v11
	v_cmp_le_i32_e32 vcc, s16, v71
	ds_write_b32 v12, v0
	v_add_u32_e32 v0, 2, v47
	s_or_b64 s[10:11], vcc, s[10:11]
	v_cmp_lt_i32_e32 vcc, 7, v40
	s_nop 1
	v_cndmask_b32_e32 v47, v47, v0, vcc
	s_andn2_b64 exec, exec, s[10:11]
	s_cbranch_execz .LBB320_4
.LBB320_45:                             ;   Parent Loop BB320_7 Depth=1
                                        ; =>  This Loop Header: Depth=2
                                        ;       Child Loop BB320_47 Depth 3
	v_cmp_gt_i32_e32 vcc, 8, v40
	s_nop 1
	v_cndmask_b32_e64 v0, -8, 0, vcc
	v_add_u32_e32 v11, v0, v40
	v_ashrrev_i32_e32 v0, 31, v71
	v_lshrrev_b32_e32 v0, 30, v0
	v_add_u32_e32 v0, v71, v0
	v_and_b32_e32 v1, 0x7fffffc, v0
	v_sub_u32_e32 v1, v71, v1
	v_lshlrev_b32_e32 v1, 5, v1
	v_cmp_le_i32_e32 vcc, v1, v10
	v_lshlrev_b32_e32 v0, 4, v0
	v_and_b32_e32 v0, 0xffffffc0, v0
	v_cndmask_b32_e32 v2, 0, v1, vcc
	v_ashrrev_i32_e32 v1, 31, v0
	v_mul_lo_u32 v2, v2, s38
	v_lshl_add_u64 v[0:1], v[8:9], 0, v[0:1]
	v_ashrrev_i32_e32 v3, 31, v2
	v_lshl_add_u64 v[0:1], v[0:1], 0, v[2:3]
	v_lshlrev_b32_e32 v12, 2, v11
	;;#ASMSTART
	global_load_dwordx4 v[4:7], v[0:1], off offset:0   
	global_load_dwordx4 v[0:3], v[0:1], off offset:32  
	
	;;#ASMEND
	ds_read_b32 v13, v12 offset:20480
	v_add_u32_e32 v12, 0x5000, v12
	s_waitcnt lgkmcnt(0)
	v_cmp_ne_u32_e32 vcc, v13, v47
	s_and_saveexec_b64 s[12:13], vcc
	s_cbranch_execz .LBB320_44
; %bb.46:                               ;   in Loop: Header=BB320_45 Depth=2
	s_mov_b64 s[14:15], 0
.LBB320_47:                             ;   Parent Loop BB320_7 Depth=1
                                        ;     Parent Loop BB320_45 Depth=2
                                        ; =>    This Inner Loop Header: Depth=3
	;;#ASMSTART
	s_sleep 0
	;;#ASMEND
	ds_read_b32 v13, v12
	s_waitcnt lgkmcnt(0)
	v_cmp_eq_u32_e32 vcc, v13, v47
	s_or_b64 s[14:15], vcc, s[14:15]
	s_andn2_b64 exec, exec, s[14:15]
	s_cbranch_execnz .LBB320_47
	s_branch .LBB320_44
.LBB320_48:
	s_endpgm
	.section	.rodata,"a",@progbits
	.p2align	6, 0x0
	.amdhsa_kernel _Z19_skinny_gemm_kernelILi4ELi1ELi2ELi32ELi4EEvPKhS1_P6__halfPKfiiiiiiii
		.amdhsa_group_segment_fixed_size 20520
		.amdhsa_private_segment_fixed_size 0
		.amdhsa_kernarg_size 64
		.amdhsa_user_sgpr_count 2
		.amdhsa_user_sgpr_dispatch_ptr 0
		.amdhsa_user_sgpr_queue_ptr 0
		.amdhsa_user_sgpr_kernarg_segment_ptr 1
		.amdhsa_user_sgpr_dispatch_id 0
		.amdhsa_user_sgpr_kernarg_preload_length 0
		.amdhsa_user_sgpr_kernarg_preload_offset 0
		.amdhsa_user_sgpr_private_segment_size 0
		.amdhsa_uses_dynamic_stack 0
		.amdhsa_enable_private_segment 0
		.amdhsa_system_sgpr_workgroup_id_x 1
		.amdhsa_system_sgpr_workgroup_id_y 0
		.amdhsa_system_sgpr_workgroup_id_z 0
		.amdhsa_system_sgpr_workgroup_info 0
		.amdhsa_system_vgpr_workitem_id 0
		.amdhsa_next_free_vgpr 79
		.amdhsa_next_free_sgpr 77
		.amdhsa_accum_offset 80
		.amdhsa_reserve_vcc 1
		.amdhsa_float_round_mode_32 0
		.amdhsa_float_round_mode_16_64 0
		.amdhsa_float_denorm_mode_32 3
		.amdhsa_float_denorm_mode_16_64 3
		.amdhsa_dx10_clamp 1
		.amdhsa_ieee_mode 1
		.amdhsa_fp16_overflow 0
		.amdhsa_tg_split 0
		.amdhsa_exception_fp_ieee_invalid_op 0
		.amdhsa_exception_fp_denorm_src 0
		.amdhsa_exception_fp_ieee_div_zero 0
		.amdhsa_exception_fp_ieee_overflow 0
		.amdhsa_exception_fp_ieee_underflow 0
		.amdhsa_exception_fp_ieee_inexact 0
		.amdhsa_exception_int_div_zero 0
	.end_amdhsa_kernel
	.section	.text._Z19_skinny_gemm_kernelILi4ELi1ELi2ELi32ELi4EEvPKhS1_P6__halfPKfiiiiiiii,"axG",@progbits,_Z19_skinny_gemm_kernelILi4ELi1ELi2ELi32ELi4EEvPKhS1_P6__halfPKfiiiiiiii,comdat
.Lfunc_end320:
	.size	_Z19_skinny_gemm_kernelILi4ELi1ELi2ELi32ELi4EEvPKhS1_P6__halfPKfiiiiiiii, .Lfunc_end320-_Z19_skinny_gemm_kernelILi4ELi1ELi2ELi32ELi4EEvPKhS1_P6__halfPKfiiiiiiii
                                        ; -- End function
	.set _Z19_skinny_gemm_kernelILi4ELi1ELi2ELi32ELi4EEvPKhS1_P6__halfPKfiiiiiiii.num_vgpr, 79
	.set _Z19_skinny_gemm_kernelILi4ELi1ELi2ELi32ELi4EEvPKhS1_P6__halfPKfiiiiiiii.num_agpr, 0
	.set _Z19_skinny_gemm_kernelILi4ELi1ELi2ELi32ELi4EEvPKhS1_P6__halfPKfiiiiiiii.numbered_sgpr, 77
	.set _Z19_skinny_gemm_kernelILi4ELi1ELi2ELi32ELi4EEvPKhS1_P6__halfPKfiiiiiiii.num_named_barrier, 0
	.set _Z19_skinny_gemm_kernelILi4ELi1ELi2ELi32ELi4EEvPKhS1_P6__halfPKfiiiiiiii.private_seg_size, 0
	.set _Z19_skinny_gemm_kernelILi4ELi1ELi2ELi32ELi4EEvPKhS1_P6__halfPKfiiiiiiii.uses_vcc, 1
	.set _Z19_skinny_gemm_kernelILi4ELi1ELi2ELi32ELi4EEvPKhS1_P6__halfPKfiiiiiiii.uses_flat_scratch, 0
	.set _Z19_skinny_gemm_kernelILi4ELi1ELi2ELi32ELi4EEvPKhS1_P6__halfPKfiiiiiiii.has_dyn_sized_stack, 0
	.set _Z19_skinny_gemm_kernelILi4ELi1ELi2ELi32ELi4EEvPKhS1_P6__halfPKfiiiiiiii.has_recursion, 0
	.set _Z19_skinny_gemm_kernelILi4ELi1ELi2ELi32ELi4EEvPKhS1_P6__halfPKfiiiiiiii.has_indirect_call, 0
	.section	.AMDGPU.csdata,"",@progbits
; Kernel info:
; codeLenInByte = 6056
; TotalNumSgprs: 83
; NumVgprs: 79
; NumAgprs: 0
; TotalNumVgprs: 79
; ScratchSize: 0
; MemoryBound: 0
; FloatMode: 240
; IeeeMode: 1
; LDSByteSize: 20520 bytes/workgroup (compile time only)
; SGPRBlocks: 10
; VGPRBlocks: 9
; NumSGPRsForWavesPerEU: 83
; NumVGPRsForWavesPerEU: 79
; AccumOffset: 80
; Occupancy: 6
; WaveLimiterHint : 0
; COMPUTE_PGM_RSRC2:SCRATCH_EN: 0
; COMPUTE_PGM_RSRC2:USER_SGPR: 2
; COMPUTE_PGM_RSRC2:TRAP_HANDLER: 0
; COMPUTE_PGM_RSRC2:TGID_X_EN: 1
; COMPUTE_PGM_RSRC2:TGID_Y_EN: 0
; COMPUTE_PGM_RSRC2:TGID_Z_EN: 0
; COMPUTE_PGM_RSRC2:TIDIG_COMP_CNT: 0
; COMPUTE_PGM_RSRC3_GFX90A:ACCUM_OFFSET: 19
; COMPUTE_PGM_RSRC3_GFX90A:TG_SPLIT: 0
	.section	.text._Z19_skinny_gemm_kernelILi4ELi1ELi2ELi32ELi8EEvPKhS1_P6__halfPKfiiiiiiii,"axG",@progbits,_Z19_skinny_gemm_kernelILi4ELi1ELi2ELi32ELi8EEvPKhS1_P6__halfPKfiiiiiiii,comdat
	.protected	_Z19_skinny_gemm_kernelILi4ELi1ELi2ELi32ELi8EEvPKhS1_P6__halfPKfiiiiiiii ; -- Begin function _Z19_skinny_gemm_kernelILi4ELi1ELi2ELi32ELi8EEvPKhS1_P6__halfPKfiiiiiiii
	.globl	_Z19_skinny_gemm_kernelILi4ELi1ELi2ELi32ELi8EEvPKhS1_P6__halfPKfiiiiiiii
	.p2align	8
	.type	_Z19_skinny_gemm_kernelILi4ELi1ELi2ELi32ELi8EEvPKhS1_P6__halfPKfiiiiiiii,@function
_Z19_skinny_gemm_kernelILi4ELi1ELi2ELi32ELi8EEvPKhS1_P6__halfPKfiiiiiiii: ; @_Z19_skinny_gemm_kernelILi4ELi1ELi2ELi32ELi8EEvPKhS1_P6__halfPKfiiiiiiii
; %bb.0:
	v_cmp_gt_u32_e32 vcc, 10, v0
	s_and_saveexec_b64 s[4:5], vcc
; %bb.1:
	v_lshlrev_b32_e32 v1, 2, v0
	v_mov_b32_e32 v2, 0
	ds_write_b32 v1, v2 offset:40960
; %bb.2:
	s_or_b64 exec, exec, s[4:5]
	s_load_dwordx8 s[36:43], s[0:1], 0x20
	s_waitcnt lgkmcnt(0)
	s_barrier
	s_add_i32 s3, s36, 0x7f
	s_ashr_i32 s5, s3, 31
	s_add_i32 s4, s37, 31
	s_lshr_b32 s5, s5, 25
	s_ashr_i32 s6, s4, 31
	s_add_i32 s3, s3, s5
	s_ashr_i32 s33, s3, 7
	s_lshr_b32 s3, s6, 27
	s_add_i32 s4, s4, s3
	s_ashr_i32 s62, s4, 5
	s_mul_i32 s3, s62, s33
	s_mul_i32 s3, s3, s40
	s_add_i32 s4, s3, 0x12f
	s_mul_hi_i32 s4, s4, 0x6bca1af3
	s_lshr_b32 s5, s4, 31
	s_ashr_i32 s4, s4, 7
	s_add_i32 s4, s4, s5
	s_add_i32 s5, s2, 1
	s_mul_i32 s5, s4, s5
	v_cvt_f64_i32_e32 v[2:3], s3
	v_cvt_f64_u32_e32 v[4:5], s5
	v_min_f64 v[2:3], v[2:3], v[4:5]
	v_cvt_i32_f64_e32 v54, v[2:3]
	s_mul_i32 s63, s4, s2
	v_cmp_ge_i32_e32 vcc, s63, v54
	s_cbranch_vccnz .LBB321_48
; %bb.3:
	v_lshrrev_b32_e32 v1, 6, v0
	s_add_i32 s4, s42, s41
	s_load_dwordx8 s[44:51], s[0:1], 0x0
	v_cmp_le_i32_e64 s[0:1], s4, v1
	v_mov_b32_e32 v2, s41
	v_cmp_le_i32_e64 s[2:3], s41, v1
	v_mov_b32_e32 v3, s42
	v_cndmask_b32_e64 v3, 0, v3, s[0:1]
	v_cndmask_b32_e64 v2, 0, v2, s[2:3]
	s_abs_i32 s5, s40
	v_add_u32_e32 v2, v2, v3
	v_cvt_f32_u32_e32 v3, s5
	v_sub_u32_e32 v40, v1, v2
	s_ashr_i32 s6, s38, 31
	s_lshr_b32 s6, s6, 25
	v_rcp_iflag_f32_e32 v2, v3
	s_sub_i32 s9, 0, s5
	s_add_i32 s6, s38, s6
	s_ashr_i32 s6, s6, 7
	v_mul_f32_e32 v2, 0x4f7ffffe, v2
	v_cvt_u32_f32_e32 v2, v2
	s_abs_i32 s8, s6
	s_xor_b32 s7, s6, s40
	s_ashr_i32 s7, s7, 31
	v_readfirstlane_b32 s10, v2
	s_mul_i32 s9, s9, s10
	s_mul_hi_u32 s9, s10, s9
	s_add_i32 s10, s10, s9
	s_mul_hi_u32 s9, s8, s10
	s_mul_i32 s10, s9, s5
	s_sub_i32 s8, s8, s10
	s_add_i32 s10, s9, 1
	s_sub_i32 s11, s8, s5
	s_cmp_ge_u32 s8, s5
	s_cselect_b32 s9, s10, s9
	s_cselect_b32 s8, s11, s8
	s_add_i32 s10, s9, 1
	s_cmp_ge_u32 s8, s5
	s_cselect_b32 s5, s10, s9
	s_xor_b32 s5, s5, s7
	s_sub_i32 s64, s5, s7
	s_add_i32 s40, s40, -1
	s_mul_i32 s5, s64, s40
	s_add_i32 s4, s4, s43
	v_and_b32_e32 v56, 31, v0
	v_lshrrev_b32_e32 v2, 3, v0
	s_sub_i32 s65, s6, s5
	v_cmp_gt_i32_e64 s[4:5], s4, v1
	v_lshlrev_b32_e32 v1, 2, v56
	v_and_b32_e32 v3, 4, v2
	v_and_b32_e32 v5, 1, v0
	v_lshlrev_b32_e32 v2, 6, v3
	v_or_b32_e32 v4, 0x8000, v1
	v_or_b32_e32 v3, v3, v5
	v_or_b32_e32 v57, v1, v2
	v_or_b32_e32 v58, v4, v2
	v_lshlrev_b32_e32 v2, 1, v5
	v_or_b32_e32 v5, 2, v3
	v_sub_u32_e32 v68, 32, v5
	v_or_b32_e32 v5, 8, v3
	v_sub_u32_e32 v69, 32, v5
	;; [unrolled: 2-line block ×5, first 2 shown]
	v_mul_lo_u32 v18, s37, v3
	v_sub_u32_e32 v72, 32, v5
	v_or_b32_e32 v5, 24, v3
	v_or_b32_e32 v3, 26, v3
	v_sub_u32_e32 v74, 32, v3
	v_lshrrev_b32_e32 v3, 1, v0
	s_abs_i32 s66, s33
	v_and_b32_e32 v34, 16, v3
	v_cvt_f32_u32_e32 v3, s66
	v_sub_u32_e32 v2, v0, v2
	v_add_u32_e32 v2, 1, v2
	v_and_b32_e32 v6, 63, v2
	v_bitop3_b32 v59, v0, 1, v0 bitop3:0xc
	v_bitop3_b32 v60, v0, 3, 1 bitop3:0x6c
	;; [unrolled: 1-line block ×8, first 2 shown]
	v_and_b32_e32 v2, 30, v0
	v_lshlrev_b32_e32 v0, 4, v0
	v_and_b32_e32 v0, 0x200, v0
	v_rcp_iflag_f32_e32 v3, v3
	s_abs_i32 s67, s62
	v_or_b32_e32 v77, v1, v0
	v_cvt_f32_u32_e32 v1, s67
	s_lshl_b32 s6, s37, 1
	v_add_u32_e32 v20, s6, v18
	s_mul_i32 s7, s37, 6
	v_or_b32_e32 v75, v4, v0
	v_mul_f32_e32 v0, 0x4f7ffffe, v3
	v_add_u32_e32 v22, s7, v20
	v_cvt_u32_f32_e32 v0, v0
	v_rcp_iflag_f32_e32 v1, v1
	v_add_u32_e32 v24, s6, v22
	v_add_u32_e32 v26, s7, v24
	;; [unrolled: 1-line block ×4, first 2 shown]
	v_readfirstlane_b32 s7, v0
	v_mul_f32_e32 v0, 0x4f7ffffe, v1
	v_cvt_u32_f32_e32 v0, v0
	v_add_u32_e32 v32, s6, v30
	s_sub_i32 s6, 0, s66
	s_mul_i32 s6, s6, s7
	s_mul_hi_u32 s6, s7, s6
	s_add_i32 s69, s7, s6
	s_sub_i32 s6, 0, s67
	v_readfirstlane_b32 s7, v0
	v_mbcnt_lo_u32_b32 v0, -1, 0
	s_mul_i32 s6, s6, s7
	v_mbcnt_hi_u32_b32 v0, -1, v0
	v_mov_b32_e32 v17, 0
	v_mul_lo_u32 v36, s39, v56
	s_mul_hi_u32 s6, s7, s6
	v_and_or_b32 v0, v0, 64, v6
	v_cndmask_b32_e64 v55, 0, 1, s[0:1]
	v_ashrrev_i32_e32 v19, 31, v18
	v_ashrrev_i32_e32 v21, 31, v20
	;; [unrolled: 1-line block ×6, first 2 shown]
	v_sub_u32_e32 v73, 32, v5
	v_ashrrev_i32_e32 v31, 31, v30
	v_ashrrev_i32_e32 v33, 31, v32
	;; [unrolled: 1-line block ×3, first 2 shown]
	v_mov_b32_e32 v35, v17
	v_mul_lo_u32 v76, s38, v56
	s_ashr_i32 s68, s33, 31
	s_ashr_i32 s70, s62, 31
	s_add_i32 s71, s7, s6
	s_movk_i32 s72, 0x80
	v_lshlrev_b32_e32 v16, 1, v2
	v_lshlrev_b32_e32 v78, 2, v0
	v_mov_b32_e32 v79, v40
	s_branch .LBB321_7
.LBB321_4:                              ;   in Loop: Header=BB321_7 Depth=1
	s_or_b64 exec, exec, s[10:11]
.LBB321_5:                              ;   in Loop: Header=BB321_7 Depth=1
	s_or_b64 exec, exec, s[8:9]
	v_subrev_u32_e32 v79, s16, v79
.LBB321_6:                              ;   in Loop: Header=BB321_7 Depth=1
	s_or_b64 exec, exec, s[6:7]
	s_add_i32 s63, s63, 1
	v_cmp_ge_i32_e32 vcc, s63, v54
	s_cbranch_vccnz .LBB321_48
.LBB321_7:                              ; =>This Loop Header: Depth=1
                                        ;     Child Loop BB321_13 Depth 2
                                        ;       Child Loop BB321_15 Depth 3
                                        ;       Child Loop BB321_18 Depth 3
                                        ;     Child Loop BB321_35 Depth 2
                                        ;       Child Loop BB321_37 Depth 3
                                        ;     Child Loop BB321_45 Depth 2
                                        ;       Child Loop BB321_47 Depth 3
	s_abs_i32 s7, s63
	s_mul_hi_u32 s8, s7, s69
	s_mul_i32 s9, s8, s66
	s_ashr_i32 s6, s63, 31
	s_sub_i32 s7, s7, s9
	s_xor_b32 s6, s6, s68
	s_add_i32 s9, s8, 1
	s_sub_i32 s10, s7, s66
	s_cmp_ge_u32 s7, s66
	s_cselect_b32 s8, s9, s8
	s_cselect_b32 s7, s10, s7
	s_add_i32 s9, s8, 1
	s_cmp_ge_u32 s7, s66
	s_cselect_b32 s7, s9, s8
	s_xor_b32 s7, s7, s6
	s_sub_i32 s6, s7, s6
	s_abs_i32 s8, s6
	s_mul_i32 s7, s6, s33
	s_mul_hi_u32 s9, s8, s71
	s_sub_i32 s7, s63, s7
	s_mul_i32 s10, s9, s67
	s_lshl_b32 s73, s7, 7
	s_ashr_i32 s7, s6, 31
	s_sub_i32 s8, s8, s10
	s_xor_b32 s7, s7, s70
	s_add_i32 s10, s9, 1
	s_sub_i32 s11, s8, s67
	s_cmp_ge_u32 s8, s67
	s_cselect_b32 s9, s10, s9
	s_cselect_b32 s8, s11, s8
	s_add_i32 s10, s9, 1
	s_cmp_ge_u32 s8, s67
	s_cselect_b32 s8, s10, s9
	s_xor_b32 s8, s8, s7
	s_sub_i32 s7, s8, s7
	s_mul_i32 s8, s7, s64
	s_lshl_b32 s74, s8, 7
	s_cmp_eq_u32 s7, s40
	s_cselect_b32 s76, s65, s64
	s_sub_i32 s75, s73, s36
	s_addk_i32 s75, 0x80
	s_and_saveexec_b64 s[8:9], s[2:3]
	s_xor_b64 s[52:53], exec, s[8:9]
	s_cbranch_execz .LBB321_41
; %bb.8:                                ;   in Loop: Header=BB321_7 Depth=1
	s_mul_i32 s7, s7, s62
	s_sub_i32 s6, s6, s7
	s_lshl_b32 s6, s6, 5
	s_sub_i32 s14, s6, s37
	s_add_i32 s14, s14, 32
	s_max_i32 s7, s14, 0
	s_sub_i32 s54, s6, s7
	s_and_saveexec_b64 s[6:7], s[0:1]
	s_xor_b64 s[56:57], exec, s[6:7]
	s_cbranch_execz .LBB321_31
; %bb.9:                                ;   in Loop: Header=BB321_7 Depth=1
	s_and_saveexec_b64 s[58:59], s[4:5]
	s_cbranch_execz .LBB321_30
; %bb.10:                               ;   in Loop: Header=BB321_7 Depth=1
	s_waitcnt lgkmcnt(0)
	global_load_dword v80, v17, s[50:51]
	v_mov_b32_e32 v15, 0
	v_cmp_gt_i32_e32 vcc, s76, v79
	v_mov_b32_e32 v14, v15
	v_mov_b32_e32 v13, v15
	;; [unrolled: 1-line block ×15, first 2 shown]
	s_and_saveexec_b64 s[6:7], vcc
	s_cbranch_execz .LBB321_20
; %bb.11:                               ;   in Loop: Header=BB321_7 Depth=1
	v_mov_b32_e32 v0, 0
	s_mov_b64 s[8:9], 0
	v_mov_b32_e32 v1, v0
	v_mov_b32_e32 v2, v0
	;; [unrolled: 1-line block ×15, first 2 shown]
	s_branch .LBB321_13
.LBB321_12:                             ;   in Loop: Header=BB321_13 Depth=2
	s_or_b64 exec, exec, s[10:11]
	v_add_u32_e32 v86, v58, v84
	ds_read2_b32 v[84:85], v86 offset1:32
	v_add_u32_e32 v79, s43, v79
	s_waitcnt lgkmcnt(0)
	v_mfma_f32_32x32x16_fp8_fp8 v[0:15], v[52:53], v[84:85], v[0:15]
	ds_read2_b32 v[52:53], v86 offset0:128 offset1:160
	s_waitcnt lgkmcnt(0)
	v_mfma_f32_32x32x16_fp8_fp8 v[0:15], v[50:51], v[52:53], v[0:15]
	v_add_u32_e32 v52, 0x400, v86
	ds_read2_b32 v[50:51], v52 offset1:32
	s_waitcnt lgkmcnt(0)
	v_mfma_f32_32x32x16_fp8_fp8 v[0:15], v[48:49], v[50:51], v[0:15]
	ds_read2_b32 v[48:49], v52 offset0:128 offset1:160
	s_waitcnt lgkmcnt(0)
	v_mfma_f32_32x32x16_fp8_fp8 v[0:15], v[46:47], v[48:49], v[0:15]
	v_add_u32_e32 v48, 0x800, v86
	ds_read2_b32 v[46:47], v48 offset1:32
	;; [unrolled: 7-line block ×3, first 2 shown]
	ds_read2_b32 v[44:45], v44 offset0:128 offset1:160
	ds_write_b32 v82, v83 offset:40964
	s_waitcnt lgkmcnt(2)
	v_mfma_f32_32x32x16_fp8_fp8 v[0:15], v[40:41], v[42:43], v[0:15]
	v_add_u32_e32 v40, s43, v81
	v_add_u32_e32 v41, 2, v55
	v_cmp_lt_i32_e32 vcc, 1, v40
	s_nop 1
	v_cndmask_b32_e32 v55, v55, v41, vcc
	v_cmp_le_i32_e32 vcc, s76, v79
	s_waitcnt lgkmcnt(1)
	v_mfma_f32_32x32x16_fp8_fp8 v[0:15], v[38:39], v[44:45], v[0:15]
	s_or_b64 s[8:9], vcc, s[8:9]
	s_andn2_b64 exec, exec, s[8:9]
	s_cbranch_execz .LBB321_19
.LBB321_13:                             ;   Parent Loop BB321_7 Depth=1
                                        ; =>  This Loop Header: Depth=2
                                        ;       Child Loop BB321_15 Depth 3
                                        ;       Child Loop BB321_18 Depth 3
	v_cmp_gt_i32_e32 vcc, 2, v40
	s_nop 1
	v_cndmask_b32_e64 v38, -2, 0, vcc
	v_add_u32_e32 v81, v38, v40
	v_lshlrev_b32_e32 v82, 3, v81
	ds_read_b32 v38, v82 offset:40960
	s_waitcnt lgkmcnt(0)
	v_cmp_ne_u32_e32 vcc, v38, v55
	s_and_saveexec_b64 s[10:11], vcc
	s_cbranch_execz .LBB321_16
; %bb.14:                               ;   in Loop: Header=BB321_13 Depth=2
	s_mov_b64 s[12:13], 0
.LBB321_15:                             ;   Parent Loop BB321_7 Depth=1
                                        ;     Parent Loop BB321_13 Depth=2
                                        ; =>    This Inner Loop Header: Depth=3
	;;#ASMSTART
	s_sleep 0
	;;#ASMEND
	ds_read_b32 v38, v82 offset:40960
	s_waitcnt lgkmcnt(0)
	v_cmp_eq_u32_e32 vcc, v38, v55
	s_or_b64 s[12:13], vcc, s[12:13]
	s_andn2_b64 exec, exec, s[12:13]
	s_cbranch_execnz .LBB321_15
.LBB321_16:                             ;   in Loop: Header=BB321_13 Depth=2
	s_or_b64 exec, exec, s[10:11]
	v_lshlrev_b32_e32 v84, 12, v81
	v_or_b32_e32 v38, v57, v84
	v_add_u32_e32 v39, 0x400, v38
	ds_read2_b32 v[52:53], v38 offset1:32
	ds_read2_b32 v[50:51], v38 offset0:128 offset1:160
	ds_read2_b32 v[48:49], v39 offset1:32
	ds_read2_b32 v[46:47], v39 offset0:128 offset1:160
	v_add_u32_e32 v39, 0x800, v38
	v_add_u32_e32 v38, 0xc00, v38
	ds_read2_b32 v[44:45], v39 offset1:32
	ds_read2_b32 v[42:43], v39 offset0:128 offset1:160
	ds_read2_b32 v[40:41], v38 offset1:32
	ds_read_b32 v85, v82 offset:40964
	ds_read2_b32 v[38:39], v38 offset0:128 offset1:160
	v_add_u32_e32 v83, 1, v55
	ds_write_b32 v82, v83 offset:40960
	s_waitcnt lgkmcnt(2)
	v_cmp_ne_u32_e32 vcc, v85, v55
	s_and_saveexec_b64 s[10:11], vcc
	s_cbranch_execz .LBB321_12
; %bb.17:                               ;   in Loop: Header=BB321_13 Depth=2
	s_mov_b64 s[12:13], 0
.LBB321_18:                             ;   Parent Loop BB321_7 Depth=1
                                        ;     Parent Loop BB321_13 Depth=2
                                        ; =>    This Inner Loop Header: Depth=3
	;;#ASMSTART
	s_sleep 0
	;;#ASMEND
	ds_read_b32 v85, v82 offset:40964
	s_waitcnt lgkmcnt(0)
	v_cmp_eq_u32_e32 vcc, v85, v55
	s_or_b64 s[12:13], vcc, s[12:13]
	s_andn2_b64 exec, exec, s[12:13]
	s_cbranch_execnz .LBB321_18
	s_branch .LBB321_12
.LBB321_19:                             ;   in Loop: Header=BB321_7 Depth=1
	s_or_b64 exec, exec, s[8:9]
.LBB321_20:                             ;   in Loop: Header=BB321_7 Depth=1
	s_or_b64 exec, exec, s[6:7]
	v_cmp_le_i32_e32 vcc, s14, v56
	v_cmp_eq_u32_e64 s[6:7], 3, v59
	v_cmp_eq_u32_e64 s[8:9], 4, v59
	s_waitcnt vmcnt(0)
	v_cndmask_b32_e32 v38, 0, v80, vcc
	s_nop 1
	v_pk_mul_f32 v[0:1], v[38:39], v[0:1] op_sel_hi:[0,1]
	v_cmp_eq_u32_e32 vcc, 1, v59
	v_pk_mul_f32 v[14:15], v[38:39], v[14:15] op_sel_hi:[0,1]
	v_pk_mul_f32 v[12:13], v[38:39], v[12:13] op_sel_hi:[0,1]
	;; [unrolled: 1-line block ×7, first 2 shown]
	v_cndmask_b32_e32 v38, v0, v1, vcc
	v_cmp_eq_u32_e32 vcc, 2, v59
	v_cmp_eq_u32_e64 s[10:11], 5, v59
	v_cmp_eq_u32_e64 s[12:13], 6, v59
	v_cndmask_b32_e32 v38, v38, v2, vcc
	v_cndmask_b32_e64 v38, v38, v3, s[6:7]
	v_cndmask_b32_e64 v38, v38, v4, s[8:9]
	;; [unrolled: 1-line block ×4, first 2 shown]
	v_cmp_eq_u32_e64 s[14:15], 7, v59
	v_cmp_eq_u32_e64 s[16:17], 8, v59
	v_cmp_eq_u32_e64 s[18:19], 9, v59
	v_cndmask_b32_e64 v38, v38, v7, s[14:15]
	v_cndmask_b32_e64 v38, v38, v8, s[16:17]
	v_cndmask_b32_e64 v38, v38, v9, s[18:19]
	v_cmp_eq_u32_e64 s[20:21], 10, v59
	v_cmp_eq_u32_e64 s[22:23], 11, v59
	v_cmp_eq_u32_e64 s[24:25], 12, v59
	v_cndmask_b32_e64 v38, v38, v10, s[20:21]
	v_cndmask_b32_e64 v38, v38, v11, s[22:23]
	v_cndmask_b32_e64 v38, v38, v12, s[24:25]
	;; [unrolled: 6-line block ×3, first 2 shown]
	ds_bpermute_b32 v38, v78, v38
	v_cmp_eq_u32_e64 s[34:35], 15, v60
	s_waitcnt lgkmcnt(0)
	v_cndmask_b32_e32 v2, v2, v38, vcc
	v_cmp_ne_u32_e32 vcc, 0, v59
	v_cndmask_b32_e64 v15, v15, v38, s[30:31]
	v_cndmask_b32_e64 v14, v14, v38, s[28:29]
	v_cndmask_b32_e32 v1, v1, v38, vcc
	v_cmp_eq_u32_e32 vcc, 0, v59
	v_cndmask_b32_e64 v13, v13, v38, s[26:27]
	v_cndmask_b32_e64 v12, v12, v38, s[24:25]
	v_cndmask_b32_e32 v0, v0, v38, vcc
	v_cmp_eq_u32_e32 vcc, 1, v60
	v_cndmask_b32_e64 v11, v11, v38, s[22:23]
	v_cndmask_b32_e64 v10, v10, v38, s[20:21]
	;; [unrolled: 1-line block ×9, first 2 shown]
	v_cndmask_b32_e32 v38, v0, v1, vcc
	v_cmp_eq_u32_e64 s[6:7], 2, v60
	v_cmp_eq_u32_e64 s[8:9], 3, v60
	v_cmp_eq_u32_e64 s[10:11], 4, v60
	v_cndmask_b32_e64 v38, v38, v2, s[6:7]
	v_cndmask_b32_e64 v38, v38, v3, s[8:9]
	v_cndmask_b32_e64 v38, v38, v4, s[10:11]
	v_cmp_eq_u32_e64 s[12:13], 5, v60
	v_cmp_eq_u32_e64 s[14:15], 6, v60
	v_cmp_eq_u32_e64 s[16:17], 7, v60
	v_cndmask_b32_e64 v38, v38, v5, s[12:13]
	v_cndmask_b32_e64 v38, v38, v6, s[14:15]
	v_cndmask_b32_e64 v38, v38, v7, s[16:17]
	;; [unrolled: 6-line block ×4, first 2 shown]
	v_cmp_eq_u32_e64 s[30:31], 14, v60
	s_nop 1
	v_cndmask_b32_e64 v38, v38, v14, s[30:31]
	v_cndmask_b32_e64 v38, v38, v15, s[34:35]
	ds_bpermute_b32 v38, v78, v38
	s_waitcnt lgkmcnt(0)
	v_cndmask_b32_e32 v1, v1, v38, vcc
	v_cmp_eq_u32_e32 vcc, 0, v60
	v_cndmask_b32_e64 v15, v15, v38, s[34:35]
	v_cndmask_b32_e64 v14, v14, v38, s[30:31]
	v_cndmask_b32_e32 v0, v0, v38, vcc
	v_cmp_eq_u32_e32 vcc, 1, v61
	v_cndmask_b32_e64 v13, v13, v38, s[28:29]
	v_cndmask_b32_e64 v12, v12, v38, s[26:27]
	v_cndmask_b32_e64 v11, v11, v38, s[24:25]
	v_cndmask_b32_e64 v10, v10, v38, s[22:23]
	v_cndmask_b32_e64 v9, v9, v38, s[20:21]
	v_cndmask_b32_e64 v8, v8, v38, s[18:19]
	v_cndmask_b32_e64 v7, v7, v38, s[16:17]
	v_cndmask_b32_e64 v6, v6, v38, s[14:15]
	v_cndmask_b32_e64 v5, v5, v38, s[12:13]
	v_cndmask_b32_e64 v4, v4, v38, s[10:11]
	v_cndmask_b32_e64 v3, v3, v38, s[8:9]
	v_cndmask_b32_e64 v2, v2, v38, s[6:7]
	v_cndmask_b32_e32 v38, v0, v1, vcc
	v_cmp_eq_u32_e64 s[6:7], 2, v61
	v_cmp_eq_u32_e64 s[8:9], 3, v61
	v_cmp_eq_u32_e64 s[10:11], 4, v61
	v_cndmask_b32_e64 v38, v38, v2, s[6:7]
	v_cndmask_b32_e64 v38, v38, v3, s[8:9]
	v_cndmask_b32_e64 v38, v38, v4, s[10:11]
	v_cmp_eq_u32_e64 s[12:13], 5, v61
	v_cmp_eq_u32_e64 s[14:15], 6, v61
	v_cmp_eq_u32_e64 s[16:17], 7, v61
	v_cndmask_b32_e64 v38, v38, v5, s[12:13]
	v_cndmask_b32_e64 v38, v38, v6, s[14:15]
	v_cndmask_b32_e64 v38, v38, v7, s[16:17]
	v_cmp_eq_u32_e64 s[18:19], 8, v61
	v_cmp_eq_u32_e64 s[20:21], 9, v61
	v_cmp_eq_u32_e64 s[22:23], 10, v61
	v_cndmask_b32_e64 v38, v38, v8, s[18:19]
	v_cndmask_b32_e64 v38, v38, v9, s[20:21]
	v_cndmask_b32_e64 v38, v38, v10, s[22:23]
	v_cmp_eq_u32_e64 s[24:25], 11, v61
	v_cmp_eq_u32_e64 s[26:27], 12, v61
	v_cmp_eq_u32_e64 s[28:29], 13, v61
	v_cndmask_b32_e64 v38, v38, v11, s[24:25]
	v_cndmask_b32_e64 v38, v38, v12, s[26:27]
	v_cndmask_b32_e64 v38, v38, v13, s[28:29]
	v_cmp_eq_u32_e64 s[30:31], 14, v61
	v_cmp_eq_u32_e64 s[34:35], 15, v61
	s_nop 0
	v_cndmask_b32_e64 v38, v38, v14, s[30:31]
	v_cndmask_b32_e64 v38, v38, v15, s[34:35]
	ds_bpermute_b32 v38, v78, v38
	s_waitcnt lgkmcnt(0)
	v_cndmask_b32_e32 v1, v1, v38, vcc
	v_cmp_eq_u32_e32 vcc, 0, v61
	v_cndmask_b32_e64 v15, v15, v38, s[34:35]
	v_cndmask_b32_e64 v14, v14, v38, s[30:31]
	v_cndmask_b32_e32 v0, v0, v38, vcc
	v_cmp_eq_u32_e32 vcc, 1, v62
	v_cndmask_b32_e64 v13, v13, v38, s[28:29]
	v_cndmask_b32_e64 v12, v12, v38, s[26:27]
	v_cndmask_b32_e64 v11, v11, v38, s[24:25]
	v_cndmask_b32_e64 v10, v10, v38, s[22:23]
	v_cndmask_b32_e64 v9, v9, v38, s[20:21]
	v_cndmask_b32_e64 v8, v8, v38, s[18:19]
	v_cndmask_b32_e64 v7, v7, v38, s[16:17]
	v_cndmask_b32_e64 v6, v6, v38, s[14:15]
	v_cndmask_b32_e64 v5, v5, v38, s[12:13]
	v_cndmask_b32_e64 v4, v4, v38, s[10:11]
	v_cndmask_b32_e64 v3, v3, v38, s[8:9]
	v_cndmask_b32_e64 v2, v2, v38, s[6:7]
	v_cndmask_b32_e32 v38, v0, v1, vcc
	v_cmp_eq_u32_e64 s[6:7], 2, v62
	v_cmp_eq_u32_e64 s[8:9], 3, v62
	v_cmp_eq_u32_e64 s[10:11], 4, v62
	v_cndmask_b32_e64 v38, v38, v2, s[6:7]
	v_cndmask_b32_e64 v38, v38, v3, s[8:9]
	v_cndmask_b32_e64 v38, v38, v4, s[10:11]
	v_cmp_eq_u32_e64 s[12:13], 5, v62
	v_cmp_eq_u32_e64 s[14:15], 6, v62
	v_cmp_eq_u32_e64 s[16:17], 7, v62
	v_cndmask_b32_e64 v38, v38, v5, s[12:13]
	v_cndmask_b32_e64 v38, v38, v6, s[14:15]
	v_cndmask_b32_e64 v38, v38, v7, s[16:17]
	v_cmp_eq_u32_e64 s[18:19], 8, v62
	v_cmp_eq_u32_e64 s[20:21], 9, v62
	v_cmp_eq_u32_e64 s[22:23], 10, v62
	v_cndmask_b32_e64 v38, v38, v8, s[18:19]
	v_cndmask_b32_e64 v38, v38, v9, s[20:21]
	v_cndmask_b32_e64 v38, v38, v10, s[22:23]
	v_cmp_eq_u32_e64 s[24:25], 11, v62
	v_cmp_eq_u32_e64 s[26:27], 12, v62
	v_cmp_eq_u32_e64 s[28:29], 13, v62
	v_cndmask_b32_e64 v38, v38, v11, s[24:25]
	v_cndmask_b32_e64 v38, v38, v12, s[26:27]
	v_cndmask_b32_e64 v38, v38, v13, s[28:29]
	v_cmp_eq_u32_e64 s[30:31], 14, v62
	;; [unrolled: 50-line block ×4, first 2 shown]
	v_cmp_eq_u32_e64 s[34:35], 15, v64
	s_nop 0
	v_cndmask_b32_e64 v38, v38, v14, s[30:31]
	v_cndmask_b32_e64 v38, v38, v15, s[34:35]
	ds_bpermute_b32 v38, v78, v38
	s_waitcnt lgkmcnt(0)
	v_cndmask_b32_e32 v1, v1, v38, vcc
	v_cmp_eq_u32_e32 vcc, 0, v64
	v_cndmask_b32_e64 v15, v15, v38, s[34:35]
	v_cndmask_b32_e64 v14, v14, v38, s[30:31]
	;; [unrolled: 1-line block ×14, first 2 shown]
	v_cndmask_b32_e32 v38, v0, v38, vcc
	v_cmp_eq_u32_e32 vcc, 1, v65
	v_cmp_eq_u32_e64 s[6:7], 2, v65
	v_cmp_eq_u32_e64 s[8:9], 3, v65
	v_cndmask_b32_e32 v0, v38, v1, vcc
	v_cndmask_b32_e64 v0, v0, v47, s[6:7]
	v_cndmask_b32_e64 v0, v0, v46, s[8:9]
	v_cmp_eq_u32_e64 s[10:11], 4, v65
	v_cmp_eq_u32_e64 s[12:13], 5, v65
	v_cmp_eq_u32_e64 s[14:15], 6, v65
	v_cndmask_b32_e64 v0, v0, v45, s[10:11]
	v_cndmask_b32_e64 v0, v0, v44, s[12:13]
	v_cndmask_b32_e64 v0, v0, v43, s[14:15]
	v_cmp_eq_u32_e64 s[16:17], 7, v65
	v_cmp_eq_u32_e64 s[18:19], 8, v65
	v_cmp_eq_u32_e64 s[20:21], 9, v65
	v_cndmask_b32_e64 v0, v0, v42, s[16:17]
	;; [unrolled: 6-line block ×4, first 2 shown]
	v_cndmask_b32_e64 v0, v0, v14, s[30:31]
	v_cndmask_b32_e64 v0, v0, v15, s[34:35]
	ds_bpermute_b32 v48, v78, v0
	s_waitcnt lgkmcnt(0)
	v_cndmask_b32_e32 v0, v1, v48, vcc
	v_cmp_eq_u32_e32 vcc, 0, v65
	v_cndmask_b32_e64 v4, v15, v48, s[34:35]
	v_cndmask_b32_e64 v15, v47, v48, s[6:7]
	v_cndmask_b32_e32 v1, v38, v48, vcc
	v_cmp_eq_u32_e32 vcc, 1, v66
	v_cndmask_b32_e64 v5, v14, v48, s[30:31]
	v_cndmask_b32_e64 v14, v46, v48, s[8:9]
	;; [unrolled: 4-line block ×7, first 2 shown]
	v_cndmask_b32_e32 v38, v38, v13, vcc
	v_cmp_eq_u32_e32 vcc, 7, v66
	s_nop 1
	v_cndmask_b32_e32 v38, v38, v12, vcc
	v_cmp_eq_u32_e32 vcc, 8, v66
	s_nop 1
	;; [unrolled: 3-line block ×9, first 2 shown]
	v_cndmask_b32_e32 v38, v38, v4, vcc
	ds_bpermute_b32 v38, v78, v38
	v_cmp_lt_i32_e32 vcc, s75, v67
	s_and_saveexec_b64 s[60:61], vcc
	s_cbranch_execz .LBB321_29
; %bb.21:                               ;   in Loop: Header=BB321_7 Depth=1
	s_mul_i32 s6, s73, s37
	s_ashr_i32 s7, s6, 31
	s_lshl_b64 s[6:7], s[6:7], 1
	v_cmp_eq_u32_e64 s[30:31], 1, v66
	s_add_u32 s8, s48, s6
	s_addc_u32 s9, s49, s7
	s_waitcnt lgkmcnt(0)
	v_cndmask_b32_e64 v0, v0, v38, s[30:31]
	v_cmp_eq_u32_e64 s[30:31], 0, v66
	s_ashr_i32 s55, s54, 31
	s_lshl_b64 s[6:7], s[54:55], 1
	v_cndmask_b32_e64 v1, v1, v38, s[30:31]
	v_cvt_f16_f32_e32 v39, v1
	v_cvt_f16_f32_sdwa v41, v0 dst_sel:WORD_1 dst_unused:UNUSED_PAD src0_sel:DWORD
	s_add_u32 s34, s8, s6
	s_addc_u32 s35, s9, s7
	v_cmp_eq_u32_e64 s[8:9], 15, v66
	v_cmp_eq_u32_e64 s[10:11], 14, v66
	;; [unrolled: 1-line block ×10, first 2 shown]
	v_cmp_eq_u32_e32 vcc, 5, v66
	v_cmp_eq_u32_e64 s[6:7], 4, v66
	v_cmp_eq_u32_e64 s[28:29], 3, v66
	;; [unrolled: 1-line block ×3, first 2 shown]
	v_lshl_add_u64 v[0:1], s[34:35], 0, v[16:17]
	v_cmp_lt_i32_e64 s[34:35], s75, v68
	v_lshl_add_u64 v[42:43], v[18:19], 1, v[0:1]
	v_or_b32_e32 v39, v41, v39
	;;#ASMSTART
	global_atomic_pk_add_f16 v[42:43], v39, off
	
	;;#ASMEND
	s_and_b64 exec, exec, s[34:35]
	s_cbranch_execz .LBB321_29
; %bb.22:                               ;   in Loop: Header=BB321_7 Depth=1
	v_cndmask_b32_e64 v14, v14, v38, s[28:29]
	v_cndmask_b32_e64 v15, v15, v38, s[30:31]
	v_cvt_f16_f32_e32 v39, v15
	v_cvt_f16_f32_sdwa v41, v14 dst_sel:WORD_1 dst_unused:UNUSED_PAD src0_sel:DWORD
	v_cndmask_b32_e64 v4, v4, v38, s[8:9]
	v_cndmask_b32_e64 v5, v5, v38, s[10:11]
	;; [unrolled: 1-line block ×10, first 2 shown]
	v_cndmask_b32_e32 v2, v2, v38, vcc
	v_cndmask_b32_e64 v3, v3, v38, s[6:7]
	v_cmp_lt_i32_e32 vcc, s75, v69
	v_lshl_add_u64 v[14:15], v[20:21], 1, v[0:1]
	v_or_b32_e32 v38, v41, v39
	;;#ASMSTART
	global_atomic_pk_add_f16 v[14:15], v38, off
	
	;;#ASMEND
	s_and_b64 exec, exec, vcc
	s_cbranch_execz .LBB321_29
; %bb.23:                               ;   in Loop: Header=BB321_7 Depth=1
	v_cvt_f16_f32_e32 v14, v3
	v_cvt_f16_f32_sdwa v15, v2 dst_sel:WORD_1 dst_unused:UNUSED_PAD src0_sel:DWORD
	v_cmp_lt_i32_e32 vcc, s75, v70
	v_lshl_add_u64 v[2:3], v[22:23], 1, v[0:1]
	v_or_b32_e32 v14, v15, v14
	;;#ASMSTART
	global_atomic_pk_add_f16 v[2:3], v14, off
	
	;;#ASMEND
	s_and_b64 exec, exec, vcc
	s_cbranch_execz .LBB321_29
; %bb.24:                               ;   in Loop: Header=BB321_7 Depth=1
	v_cvt_f16_f32_e32 v13, v13
	v_cvt_f16_f32_sdwa v12, v12 dst_sel:WORD_1 dst_unused:UNUSED_PAD src0_sel:DWORD
	;; [unrolled: 12-line block ×6, first 2 shown]
	v_lshl_add_u64 v[0:1], v[32:33], 1, v[0:1]
	v_or_b32_e32 v2, v3, v2
	;;#ASMSTART
	global_atomic_pk_add_f16 v[0:1], v2, off
	
	;;#ASMEND
.LBB321_29:                             ;   in Loop: Header=BB321_7 Depth=1
	s_or_b64 exec, exec, s[60:61]
	v_subrev_u32_e32 v79, s76, v79
.LBB321_30:                             ;   in Loop: Header=BB321_7 Depth=1
	s_or_b64 exec, exec, s[58:59]
.LBB321_31:                             ;   in Loop: Header=BB321_7 Depth=1
	s_andn2_saveexec_b64 s[6:7], s[56:57]
	s_cbranch_execz .LBB321_40
; %bb.32:                               ;   in Loop: Header=BB321_7 Depth=1
	v_cmp_gt_i32_e32 vcc, s76, v79
	s_and_saveexec_b64 s[8:9], vcc
	s_cbranch_execz .LBB321_39
; %bb.33:                               ;   in Loop: Header=BB321_7 Depth=1
	s_mul_i32 s10, s54, s39
	s_ashr_i32 s11, s10, 31
	s_waitcnt lgkmcnt(0)
	s_add_u32 s10, s46, s10
	s_addc_u32 s11, s47, s11
	s_ashr_i32 s12, s74, 31
	s_add_u32 s10, s10, s74
	s_addc_u32 s11, s11, s12
	v_lshl_add_u64 v[0:1], s[10:11], 0, v[36:37]
	v_lshl_add_u64 v[38:39], v[0:1], 0, v[34:35]
	s_mov_b64 s[10:11], 0
	s_branch .LBB321_35
.LBB321_34:                             ;   in Loop: Header=BB321_35 Depth=2
	s_or_b64 exec, exec, s[12:13]
	v_lshl_add_u32 v42, v40, 12, v75
	;;#ASMSTART
	s_waitcnt vmcnt(3)
	;;#ASMEND
	ds_write2_b32 v42, v12, v13 offset1:32
	ds_write2_b32 v42, v14, v15 offset0:64 offset1:96
	v_add_u32_e32 v12, 0x400, v42
	;;#ASMSTART
	s_waitcnt vmcnt(2)
	;;#ASMEND
	ds_write2_b32 v12, v8, v9 offset1:32
	ds_write2_b32 v12, v10, v11 offset0:64 offset1:96
	v_add_u32_e32 v8, 0x800, v42
	;; [unrolled: 6-line block ×3, first 2 shown]
	v_add_u32_e32 v79, s42, v79
	;;#ASMSTART
	s_waitcnt vmcnt(0)
	;;#ASMEND
	ds_write2_b32 v4, v0, v1 offset1:32
	ds_write2_b32 v4, v2, v3 offset0:64 offset1:96
	v_add_u32_e32 v0, 1, v55
	v_add_u32_e32 v40, s42, v40
	v_cmp_le_i32_e32 vcc, s76, v79
	ds_write_b32 v41, v0 offset:32
	v_add_u32_e32 v0, 2, v55
	s_or_b64 s[10:11], vcc, s[10:11]
	v_cmp_lt_i32_e32 vcc, 1, v40
	s_nop 1
	v_cndmask_b32_e32 v55, v55, v0, vcc
	s_andn2_b64 exec, exec, s[10:11]
	s_cbranch_execz .LBB321_38
.LBB321_35:                             ;   Parent Loop BB321_7 Depth=1
                                        ; =>  This Loop Header: Depth=2
                                        ;       Child Loop BB321_37 Depth 3
	v_cmp_gt_i32_e32 vcc, 2, v40
	s_nop 1
	v_cndmask_b32_e64 v0, -2, 0, vcc
	v_add_u32_e32 v40, v0, v40
	v_lshlrev_b32_e32 v0, 7, v79
	v_ashrrev_i32_e32 v1, 31, v0
	v_lshl_add_u64 v[0:1], v[38:39], 0, v[0:1]
	v_lshlrev_b32_e32 v41, 2, v40
	;;#ASMSTART
	global_load_dwordx4 v[12:15], v[0:1], off offset:0   sc0 sc1 nt  
	global_load_dwordx4 v[8:11], v[0:1], off offset:32  sc0 sc1 nt  
	global_load_dwordx4 v[4:7], v[0:1], off offset:64  sc0 sc1 nt  
	;; [unrolled: 1-line block ×3, first 2 shown]
	
	;;#ASMEND
	ds_read_b32 v42, v41 offset:40992
	v_add_u32_e32 v41, 0xa000, v41
	s_waitcnt lgkmcnt(0)
	v_cmp_ne_u32_e32 vcc, v42, v55
	s_and_saveexec_b64 s[12:13], vcc
	s_cbranch_execz .LBB321_34
; %bb.36:                               ;   in Loop: Header=BB321_35 Depth=2
	s_mov_b64 s[14:15], 0
.LBB321_37:                             ;   Parent Loop BB321_7 Depth=1
                                        ;     Parent Loop BB321_35 Depth=2
                                        ; =>    This Inner Loop Header: Depth=3
	;;#ASMSTART
	s_sleep 0
	;;#ASMEND
	ds_read_b32 v42, v41 offset:32
	s_waitcnt lgkmcnt(0)
	v_cmp_eq_u32_e32 vcc, v42, v55
	s_or_b64 s[14:15], vcc, s[14:15]
	s_andn2_b64 exec, exec, s[14:15]
	s_cbranch_execnz .LBB321_37
	s_branch .LBB321_34
.LBB321_38:                             ;   in Loop: Header=BB321_7 Depth=1
	s_or_b64 exec, exec, s[10:11]
.LBB321_39:                             ;   in Loop: Header=BB321_7 Depth=1
	s_or_b64 exec, exec, s[8:9]
	v_subrev_u32_e32 v79, s76, v79
.LBB321_40:                             ;   in Loop: Header=BB321_7 Depth=1
	s_or_b64 exec, exec, s[6:7]
.LBB321_41:                             ;   in Loop: Header=BB321_7 Depth=1
	s_andn2_saveexec_b64 s[6:7], s[52:53]
	s_cbranch_execz .LBB321_6
; %bb.42:                               ;   in Loop: Header=BB321_7 Depth=1
	s_lshl_b32 s16, s76, 2
	v_cmp_gt_i32_e32 vcc, s16, v79
	s_and_saveexec_b64 s[8:9], vcc
	s_cbranch_execz .LBB321_5
; %bb.43:                               ;   in Loop: Header=BB321_7 Depth=1
	s_mul_i32 s73, s73, s38
	s_max_i32 s12, s75, 0
	s_ashr_i32 s10, s73, 31
	s_waitcnt lgkmcnt(0)
	s_add_u32 s11, s44, s73
	v_add_u32_e32 v2, s12, v56
	s_addc_u32 s13, s45, s10
	s_ashr_i32 s14, s74, 31
	v_cmp_gt_u32_e32 vcc, s72, v2
	s_add_u32 s10, s11, s74
	s_addc_u32 s11, s13, s14
	v_cndmask_b32_e32 v0, 0, v76, vcc
	v_ashrrev_i32_e32 v1, 31, v0
	v_lshl_add_u64 v[0:1], s[10:11], 0, v[0:1]
	v_lshl_add_u64 v[38:39], v[0:1], 0, v[34:35]
	v_sub_u32_e32 v41, 0x7f, v2
	s_mov_b64 s[10:11], 0
	s_branch .LBB321_45
.LBB321_44:                             ;   in Loop: Header=BB321_45 Depth=2
	s_or_b64 exec, exec, s[12:13]
	v_lshl_or_b32 v43, v40, 12, v77
	;;#ASMSTART
	s_waitcnt vmcnt(3)
	;;#ASMEND
	ds_write2_b32 v43, v12, v13 offset1:32
	ds_write2_b32 v43, v14, v15 offset0:64 offset1:96
	v_add_u32_e32 v12, 0x400, v43
	;;#ASMSTART
	s_waitcnt vmcnt(2)
	;;#ASMEND
	ds_write2_b32 v12, v8, v9 offset1:32
	ds_write2_b32 v12, v10, v11 offset0:64 offset1:96
	v_add_u32_e32 v8, 0x800, v43
	;; [unrolled: 6-line block ×3, first 2 shown]
	v_add_u32_e32 v79, s41, v79
	;;#ASMSTART
	s_waitcnt vmcnt(0)
	;;#ASMEND
	ds_write2_b32 v4, v0, v1 offset1:32
	ds_write2_b32 v4, v2, v3 offset0:64 offset1:96
	v_add_u32_e32 v0, 1, v55
	v_add_u32_e32 v40, s41, v40
	v_cmp_le_i32_e32 vcc, s16, v79
	ds_write_b32 v42, v0
	v_add_u32_e32 v0, 2, v55
	s_or_b64 s[10:11], vcc, s[10:11]
	v_cmp_lt_i32_e32 vcc, 7, v40
	s_nop 1
	v_cndmask_b32_e32 v55, v55, v0, vcc
	s_andn2_b64 exec, exec, s[10:11]
	s_cbranch_execz .LBB321_4
.LBB321_45:                             ;   Parent Loop BB321_7 Depth=1
                                        ; =>  This Loop Header: Depth=2
                                        ;       Child Loop BB321_47 Depth 3
	v_cmp_gt_i32_e32 vcc, 8, v40
	s_nop 1
	v_cndmask_b32_e64 v0, -8, 0, vcc
	v_add_u32_e32 v40, v0, v40
	v_ashrrev_i32_e32 v0, 31, v79
	v_lshrrev_b32_e32 v0, 30, v0
	v_add_u32_e32 v0, v79, v0
	v_and_b32_e32 v1, 0x7fffffc, v0
	v_sub_u32_e32 v1, v79, v1
	v_lshlrev_b32_e32 v1, 5, v1
	v_cmp_le_i32_e32 vcc, v1, v41
	v_lshlrev_b32_e32 v0, 5, v0
	v_and_b32_e32 v0, 0xffffff80, v0
	v_cndmask_b32_e32 v2, 0, v1, vcc
	v_ashrrev_i32_e32 v1, 31, v0
	v_mul_lo_u32 v2, v2, s38
	v_lshl_add_u64 v[0:1], v[38:39], 0, v[0:1]
	v_ashrrev_i32_e32 v3, 31, v2
	v_lshl_add_u64 v[0:1], v[0:1], 0, v[2:3]
	v_lshlrev_b32_e32 v42, 2, v40
	;;#ASMSTART
	global_load_dwordx4 v[12:15], v[0:1], off offset:0   
	global_load_dwordx4 v[8:11], v[0:1], off offset:32  
	;; [unrolled: 1-line block ×4, first 2 shown]
	
	;;#ASMEND
	ds_read_b32 v43, v42 offset:40960
	v_add_u32_e32 v42, 0xa000, v42
	s_waitcnt lgkmcnt(0)
	v_cmp_ne_u32_e32 vcc, v43, v55
	s_and_saveexec_b64 s[12:13], vcc
	s_cbranch_execz .LBB321_44
; %bb.46:                               ;   in Loop: Header=BB321_45 Depth=2
	s_mov_b64 s[14:15], 0
.LBB321_47:                             ;   Parent Loop BB321_7 Depth=1
                                        ;     Parent Loop BB321_45 Depth=2
                                        ; =>    This Inner Loop Header: Depth=3
	;;#ASMSTART
	s_sleep 0
	;;#ASMEND
	ds_read_b32 v43, v42
	s_waitcnt lgkmcnt(0)
	v_cmp_eq_u32_e32 vcc, v43, v55
	s_or_b64 s[14:15], vcc, s[14:15]
	s_andn2_b64 exec, exec, s[14:15]
	s_cbranch_execnz .LBB321_47
	s_branch .LBB321_44
.LBB321_48:
	s_endpgm
	.section	.rodata,"a",@progbits
	.p2align	6, 0x0
	.amdhsa_kernel _Z19_skinny_gemm_kernelILi4ELi1ELi2ELi32ELi8EEvPKhS1_P6__halfPKfiiiiiiii
		.amdhsa_group_segment_fixed_size 41000
		.amdhsa_private_segment_fixed_size 0
		.amdhsa_kernarg_size 64
		.amdhsa_user_sgpr_count 2
		.amdhsa_user_sgpr_dispatch_ptr 0
		.amdhsa_user_sgpr_queue_ptr 0
		.amdhsa_user_sgpr_kernarg_segment_ptr 1
		.amdhsa_user_sgpr_dispatch_id 0
		.amdhsa_user_sgpr_kernarg_preload_length 0
		.amdhsa_user_sgpr_kernarg_preload_offset 0
		.amdhsa_user_sgpr_private_segment_size 0
		.amdhsa_uses_dynamic_stack 0
		.amdhsa_enable_private_segment 0
		.amdhsa_system_sgpr_workgroup_id_x 1
		.amdhsa_system_sgpr_workgroup_id_y 0
		.amdhsa_system_sgpr_workgroup_id_z 0
		.amdhsa_system_sgpr_workgroup_info 0
		.amdhsa_system_vgpr_workitem_id 0
		.amdhsa_next_free_vgpr 87
		.amdhsa_next_free_sgpr 77
		.amdhsa_accum_offset 88
		.amdhsa_reserve_vcc 1
		.amdhsa_float_round_mode_32 0
		.amdhsa_float_round_mode_16_64 0
		.amdhsa_float_denorm_mode_32 3
		.amdhsa_float_denorm_mode_16_64 3
		.amdhsa_dx10_clamp 1
		.amdhsa_ieee_mode 1
		.amdhsa_fp16_overflow 0
		.amdhsa_tg_split 0
		.amdhsa_exception_fp_ieee_invalid_op 0
		.amdhsa_exception_fp_denorm_src 0
		.amdhsa_exception_fp_ieee_div_zero 0
		.amdhsa_exception_fp_ieee_overflow 0
		.amdhsa_exception_fp_ieee_underflow 0
		.amdhsa_exception_fp_ieee_inexact 0
		.amdhsa_exception_int_div_zero 0
	.end_amdhsa_kernel
	.section	.text._Z19_skinny_gemm_kernelILi4ELi1ELi2ELi32ELi8EEvPKhS1_P6__halfPKfiiiiiiii,"axG",@progbits,_Z19_skinny_gemm_kernelILi4ELi1ELi2ELi32ELi8EEvPKhS1_P6__halfPKfiiiiiiii,comdat
.Lfunc_end321:
	.size	_Z19_skinny_gemm_kernelILi4ELi1ELi2ELi32ELi8EEvPKhS1_P6__halfPKfiiiiiiii, .Lfunc_end321-_Z19_skinny_gemm_kernelILi4ELi1ELi2ELi32ELi8EEvPKhS1_P6__halfPKfiiiiiiii
                                        ; -- End function
	.set _Z19_skinny_gemm_kernelILi4ELi1ELi2ELi32ELi8EEvPKhS1_P6__halfPKfiiiiiiii.num_vgpr, 87
	.set _Z19_skinny_gemm_kernelILi4ELi1ELi2ELi32ELi8EEvPKhS1_P6__halfPKfiiiiiiii.num_agpr, 0
	.set _Z19_skinny_gemm_kernelILi4ELi1ELi2ELi32ELi8EEvPKhS1_P6__halfPKfiiiiiiii.numbered_sgpr, 77
	.set _Z19_skinny_gemm_kernelILi4ELi1ELi2ELi32ELi8EEvPKhS1_P6__halfPKfiiiiiiii.num_named_barrier, 0
	.set _Z19_skinny_gemm_kernelILi4ELi1ELi2ELi32ELi8EEvPKhS1_P6__halfPKfiiiiiiii.private_seg_size, 0
	.set _Z19_skinny_gemm_kernelILi4ELi1ELi2ELi32ELi8EEvPKhS1_P6__halfPKfiiiiiiii.uses_vcc, 1
	.set _Z19_skinny_gemm_kernelILi4ELi1ELi2ELi32ELi8EEvPKhS1_P6__halfPKfiiiiiiii.uses_flat_scratch, 0
	.set _Z19_skinny_gemm_kernelILi4ELi1ELi2ELi32ELi8EEvPKhS1_P6__halfPKfiiiiiiii.has_dyn_sized_stack, 0
	.set _Z19_skinny_gemm_kernelILi4ELi1ELi2ELi32ELi8EEvPKhS1_P6__halfPKfiiiiiiii.has_recursion, 0
	.set _Z19_skinny_gemm_kernelILi4ELi1ELi2ELi32ELi8EEvPKhS1_P6__halfPKfiiiiiiii.has_indirect_call, 0
	.section	.AMDGPU.csdata,"",@progbits
; Kernel info:
; codeLenInByte = 6424
; TotalNumSgprs: 83
; NumVgprs: 87
; NumAgprs: 0
; TotalNumVgprs: 87
; ScratchSize: 0
; MemoryBound: 0
; FloatMode: 240
; IeeeMode: 1
; LDSByteSize: 41000 bytes/workgroup (compile time only)
; SGPRBlocks: 10
; VGPRBlocks: 10
; NumSGPRsForWavesPerEU: 83
; NumVGPRsForWavesPerEU: 87
; AccumOffset: 88
; Occupancy: 5
; WaveLimiterHint : 0
; COMPUTE_PGM_RSRC2:SCRATCH_EN: 0
; COMPUTE_PGM_RSRC2:USER_SGPR: 2
; COMPUTE_PGM_RSRC2:TRAP_HANDLER: 0
; COMPUTE_PGM_RSRC2:TGID_X_EN: 1
; COMPUTE_PGM_RSRC2:TGID_Y_EN: 0
; COMPUTE_PGM_RSRC2:TGID_Z_EN: 0
; COMPUTE_PGM_RSRC2:TIDIG_COMP_CNT: 0
; COMPUTE_PGM_RSRC3_GFX90A:ACCUM_OFFSET: 21
; COMPUTE_PGM_RSRC3_GFX90A:TG_SPLIT: 0
	.section	.text._Z19_skinny_gemm_kernelILi4ELi1ELi3ELi16ELi4EEvPKhS1_P6__halfPKfiiiiiiii,"axG",@progbits,_Z19_skinny_gemm_kernelILi4ELi1ELi3ELi16ELi4EEvPKhS1_P6__halfPKfiiiiiiii,comdat
	.protected	_Z19_skinny_gemm_kernelILi4ELi1ELi3ELi16ELi4EEvPKhS1_P6__halfPKfiiiiiiii ; -- Begin function _Z19_skinny_gemm_kernelILi4ELi1ELi3ELi16ELi4EEvPKhS1_P6__halfPKfiiiiiiii
	.globl	_Z19_skinny_gemm_kernelILi4ELi1ELi3ELi16ELi4EEvPKhS1_P6__halfPKfiiiiiiii
	.p2align	8
	.type	_Z19_skinny_gemm_kernelILi4ELi1ELi3ELi16ELi4EEvPKhS1_P6__halfPKfiiiiiiii,@function
_Z19_skinny_gemm_kernelILi4ELi1ELi3ELi16ELi4EEvPKhS1_P6__halfPKfiiiiiiii: ; @_Z19_skinny_gemm_kernelILi4ELi1ELi3ELi16ELi4EEvPKhS1_P6__halfPKfiiiiiiii
; %bb.0:
	v_cmp_gt_u32_e32 vcc, 15, v0
	v_lshlrev_b32_e32 v1, 2, v0
	s_and_saveexec_b64 s[4:5], vcc
; %bb.1:
	v_mov_b32_e32 v2, 0
	ds_write_b32 v1, v2 offset:30720
; %bb.2:
	s_or_b64 exec, exec, s[4:5]
	s_load_dwordx8 s[12:19], s[0:1], 0x20
	s_waitcnt lgkmcnt(0)
	s_barrier
	s_add_i32 s3, s12, 63
	s_ashr_i32 s5, s3, 31
	s_add_i32 s4, s13, 15
	s_lshr_b32 s5, s5, 26
	s_ashr_i32 s6, s4, 31
	s_add_i32 s3, s3, s5
	s_ashr_i32 s33, s3, 6
	s_lshr_b32 s3, s6, 28
	s_add_i32 s4, s4, s3
	s_ashr_i32 s42, s4, 4
	s_mul_i32 s3, s42, s33
	s_mul_i32 s3, s3, s16
	s_add_i32 s4, s3, 0x12f
	s_mul_hi_i32 s4, s4, 0x6bca1af3
	s_lshr_b32 s5, s4, 31
	s_ashr_i32 s4, s4, 7
	s_add_i32 s4, s4, s5
	s_add_i32 s5, s2, 1
	s_mul_i32 s5, s4, s5
	v_cvt_f64_i32_e32 v[2:3], s3
	v_cvt_f64_u32_e32 v[4:5], s5
	v_min_f64 v[2:3], v[2:3], v[4:5]
	v_cvt_i32_f64_e32 v17, v[2:3]
	s_mul_i32 s43, s4, s2
	v_cmp_ge_i32_e32 vcc, s43, v17
	s_cbranch_vccnz .LBB322_57
; %bb.3:
	v_lshrrev_b32_e32 v2, 6, v0
	s_add_i32 s4, s18, s17
	s_load_dwordx8 s[20:27], s[0:1], 0x0
	v_cmp_le_i32_e64 s[0:1], s4, v2
	v_mov_b32_e32 v3, s17
	v_cmp_le_i32_e64 s[2:3], s17, v2
	v_mov_b32_e32 v4, s18
	v_cndmask_b32_e64 v4, 0, v4, s[0:1]
	v_cndmask_b32_e64 v3, 0, v3, s[2:3]
	s_abs_i32 s5, s16
	v_add_u32_e32 v3, v3, v4
	v_cvt_f32_u32_e32 v4, s5
	v_sub_u32_e32 v34, v2, v3
	s_ashr_i32 s6, s14, 31
	s_lshr_b32 s6, s6, 25
	v_rcp_iflag_f32_e32 v3, v4
	s_sub_i32 s9, 0, s5
	s_add_i32 s6, s14, s6
	s_ashr_i32 s6, s6, 7
	v_mul_f32_e32 v3, 0x4f7ffffe, v3
	v_cvt_u32_f32_e32 v3, v3
	s_abs_i32 s8, s6
	s_xor_b32 s7, s6, s16
	s_ashr_i32 s7, s7, 31
	v_readfirstlane_b32 s10, v3
	s_mul_i32 s9, s9, s10
	s_mul_hi_u32 s9, s10, s9
	s_add_i32 s10, s10, s9
	s_mul_hi_u32 s9, s8, s10
	s_mul_i32 s10, s9, s5
	s_sub_i32 s8, s8, s10
	s_add_i32 s10, s9, 1
	s_sub_i32 s11, s8, s5
	s_cmp_ge_u32 s8, s5
	s_cselect_b32 s9, s10, s9
	s_cselect_b32 s8, s11, s8
	s_add_i32 s10, s9, 1
	s_cmp_ge_u32 s8, s5
	s_cselect_b32 s5, s10, s9
	s_xor_b32 s5, s5, s7
	s_sub_i32 s44, s5, s7
	s_add_i32 s16, s16, -1
	s_mul_i32 s5, s44, s16
	s_add_i32 s4, s4, s19
	s_sub_i32 s45, s6, s5
	v_cmp_gt_i32_e64 s[4:5], s4, v2
	v_lshlrev_b32_e32 v2, 1, v0
	v_lshlrev_b32_e32 v3, 4, v0
	v_and_b32_e32 v1, 60, v1
	v_and_b32_e32 v2, 64, v2
	;; [unrolled: 1-line block ×3, first 2 shown]
	v_or3_b32 v39, v1, v2, v4
	v_and_b32_e32 v1, 1, v0
	v_lshrrev_b32_e32 v4, 2, v0
	s_abs_i32 s46, s33
	v_and_or_b32 v42, v4, 12, v1
	v_cvt_f32_u32_e32 v4, s46
	v_lshlrev_b32_e32 v2, 1, v1
	v_and_b32_e32 v16, 14, v0
	v_sub_u32_e32 v2, v0, v2
	v_bitop3_b32 v40, v0, 1, v0 bitop3:0xc
	v_bitop3_b32 v41, v0, 3, 1 bitop3:0x6c
	v_and_b32_e32 v26, 48, v3
	v_bfe_u32 v44, v0, 2, 4
	v_and_b32_e32 v1, 60, v0
	v_lshlrev_b32_e32 v3, 8, v0
	v_lshlrev_b32_e32 v0, 6, v0
	v_and_b32_e32 v3, 0x200, v3
	v_and_b32_e32 v0, 64, v0
	v_rcp_iflag_f32_e32 v4, v4
	s_abs_i32 s47, s42
	v_or3_b32 v45, v1, v3, v0
	v_cvt_f32_u32_e32 v1, s47
	v_mul_f32_e32 v0, 0x4f7ffffe, v4
	v_cvt_u32_f32_e32 v0, v0
	v_mad_u64_u32 v[18:19], s[6:7], s13, v42, v[16:17]
	v_rcp_iflag_f32_e32 v1, v1
	s_lshl_b32 s6, s13, 4
	v_add_u32_e32 v20, s6, v18
	v_readfirstlane_b32 s7, v0
	v_mul_f32_e32 v0, 0x4f7ffffe, v1
	v_add_u32_e32 v22, s6, v20
	v_cvt_u32_f32_e32 v0, v0
	v_add_u32_e32 v24, s6, v22
	s_sub_i32 s6, 0, s46
	s_mul_i32 s6, s6, s7
	s_mul_hi_u32 s6, s7, s6
	v_add_u32_e32 v2, 1, v2
	s_add_i32 s49, s7, s6
	s_sub_i32 s6, 0, s47
	v_readfirstlane_b32 s7, v0
	v_mbcnt_lo_u32_b32 v0, -1, 0
	v_and_b32_e32 v2, 63, v2
	s_mul_i32 s6, s6, s7
	v_mbcnt_hi_u32_b32 v0, -1, v0
	v_mul_lo_u32 v28, s15, v44
	s_mul_hi_u32 s6, s7, s6
	v_and_or_b32 v0, v0, 64, v2
	v_cndmask_b32_e64 v38, 0, 1, s[0:1]
	s_ashr_i32 s11, s13, 31
	s_mov_b32 s10, s13
	v_ashrrev_i32_e32 v19, 31, v18
	v_ashrrev_i32_e32 v21, 31, v20
	;; [unrolled: 1-line block ×3, first 2 shown]
	v_or_b32_e32 v43, 48, v42
	v_ashrrev_i32_e32 v25, 31, v24
	v_ashrrev_i32_e32 v29, 31, v28
	v_mov_b32_e32 v27, 0
	v_or_b32_e32 v46, 0x6000, v45
	v_mul_lo_u32 v47, s14, v44
	s_ashr_i32 s48, s33, 31
	s_ashr_i32 s50, s42, 31
	s_add_i32 s51, s7, s6
	v_lshlrev_b32_e32 v48, 2, v0
	v_mov_b32_e32 v49, v34
	s_branch .LBB322_7
.LBB322_4:                              ;   in Loop: Header=BB322_7 Depth=1
	s_or_b64 exec, exec, s[28:29]
.LBB322_5:                              ;   in Loop: Header=BB322_7 Depth=1
	s_or_b64 exec, exec, s[8:9]
	v_subrev_u32_e32 v49, s36, v49
.LBB322_6:                              ;   in Loop: Header=BB322_7 Depth=1
	s_or_b64 exec, exec, s[6:7]
	s_add_i32 s43, s43, 1
	v_cmp_ge_i32_e32 vcc, s43, v17
	s_cbranch_vccnz .LBB322_57
.LBB322_7:                              ; =>This Loop Header: Depth=1
                                        ;     Child Loop BB322_13 Depth 2
                                        ;       Child Loop BB322_15 Depth 3
                                        ;       Child Loop BB322_18 Depth 3
	;; [unrolled: 1-line block ×5, first 2 shown]
                                        ;     Child Loop BB322_44 Depth 2
                                        ;       Child Loop BB322_46 Depth 3
                                        ;     Child Loop BB322_54 Depth 2
                                        ;       Child Loop BB322_56 Depth 3
	s_abs_i32 s7, s43
	s_mul_hi_u32 s8, s7, s49
	s_mul_i32 s9, s8, s46
	s_ashr_i32 s6, s43, 31
	s_sub_i32 s7, s7, s9
	s_xor_b32 s6, s6, s48
	s_add_i32 s9, s8, 1
	s_sub_i32 s28, s7, s46
	s_cmp_ge_u32 s7, s46
	s_cselect_b32 s8, s9, s8
	s_cselect_b32 s7, s28, s7
	s_add_i32 s9, s8, 1
	s_cmp_ge_u32 s7, s46
	s_cselect_b32 s7, s9, s8
	s_xor_b32 s7, s7, s6
	s_sub_i32 s6, s7, s6
	s_abs_i32 s8, s6
	s_mul_i32 s7, s6, s33
	s_mul_hi_u32 s9, s8, s51
	s_sub_i32 s7, s43, s7
	s_mul_i32 s28, s9, s47
	s_lshl_b32 s52, s7, 6
	s_ashr_i32 s7, s6, 31
	s_sub_i32 s8, s8, s28
	s_xor_b32 s7, s7, s50
	s_add_i32 s28, s9, 1
	s_sub_i32 s29, s8, s47
	s_cmp_ge_u32 s8, s47
	s_cselect_b32 s9, s28, s9
	s_cselect_b32 s8, s29, s8
	s_add_i32 s28, s9, 1
	s_cmp_ge_u32 s8, s47
	s_cselect_b32 s8, s28, s9
	s_xor_b32 s8, s8, s7
	s_sub_i32 s7, s8, s7
	s_mul_i32 s8, s7, s44
	s_lshl_b32 s53, s8, 7
	s_cmp_eq_u32 s7, s16
	s_cselect_b32 s55, s45, s44
	s_sub_i32 s8, s52, s12
	s_add_i32 s8, s8, 64
	s_max_i32 s54, s8, 0
	s_and_saveexec_b64 s[8:9], s[2:3]
	s_xor_b64 s[28:29], exec, s[8:9]
	s_cbranch_execz .LBB322_50
; %bb.8:                                ;   in Loop: Header=BB322_7 Depth=1
	s_mul_i32 s7, s7, s42
	s_sub_i32 s6, s6, s7
	s_lshl_b32 s6, s6, 4
	s_sub_i32 s31, s6, s13
	s_add_i32 s31, s31, 16
	s_max_i32 s7, s31, 0
	s_sub_i32 s30, s6, s7
	s_and_saveexec_b64 s[6:7], s[0:1]
	s_xor_b64 s[34:35], exec, s[6:7]
	s_cbranch_execz .LBB322_40
; %bb.9:                                ;   in Loop: Header=BB322_7 Depth=1
	s_and_saveexec_b64 s[36:37], s[4:5]
	s_cbranch_execz .LBB322_39
; %bb.10:                               ;   in Loop: Header=BB322_7 Depth=1
	s_waitcnt lgkmcnt(0)
	global_load_dword v50, v27, s[26:27]
	v_mov_b32_e32 v15, 0
	v_cmp_gt_i32_e32 vcc, s55, v49
	v_mov_b32_e32 v14, v15
	v_mov_b32_e32 v13, v15
	;; [unrolled: 1-line block ×15, first 2 shown]
	s_and_saveexec_b64 s[6:7], vcc
	s_cbranch_execz .LBB322_29
; %bb.11:                               ;   in Loop: Header=BB322_7 Depth=1
	v_mov_b32_e32 v0, 0
	s_mov_b64 s[8:9], 0
	v_mov_b32_e32 v1, v0
	v_mov_b32_e32 v2, v0
	;; [unrolled: 1-line block ×15, first 2 shown]
	s_branch .LBB322_13
.LBB322_12:                             ;   in Loop: Header=BB322_13 Depth=2
	s_or_b64 exec, exec, s[38:39]
	v_add_u32_e32 v55, 0x1800, v54
	ds_read2_b32 v[56:57], v55 offset1:32
	ds_read2_b32 v[58:59], v55 offset0:128 offset1:160
	v_add_u32_e32 v60, 0x1c00, v54
	ds_read2_b32 v[54:55], v60 offset1:32
	v_add_u32_e32 v49, s19, v49
	s_waitcnt lgkmcnt(2)
	v_mfma_f32_16x16x32_fp8_fp8 v[0:3], v[56:57], v[34:35], v[0:3]
	v_add_u32_e32 v34, s19, v51
	v_cmp_le_i32_e32 vcc, s55, v49
	v_add_u32_e32 v35, 2, v38
	s_waitcnt lgkmcnt(1)
	v_mfma_f32_16x16x32_fp8_fp8 v[0:3], v[58:59], v[36:37], v[0:3]
	ds_read2_b32 v[36:37], v60 offset0:128 offset1:160
	s_or_b64 s[8:9], vcc, s[8:9]
	v_cmp_lt_i32_e32 vcc, 2, v34
	s_waitcnt lgkmcnt(1)
	v_mfma_f32_16x16x32_fp8_fp8 v[0:3], v[54:55], v[32:33], v[0:3]
	;;#ASMSTART
	s_waitcnt lgkmcnt(0)
	;;#ASMEND
	ds_write_b32 v53, v52 offset:30732
	v_cndmask_b32_e32 v38, v38, v35, vcc
	s_waitcnt lgkmcnt(1)
	v_mfma_f32_16x16x32_fp8_fp8 v[0:3], v[36:37], v[30:31], v[0:3]
	s_andn2_b64 exec, exec, s[8:9]
	s_cbranch_execz .LBB322_28
.LBB322_13:                             ;   Parent Loop BB322_7 Depth=1
                                        ; =>  This Loop Header: Depth=2
                                        ;       Child Loop BB322_15 Depth 3
                                        ;       Child Loop BB322_18 Depth 3
	;; [unrolled: 1-line block ×5, first 2 shown]
	v_cmp_gt_i32_e32 vcc, 3, v34
	s_nop 1
	v_cndmask_b32_e64 v30, -3, 0, vcc
	v_add_u32_e32 v51, v30, v34
	v_lshlrev_b32_e32 v30, 2, v51
	ds_read_b32 v31, v30 offset:30768
	v_add_u32_e32 v53, 0x7800, v30
	s_waitcnt lgkmcnt(0)
	v_cmp_ne_u32_e32 vcc, v31, v38
	s_and_saveexec_b64 s[38:39], vcc
	s_cbranch_execz .LBB322_16
; %bb.14:                               ;   in Loop: Header=BB322_13 Depth=2
	s_mov_b64 s[40:41], 0
.LBB322_15:                             ;   Parent Loop BB322_7 Depth=1
                                        ;     Parent Loop BB322_13 Depth=2
                                        ; =>    This Inner Loop Header: Depth=3
	;;#ASMSTART
	s_sleep 0
	;;#ASMEND
	ds_read_b32 v30, v53 offset:48
	s_waitcnt lgkmcnt(0)
	v_cmp_eq_u32_e32 vcc, v30, v38
	s_or_b64 s[40:41], vcc, s[40:41]
	s_andn2_b64 exec, exec, s[40:41]
	s_cbranch_execnz .LBB322_15
.LBB322_16:                             ;   in Loop: Header=BB322_13 Depth=2
	s_or_b64 exec, exec, s[38:39]
	v_or_b32_e32 v30, 0x6000, v39
	v_lshl_add_u32 v30, v51, 11, v30
	ds_read2_b32 v[34:35], v30 offset1:32
	ds_read2_b32 v[36:37], v30 offset0:128 offset1:160
	v_add_u32_e32 v30, 0x400, v30
	v_add_u32_e32 v52, 1, v38
	ds_read2_b32 v[32:33], v30 offset1:32
	ds_read2_b32 v[30:31], v30 offset0:128 offset1:160
	;;#ASMSTART
	s_waitcnt lgkmcnt(0)
	;;#ASMEND
	ds_write_b32 v53, v52 offset:48
	v_lshlrev_b32_e32 v53, 4, v51
	ds_read_b32 v54, v53 offset:30720
	s_waitcnt lgkmcnt(0)
	v_cmp_ne_u32_e32 vcc, v54, v38
	s_and_saveexec_b64 s[38:39], vcc
	s_cbranch_execz .LBB322_19
; %bb.17:                               ;   in Loop: Header=BB322_13 Depth=2
	s_mov_b64 s[40:41], 0
.LBB322_18:                             ;   Parent Loop BB322_7 Depth=1
                                        ;     Parent Loop BB322_13 Depth=2
                                        ; =>    This Inner Loop Header: Depth=3
	;;#ASMSTART
	s_sleep 0
	;;#ASMEND
	ds_read_b32 v54, v53 offset:30720
	s_waitcnt lgkmcnt(0)
	v_cmp_eq_u32_e32 vcc, v54, v38
	s_or_b64 s[40:41], vcc, s[40:41]
	s_andn2_b64 exec, exec, s[40:41]
	s_cbranch_execnz .LBB322_18
.LBB322_19:                             ;   in Loop: Header=BB322_13 Depth=2
	s_or_b64 exec, exec, s[38:39]
	v_lshlrev_b32_e32 v54, 13, v51
	v_or_b32_e32 v55, v39, v54
	ds_read2_b32 v[56:57], v55 offset1:32
	ds_read2_b32 v[58:59], v55 offset0:128 offset1:160
	v_add_u32_e32 v55, 0x400, v55
	s_waitcnt lgkmcnt(1)
	v_mfma_f32_16x16x32_fp8_fp8 v[12:15], v[56:57], v[34:35], v[12:15]
	ds_read2_b32 v[56:57], v55 offset1:32
	s_waitcnt lgkmcnt(1)
	v_mfma_f32_16x16x32_fp8_fp8 v[12:15], v[58:59], v[36:37], v[12:15]
	ds_read2_b32 v[58:59], v55 offset0:128 offset1:160
	;;#ASMSTART
	s_waitcnt lgkmcnt(0)
	;;#ASMEND
	ds_read_b32 v55, v53 offset:30724
	ds_write_b32 v53, v52 offset:30720
	s_waitcnt lgkmcnt(3)
	v_mfma_f32_16x16x32_fp8_fp8 v[12:15], v[56:57], v[32:33], v[12:15]
	s_waitcnt lgkmcnt(1)
	v_cmp_ne_u32_e32 vcc, v55, v38
	v_mfma_f32_16x16x32_fp8_fp8 v[12:15], v[58:59], v[30:31], v[12:15]
	s_and_saveexec_b64 s[38:39], vcc
	s_cbranch_execz .LBB322_22
; %bb.20:                               ;   in Loop: Header=BB322_13 Depth=2
	s_mov_b64 s[40:41], 0
.LBB322_21:                             ;   Parent Loop BB322_7 Depth=1
                                        ;     Parent Loop BB322_13 Depth=2
                                        ; =>    This Inner Loop Header: Depth=3
	;;#ASMSTART
	s_sleep 0
	;;#ASMEND
	ds_read_b32 v55, v53 offset:30724
	s_waitcnt lgkmcnt(0)
	v_cmp_eq_u32_e32 vcc, v55, v38
	s_or_b64 s[40:41], vcc, s[40:41]
	s_andn2_b64 exec, exec, s[40:41]
	s_cbranch_execnz .LBB322_21
.LBB322_22:                             ;   in Loop: Header=BB322_13 Depth=2
	s_or_b64 exec, exec, s[38:39]
	v_add_u32_e32 v54, v39, v54
	v_add_u32_e32 v55, 0x800, v54
	ds_read2_b32 v[56:57], v55 offset1:32
	ds_read2_b32 v[58:59], v55 offset0:128 offset1:160
	v_add_u32_e32 v55, 0xc00, v54
	s_waitcnt lgkmcnt(1)
	v_mfma_f32_16x16x32_fp8_fp8 v[8:11], v[56:57], v[34:35], v[8:11]
	ds_read2_b32 v[56:57], v55 offset1:32
	s_waitcnt lgkmcnt(1)
	v_mfma_f32_16x16x32_fp8_fp8 v[8:11], v[58:59], v[36:37], v[8:11]
	ds_read2_b32 v[58:59], v55 offset0:128 offset1:160
	;;#ASMSTART
	s_waitcnt lgkmcnt(0)
	;;#ASMEND
	ds_read_b32 v55, v53 offset:30728
	ds_write_b32 v53, v52 offset:30724
	s_waitcnt lgkmcnt(3)
	v_mfma_f32_16x16x32_fp8_fp8 v[8:11], v[56:57], v[32:33], v[8:11]
	s_waitcnt lgkmcnt(1)
	v_cmp_ne_u32_e32 vcc, v55, v38
	v_mfma_f32_16x16x32_fp8_fp8 v[8:11], v[58:59], v[30:31], v[8:11]
	s_and_saveexec_b64 s[38:39], vcc
	s_cbranch_execz .LBB322_25
; %bb.23:                               ;   in Loop: Header=BB322_13 Depth=2
	s_mov_b64 s[40:41], 0
.LBB322_24:                             ;   Parent Loop BB322_7 Depth=1
                                        ;     Parent Loop BB322_13 Depth=2
                                        ; =>    This Inner Loop Header: Depth=3
	;;#ASMSTART
	s_sleep 0
	;;#ASMEND
	ds_read_b32 v55, v53 offset:30728
	s_waitcnt lgkmcnt(0)
	v_cmp_eq_u32_e32 vcc, v55, v38
	s_or_b64 s[40:41], vcc, s[40:41]
	s_andn2_b64 exec, exec, s[40:41]
	s_cbranch_execnz .LBB322_24
.LBB322_25:                             ;   in Loop: Header=BB322_13 Depth=2
	s_or_b64 exec, exec, s[38:39]
	v_add_u32_e32 v55, 0x1000, v54
	ds_read2_b32 v[56:57], v55 offset1:32
	ds_read2_b32 v[58:59], v55 offset0:128 offset1:160
	v_add_u32_e32 v55, 0x1400, v54
	s_waitcnt lgkmcnt(1)
	v_mfma_f32_16x16x32_fp8_fp8 v[4:7], v[56:57], v[34:35], v[4:7]
	ds_read2_b32 v[56:57], v55 offset1:32
	s_waitcnt lgkmcnt(1)
	v_mfma_f32_16x16x32_fp8_fp8 v[4:7], v[58:59], v[36:37], v[4:7]
	ds_read2_b32 v[58:59], v55 offset0:128 offset1:160
	;;#ASMSTART
	s_waitcnt lgkmcnt(0)
	;;#ASMEND
	ds_read_b32 v55, v53 offset:30732
	ds_write_b32 v53, v52 offset:30728
	s_waitcnt lgkmcnt(3)
	v_mfma_f32_16x16x32_fp8_fp8 v[4:7], v[56:57], v[32:33], v[4:7]
	s_waitcnt lgkmcnt(1)
	v_cmp_ne_u32_e32 vcc, v55, v38
	v_mfma_f32_16x16x32_fp8_fp8 v[4:7], v[58:59], v[30:31], v[4:7]
	s_and_saveexec_b64 s[38:39], vcc
	s_cbranch_execz .LBB322_12
; %bb.26:                               ;   in Loop: Header=BB322_13 Depth=2
	s_mov_b64 s[40:41], 0
.LBB322_27:                             ;   Parent Loop BB322_7 Depth=1
                                        ;     Parent Loop BB322_13 Depth=2
                                        ; =>    This Inner Loop Header: Depth=3
	;;#ASMSTART
	s_sleep 0
	;;#ASMEND
	ds_read_b32 v55, v53 offset:30732
	s_waitcnt lgkmcnt(0)
	v_cmp_eq_u32_e32 vcc, v55, v38
	s_or_b64 s[40:41], vcc, s[40:41]
	s_andn2_b64 exec, exec, s[40:41]
	s_cbranch_execnz .LBB322_27
	s_branch .LBB322_12
.LBB322_28:                             ;   in Loop: Header=BB322_7 Depth=1
	s_or_b64 exec, exec, s[8:9]
.LBB322_29:                             ;   in Loop: Header=BB322_7 Depth=1
	s_or_b64 exec, exec, s[6:7]
	v_cmp_le_i32_e32 vcc, s31, v16
	v_cmp_eq_u32_e64 s[6:7], 3, v40
	s_waitcnt vmcnt(0)
	v_cndmask_b32_e32 v30, 0, v50, vcc
	v_pk_mul_f32 v[36:37], v[30:31], v[12:13] op_sel_hi:[0,1]
	v_cmp_eq_u32_e32 vcc, 1, v40
	v_pk_mul_f32 v[14:15], v[30:31], v[14:15] op_sel_hi:[0,1]
	v_add_u32_e32 v31, s54, v42
	v_cndmask_b32_e32 v12, v36, v37, vcc
	v_cmp_eq_u32_e32 vcc, 2, v40
	s_nop 1
	v_cndmask_b32_e32 v12, v12, v14, vcc
	v_cndmask_b32_e64 v12, v12, v15, s[6:7]
	ds_bpermute_b32 v13, v48, v12
	s_waitcnt lgkmcnt(0)
	v_cndmask_b32_e32 v14, v14, v13, vcc
	v_cmp_ne_u32_e32 vcc, 0, v40
	v_cndmask_b32_e64 v32, v15, v13, s[6:7]
	s_nop 0
	v_cndmask_b32_e32 v12, v37, v13, vcc
	v_cmp_eq_u32_e32 vcc, 0, v40
	s_nop 1
	v_cndmask_b32_e32 v13, v36, v13, vcc
	v_cmp_eq_u32_e32 vcc, 1, v41
	;; [unrolled: 3-line block ×4, first 2 shown]
	s_nop 1
	v_cndmask_b32_e32 v15, v15, v32, vcc
	ds_bpermute_b32 v15, v48, v15
	v_cmp_gt_u32_e32 vcc, 64, v31
	s_and_saveexec_b64 s[38:39], vcc
	s_cbranch_execz .LBB322_38
; %bb.30:                               ;   in Loop: Header=BB322_7 Depth=1
	v_cmp_eq_u32_e64 s[8:9], 1, v41
	v_cmp_eq_u32_e64 s[6:7], 3, v41
	v_cmp_eq_u32_e32 vcc, 2, v41
	s_waitcnt lgkmcnt(0)
	v_cndmask_b32_e64 v12, v12, v15, s[8:9]
	v_cmp_eq_u32_e64 s[8:9], 0, v41
	v_cvt_f16_f32_sdwa v35, v12 dst_sel:WORD_1 dst_unused:UNUSED_PAD src0_sel:DWORD
	s_nop 0
	v_cndmask_b32_e64 v13, v13, v15, s[8:9]
	s_mul_i32 s8, s52, s13
	s_ashr_i32 s9, s8, 31
	s_lshl_b64 s[8:9], s[8:9], 1
	s_add_u32 s40, s24, s8
	s_addc_u32 s41, s25, s9
	s_ashr_i32 s31, s30, 31
	s_lshl_b64 s[8:9], s[30:31], 1
	v_cvt_f16_f32_e32 v33, v13
	s_add_u32 s40, s40, s8
	s_addc_u32 s41, s41, s9
	v_lshl_add_u64 v[12:13], v[18:19], 1, s[40:41]
	v_cmp_gt_u32_e64 s[8:9], 62, v31
	v_or_b32_e32 v33, v35, v33
	;;#ASMSTART
	global_atomic_pk_add_f16 v[12:13], v33, off
	
	;;#ASMEND
	s_and_b64 exec, exec, s[8:9]
	s_cbranch_execz .LBB322_38
; %bb.31:                               ;   in Loop: Header=BB322_7 Depth=1
	v_mov_b32_e32 v31, v30
	v_cndmask_b32_e64 v35, v32, v15, s[6:7]
	v_mov_b32_e32 v32, v30
	v_mov_b32_e32 v33, v30
	v_pk_mul_f32 v[10:11], v[32:33], v[10:11]
	v_pk_mul_f32 v[32:33], v[30:31], v[8:9]
	v_cmp_eq_u32_e64 s[6:7], 1, v40
	v_cmp_eq_u32_e64 s[8:9], 3, v40
	v_cvt_f16_f32_sdwa v35, v35 dst_sel:WORD_1 dst_unused:UNUSED_PAD src0_sel:DWORD
	v_cndmask_b32_e64 v8, v32, v33, s[6:7]
	v_cmp_eq_u32_e64 s[6:7], 2, v40
	s_nop 1
	v_cndmask_b32_e64 v8, v8, v10, s[6:7]
	v_cndmask_b32_e64 v8, v8, v11, s[8:9]
	ds_bpermute_b32 v9, v48, v8
	v_cndmask_b32_e32 v8, v14, v15, vcc
	v_cmp_ne_u32_e32 vcc, 0, v40
	v_lshl_add_u64 v[14:15], s[10:11], 2, v[12:13]
	v_cvt_f16_f32_e32 v13, v8
	s_waitcnt lgkmcnt(0)
	v_cndmask_b32_e32 v8, v33, v9, vcc
	v_cmp_eq_u32_e32 vcc, 0, v40
	v_cndmask_b32_e64 v12, v11, v9, s[8:9]
	v_cndmask_b32_e64 v10, v10, v9, s[6:7]
	v_cndmask_b32_e32 v9, v32, v9, vcc
	v_cmp_eq_u32_e32 vcc, 1, v41
	v_or_b32_e32 v13, v35, v13
	;;#ASMSTART
	global_atomic_pk_add_f16 v[14:15], v13, off
	
	;;#ASMEND
	v_or_b32_e32 v13, 16, v42
	v_cndmask_b32_e32 v11, v9, v8, vcc
	v_cmp_eq_u32_e32 vcc, 2, v41
	v_add_u32_e32 v13, s54, v13
	s_nop 0
	v_cndmask_b32_e32 v11, v11, v10, vcc
	v_cmp_eq_u32_e32 vcc, 3, v41
	s_nop 1
	v_cndmask_b32_e32 v11, v11, v12, vcc
	ds_bpermute_b32 v11, v48, v11
	v_cmp_gt_u32_e32 vcc, 64, v13
	s_and_b64 exec, exec, vcc
	s_cbranch_execz .LBB322_38
; %bb.32:                               ;   in Loop: Header=BB322_7 Depth=1
	v_cmp_eq_u32_e32 vcc, 1, v41
	v_cmp_eq_u32_e64 s[6:7], 3, v41
	v_cmp_gt_u32_e64 s[8:9], 62, v13
	s_waitcnt lgkmcnt(0)
	v_cndmask_b32_e32 v8, v8, v11, vcc
	v_cmp_eq_u32_e32 vcc, 0, v41
	v_cvt_f16_f32_sdwa v15, v8 dst_sel:WORD_1 dst_unused:UNUSED_PAD src0_sel:DWORD
	s_nop 0
	v_cndmask_b32_e32 v9, v9, v11, vcc
	v_cvt_f16_f32_e32 v14, v9
	v_cmp_eq_u32_e32 vcc, 2, v41
	v_lshl_add_u64 v[8:9], v[20:21], 1, s[40:41]
	v_or_b32_e32 v14, v15, v14
	;;#ASMSTART
	global_atomic_pk_add_f16 v[8:9], v14, off
	
	;;#ASMEND
	s_and_b64 exec, exec, s[8:9]
	s_cbranch_execz .LBB322_38
; %bb.33:                               ;   in Loop: Header=BB322_7 Depth=1
	v_cndmask_b32_e64 v14, v12, v11, s[6:7]
	v_mov_b32_e32 v12, v30
	v_mov_b32_e32 v13, v30
	v_pk_mul_f32 v[6:7], v[12:13], v[6:7]
	v_pk_mul_f32 v[12:13], v[30:31], v[4:5]
	v_cmp_eq_u32_e64 s[6:7], 1, v40
	v_cmp_eq_u32_e64 s[8:9], 3, v40
	v_cvt_f16_f32_sdwa v14, v14 dst_sel:WORD_1 dst_unused:UNUSED_PAD src0_sel:DWORD
	v_cndmask_b32_e64 v4, v12, v13, s[6:7]
	v_cmp_eq_u32_e64 s[6:7], 2, v40
	s_nop 1
	v_cndmask_b32_e64 v4, v4, v6, s[6:7]
	v_cndmask_b32_e64 v4, v4, v7, s[8:9]
	ds_bpermute_b32 v5, v48, v4
	v_cndmask_b32_e32 v4, v10, v11, vcc
	v_cmp_ne_u32_e32 vcc, 0, v40
	v_lshl_add_u64 v[10:11], s[10:11], 2, v[8:9]
	v_cvt_f16_f32_e32 v9, v4
	s_waitcnt lgkmcnt(0)
	v_cndmask_b32_e32 v4, v13, v5, vcc
	v_cmp_eq_u32_e32 vcc, 0, v40
	v_cndmask_b32_e64 v8, v7, v5, s[8:9]
	v_cndmask_b32_e64 v6, v6, v5, s[6:7]
	v_cndmask_b32_e32 v5, v12, v5, vcc
	v_cmp_eq_u32_e32 vcc, 1, v41
	v_or_b32_e32 v9, v14, v9
	;;#ASMSTART
	global_atomic_pk_add_f16 v[10:11], v9, off
	
	;;#ASMEND
	v_or_b32_e32 v9, 32, v42
	v_cndmask_b32_e32 v7, v5, v4, vcc
	v_cmp_eq_u32_e32 vcc, 2, v41
	v_add_u32_e32 v9, s54, v9
	s_nop 0
	v_cndmask_b32_e32 v7, v7, v6, vcc
	v_cmp_eq_u32_e32 vcc, 3, v41
	s_nop 1
	v_cndmask_b32_e32 v7, v7, v8, vcc
	ds_bpermute_b32 v7, v48, v7
	v_cmp_gt_u32_e32 vcc, 64, v9
	s_and_b64 exec, exec, vcc
	s_cbranch_execz .LBB322_38
; %bb.34:                               ;   in Loop: Header=BB322_7 Depth=1
	v_cmp_eq_u32_e32 vcc, 1, v41
	v_cmp_eq_u32_e64 s[6:7], 3, v41
	v_cmp_gt_u32_e64 s[8:9], 62, v9
	s_waitcnt lgkmcnt(0)
	v_cndmask_b32_e32 v4, v4, v7, vcc
	v_cmp_eq_u32_e32 vcc, 0, v41
	v_cvt_f16_f32_sdwa v11, v4 dst_sel:WORD_1 dst_unused:UNUSED_PAD src0_sel:DWORD
	s_nop 0
	v_cndmask_b32_e32 v5, v5, v7, vcc
	v_cvt_f16_f32_e32 v10, v5
	v_cmp_eq_u32_e32 vcc, 2, v41
	v_lshl_add_u64 v[4:5], v[22:23], 1, s[40:41]
	v_or_b32_e32 v10, v11, v10
	;;#ASMSTART
	global_atomic_pk_add_f16 v[4:5], v10, off
	
	;;#ASMEND
	s_and_b64 exec, exec, s[8:9]
	s_cbranch_execz .LBB322_38
; %bb.35:                               ;   in Loop: Header=BB322_7 Depth=1
	v_cndmask_b32_e64 v12, v8, v7, s[6:7]
	v_mov_b32_e32 v8, v30
	v_mov_b32_e32 v9, v30
	v_pk_mul_f32 v[10:11], v[30:31], v[0:1]
	v_cmp_eq_u32_e64 s[6:7], 1, v40
	v_pk_mul_f32 v[8:9], v[8:9], v[2:3]
	v_cmp_eq_u32_e64 s[8:9], 3, v40
	v_cndmask_b32_e64 v0, v10, v11, s[6:7]
	v_cmp_eq_u32_e64 s[6:7], 2, v40
	v_cvt_f16_f32_sdwa v12, v12 dst_sel:WORD_1 dst_unused:UNUSED_PAD src0_sel:DWORD
	s_nop 0
	v_cndmask_b32_e64 v0, v0, v8, s[6:7]
	v_cndmask_b32_e64 v0, v0, v9, s[8:9]
	ds_bpermute_b32 v1, v48, v0
	v_cndmask_b32_e32 v0, v6, v7, vcc
	v_cmp_ne_u32_e32 vcc, 0, v40
	v_lshl_add_u64 v[6:7], s[10:11], 2, v[4:5]
	v_cvt_f16_f32_e32 v5, v0
	s_waitcnt lgkmcnt(0)
	v_cndmask_b32_e32 v0, v11, v1, vcc
	v_cmp_eq_u32_e32 vcc, 0, v40
	v_cndmask_b32_e64 v2, v9, v1, s[8:9]
	v_cndmask_b32_e64 v3, v8, v1, s[6:7]
	v_cndmask_b32_e32 v1, v10, v1, vcc
	v_cmp_eq_u32_e32 vcc, 1, v41
	v_or_b32_e32 v5, v12, v5
	;;#ASMSTART
	global_atomic_pk_add_f16 v[6:7], v5, off
	
	;;#ASMEND
	v_add_u32_e32 v5, s54, v43
	v_cndmask_b32_e32 v4, v1, v0, vcc
	v_cmp_eq_u32_e32 vcc, 2, v41
	s_nop 1
	v_cndmask_b32_e32 v4, v4, v3, vcc
	v_cmp_eq_u32_e32 vcc, 3, v41
	s_nop 1
	v_cndmask_b32_e32 v4, v4, v2, vcc
	ds_bpermute_b32 v4, v48, v4
	v_cmp_gt_u32_e32 vcc, 64, v5
	s_and_b64 exec, exec, vcc
	s_cbranch_execz .LBB322_38
; %bb.36:                               ;   in Loop: Header=BB322_7 Depth=1
	v_cmp_eq_u32_e32 vcc, 1, v41
	v_cmp_eq_u32_e64 s[6:7], 2, v41
	v_cmp_gt_u32_e64 s[8:9], 62, v5
	s_waitcnt lgkmcnt(0)
	v_cndmask_b32_e32 v0, v0, v4, vcc
	v_cmp_eq_u32_e32 vcc, 0, v41
	v_cvt_f16_f32_sdwa v7, v0 dst_sel:WORD_1 dst_unused:UNUSED_PAD src0_sel:DWORD
	s_nop 0
	v_cndmask_b32_e32 v1, v1, v4, vcc
	v_cvt_f16_f32_e32 v6, v1
	v_cmp_eq_u32_e32 vcc, 3, v41
	v_lshl_add_u64 v[0:1], v[24:25], 1, s[40:41]
	v_or_b32_e32 v6, v7, v6
	;;#ASMSTART
	global_atomic_pk_add_f16 v[0:1], v6, off
	
	;;#ASMEND
	s_and_b64 exec, exec, s[8:9]
	s_cbranch_execz .LBB322_38
; %bb.37:                               ;   in Loop: Header=BB322_7 Depth=1
	v_cndmask_b32_e32 v2, v2, v4, vcc
	v_cndmask_b32_e64 v3, v3, v4, s[6:7]
	v_cvt_f16_f32_sdwa v2, v2 dst_sel:WORD_1 dst_unused:UNUSED_PAD src0_sel:DWORD
	v_cvt_f16_f32_e32 v3, v3
	v_lshl_add_u64 v[0:1], s[10:11], 2, v[0:1]
	v_or_b32_e32 v2, v2, v3
	;;#ASMSTART
	global_atomic_pk_add_f16 v[0:1], v2, off
	
	;;#ASMEND
.LBB322_38:                             ;   in Loop: Header=BB322_7 Depth=1
	s_or_b64 exec, exec, s[38:39]
	v_subrev_u32_e32 v49, s55, v49
.LBB322_39:                             ;   in Loop: Header=BB322_7 Depth=1
	s_or_b64 exec, exec, s[36:37]
.LBB322_40:                             ;   in Loop: Header=BB322_7 Depth=1
	s_andn2_saveexec_b64 s[6:7], s[34:35]
	s_cbranch_execz .LBB322_49
; %bb.41:                               ;   in Loop: Header=BB322_7 Depth=1
	v_cmp_gt_i32_e32 vcc, s55, v49
	s_and_saveexec_b64 s[8:9], vcc
	s_cbranch_execz .LBB322_48
; %bb.42:                               ;   in Loop: Header=BB322_7 Depth=1
	s_mul_i32 s30, s30, s15
	s_ashr_i32 s31, s30, 31
	s_waitcnt lgkmcnt(0)
	s_add_u32 s30, s22, s30
	s_addc_u32 s31, s23, s31
	s_ashr_i32 s34, s53, 31
	s_add_u32 s30, s30, s53
	s_addc_u32 s31, s31, s34
	v_lshl_add_u64 v[0:1], s[30:31], 0, v[28:29]
	v_lshl_add_u64 v[8:9], v[0:1], 0, v[26:27]
	s_mov_b64 s[30:31], 0
	s_branch .LBB322_44
.LBB322_43:                             ;   in Loop: Header=BB322_44 Depth=2
	s_or_b64 exec, exec, s[34:35]
	v_lshl_add_u32 v12, v10, 11, v46
	;;#ASMSTART
	s_waitcnt vmcnt(1)
	;;#ASMEND
	ds_write2_b32 v12, v4, v5 offset1:32
	ds_write2_b32 v12, v6, v7 offset0:64 offset1:96
	v_add_u32_e32 v4, 0x400, v12
	v_add_u32_e32 v49, s18, v49
	;;#ASMSTART
	s_waitcnt vmcnt(0)
	;;#ASMEND
	ds_write2_b32 v4, v0, v1 offset1:32
	ds_write2_b32 v4, v2, v3 offset0:64 offset1:96
	v_add_u32_e32 v0, 1, v38
	v_add_u32_e32 v34, s18, v10
	v_cmp_le_i32_e32 vcc, s55, v49
	ds_write_b32 v11, v0 offset:48
	v_add_u32_e32 v0, 2, v38
	s_or_b64 s[30:31], vcc, s[30:31]
	v_cmp_lt_i32_e32 vcc, 2, v34
	s_nop 1
	v_cndmask_b32_e32 v38, v38, v0, vcc
	s_andn2_b64 exec, exec, s[30:31]
	s_cbranch_execz .LBB322_47
.LBB322_44:                             ;   Parent Loop BB322_7 Depth=1
                                        ; =>  This Loop Header: Depth=2
                                        ;       Child Loop BB322_46 Depth 3
	v_cmp_gt_i32_e32 vcc, 3, v34
	s_nop 1
	v_cndmask_b32_e64 v0, -3, 0, vcc
	v_add_u32_e32 v10, v0, v34
	v_lshlrev_b32_e32 v0, 7, v49
	v_ashrrev_i32_e32 v1, 31, v0
	v_lshl_add_u64 v[0:1], v[8:9], 0, v[0:1]
	v_lshlrev_b32_e32 v11, 2, v10
	;;#ASMSTART
	global_load_dwordx4 v[4:7], v[0:1], off offset:0   sc0 sc1 nt  
	global_load_dwordx4 v[0:3], v[0:1], off offset:64  sc0 sc1 nt  
	
	;;#ASMEND
	ds_read_b32 v12, v11 offset:30768
	v_add_u32_e32 v11, 0x7800, v11
	s_waitcnt lgkmcnt(0)
	v_cmp_ne_u32_e32 vcc, v12, v38
	s_and_saveexec_b64 s[34:35], vcc
	s_cbranch_execz .LBB322_43
; %bb.45:                               ;   in Loop: Header=BB322_44 Depth=2
	s_mov_b64 s[36:37], 0
.LBB322_46:                             ;   Parent Loop BB322_7 Depth=1
                                        ;     Parent Loop BB322_44 Depth=2
                                        ; =>    This Inner Loop Header: Depth=3
	;;#ASMSTART
	s_sleep 0
	;;#ASMEND
	ds_read_b32 v12, v11 offset:48
	s_waitcnt lgkmcnt(0)
	v_cmp_eq_u32_e32 vcc, v12, v38
	s_or_b64 s[36:37], vcc, s[36:37]
	s_andn2_b64 exec, exec, s[36:37]
	s_cbranch_execnz .LBB322_46
	s_branch .LBB322_43
.LBB322_47:                             ;   in Loop: Header=BB322_7 Depth=1
	s_or_b64 exec, exec, s[30:31]
.LBB322_48:                             ;   in Loop: Header=BB322_7 Depth=1
	s_or_b64 exec, exec, s[8:9]
	v_subrev_u32_e32 v49, s55, v49
.LBB322_49:                             ;   in Loop: Header=BB322_7 Depth=1
	s_or_b64 exec, exec, s[6:7]
.LBB322_50:                             ;   in Loop: Header=BB322_7 Depth=1
	s_andn2_saveexec_b64 s[6:7], s[28:29]
	s_cbranch_execz .LBB322_6
; %bb.51:                               ;   in Loop: Header=BB322_7 Depth=1
	s_lshl_b32 s36, s55, 2
	v_cmp_gt_i32_e32 vcc, s36, v49
	s_and_saveexec_b64 s[8:9], vcc
	s_cbranch_execz .LBB322_5
; %bb.52:                               ;   in Loop: Header=BB322_7 Depth=1
	s_mul_i32 s52, s52, s14
	s_ashr_i32 s28, s52, 31
	s_waitcnt lgkmcnt(0)
	s_add_u32 s29, s20, s52
	v_add_u32_e32 v2, s54, v44
	s_addc_u32 s30, s21, s28
	s_ashr_i32 s31, s53, 31
	v_cmp_gt_u32_e32 vcc, 64, v2
	s_add_u32 s28, s29, s53
	s_addc_u32 s29, s30, s31
	v_cndmask_b32_e32 v0, 0, v47, vcc
	v_ashrrev_i32_e32 v1, 31, v0
	v_lshl_add_u64 v[0:1], s[28:29], 0, v[0:1]
	v_lshl_add_u64 v[8:9], v[0:1], 0, v[26:27]
	v_sub_u32_e32 v10, 63, v2
	s_mov_b64 s[28:29], 0
	s_branch .LBB322_54
.LBB322_53:                             ;   in Loop: Header=BB322_54 Depth=2
	s_or_b64 exec, exec, s[30:31]
	v_lshl_or_b32 v13, v11, 11, v45
	;;#ASMSTART
	s_waitcnt vmcnt(1)
	;;#ASMEND
	ds_write2_b32 v13, v4, v5 offset1:32
	ds_write2_b32 v13, v6, v7 offset0:64 offset1:96
	v_add_u32_e32 v4, 0x400, v13
	v_add_u32_e32 v49, s17, v49
	;;#ASMSTART
	s_waitcnt vmcnt(0)
	;;#ASMEND
	ds_write2_b32 v4, v0, v1 offset1:32
	ds_write2_b32 v4, v2, v3 offset0:64 offset1:96
	v_add_u32_e32 v0, 1, v38
	v_add_u32_e32 v34, s17, v11
	v_cmp_le_i32_e32 vcc, s36, v49
	ds_write_b32 v12, v0
	v_add_u32_e32 v0, 2, v38
	s_or_b64 s[28:29], vcc, s[28:29]
	v_cmp_lt_i32_e32 vcc, 11, v34
	s_nop 1
	v_cndmask_b32_e32 v38, v38, v0, vcc
	s_andn2_b64 exec, exec, s[28:29]
	s_cbranch_execz .LBB322_4
.LBB322_54:                             ;   Parent Loop BB322_7 Depth=1
                                        ; =>  This Loop Header: Depth=2
                                        ;       Child Loop BB322_56 Depth 3
	v_cmp_gt_i32_e32 vcc, 12, v34
	s_nop 1
	v_cndmask_b32_e64 v0, -12, 0, vcc
	v_add_u32_e32 v11, v0, v34
	v_ashrrev_i32_e32 v0, 31, v49
	v_lshrrev_b32_e32 v0, 30, v0
	v_add_u32_e32 v0, v49, v0
	v_and_b32_e32 v1, 0xffffffc, v0
	v_sub_u32_e32 v1, v49, v1
	v_lshlrev_b32_e32 v1, 4, v1
	v_cmp_le_i32_e32 vcc, v1, v10
	v_lshlrev_b32_e32 v0, 5, v0
	v_and_b32_e32 v0, 0xffffff80, v0
	v_cndmask_b32_e32 v2, 0, v1, vcc
	v_ashrrev_i32_e32 v1, 31, v0
	v_mul_lo_u32 v2, v2, s14
	v_lshl_add_u64 v[0:1], v[8:9], 0, v[0:1]
	v_ashrrev_i32_e32 v3, 31, v2
	v_lshl_add_u64 v[0:1], v[0:1], 0, v[2:3]
	v_lshlrev_b32_e32 v12, 2, v11
	;;#ASMSTART
	global_load_dwordx4 v[4:7], v[0:1], off offset:0   
	global_load_dwordx4 v[0:3], v[0:1], off offset:64  
	
	;;#ASMEND
	ds_read_b32 v13, v12 offset:30720
	v_add_u32_e32 v12, 0x7800, v12
	s_waitcnt lgkmcnt(0)
	v_cmp_ne_u32_e32 vcc, v13, v38
	s_and_saveexec_b64 s[30:31], vcc
	s_cbranch_execz .LBB322_53
; %bb.55:                               ;   in Loop: Header=BB322_54 Depth=2
	s_mov_b64 s[34:35], 0
.LBB322_56:                             ;   Parent Loop BB322_7 Depth=1
                                        ;     Parent Loop BB322_54 Depth=2
                                        ; =>    This Inner Loop Header: Depth=3
	;;#ASMSTART
	s_sleep 0
	;;#ASMEND
	ds_read_b32 v13, v12
	s_waitcnt lgkmcnt(0)
	v_cmp_eq_u32_e32 vcc, v13, v38
	s_or_b64 s[34:35], vcc, s[34:35]
	s_andn2_b64 exec, exec, s[34:35]
	s_cbranch_execnz .LBB322_56
	s_branch .LBB322_53
.LBB322_57:
	s_endpgm
	.section	.rodata,"a",@progbits
	.p2align	6, 0x0
	.amdhsa_kernel _Z19_skinny_gemm_kernelILi4ELi1ELi3ELi16ELi4EEvPKhS1_P6__halfPKfiiiiiiii
		.amdhsa_group_segment_fixed_size 30780
		.amdhsa_private_segment_fixed_size 0
		.amdhsa_kernarg_size 64
		.amdhsa_user_sgpr_count 2
		.amdhsa_user_sgpr_dispatch_ptr 0
		.amdhsa_user_sgpr_queue_ptr 0
		.amdhsa_user_sgpr_kernarg_segment_ptr 1
		.amdhsa_user_sgpr_dispatch_id 0
		.amdhsa_user_sgpr_kernarg_preload_length 0
		.amdhsa_user_sgpr_kernarg_preload_offset 0
		.amdhsa_user_sgpr_private_segment_size 0
		.amdhsa_uses_dynamic_stack 0
		.amdhsa_enable_private_segment 0
		.amdhsa_system_sgpr_workgroup_id_x 1
		.amdhsa_system_sgpr_workgroup_id_y 0
		.amdhsa_system_sgpr_workgroup_id_z 0
		.amdhsa_system_sgpr_workgroup_info 0
		.amdhsa_system_vgpr_workitem_id 0
		.amdhsa_next_free_vgpr 61
		.amdhsa_next_free_sgpr 56
		.amdhsa_accum_offset 64
		.amdhsa_reserve_vcc 1
		.amdhsa_float_round_mode_32 0
		.amdhsa_float_round_mode_16_64 0
		.amdhsa_float_denorm_mode_32 3
		.amdhsa_float_denorm_mode_16_64 3
		.amdhsa_dx10_clamp 1
		.amdhsa_ieee_mode 1
		.amdhsa_fp16_overflow 0
		.amdhsa_tg_split 0
		.amdhsa_exception_fp_ieee_invalid_op 0
		.amdhsa_exception_fp_denorm_src 0
		.amdhsa_exception_fp_ieee_div_zero 0
		.amdhsa_exception_fp_ieee_overflow 0
		.amdhsa_exception_fp_ieee_underflow 0
		.amdhsa_exception_fp_ieee_inexact 0
		.amdhsa_exception_int_div_zero 0
	.end_amdhsa_kernel
	.section	.text._Z19_skinny_gemm_kernelILi4ELi1ELi3ELi16ELi4EEvPKhS1_P6__halfPKfiiiiiiii,"axG",@progbits,_Z19_skinny_gemm_kernelILi4ELi1ELi3ELi16ELi4EEvPKhS1_P6__halfPKfiiiiiiii,comdat
.Lfunc_end322:
	.size	_Z19_skinny_gemm_kernelILi4ELi1ELi3ELi16ELi4EEvPKhS1_P6__halfPKfiiiiiiii, .Lfunc_end322-_Z19_skinny_gemm_kernelILi4ELi1ELi3ELi16ELi4EEvPKhS1_P6__halfPKfiiiiiiii
                                        ; -- End function
	.set _Z19_skinny_gemm_kernelILi4ELi1ELi3ELi16ELi4EEvPKhS1_P6__halfPKfiiiiiiii.num_vgpr, 61
	.set _Z19_skinny_gemm_kernelILi4ELi1ELi3ELi16ELi4EEvPKhS1_P6__halfPKfiiiiiiii.num_agpr, 0
	.set _Z19_skinny_gemm_kernelILi4ELi1ELi3ELi16ELi4EEvPKhS1_P6__halfPKfiiiiiiii.numbered_sgpr, 56
	.set _Z19_skinny_gemm_kernelILi4ELi1ELi3ELi16ELi4EEvPKhS1_P6__halfPKfiiiiiiii.num_named_barrier, 0
	.set _Z19_skinny_gemm_kernelILi4ELi1ELi3ELi16ELi4EEvPKhS1_P6__halfPKfiiiiiiii.private_seg_size, 0
	.set _Z19_skinny_gemm_kernelILi4ELi1ELi3ELi16ELi4EEvPKhS1_P6__halfPKfiiiiiiii.uses_vcc, 1
	.set _Z19_skinny_gemm_kernelILi4ELi1ELi3ELi16ELi4EEvPKhS1_P6__halfPKfiiiiiiii.uses_flat_scratch, 0
	.set _Z19_skinny_gemm_kernelILi4ELi1ELi3ELi16ELi4EEvPKhS1_P6__halfPKfiiiiiiii.has_dyn_sized_stack, 0
	.set _Z19_skinny_gemm_kernelILi4ELi1ELi3ELi16ELi4EEvPKhS1_P6__halfPKfiiiiiiii.has_recursion, 0
	.set _Z19_skinny_gemm_kernelILi4ELi1ELi3ELi16ELi4EEvPKhS1_P6__halfPKfiiiiiiii.has_indirect_call, 0
	.section	.AMDGPU.csdata,"",@progbits
; Kernel info:
; codeLenInByte = 4356
; TotalNumSgprs: 62
; NumVgprs: 61
; NumAgprs: 0
; TotalNumVgprs: 61
; ScratchSize: 0
; MemoryBound: 0
; FloatMode: 240
; IeeeMode: 1
; LDSByteSize: 30780 bytes/workgroup (compile time only)
; SGPRBlocks: 7
; VGPRBlocks: 7
; NumSGPRsForWavesPerEU: 62
; NumVGPRsForWavesPerEU: 61
; AccumOffset: 64
; Occupancy: 8
; WaveLimiterHint : 0
; COMPUTE_PGM_RSRC2:SCRATCH_EN: 0
; COMPUTE_PGM_RSRC2:USER_SGPR: 2
; COMPUTE_PGM_RSRC2:TRAP_HANDLER: 0
; COMPUTE_PGM_RSRC2:TGID_X_EN: 1
; COMPUTE_PGM_RSRC2:TGID_Y_EN: 0
; COMPUTE_PGM_RSRC2:TGID_Z_EN: 0
; COMPUTE_PGM_RSRC2:TIDIG_COMP_CNT: 0
; COMPUTE_PGM_RSRC3_GFX90A:ACCUM_OFFSET: 15
; COMPUTE_PGM_RSRC3_GFX90A:TG_SPLIT: 0
	.section	.text._Z19_skinny_gemm_kernelILi4ELi1ELi3ELi16ELi8EEvPKhS1_P6__halfPKfiiiiiiii,"axG",@progbits,_Z19_skinny_gemm_kernelILi4ELi1ELi3ELi16ELi8EEvPKhS1_P6__halfPKfiiiiiiii,comdat
	.protected	_Z19_skinny_gemm_kernelILi4ELi1ELi3ELi16ELi8EEvPKhS1_P6__halfPKfiiiiiiii ; -- Begin function _Z19_skinny_gemm_kernelILi4ELi1ELi3ELi16ELi8EEvPKhS1_P6__halfPKfiiiiiiii
	.globl	_Z19_skinny_gemm_kernelILi4ELi1ELi3ELi16ELi8EEvPKhS1_P6__halfPKfiiiiiiii
	.p2align	8
	.type	_Z19_skinny_gemm_kernelILi4ELi1ELi3ELi16ELi8EEvPKhS1_P6__halfPKfiiiiiiii,@function
_Z19_skinny_gemm_kernelILi4ELi1ELi3ELi16ELi8EEvPKhS1_P6__halfPKfiiiiiiii: ; @_Z19_skinny_gemm_kernelILi4ELi1ELi3ELi16ELi8EEvPKhS1_P6__halfPKfiiiiiiii
; %bb.0:
	v_cmp_gt_u32_e32 vcc, 15, v0
	v_lshlrev_b32_e32 v1, 2, v0
	s_and_saveexec_b64 s[4:5], vcc
; %bb.1:
	v_mov_b32_e32 v2, 0
	ds_write_b32 v1, v2 offset:61440
; %bb.2:
	s_or_b64 exec, exec, s[4:5]
	s_load_dwordx8 s[12:19], s[0:1], 0x20
	s_waitcnt lgkmcnt(0)
	s_barrier
	s_add_i32 s3, s12, 63
	s_ashr_i32 s5, s3, 31
	s_add_i32 s4, s13, 15
	s_lshr_b32 s5, s5, 26
	s_ashr_i32 s6, s4, 31
	s_add_i32 s3, s3, s5
	s_ashr_i32 s33, s3, 6
	s_lshr_b32 s3, s6, 28
	s_add_i32 s4, s4, s3
	s_ashr_i32 s42, s4, 4
	s_mul_i32 s3, s42, s33
	s_mul_i32 s3, s3, s16
	s_add_i32 s4, s3, 0x12f
	s_mul_hi_i32 s4, s4, 0x6bca1af3
	s_lshr_b32 s5, s4, 31
	s_ashr_i32 s4, s4, 7
	s_add_i32 s4, s4, s5
	s_add_i32 s5, s2, 1
	s_mul_i32 s5, s4, s5
	v_cvt_f64_i32_e32 v[2:3], s3
	v_cvt_f64_u32_e32 v[4:5], s5
	v_min_f64 v[2:3], v[2:3], v[4:5]
	v_cvt_i32_f64_e32 v17, v[2:3]
	s_mul_i32 s43, s4, s2
	v_cmp_ge_i32_e32 vcc, s43, v17
	s_cbranch_vccnz .LBB323_57
; %bb.3:
	v_lshrrev_b32_e32 v2, 6, v0
	s_add_i32 s4, s18, s17
	s_load_dwordx8 s[20:27], s[0:1], 0x0
	v_cmp_le_i32_e64 s[0:1], s4, v2
	v_mov_b32_e32 v3, s17
	v_cmp_le_i32_e64 s[2:3], s17, v2
	v_mov_b32_e32 v4, s18
	v_cndmask_b32_e64 v4, 0, v4, s[0:1]
	v_cndmask_b32_e64 v3, 0, v3, s[2:3]
	s_abs_i32 s5, s16
	v_add_u32_e32 v3, v3, v4
	v_cvt_f32_u32_e32 v4, s5
	v_sub_u32_e32 v32, v2, v3
	s_ashr_i32 s6, s14, 31
	s_lshr_b32 s6, s6, 24
	v_rcp_iflag_f32_e32 v3, v4
	s_sub_i32 s9, 0, s5
	s_add_i32 s6, s14, s6
	s_ashr_i32 s6, s6, 8
	v_mul_f32_e32 v3, 0x4f7ffffe, v3
	v_cvt_u32_f32_e32 v3, v3
	s_abs_i32 s8, s6
	s_xor_b32 s7, s6, s16
	s_ashr_i32 s7, s7, 31
	v_readfirstlane_b32 s10, v3
	s_mul_i32 s9, s9, s10
	s_mul_hi_u32 s9, s10, s9
	s_add_i32 s10, s10, s9
	s_mul_hi_u32 s9, s8, s10
	s_mul_i32 s10, s9, s5
	s_sub_i32 s8, s8, s10
	s_add_i32 s10, s9, 1
	s_sub_i32 s11, s8, s5
	s_cmp_ge_u32 s8, s5
	s_cselect_b32 s9, s10, s9
	s_cselect_b32 s8, s11, s8
	s_add_i32 s10, s9, 1
	s_cmp_ge_u32 s8, s5
	s_cselect_b32 s5, s10, s9
	s_xor_b32 s5, s5, s7
	s_sub_i32 s44, s5, s7
	s_add_i32 s16, s16, -1
	s_mul_i32 s5, s44, s16
	s_add_i32 s4, s4, s19
	s_sub_i32 s45, s6, s5
	v_cmp_gt_i32_e64 s[4:5], s4, v2
	v_lshlrev_b32_e32 v2, 1, v0
	v_lshlrev_b32_e32 v3, 4, v0
	v_and_b32_e32 v1, 60, v1
	v_and_b32_e32 v2, 64, v2
	;; [unrolled: 1-line block ×3, first 2 shown]
	v_or3_b32 v47, v1, v2, v4
	v_and_b32_e32 v1, 1, v0
	v_lshrrev_b32_e32 v4, 2, v0
	s_abs_i32 s46, s33
	v_and_or_b32 v50, v4, 12, v1
	v_cvt_f32_u32_e32 v4, s46
	v_lshlrev_b32_e32 v2, 1, v1
	v_and_b32_e32 v16, 14, v0
	v_sub_u32_e32 v2, v0, v2
	v_bitop3_b32 v48, v0, 1, v0 bitop3:0xc
	v_bitop3_b32 v49, v0, 3, 1 bitop3:0x6c
	v_and_b32_e32 v26, 48, v3
	v_bfe_u32 v52, v0, 2, 4
	v_and_b32_e32 v1, 60, v0
	v_lshlrev_b32_e32 v3, 8, v0
	v_lshlrev_b32_e32 v0, 6, v0
	v_and_b32_e32 v3, 0x200, v3
	v_and_b32_e32 v0, 64, v0
	v_rcp_iflag_f32_e32 v4, v4
	s_abs_i32 s47, s42
	v_or3_b32 v53, v1, v3, v0
	v_cvt_f32_u32_e32 v1, s47
	v_mul_f32_e32 v0, 0x4f7ffffe, v4
	v_cvt_u32_f32_e32 v0, v0
	v_mad_u64_u32 v[18:19], s[6:7], s13, v50, v[16:17]
	v_rcp_iflag_f32_e32 v1, v1
	s_lshl_b32 s6, s13, 4
	v_add_u32_e32 v20, s6, v18
	v_readfirstlane_b32 s7, v0
	v_mul_f32_e32 v0, 0x4f7ffffe, v1
	v_add_u32_e32 v22, s6, v20
	v_cvt_u32_f32_e32 v0, v0
	v_add_u32_e32 v24, s6, v22
	s_sub_i32 s6, 0, s46
	s_mul_i32 s6, s6, s7
	s_mul_hi_u32 s6, s7, s6
	v_add_u32_e32 v2, 1, v2
	s_add_i32 s49, s7, s6
	s_sub_i32 s6, 0, s47
	v_readfirstlane_b32 s7, v0
	v_mbcnt_lo_u32_b32 v0, -1, 0
	v_and_b32_e32 v2, 63, v2
	s_mul_i32 s6, s6, s7
	v_mbcnt_hi_u32_b32 v0, -1, v0
	v_mul_lo_u32 v28, s15, v52
	s_mul_hi_u32 s6, s7, s6
	v_and_or_b32 v0, v0, 64, v2
	v_cndmask_b32_e64 v46, 0, 1, s[0:1]
	s_ashr_i32 s11, s13, 31
	s_mov_b32 s10, s13
	v_ashrrev_i32_e32 v19, 31, v18
	v_ashrrev_i32_e32 v21, 31, v20
	;; [unrolled: 1-line block ×3, first 2 shown]
	v_or_b32_e32 v51, 48, v50
	v_ashrrev_i32_e32 v25, 31, v24
	v_ashrrev_i32_e32 v29, 31, v28
	v_mov_b32_e32 v27, 0
	v_or_b32_e32 v54, 0xc000, v53
	v_mul_lo_u32 v55, s14, v52
	s_ashr_i32 s48, s33, 31
	s_ashr_i32 s50, s42, 31
	s_add_i32 s51, s7, s6
	v_lshlrev_b32_e32 v56, 2, v0
	v_mov_b32_e32 v57, v32
	s_branch .LBB323_7
.LBB323_4:                              ;   in Loop: Header=BB323_7 Depth=1
	s_or_b64 exec, exec, s[28:29]
.LBB323_5:                              ;   in Loop: Header=BB323_7 Depth=1
	s_or_b64 exec, exec, s[8:9]
	v_subrev_u32_e32 v57, s36, v57
.LBB323_6:                              ;   in Loop: Header=BB323_7 Depth=1
	s_or_b64 exec, exec, s[6:7]
	s_add_i32 s43, s43, 1
	v_cmp_ge_i32_e32 vcc, s43, v17
	s_cbranch_vccnz .LBB323_57
.LBB323_7:                              ; =>This Loop Header: Depth=1
                                        ;     Child Loop BB323_13 Depth 2
                                        ;       Child Loop BB323_15 Depth 3
                                        ;       Child Loop BB323_18 Depth 3
	;; [unrolled: 1-line block ×5, first 2 shown]
                                        ;     Child Loop BB323_44 Depth 2
                                        ;       Child Loop BB323_46 Depth 3
                                        ;     Child Loop BB323_54 Depth 2
                                        ;       Child Loop BB323_56 Depth 3
	s_abs_i32 s7, s43
	s_mul_hi_u32 s8, s7, s49
	s_mul_i32 s9, s8, s46
	s_ashr_i32 s6, s43, 31
	s_sub_i32 s7, s7, s9
	s_xor_b32 s6, s6, s48
	s_add_i32 s9, s8, 1
	s_sub_i32 s28, s7, s46
	s_cmp_ge_u32 s7, s46
	s_cselect_b32 s8, s9, s8
	s_cselect_b32 s7, s28, s7
	s_add_i32 s9, s8, 1
	s_cmp_ge_u32 s7, s46
	s_cselect_b32 s7, s9, s8
	s_xor_b32 s7, s7, s6
	s_sub_i32 s6, s7, s6
	s_abs_i32 s8, s6
	s_mul_i32 s7, s6, s33
	s_mul_hi_u32 s9, s8, s51
	s_sub_i32 s7, s43, s7
	s_mul_i32 s28, s9, s47
	s_lshl_b32 s52, s7, 6
	s_ashr_i32 s7, s6, 31
	s_sub_i32 s8, s8, s28
	s_xor_b32 s7, s7, s50
	s_add_i32 s28, s9, 1
	s_sub_i32 s29, s8, s47
	s_cmp_ge_u32 s8, s47
	s_cselect_b32 s9, s28, s9
	s_cselect_b32 s8, s29, s8
	s_add_i32 s28, s9, 1
	s_cmp_ge_u32 s8, s47
	s_cselect_b32 s8, s28, s9
	s_xor_b32 s8, s8, s7
	s_sub_i32 s7, s8, s7
	s_mul_i32 s8, s7, s44
	s_lshl_b32 s53, s8, 8
	s_cmp_eq_u32 s7, s16
	s_cselect_b32 s55, s45, s44
	s_sub_i32 s8, s52, s12
	s_add_i32 s8, s8, 64
	s_max_i32 s54, s8, 0
	s_and_saveexec_b64 s[8:9], s[2:3]
	s_xor_b64 s[28:29], exec, s[8:9]
	s_cbranch_execz .LBB323_50
; %bb.8:                                ;   in Loop: Header=BB323_7 Depth=1
	s_mul_i32 s7, s7, s42
	s_sub_i32 s6, s6, s7
	s_lshl_b32 s6, s6, 4
	s_sub_i32 s31, s6, s13
	s_add_i32 s31, s31, 16
	s_max_i32 s7, s31, 0
	s_sub_i32 s30, s6, s7
	s_and_saveexec_b64 s[6:7], s[0:1]
	s_xor_b64 s[34:35], exec, s[6:7]
	s_cbranch_execz .LBB323_40
; %bb.9:                                ;   in Loop: Header=BB323_7 Depth=1
	s_and_saveexec_b64 s[36:37], s[4:5]
	s_cbranch_execz .LBB323_39
; %bb.10:                               ;   in Loop: Header=BB323_7 Depth=1
	s_waitcnt lgkmcnt(0)
	global_load_dword v58, v27, s[26:27]
	v_mov_b32_e32 v15, 0
	v_cmp_gt_i32_e32 vcc, s55, v57
	v_mov_b32_e32 v14, v15
	v_mov_b32_e32 v13, v15
	;; [unrolled: 1-line block ×15, first 2 shown]
	s_and_saveexec_b64 s[6:7], vcc
	s_cbranch_execz .LBB323_29
; %bb.11:                               ;   in Loop: Header=BB323_7 Depth=1
	v_mov_b32_e32 v0, 0
	s_mov_b64 s[8:9], 0
	v_mov_b32_e32 v1, v0
	v_mov_b32_e32 v2, v0
	;; [unrolled: 1-line block ×15, first 2 shown]
	s_branch .LBB323_13
.LBB323_12:                             ;   in Loop: Header=BB323_13 Depth=2
	s_or_b64 exec, exec, s[38:39]
	v_add_u32_e32 v63, 0x3000, v62
	ds_read2_b32 v[64:65], v63 offset1:32
	ds_read2_b32 v[66:67], v63 offset0:128 offset1:160
	v_add_u32_e32 v63, 0x3400, v62
	v_add_u32_e32 v57, s19, v57
	v_cmp_le_i32_e32 vcc, s55, v57
	s_waitcnt lgkmcnt(1)
	v_mfma_f32_16x16x32_fp8_fp8 v[0:3], v[64:65], v[32:33], v[0:3]
	ds_read2_b32 v[32:33], v63 offset1:32
	s_or_b64 s[8:9], vcc, s[8:9]
	s_waitcnt lgkmcnt(1)
	v_mfma_f32_16x16x32_fp8_fp8 v[0:3], v[66:67], v[34:35], v[0:3]
	ds_read2_b32 v[34:35], v63 offset0:128 offset1:160
	v_add_u32_e32 v63, 0x3800, v62
	s_waitcnt lgkmcnt(1)
	v_mfma_f32_16x16x32_fp8_fp8 v[0:3], v[32:33], v[38:39], v[0:3]
	ds_read2_b32 v[32:33], v63 offset1:32
	s_waitcnt lgkmcnt(1)
	v_mfma_f32_16x16x32_fp8_fp8 v[0:3], v[34:35], v[40:41], v[0:3]
	ds_read2_b32 v[34:35], v63 offset0:128 offset1:160
	v_add_u32_e32 v40, 0x3c00, v62
	ds_read2_b32 v[38:39], v40 offset1:32
	s_waitcnt lgkmcnt(2)
	v_mfma_f32_16x16x32_fp8_fp8 v[0:3], v[32:33], v[42:43], v[0:3]
	v_add_u32_e32 v32, s19, v59
	v_add_u32_e32 v33, 2, v46
	v_cmp_lt_i32_e32 vcc, 2, v32
	s_waitcnt lgkmcnt(1)
	v_mfma_f32_16x16x32_fp8_fp8 v[0:3], v[34:35], v[44:45], v[0:3]
	ds_read2_b32 v[34:35], v40 offset0:128 offset1:160
	v_cndmask_b32_e32 v46, v46, v33, vcc
	;;#ASMSTART
	s_waitcnt lgkmcnt(0)
	;;#ASMEND
	s_waitcnt lgkmcnt(1)
	v_mfma_f32_16x16x32_fp8_fp8 v[0:3], v[38:39], v[36:37], v[0:3]
	ds_write_b32 v61, v60 offset:61452
	s_waitcnt lgkmcnt(1)
	v_mfma_f32_16x16x32_fp8_fp8 v[0:3], v[34:35], v[30:31], v[0:3]
	s_andn2_b64 exec, exec, s[8:9]
	s_cbranch_execz .LBB323_28
.LBB323_13:                             ;   Parent Loop BB323_7 Depth=1
                                        ; =>  This Loop Header: Depth=2
                                        ;       Child Loop BB323_15 Depth 3
                                        ;       Child Loop BB323_18 Depth 3
	;; [unrolled: 1-line block ×5, first 2 shown]
	v_cmp_gt_i32_e32 vcc, 3, v32
	s_nop 1
	v_cndmask_b32_e64 v30, -3, 0, vcc
	v_add_u32_e32 v59, v30, v32
	v_lshlrev_b32_e32 v30, 2, v59
	ds_read_b32 v31, v30 offset:61488
	v_add_u32_e32 v61, 0xf000, v30
	s_waitcnt lgkmcnt(0)
	v_cmp_ne_u32_e32 vcc, v31, v46
	s_and_saveexec_b64 s[38:39], vcc
	s_cbranch_execz .LBB323_16
; %bb.14:                               ;   in Loop: Header=BB323_13 Depth=2
	s_mov_b64 s[40:41], 0
.LBB323_15:                             ;   Parent Loop BB323_7 Depth=1
                                        ;     Parent Loop BB323_13 Depth=2
                                        ; =>    This Inner Loop Header: Depth=3
	;;#ASMSTART
	s_sleep 0
	;;#ASMEND
	ds_read_b32 v30, v61 offset:48
	s_waitcnt lgkmcnt(0)
	v_cmp_eq_u32_e32 vcc, v30, v46
	s_or_b64 s[40:41], vcc, s[40:41]
	s_andn2_b64 exec, exec, s[40:41]
	s_cbranch_execnz .LBB323_15
.LBB323_16:                             ;   in Loop: Header=BB323_13 Depth=2
	s_or_b64 exec, exec, s[38:39]
	v_or_b32_e32 v30, 0xc000, v47
	v_lshl_add_u32 v30, v59, 12, v30
	v_add_u32_e32 v31, 0x400, v30
	ds_read2_b32 v[32:33], v30 offset1:32
	ds_read2_b32 v[34:35], v30 offset0:128 offset1:160
	ds_read2_b32 v[38:39], v31 offset1:32
	ds_read2_b32 v[40:41], v31 offset0:128 offset1:160
	v_add_u32_e32 v31, 0x800, v30
	v_add_u32_e32 v30, 0xc00, v30
	;; [unrolled: 1-line block ×3, first 2 shown]
	ds_read2_b32 v[42:43], v31 offset1:32
	ds_read2_b32 v[44:45], v31 offset0:128 offset1:160
	ds_read2_b32 v[36:37], v30 offset1:32
	ds_read2_b32 v[30:31], v30 offset0:128 offset1:160
	;;#ASMSTART
	s_waitcnt lgkmcnt(0)
	;;#ASMEND
	ds_write_b32 v61, v60 offset:48
	v_lshlrev_b32_e32 v61, 4, v59
	ds_read_b32 v62, v61 offset:61440
	s_waitcnt lgkmcnt(0)
	v_cmp_ne_u32_e32 vcc, v62, v46
	s_and_saveexec_b64 s[38:39], vcc
	s_cbranch_execz .LBB323_19
; %bb.17:                               ;   in Loop: Header=BB323_13 Depth=2
	s_mov_b64 s[40:41], 0
.LBB323_18:                             ;   Parent Loop BB323_7 Depth=1
                                        ;     Parent Loop BB323_13 Depth=2
                                        ; =>    This Inner Loop Header: Depth=3
	;;#ASMSTART
	s_sleep 0
	;;#ASMEND
	ds_read_b32 v62, v61 offset:61440
	s_waitcnt lgkmcnt(0)
	v_cmp_eq_u32_e32 vcc, v62, v46
	s_or_b64 s[40:41], vcc, s[40:41]
	s_andn2_b64 exec, exec, s[40:41]
	s_cbranch_execnz .LBB323_18
.LBB323_19:                             ;   in Loop: Header=BB323_13 Depth=2
	s_or_b64 exec, exec, s[38:39]
	v_lshl_or_b32 v62, v59, 14, v47
	ds_read2_b32 v[64:65], v62 offset1:32
	ds_read2_b32 v[66:67], v62 offset0:128 offset1:160
	v_add_u32_e32 v63, 0x400, v62
	s_waitcnt lgkmcnt(1)
	v_mfma_f32_16x16x32_fp8_fp8 v[12:15], v[64:65], v[32:33], v[12:15]
	ds_read2_b32 v[64:65], v63 offset1:32
	s_waitcnt lgkmcnt(1)
	v_mfma_f32_16x16x32_fp8_fp8 v[12:15], v[66:67], v[34:35], v[12:15]
	ds_read2_b32 v[66:67], v63 offset0:128 offset1:160
	v_add_u32_e32 v63, 0x800, v62
	s_waitcnt lgkmcnt(1)
	v_mfma_f32_16x16x32_fp8_fp8 v[12:15], v[64:65], v[38:39], v[12:15]
	ds_read2_b32 v[64:65], v63 offset1:32
	s_waitcnt lgkmcnt(1)
	v_mfma_f32_16x16x32_fp8_fp8 v[12:15], v[66:67], v[40:41], v[12:15]
	;; [unrolled: 7-line block ×3, first 2 shown]
	ds_read2_b32 v[66:67], v63 offset0:128 offset1:160
	;;#ASMSTART
	s_waitcnt lgkmcnt(0)
	;;#ASMEND
	ds_read_b32 v63, v61 offset:61444
	s_waitcnt lgkmcnt(2)
	v_mfma_f32_16x16x32_fp8_fp8 v[12:15], v[64:65], v[36:37], v[12:15]
	ds_write_b32 v61, v60 offset:61440
	s_waitcnt lgkmcnt(1)
	v_cmp_ne_u32_e32 vcc, v63, v46
	v_mfma_f32_16x16x32_fp8_fp8 v[12:15], v[66:67], v[30:31], v[12:15]
	s_and_saveexec_b64 s[38:39], vcc
	s_cbranch_execz .LBB323_22
; %bb.20:                               ;   in Loop: Header=BB323_13 Depth=2
	s_mov_b64 s[40:41], 0
.LBB323_21:                             ;   Parent Loop BB323_7 Depth=1
                                        ;     Parent Loop BB323_13 Depth=2
                                        ; =>    This Inner Loop Header: Depth=3
	;;#ASMSTART
	s_sleep 0
	;;#ASMEND
	ds_read_b32 v63, v61 offset:61444
	s_waitcnt lgkmcnt(0)
	v_cmp_eq_u32_e32 vcc, v63, v46
	s_or_b64 s[40:41], vcc, s[40:41]
	s_andn2_b64 exec, exec, s[40:41]
	s_cbranch_execnz .LBB323_21
.LBB323_22:                             ;   in Loop: Header=BB323_13 Depth=2
	s_or_b64 exec, exec, s[38:39]
	v_add_u32_e32 v63, 0x1000, v62
	ds_read2_b32 v[64:65], v63 offset1:32
	ds_read2_b32 v[66:67], v63 offset0:128 offset1:160
	v_add_u32_e32 v63, 0x1400, v62
	s_waitcnt lgkmcnt(1)
	v_mfma_f32_16x16x32_fp8_fp8 v[8:11], v[64:65], v[32:33], v[8:11]
	ds_read2_b32 v[64:65], v63 offset1:32
	s_waitcnt lgkmcnt(1)
	v_mfma_f32_16x16x32_fp8_fp8 v[8:11], v[66:67], v[34:35], v[8:11]
	ds_read2_b32 v[66:67], v63 offset0:128 offset1:160
	v_add_u32_e32 v63, 0x1800, v62
	s_waitcnt lgkmcnt(1)
	v_mfma_f32_16x16x32_fp8_fp8 v[8:11], v[64:65], v[38:39], v[8:11]
	ds_read2_b32 v[64:65], v63 offset1:32
	s_waitcnt lgkmcnt(1)
	v_mfma_f32_16x16x32_fp8_fp8 v[8:11], v[66:67], v[40:41], v[8:11]
	;; [unrolled: 7-line block ×3, first 2 shown]
	ds_read2_b32 v[66:67], v63 offset0:128 offset1:160
	;;#ASMSTART
	s_waitcnt lgkmcnt(0)
	;;#ASMEND
	ds_read_b32 v63, v61 offset:61448
	s_waitcnt lgkmcnt(2)
	v_mfma_f32_16x16x32_fp8_fp8 v[8:11], v[64:65], v[36:37], v[8:11]
	ds_write_b32 v61, v60 offset:61444
	s_waitcnt lgkmcnt(1)
	v_cmp_ne_u32_e32 vcc, v63, v46
	v_mfma_f32_16x16x32_fp8_fp8 v[8:11], v[66:67], v[30:31], v[8:11]
	s_and_saveexec_b64 s[38:39], vcc
	s_cbranch_execz .LBB323_25
; %bb.23:                               ;   in Loop: Header=BB323_13 Depth=2
	s_mov_b64 s[40:41], 0
.LBB323_24:                             ;   Parent Loop BB323_7 Depth=1
                                        ;     Parent Loop BB323_13 Depth=2
                                        ; =>    This Inner Loop Header: Depth=3
	;;#ASMSTART
	s_sleep 0
	;;#ASMEND
	ds_read_b32 v63, v61 offset:61448
	s_waitcnt lgkmcnt(0)
	v_cmp_eq_u32_e32 vcc, v63, v46
	s_or_b64 s[40:41], vcc, s[40:41]
	s_andn2_b64 exec, exec, s[40:41]
	s_cbranch_execnz .LBB323_24
.LBB323_25:                             ;   in Loop: Header=BB323_13 Depth=2
	s_or_b64 exec, exec, s[38:39]
	v_add_u32_e32 v63, 0x2000, v62
	ds_read2_b32 v[64:65], v63 offset1:32
	ds_read2_b32 v[66:67], v63 offset0:128 offset1:160
	v_add_u32_e32 v63, 0x2400, v62
	s_waitcnt lgkmcnt(1)
	v_mfma_f32_16x16x32_fp8_fp8 v[4:7], v[64:65], v[32:33], v[4:7]
	ds_read2_b32 v[64:65], v63 offset1:32
	s_waitcnt lgkmcnt(1)
	v_mfma_f32_16x16x32_fp8_fp8 v[4:7], v[66:67], v[34:35], v[4:7]
	ds_read2_b32 v[66:67], v63 offset0:128 offset1:160
	v_add_u32_e32 v63, 0x2800, v62
	s_waitcnt lgkmcnt(1)
	v_mfma_f32_16x16x32_fp8_fp8 v[4:7], v[64:65], v[38:39], v[4:7]
	ds_read2_b32 v[64:65], v63 offset1:32
	s_waitcnt lgkmcnt(1)
	v_mfma_f32_16x16x32_fp8_fp8 v[4:7], v[66:67], v[40:41], v[4:7]
	;; [unrolled: 7-line block ×3, first 2 shown]
	ds_read2_b32 v[66:67], v63 offset0:128 offset1:160
	;;#ASMSTART
	s_waitcnt lgkmcnt(0)
	;;#ASMEND
	ds_read_b32 v63, v61 offset:61452
	s_waitcnt lgkmcnt(2)
	v_mfma_f32_16x16x32_fp8_fp8 v[4:7], v[64:65], v[36:37], v[4:7]
	ds_write_b32 v61, v60 offset:61448
	s_waitcnt lgkmcnt(1)
	v_cmp_ne_u32_e32 vcc, v63, v46
	v_mfma_f32_16x16x32_fp8_fp8 v[4:7], v[66:67], v[30:31], v[4:7]
	s_and_saveexec_b64 s[38:39], vcc
	s_cbranch_execz .LBB323_12
; %bb.26:                               ;   in Loop: Header=BB323_13 Depth=2
	s_mov_b64 s[40:41], 0
.LBB323_27:                             ;   Parent Loop BB323_7 Depth=1
                                        ;     Parent Loop BB323_13 Depth=2
                                        ; =>    This Inner Loop Header: Depth=3
	;;#ASMSTART
	s_sleep 0
	;;#ASMEND
	ds_read_b32 v63, v61 offset:61452
	s_waitcnt lgkmcnt(0)
	v_cmp_eq_u32_e32 vcc, v63, v46
	s_or_b64 s[40:41], vcc, s[40:41]
	s_andn2_b64 exec, exec, s[40:41]
	s_cbranch_execnz .LBB323_27
	s_branch .LBB323_12
.LBB323_28:                             ;   in Loop: Header=BB323_7 Depth=1
	s_or_b64 exec, exec, s[8:9]
.LBB323_29:                             ;   in Loop: Header=BB323_7 Depth=1
	s_or_b64 exec, exec, s[6:7]
	v_cmp_le_i32_e32 vcc, s31, v16
	v_cmp_eq_u32_e64 s[6:7], 3, v48
	s_waitcnt vmcnt(0)
	v_cndmask_b32_e32 v30, 0, v58, vcc
	v_pk_mul_f32 v[34:35], v[30:31], v[12:13] op_sel_hi:[0,1]
	v_cmp_eq_u32_e32 vcc, 1, v48
	v_pk_mul_f32 v[14:15], v[30:31], v[14:15] op_sel_hi:[0,1]
	v_add_u32_e32 v31, s54, v50
	v_cndmask_b32_e32 v12, v34, v35, vcc
	v_cmp_eq_u32_e32 vcc, 2, v48
	s_nop 1
	v_cndmask_b32_e32 v12, v12, v14, vcc
	v_cndmask_b32_e64 v12, v12, v15, s[6:7]
	ds_bpermute_b32 v13, v56, v12
	s_waitcnt lgkmcnt(0)
	v_cndmask_b32_e32 v14, v14, v13, vcc
	v_cmp_ne_u32_e32 vcc, 0, v48
	v_cndmask_b32_e64 v33, v15, v13, s[6:7]
	s_nop 0
	v_cndmask_b32_e32 v12, v35, v13, vcc
	v_cmp_eq_u32_e32 vcc, 0, v48
	s_nop 1
	v_cndmask_b32_e32 v13, v34, v13, vcc
	v_cmp_eq_u32_e32 vcc, 1, v49
	;; [unrolled: 3-line block ×4, first 2 shown]
	s_nop 1
	v_cndmask_b32_e32 v15, v15, v33, vcc
	ds_bpermute_b32 v15, v56, v15
	v_cmp_gt_u32_e32 vcc, 64, v31
	s_and_saveexec_b64 s[38:39], vcc
	s_cbranch_execz .LBB323_38
; %bb.30:                               ;   in Loop: Header=BB323_7 Depth=1
	v_cmp_eq_u32_e64 s[8:9], 1, v49
	v_cmp_eq_u32_e64 s[6:7], 3, v49
	v_cmp_eq_u32_e32 vcc, 2, v49
	s_waitcnt lgkmcnt(0)
	v_cndmask_b32_e64 v12, v12, v15, s[8:9]
	v_cmp_eq_u32_e64 s[8:9], 0, v49
	v_cvt_f16_f32_sdwa v35, v12 dst_sel:WORD_1 dst_unused:UNUSED_PAD src0_sel:DWORD
	s_nop 0
	v_cndmask_b32_e64 v13, v13, v15, s[8:9]
	s_mul_i32 s8, s52, s13
	s_ashr_i32 s9, s8, 31
	s_lshl_b64 s[8:9], s[8:9], 1
	s_add_u32 s40, s24, s8
	s_addc_u32 s41, s25, s9
	s_ashr_i32 s31, s30, 31
	s_lshl_b64 s[8:9], s[30:31], 1
	v_cvt_f16_f32_e32 v34, v13
	s_add_u32 s40, s40, s8
	s_addc_u32 s41, s41, s9
	v_lshl_add_u64 v[12:13], v[18:19], 1, s[40:41]
	v_cmp_gt_u32_e64 s[8:9], 62, v31
	v_or_b32_e32 v34, v35, v34
	;;#ASMSTART
	global_atomic_pk_add_f16 v[12:13], v34, off
	
	;;#ASMEND
	s_and_b64 exec, exec, s[8:9]
	s_cbranch_execz .LBB323_38
; %bb.31:                               ;   in Loop: Header=BB323_7 Depth=1
	v_mov_b32_e32 v31, v30
	v_mov_b32_e32 v34, v30
	;; [unrolled: 1-line block ×3, first 2 shown]
	v_cndmask_b32_e64 v33, v33, v15, s[6:7]
	v_pk_mul_f32 v[10:11], v[34:35], v[10:11]
	v_pk_mul_f32 v[34:35], v[30:31], v[8:9]
	v_cmp_eq_u32_e64 s[6:7], 1, v48
	v_cmp_eq_u32_e64 s[8:9], 3, v48
	v_cvt_f16_f32_sdwa v33, v33 dst_sel:WORD_1 dst_unused:UNUSED_PAD src0_sel:DWORD
	v_cndmask_b32_e64 v8, v34, v35, s[6:7]
	v_cmp_eq_u32_e64 s[6:7], 2, v48
	s_nop 1
	v_cndmask_b32_e64 v8, v8, v10, s[6:7]
	v_cndmask_b32_e64 v8, v8, v11, s[8:9]
	ds_bpermute_b32 v9, v56, v8
	v_cndmask_b32_e32 v8, v14, v15, vcc
	v_cmp_ne_u32_e32 vcc, 0, v48
	v_lshl_add_u64 v[14:15], s[10:11], 2, v[12:13]
	v_cvt_f16_f32_e32 v13, v8
	s_waitcnt lgkmcnt(0)
	v_cndmask_b32_e32 v8, v35, v9, vcc
	v_cmp_eq_u32_e32 vcc, 0, v48
	v_cndmask_b32_e64 v12, v11, v9, s[8:9]
	v_cndmask_b32_e64 v10, v10, v9, s[6:7]
	v_cndmask_b32_e32 v9, v34, v9, vcc
	v_cmp_eq_u32_e32 vcc, 1, v49
	v_or_b32_e32 v13, v33, v13
	;;#ASMSTART
	global_atomic_pk_add_f16 v[14:15], v13, off
	
	;;#ASMEND
	v_or_b32_e32 v13, 16, v50
	v_cndmask_b32_e32 v11, v9, v8, vcc
	v_cmp_eq_u32_e32 vcc, 2, v49
	v_add_u32_e32 v13, s54, v13
	s_nop 0
	v_cndmask_b32_e32 v11, v11, v10, vcc
	v_cmp_eq_u32_e32 vcc, 3, v49
	s_nop 1
	v_cndmask_b32_e32 v11, v11, v12, vcc
	ds_bpermute_b32 v11, v56, v11
	v_cmp_gt_u32_e32 vcc, 64, v13
	s_and_b64 exec, exec, vcc
	s_cbranch_execz .LBB323_38
; %bb.32:                               ;   in Loop: Header=BB323_7 Depth=1
	v_cmp_eq_u32_e32 vcc, 1, v49
	v_cmp_eq_u32_e64 s[6:7], 3, v49
	v_cmp_gt_u32_e64 s[8:9], 62, v13
	s_waitcnt lgkmcnt(0)
	v_cndmask_b32_e32 v8, v8, v11, vcc
	v_cmp_eq_u32_e32 vcc, 0, v49
	v_cvt_f16_f32_sdwa v15, v8 dst_sel:WORD_1 dst_unused:UNUSED_PAD src0_sel:DWORD
	s_nop 0
	v_cndmask_b32_e32 v9, v9, v11, vcc
	v_cvt_f16_f32_e32 v14, v9
	v_cmp_eq_u32_e32 vcc, 2, v49
	v_lshl_add_u64 v[8:9], v[20:21], 1, s[40:41]
	v_or_b32_e32 v14, v15, v14
	;;#ASMSTART
	global_atomic_pk_add_f16 v[8:9], v14, off
	
	;;#ASMEND
	s_and_b64 exec, exec, s[8:9]
	s_cbranch_execz .LBB323_38
; %bb.33:                               ;   in Loop: Header=BB323_7 Depth=1
	v_cndmask_b32_e64 v14, v12, v11, s[6:7]
	v_mov_b32_e32 v12, v30
	v_mov_b32_e32 v13, v30
	v_pk_mul_f32 v[6:7], v[12:13], v[6:7]
	v_pk_mul_f32 v[12:13], v[30:31], v[4:5]
	v_cmp_eq_u32_e64 s[6:7], 1, v48
	v_cmp_eq_u32_e64 s[8:9], 3, v48
	v_cvt_f16_f32_sdwa v14, v14 dst_sel:WORD_1 dst_unused:UNUSED_PAD src0_sel:DWORD
	v_cndmask_b32_e64 v4, v12, v13, s[6:7]
	v_cmp_eq_u32_e64 s[6:7], 2, v48
	s_nop 1
	v_cndmask_b32_e64 v4, v4, v6, s[6:7]
	v_cndmask_b32_e64 v4, v4, v7, s[8:9]
	ds_bpermute_b32 v5, v56, v4
	v_cndmask_b32_e32 v4, v10, v11, vcc
	v_cmp_ne_u32_e32 vcc, 0, v48
	v_lshl_add_u64 v[10:11], s[10:11], 2, v[8:9]
	v_cvt_f16_f32_e32 v9, v4
	s_waitcnt lgkmcnt(0)
	v_cndmask_b32_e32 v4, v13, v5, vcc
	v_cmp_eq_u32_e32 vcc, 0, v48
	v_cndmask_b32_e64 v8, v7, v5, s[8:9]
	v_cndmask_b32_e64 v6, v6, v5, s[6:7]
	v_cndmask_b32_e32 v5, v12, v5, vcc
	v_cmp_eq_u32_e32 vcc, 1, v49
	v_or_b32_e32 v9, v14, v9
	;;#ASMSTART
	global_atomic_pk_add_f16 v[10:11], v9, off
	
	;;#ASMEND
	v_or_b32_e32 v9, 32, v50
	v_cndmask_b32_e32 v7, v5, v4, vcc
	v_cmp_eq_u32_e32 vcc, 2, v49
	v_add_u32_e32 v9, s54, v9
	s_nop 0
	v_cndmask_b32_e32 v7, v7, v6, vcc
	v_cmp_eq_u32_e32 vcc, 3, v49
	s_nop 1
	v_cndmask_b32_e32 v7, v7, v8, vcc
	ds_bpermute_b32 v7, v56, v7
	v_cmp_gt_u32_e32 vcc, 64, v9
	s_and_b64 exec, exec, vcc
	s_cbranch_execz .LBB323_38
; %bb.34:                               ;   in Loop: Header=BB323_7 Depth=1
	v_cmp_eq_u32_e32 vcc, 1, v49
	v_cmp_eq_u32_e64 s[6:7], 3, v49
	v_cmp_gt_u32_e64 s[8:9], 62, v9
	s_waitcnt lgkmcnt(0)
	v_cndmask_b32_e32 v4, v4, v7, vcc
	v_cmp_eq_u32_e32 vcc, 0, v49
	v_cvt_f16_f32_sdwa v11, v4 dst_sel:WORD_1 dst_unused:UNUSED_PAD src0_sel:DWORD
	s_nop 0
	v_cndmask_b32_e32 v5, v5, v7, vcc
	v_cvt_f16_f32_e32 v10, v5
	v_cmp_eq_u32_e32 vcc, 2, v49
	v_lshl_add_u64 v[4:5], v[22:23], 1, s[40:41]
	v_or_b32_e32 v10, v11, v10
	;;#ASMSTART
	global_atomic_pk_add_f16 v[4:5], v10, off
	
	;;#ASMEND
	s_and_b64 exec, exec, s[8:9]
	s_cbranch_execz .LBB323_38
; %bb.35:                               ;   in Loop: Header=BB323_7 Depth=1
	v_cndmask_b32_e64 v12, v8, v7, s[6:7]
	v_mov_b32_e32 v8, v30
	v_mov_b32_e32 v9, v30
	v_pk_mul_f32 v[10:11], v[30:31], v[0:1]
	v_cmp_eq_u32_e64 s[6:7], 1, v48
	v_pk_mul_f32 v[8:9], v[8:9], v[2:3]
	v_cmp_eq_u32_e64 s[8:9], 3, v48
	v_cndmask_b32_e64 v0, v10, v11, s[6:7]
	v_cmp_eq_u32_e64 s[6:7], 2, v48
	v_cvt_f16_f32_sdwa v12, v12 dst_sel:WORD_1 dst_unused:UNUSED_PAD src0_sel:DWORD
	s_nop 0
	v_cndmask_b32_e64 v0, v0, v8, s[6:7]
	v_cndmask_b32_e64 v0, v0, v9, s[8:9]
	ds_bpermute_b32 v1, v56, v0
	v_cndmask_b32_e32 v0, v6, v7, vcc
	v_cmp_ne_u32_e32 vcc, 0, v48
	v_lshl_add_u64 v[6:7], s[10:11], 2, v[4:5]
	v_cvt_f16_f32_e32 v5, v0
	s_waitcnt lgkmcnt(0)
	v_cndmask_b32_e32 v0, v11, v1, vcc
	v_cmp_eq_u32_e32 vcc, 0, v48
	v_cndmask_b32_e64 v2, v9, v1, s[8:9]
	v_cndmask_b32_e64 v3, v8, v1, s[6:7]
	v_cndmask_b32_e32 v1, v10, v1, vcc
	v_cmp_eq_u32_e32 vcc, 1, v49
	v_or_b32_e32 v5, v12, v5
	;;#ASMSTART
	global_atomic_pk_add_f16 v[6:7], v5, off
	
	;;#ASMEND
	v_add_u32_e32 v5, s54, v51
	v_cndmask_b32_e32 v4, v1, v0, vcc
	v_cmp_eq_u32_e32 vcc, 2, v49
	s_nop 1
	v_cndmask_b32_e32 v4, v4, v3, vcc
	v_cmp_eq_u32_e32 vcc, 3, v49
	s_nop 1
	v_cndmask_b32_e32 v4, v4, v2, vcc
	ds_bpermute_b32 v4, v56, v4
	v_cmp_gt_u32_e32 vcc, 64, v5
	s_and_b64 exec, exec, vcc
	s_cbranch_execz .LBB323_38
; %bb.36:                               ;   in Loop: Header=BB323_7 Depth=1
	v_cmp_eq_u32_e32 vcc, 1, v49
	v_cmp_eq_u32_e64 s[6:7], 2, v49
	v_cmp_gt_u32_e64 s[8:9], 62, v5
	s_waitcnt lgkmcnt(0)
	v_cndmask_b32_e32 v0, v0, v4, vcc
	v_cmp_eq_u32_e32 vcc, 0, v49
	v_cvt_f16_f32_sdwa v7, v0 dst_sel:WORD_1 dst_unused:UNUSED_PAD src0_sel:DWORD
	s_nop 0
	v_cndmask_b32_e32 v1, v1, v4, vcc
	v_cvt_f16_f32_e32 v6, v1
	v_cmp_eq_u32_e32 vcc, 3, v49
	v_lshl_add_u64 v[0:1], v[24:25], 1, s[40:41]
	v_or_b32_e32 v6, v7, v6
	;;#ASMSTART
	global_atomic_pk_add_f16 v[0:1], v6, off
	
	;;#ASMEND
	s_and_b64 exec, exec, s[8:9]
	s_cbranch_execz .LBB323_38
; %bb.37:                               ;   in Loop: Header=BB323_7 Depth=1
	v_cndmask_b32_e32 v2, v2, v4, vcc
	v_cndmask_b32_e64 v3, v3, v4, s[6:7]
	v_cvt_f16_f32_sdwa v2, v2 dst_sel:WORD_1 dst_unused:UNUSED_PAD src0_sel:DWORD
	v_cvt_f16_f32_e32 v3, v3
	v_lshl_add_u64 v[0:1], s[10:11], 2, v[0:1]
	v_or_b32_e32 v2, v2, v3
	;;#ASMSTART
	global_atomic_pk_add_f16 v[0:1], v2, off
	
	;;#ASMEND
.LBB323_38:                             ;   in Loop: Header=BB323_7 Depth=1
	s_or_b64 exec, exec, s[38:39]
	v_subrev_u32_e32 v57, s55, v57
.LBB323_39:                             ;   in Loop: Header=BB323_7 Depth=1
	s_or_b64 exec, exec, s[36:37]
.LBB323_40:                             ;   in Loop: Header=BB323_7 Depth=1
	s_andn2_saveexec_b64 s[6:7], s[34:35]
	s_cbranch_execz .LBB323_49
; %bb.41:                               ;   in Loop: Header=BB323_7 Depth=1
	v_cmp_gt_i32_e32 vcc, s55, v57
	s_and_saveexec_b64 s[8:9], vcc
	s_cbranch_execz .LBB323_48
; %bb.42:                               ;   in Loop: Header=BB323_7 Depth=1
	s_mul_i32 s30, s30, s15
	s_ashr_i32 s31, s30, 31
	s_waitcnt lgkmcnt(0)
	s_add_u32 s30, s22, s30
	s_addc_u32 s31, s23, s31
	s_ashr_i32 s34, s53, 31
	s_add_u32 s30, s30, s53
	s_addc_u32 s31, s31, s34
	v_lshl_add_u64 v[0:1], s[30:31], 0, v[28:29]
	v_lshl_add_u64 v[30:31], v[0:1], 0, v[26:27]
	s_mov_b64 s[30:31], 0
	s_branch .LBB323_44
.LBB323_43:                             ;   in Loop: Header=BB323_44 Depth=2
	s_or_b64 exec, exec, s[34:35]
	v_lshl_add_u32 v34, v32, 12, v54
	;;#ASMSTART
	s_waitcnt vmcnt(3)
	;;#ASMEND
	ds_write2_b32 v34, v12, v13 offset1:32
	ds_write2_b32 v34, v14, v15 offset0:64 offset1:96
	v_add_u32_e32 v12, 0x400, v34
	;;#ASMSTART
	s_waitcnt vmcnt(2)
	;;#ASMEND
	ds_write2_b32 v12, v8, v9 offset1:32
	ds_write2_b32 v12, v10, v11 offset0:64 offset1:96
	v_add_u32_e32 v8, 0x800, v34
	;; [unrolled: 6-line block ×3, first 2 shown]
	v_add_u32_e32 v57, s18, v57
	;;#ASMSTART
	s_waitcnt vmcnt(0)
	;;#ASMEND
	ds_write2_b32 v4, v0, v1 offset1:32
	ds_write2_b32 v4, v2, v3 offset0:64 offset1:96
	v_add_u32_e32 v0, 1, v46
	v_add_u32_e32 v32, s18, v32
	v_cmp_le_i32_e32 vcc, s55, v57
	ds_write_b32 v33, v0 offset:48
	v_add_u32_e32 v0, 2, v46
	s_or_b64 s[30:31], vcc, s[30:31]
	v_cmp_lt_i32_e32 vcc, 2, v32
	s_nop 1
	v_cndmask_b32_e32 v46, v46, v0, vcc
	s_andn2_b64 exec, exec, s[30:31]
	s_cbranch_execz .LBB323_47
.LBB323_44:                             ;   Parent Loop BB323_7 Depth=1
                                        ; =>  This Loop Header: Depth=2
                                        ;       Child Loop BB323_46 Depth 3
	v_cmp_gt_i32_e32 vcc, 3, v32
	s_nop 1
	v_cndmask_b32_e64 v0, -3, 0, vcc
	v_add_u32_e32 v32, v0, v32
	v_lshlrev_b32_e32 v0, 8, v57
	v_ashrrev_i32_e32 v1, 31, v0
	v_lshl_add_u64 v[0:1], v[30:31], 0, v[0:1]
	v_lshlrev_b32_e32 v33, 2, v32
	;;#ASMSTART
	global_load_dwordx4 v[12:15], v[0:1], off offset:0    sc0 sc1 nt  
	global_load_dwordx4 v[8:11], v[0:1], off offset:64   sc0 sc1 nt  
	global_load_dwordx4 v[4:7], v[0:1], off offset:128  sc0 sc1 nt  
	global_load_dwordx4 v[0:3], v[0:1], off offset:192  sc0 sc1 nt  
	
	;;#ASMEND
	ds_read_b32 v34, v33 offset:61488
	v_add_u32_e32 v33, 0xf000, v33
	s_waitcnt lgkmcnt(0)
	v_cmp_ne_u32_e32 vcc, v34, v46
	s_and_saveexec_b64 s[34:35], vcc
	s_cbranch_execz .LBB323_43
; %bb.45:                               ;   in Loop: Header=BB323_44 Depth=2
	s_mov_b64 s[36:37], 0
.LBB323_46:                             ;   Parent Loop BB323_7 Depth=1
                                        ;     Parent Loop BB323_44 Depth=2
                                        ; =>    This Inner Loop Header: Depth=3
	;;#ASMSTART
	s_sleep 0
	;;#ASMEND
	ds_read_b32 v34, v33 offset:48
	s_waitcnt lgkmcnt(0)
	v_cmp_eq_u32_e32 vcc, v34, v46
	s_or_b64 s[36:37], vcc, s[36:37]
	s_andn2_b64 exec, exec, s[36:37]
	s_cbranch_execnz .LBB323_46
	s_branch .LBB323_43
.LBB323_47:                             ;   in Loop: Header=BB323_7 Depth=1
	s_or_b64 exec, exec, s[30:31]
.LBB323_48:                             ;   in Loop: Header=BB323_7 Depth=1
	s_or_b64 exec, exec, s[8:9]
	v_subrev_u32_e32 v57, s55, v57
.LBB323_49:                             ;   in Loop: Header=BB323_7 Depth=1
	s_or_b64 exec, exec, s[6:7]
.LBB323_50:                             ;   in Loop: Header=BB323_7 Depth=1
	s_andn2_saveexec_b64 s[6:7], s[28:29]
	s_cbranch_execz .LBB323_6
; %bb.51:                               ;   in Loop: Header=BB323_7 Depth=1
	s_lshl_b32 s36, s55, 2
	v_cmp_gt_i32_e32 vcc, s36, v57
	s_and_saveexec_b64 s[8:9], vcc
	s_cbranch_execz .LBB323_5
; %bb.52:                               ;   in Loop: Header=BB323_7 Depth=1
	s_mul_i32 s52, s52, s14
	s_ashr_i32 s28, s52, 31
	s_waitcnt lgkmcnt(0)
	s_add_u32 s29, s20, s52
	v_add_u32_e32 v2, s54, v52
	s_addc_u32 s30, s21, s28
	s_ashr_i32 s31, s53, 31
	v_cmp_gt_u32_e32 vcc, 64, v2
	s_add_u32 s28, s29, s53
	s_addc_u32 s29, s30, s31
	v_cndmask_b32_e32 v0, 0, v55, vcc
	v_ashrrev_i32_e32 v1, 31, v0
	v_lshl_add_u64 v[0:1], s[28:29], 0, v[0:1]
	v_lshl_add_u64 v[30:31], v[0:1], 0, v[26:27]
	v_sub_u32_e32 v33, 63, v2
	s_mov_b64 s[28:29], 0
	s_branch .LBB323_54
.LBB323_53:                             ;   in Loop: Header=BB323_54 Depth=2
	s_or_b64 exec, exec, s[30:31]
	v_lshl_or_b32 v35, v32, 12, v53
	;;#ASMSTART
	s_waitcnt vmcnt(3)
	;;#ASMEND
	ds_write2_b32 v35, v12, v13 offset1:32
	ds_write2_b32 v35, v14, v15 offset0:64 offset1:96
	v_add_u32_e32 v12, 0x400, v35
	;;#ASMSTART
	s_waitcnt vmcnt(2)
	;;#ASMEND
	ds_write2_b32 v12, v8, v9 offset1:32
	ds_write2_b32 v12, v10, v11 offset0:64 offset1:96
	v_add_u32_e32 v8, 0x800, v35
	;; [unrolled: 6-line block ×3, first 2 shown]
	v_add_u32_e32 v57, s17, v57
	;;#ASMSTART
	s_waitcnt vmcnt(0)
	;;#ASMEND
	ds_write2_b32 v4, v0, v1 offset1:32
	ds_write2_b32 v4, v2, v3 offset0:64 offset1:96
	v_add_u32_e32 v0, 1, v46
	v_add_u32_e32 v32, s17, v32
	v_cmp_le_i32_e32 vcc, s36, v57
	ds_write_b32 v34, v0
	v_add_u32_e32 v0, 2, v46
	s_or_b64 s[28:29], vcc, s[28:29]
	v_cmp_lt_i32_e32 vcc, 11, v32
	s_nop 1
	v_cndmask_b32_e32 v46, v46, v0, vcc
	s_andn2_b64 exec, exec, s[28:29]
	s_cbranch_execz .LBB323_4
.LBB323_54:                             ;   Parent Loop BB323_7 Depth=1
                                        ; =>  This Loop Header: Depth=2
                                        ;       Child Loop BB323_56 Depth 3
	v_cmp_gt_i32_e32 vcc, 12, v32
	s_nop 1
	v_cndmask_b32_e64 v0, -12, 0, vcc
	v_add_u32_e32 v32, v0, v32
	v_ashrrev_i32_e32 v0, 31, v57
	v_lshrrev_b32_e32 v0, 30, v0
	v_add_u32_e32 v0, v57, v0
	v_and_b32_e32 v1, 0xffffffc, v0
	v_sub_u32_e32 v1, v57, v1
	v_lshlrev_b32_e32 v1, 4, v1
	v_cmp_le_i32_e32 vcc, v1, v33
	v_lshlrev_b32_e32 v0, 6, v0
	v_and_b32_e32 v0, 0xffffff00, v0
	v_cndmask_b32_e32 v2, 0, v1, vcc
	v_ashrrev_i32_e32 v1, 31, v0
	v_mul_lo_u32 v2, v2, s14
	v_lshl_add_u64 v[0:1], v[30:31], 0, v[0:1]
	v_ashrrev_i32_e32 v3, 31, v2
	v_lshl_add_u64 v[0:1], v[0:1], 0, v[2:3]
	v_lshlrev_b32_e32 v34, 2, v32
	;;#ASMSTART
	global_load_dwordx4 v[12:15], v[0:1], off offset:0    
	global_load_dwordx4 v[8:11], v[0:1], off offset:64   
	;; [unrolled: 1-line block ×4, first 2 shown]
	
	;;#ASMEND
	ds_read_b32 v35, v34 offset:61440
	v_add_u32_e32 v34, 0xf000, v34
	s_waitcnt lgkmcnt(0)
	v_cmp_ne_u32_e32 vcc, v35, v46
	s_and_saveexec_b64 s[30:31], vcc
	s_cbranch_execz .LBB323_53
; %bb.55:                               ;   in Loop: Header=BB323_54 Depth=2
	s_mov_b64 s[34:35], 0
.LBB323_56:                             ;   Parent Loop BB323_7 Depth=1
                                        ;     Parent Loop BB323_54 Depth=2
                                        ; =>    This Inner Loop Header: Depth=3
	;;#ASMSTART
	s_sleep 0
	;;#ASMEND
	ds_read_b32 v35, v34
	s_waitcnt lgkmcnt(0)
	v_cmp_eq_u32_e32 vcc, v35, v46
	s_or_b64 s[34:35], vcc, s[34:35]
	s_andn2_b64 exec, exec, s[34:35]
	s_cbranch_execnz .LBB323_56
	s_branch .LBB323_53
.LBB323_57:
	s_endpgm
	.section	.rodata,"a",@progbits
	.p2align	6, 0x0
	.amdhsa_kernel _Z19_skinny_gemm_kernelILi4ELi1ELi3ELi16ELi8EEvPKhS1_P6__halfPKfiiiiiiii
		.amdhsa_group_segment_fixed_size 61500
		.amdhsa_private_segment_fixed_size 0
		.amdhsa_kernarg_size 64
		.amdhsa_user_sgpr_count 2
		.amdhsa_user_sgpr_dispatch_ptr 0
		.amdhsa_user_sgpr_queue_ptr 0
		.amdhsa_user_sgpr_kernarg_segment_ptr 1
		.amdhsa_user_sgpr_dispatch_id 0
		.amdhsa_user_sgpr_kernarg_preload_length 0
		.amdhsa_user_sgpr_kernarg_preload_offset 0
		.amdhsa_user_sgpr_private_segment_size 0
		.amdhsa_uses_dynamic_stack 0
		.amdhsa_enable_private_segment 0
		.amdhsa_system_sgpr_workgroup_id_x 1
		.amdhsa_system_sgpr_workgroup_id_y 0
		.amdhsa_system_sgpr_workgroup_id_z 0
		.amdhsa_system_sgpr_workgroup_info 0
		.amdhsa_system_vgpr_workitem_id 0
		.amdhsa_next_free_vgpr 68
		.amdhsa_next_free_sgpr 56
		.amdhsa_accum_offset 68
		.amdhsa_reserve_vcc 1
		.amdhsa_float_round_mode_32 0
		.amdhsa_float_round_mode_16_64 0
		.amdhsa_float_denorm_mode_32 3
		.amdhsa_float_denorm_mode_16_64 3
		.amdhsa_dx10_clamp 1
		.amdhsa_ieee_mode 1
		.amdhsa_fp16_overflow 0
		.amdhsa_tg_split 0
		.amdhsa_exception_fp_ieee_invalid_op 0
		.amdhsa_exception_fp_denorm_src 0
		.amdhsa_exception_fp_ieee_div_zero 0
		.amdhsa_exception_fp_ieee_overflow 0
		.amdhsa_exception_fp_ieee_underflow 0
		.amdhsa_exception_fp_ieee_inexact 0
		.amdhsa_exception_int_div_zero 0
	.end_amdhsa_kernel
	.section	.text._Z19_skinny_gemm_kernelILi4ELi1ELi3ELi16ELi8EEvPKhS1_P6__halfPKfiiiiiiii,"axG",@progbits,_Z19_skinny_gemm_kernelILi4ELi1ELi3ELi16ELi8EEvPKhS1_P6__halfPKfiiiiiiii,comdat
.Lfunc_end323:
	.size	_Z19_skinny_gemm_kernelILi4ELi1ELi3ELi16ELi8EEvPKhS1_P6__halfPKfiiiiiiii, .Lfunc_end323-_Z19_skinny_gemm_kernelILi4ELi1ELi3ELi16ELi8EEvPKhS1_P6__halfPKfiiiiiiii
                                        ; -- End function
	.set _Z19_skinny_gemm_kernelILi4ELi1ELi3ELi16ELi8EEvPKhS1_P6__halfPKfiiiiiiii.num_vgpr, 68
	.set _Z19_skinny_gemm_kernelILi4ELi1ELi3ELi16ELi8EEvPKhS1_P6__halfPKfiiiiiiii.num_agpr, 0
	.set _Z19_skinny_gemm_kernelILi4ELi1ELi3ELi16ELi8EEvPKhS1_P6__halfPKfiiiiiiii.numbered_sgpr, 56
	.set _Z19_skinny_gemm_kernelILi4ELi1ELi3ELi16ELi8EEvPKhS1_P6__halfPKfiiiiiiii.num_named_barrier, 0
	.set _Z19_skinny_gemm_kernelILi4ELi1ELi3ELi16ELi8EEvPKhS1_P6__halfPKfiiiiiiii.private_seg_size, 0
	.set _Z19_skinny_gemm_kernelILi4ELi1ELi3ELi16ELi8EEvPKhS1_P6__halfPKfiiiiiiii.uses_vcc, 1
	.set _Z19_skinny_gemm_kernelILi4ELi1ELi3ELi16ELi8EEvPKhS1_P6__halfPKfiiiiiiii.uses_flat_scratch, 0
	.set _Z19_skinny_gemm_kernelILi4ELi1ELi3ELi16ELi8EEvPKhS1_P6__halfPKfiiiiiiii.has_dyn_sized_stack, 0
	.set _Z19_skinny_gemm_kernelILi4ELi1ELi3ELi16ELi8EEvPKhS1_P6__halfPKfiiiiiiii.has_recursion, 0
	.set _Z19_skinny_gemm_kernelILi4ELi1ELi3ELi16ELi8EEvPKhS1_P6__halfPKfiiiiiiii.has_indirect_call, 0
	.section	.AMDGPU.csdata,"",@progbits
; Kernel info:
; codeLenInByte = 5008
; TotalNumSgprs: 62
; NumVgprs: 68
; NumAgprs: 0
; TotalNumVgprs: 68
; ScratchSize: 0
; MemoryBound: 0
; FloatMode: 240
; IeeeMode: 1
; LDSByteSize: 61500 bytes/workgroup (compile time only)
; SGPRBlocks: 7
; VGPRBlocks: 8
; NumSGPRsForWavesPerEU: 62
; NumVGPRsForWavesPerEU: 68
; AccumOffset: 68
; Occupancy: 7
; WaveLimiterHint : 0
; COMPUTE_PGM_RSRC2:SCRATCH_EN: 0
; COMPUTE_PGM_RSRC2:USER_SGPR: 2
; COMPUTE_PGM_RSRC2:TRAP_HANDLER: 0
; COMPUTE_PGM_RSRC2:TGID_X_EN: 1
; COMPUTE_PGM_RSRC2:TGID_Y_EN: 0
; COMPUTE_PGM_RSRC2:TGID_Z_EN: 0
; COMPUTE_PGM_RSRC2:TIDIG_COMP_CNT: 0
; COMPUTE_PGM_RSRC3_GFX90A:ACCUM_OFFSET: 16
; COMPUTE_PGM_RSRC3_GFX90A:TG_SPLIT: 0
	.section	.text._Z19_skinny_gemm_kernelILi4ELi1ELi3ELi32ELi4EEvPKhS1_P6__halfPKfiiiiiiii,"axG",@progbits,_Z19_skinny_gemm_kernelILi4ELi1ELi3ELi32ELi4EEvPKhS1_P6__halfPKfiiiiiiii,comdat
	.protected	_Z19_skinny_gemm_kernelILi4ELi1ELi3ELi32ELi4EEvPKhS1_P6__halfPKfiiiiiiii ; -- Begin function _Z19_skinny_gemm_kernelILi4ELi1ELi3ELi32ELi4EEvPKhS1_P6__halfPKfiiiiiiii
	.globl	_Z19_skinny_gemm_kernelILi4ELi1ELi3ELi32ELi4EEvPKhS1_P6__halfPKfiiiiiiii
	.p2align	8
	.type	_Z19_skinny_gemm_kernelILi4ELi1ELi3ELi32ELi4EEvPKhS1_P6__halfPKfiiiiiiii,@function
_Z19_skinny_gemm_kernelILi4ELi1ELi3ELi32ELi4EEvPKhS1_P6__halfPKfiiiiiiii: ; @_Z19_skinny_gemm_kernelILi4ELi1ELi3ELi32ELi4EEvPKhS1_P6__halfPKfiiiiiiii
; %bb.0:
	v_cmp_gt_u32_e32 vcc, 15, v0
	s_and_saveexec_b64 s[4:5], vcc
; %bb.1:
	v_lshlrev_b32_e32 v1, 2, v0
	v_mov_b32_e32 v2, 0
	ds_write_b32 v1, v2 offset:30720
; %bb.2:
	s_or_b64 exec, exec, s[4:5]
	s_load_dwordx8 s[36:43], s[0:1], 0x20
	s_waitcnt lgkmcnt(0)
	s_barrier
	s_add_i32 s3, s36, 0x7f
	s_ashr_i32 s5, s3, 31
	s_add_i32 s4, s37, 31
	s_lshr_b32 s5, s5, 25
	s_ashr_i32 s6, s4, 31
	s_add_i32 s3, s3, s5
	s_ashr_i32 s33, s3, 7
	s_lshr_b32 s3, s6, 27
	s_add_i32 s4, s4, s3
	s_ashr_i32 s62, s4, 5
	s_mul_i32 s3, s62, s33
	s_mul_i32 s3, s3, s40
	s_add_i32 s4, s3, 0x12f
	s_mul_hi_i32 s4, s4, 0x6bca1af3
	s_lshr_b32 s5, s4, 31
	s_ashr_i32 s4, s4, 7
	s_add_i32 s4, s4, s5
	s_add_i32 s5, s2, 1
	s_mul_i32 s5, s4, s5
	v_cvt_f64_i32_e32 v[2:3], s3
	v_cvt_f64_u32_e32 v[4:5], s5
	v_min_f64 v[2:3], v[2:3], v[4:5]
	v_cvt_i32_f64_e32 v46, v[2:3]
	s_mul_i32 s63, s4, s2
	v_cmp_ge_i32_e32 vcc, s63, v46
	s_cbranch_vccnz .LBB324_48
; %bb.3:
	v_lshrrev_b32_e32 v1, 6, v0
	s_add_i32 s4, s42, s41
	s_load_dwordx8 s[44:51], s[0:1], 0x0
	v_cmp_le_i32_e64 s[0:1], s4, v1
	v_mov_b32_e32 v2, s41
	v_cmp_le_i32_e64 s[2:3], s41, v1
	v_mov_b32_e32 v3, s42
	v_cndmask_b32_e64 v3, 0, v3, s[0:1]
	v_cndmask_b32_e64 v2, 0, v2, s[2:3]
	s_abs_i32 s5, s40
	v_add_u32_e32 v2, v2, v3
	v_cvt_f32_u32_e32 v3, s5
	v_sub_u32_e32 v40, v1, v2
	s_ashr_i32 s6, s38, 31
	s_lshr_b32 s6, s6, 26
	v_rcp_iflag_f32_e32 v2, v3
	s_sub_i32 s9, 0, s5
	s_add_i32 s6, s38, s6
	s_ashr_i32 s6, s6, 6
	v_mul_f32_e32 v2, 0x4f7ffffe, v2
	v_cvt_u32_f32_e32 v2, v2
	s_abs_i32 s8, s6
	s_xor_b32 s7, s6, s40
	s_ashr_i32 s7, s7, 31
	v_readfirstlane_b32 s10, v2
	s_mul_i32 s9, s9, s10
	s_mul_hi_u32 s9, s10, s9
	s_add_i32 s10, s10, s9
	s_mul_hi_u32 s9, s8, s10
	s_mul_i32 s10, s9, s5
	s_sub_i32 s8, s8, s10
	s_add_i32 s10, s9, 1
	s_sub_i32 s11, s8, s5
	s_cmp_ge_u32 s8, s5
	s_cselect_b32 s9, s10, s9
	s_cselect_b32 s8, s11, s8
	s_add_i32 s10, s9, 1
	s_cmp_ge_u32 s8, s5
	s_cselect_b32 s5, s10, s9
	s_xor_b32 s5, s5, s7
	s_sub_i32 s64, s5, s7
	s_add_i32 s40, s40, -1
	s_mul_i32 s5, s64, s40
	s_add_i32 s4, s4, s43
	v_and_b32_e32 v48, 31, v0
	v_lshrrev_b32_e32 v2, 3, v0
	s_sub_i32 s65, s6, s5
	v_cmp_gt_i32_e64 s[4:5], s4, v1
	v_lshlrev_b32_e32 v1, 2, v48
	v_and_b32_e32 v3, 4, v2
	v_and_b32_e32 v5, 1, v0
	v_lshlrev_b32_e32 v2, 6, v3
	v_or_b32_e32 v4, 0x6000, v1
	v_or_b32_e32 v3, v3, v5
	;; [unrolled: 1-line block ×4, first 2 shown]
	v_lshlrev_b32_e32 v2, 1, v5
	v_or_b32_e32 v5, 2, v3
	v_sub_u32_e32 v60, 32, v5
	v_or_b32_e32 v5, 8, v3
	v_sub_u32_e32 v61, 32, v5
	;; [unrolled: 2-line block ×5, first 2 shown]
	v_mul_lo_u32 v18, s37, v3
	v_sub_u32_e32 v64, 32, v5
	v_or_b32_e32 v5, 24, v3
	v_or_b32_e32 v3, 26, v3
	v_sub_u32_e32 v66, 32, v3
	v_lshrrev_b32_e32 v3, 1, v0
	s_abs_i32 s66, s33
	v_and_b32_e32 v34, 16, v3
	v_cvt_f32_u32_e32 v3, s66
	v_sub_u32_e32 v2, v0, v2
	v_add_u32_e32 v2, 1, v2
	v_and_b32_e32 v6, 63, v2
	v_bitop3_b32 v51, v0, 1, v0 bitop3:0xc
	v_bitop3_b32 v52, v0, 3, 1 bitop3:0x6c
	;; [unrolled: 1-line block ×8, first 2 shown]
	v_and_b32_e32 v2, 30, v0
	v_lshlrev_b32_e32 v0, 4, v0
	v_and_b32_e32 v0, 0x200, v0
	v_rcp_iflag_f32_e32 v3, v3
	s_abs_i32 s67, s62
	v_or_b32_e32 v69, v1, v0
	v_cvt_f32_u32_e32 v1, s67
	s_lshl_b32 s6, s37, 1
	v_add_u32_e32 v20, s6, v18
	s_mul_i32 s7, s37, 6
	v_or_b32_e32 v67, v4, v0
	v_mul_f32_e32 v0, 0x4f7ffffe, v3
	v_add_u32_e32 v22, s7, v20
	v_cvt_u32_f32_e32 v0, v0
	v_rcp_iflag_f32_e32 v1, v1
	v_add_u32_e32 v24, s6, v22
	v_add_u32_e32 v26, s7, v24
	;; [unrolled: 1-line block ×4, first 2 shown]
	v_readfirstlane_b32 s7, v0
	v_mul_f32_e32 v0, 0x4f7ffffe, v1
	v_cvt_u32_f32_e32 v0, v0
	v_add_u32_e32 v32, s6, v30
	s_sub_i32 s6, 0, s66
	s_mul_i32 s6, s6, s7
	s_mul_hi_u32 s6, s7, s6
	s_add_i32 s69, s7, s6
	s_sub_i32 s6, 0, s67
	v_readfirstlane_b32 s7, v0
	v_mbcnt_lo_u32_b32 v0, -1, 0
	s_mul_i32 s6, s6, s7
	v_mbcnt_hi_u32_b32 v0, -1, v0
	v_mov_b32_e32 v17, 0
	v_mul_lo_u32 v36, s39, v48
	s_mul_hi_u32 s6, s7, s6
	v_and_or_b32 v0, v0, 64, v6
	v_cndmask_b32_e64 v47, 0, 1, s[0:1]
	v_ashrrev_i32_e32 v19, 31, v18
	v_ashrrev_i32_e32 v21, 31, v20
	;; [unrolled: 1-line block ×6, first 2 shown]
	v_sub_u32_e32 v65, 32, v5
	v_ashrrev_i32_e32 v31, 31, v30
	v_ashrrev_i32_e32 v33, 31, v32
	;; [unrolled: 1-line block ×3, first 2 shown]
	v_mov_b32_e32 v35, v17
	v_mul_lo_u32 v68, s38, v48
	s_ashr_i32 s68, s33, 31
	s_ashr_i32 s70, s62, 31
	s_add_i32 s71, s7, s6
	s_movk_i32 s72, 0x80
	v_lshlrev_b32_e32 v16, 1, v2
	v_lshlrev_b32_e32 v70, 2, v0
	v_mov_b32_e32 v71, v40
	s_branch .LBB324_7
.LBB324_4:                              ;   in Loop: Header=BB324_7 Depth=1
	s_or_b64 exec, exec, s[10:11]
.LBB324_5:                              ;   in Loop: Header=BB324_7 Depth=1
	s_or_b64 exec, exec, s[8:9]
	v_subrev_u32_e32 v71, s16, v71
.LBB324_6:                              ;   in Loop: Header=BB324_7 Depth=1
	s_or_b64 exec, exec, s[6:7]
	s_add_i32 s63, s63, 1
	v_cmp_ge_i32_e32 vcc, s63, v46
	s_cbranch_vccnz .LBB324_48
.LBB324_7:                              ; =>This Loop Header: Depth=1
                                        ;     Child Loop BB324_13 Depth 2
                                        ;       Child Loop BB324_15 Depth 3
                                        ;       Child Loop BB324_18 Depth 3
                                        ;     Child Loop BB324_35 Depth 2
                                        ;       Child Loop BB324_37 Depth 3
                                        ;     Child Loop BB324_45 Depth 2
                                        ;       Child Loop BB324_47 Depth 3
	s_abs_i32 s7, s63
	s_mul_hi_u32 s8, s7, s69
	s_mul_i32 s9, s8, s66
	s_ashr_i32 s6, s63, 31
	s_sub_i32 s7, s7, s9
	s_xor_b32 s6, s6, s68
	s_add_i32 s9, s8, 1
	s_sub_i32 s10, s7, s66
	s_cmp_ge_u32 s7, s66
	s_cselect_b32 s8, s9, s8
	s_cselect_b32 s7, s10, s7
	s_add_i32 s9, s8, 1
	s_cmp_ge_u32 s7, s66
	s_cselect_b32 s7, s9, s8
	s_xor_b32 s7, s7, s6
	s_sub_i32 s6, s7, s6
	s_abs_i32 s8, s6
	s_mul_i32 s7, s6, s33
	s_mul_hi_u32 s9, s8, s71
	s_sub_i32 s7, s63, s7
	s_mul_i32 s10, s9, s67
	s_lshl_b32 s73, s7, 7
	s_ashr_i32 s7, s6, 31
	s_sub_i32 s8, s8, s10
	s_xor_b32 s7, s7, s70
	s_add_i32 s10, s9, 1
	s_sub_i32 s11, s8, s67
	s_cmp_ge_u32 s8, s67
	s_cselect_b32 s9, s10, s9
	s_cselect_b32 s8, s11, s8
	s_add_i32 s10, s9, 1
	s_cmp_ge_u32 s8, s67
	s_cselect_b32 s8, s10, s9
	s_xor_b32 s8, s8, s7
	s_sub_i32 s7, s8, s7
	s_mul_i32 s8, s7, s64
	s_lshl_b32 s74, s8, 6
	s_cmp_eq_u32 s7, s40
	s_cselect_b32 s76, s65, s64
	s_sub_i32 s75, s73, s36
	s_addk_i32 s75, 0x80
	s_and_saveexec_b64 s[8:9], s[2:3]
	s_xor_b64 s[52:53], exec, s[8:9]
	s_cbranch_execz .LBB324_41
; %bb.8:                                ;   in Loop: Header=BB324_7 Depth=1
	s_mul_i32 s7, s7, s62
	s_sub_i32 s6, s6, s7
	s_lshl_b32 s6, s6, 5
	s_sub_i32 s14, s6, s37
	s_add_i32 s14, s14, 32
	s_max_i32 s7, s14, 0
	s_sub_i32 s54, s6, s7
	s_and_saveexec_b64 s[6:7], s[0:1]
	s_xor_b64 s[56:57], exec, s[6:7]
	s_cbranch_execz .LBB324_31
; %bb.9:                                ;   in Loop: Header=BB324_7 Depth=1
	s_and_saveexec_b64 s[58:59], s[4:5]
	s_cbranch_execz .LBB324_30
; %bb.10:                               ;   in Loop: Header=BB324_7 Depth=1
	s_waitcnt lgkmcnt(0)
	global_load_dword v72, v17, s[50:51]
	v_mov_b32_e32 v15, 0
	v_cmp_gt_i32_e32 vcc, s76, v71
	v_mov_b32_e32 v14, v15
	v_mov_b32_e32 v13, v15
	;; [unrolled: 1-line block ×15, first 2 shown]
	s_and_saveexec_b64 s[6:7], vcc
	s_cbranch_execz .LBB324_20
; %bb.11:                               ;   in Loop: Header=BB324_7 Depth=1
	v_mov_b32_e32 v0, 0
	s_mov_b64 s[8:9], 0
	v_mov_b32_e32 v1, v0
	v_mov_b32_e32 v2, v0
	;; [unrolled: 1-line block ×15, first 2 shown]
	s_branch .LBB324_13
.LBB324_12:                             ;   in Loop: Header=BB324_13 Depth=2
	s_or_b64 exec, exec, s[10:11]
	v_add_u32_e32 v78, v50, v76
	ds_read2_b32 v[76:77], v78 offset1:32
	v_add_u32_e32 v71, s43, v71
	s_waitcnt lgkmcnt(0)
	v_mfma_f32_32x32x16_fp8_fp8 v[0:15], v[44:45], v[76:77], v[0:15]
	ds_read2_b32 v[44:45], v78 offset0:128 offset1:160
	s_waitcnt lgkmcnt(0)
	v_mfma_f32_32x32x16_fp8_fp8 v[0:15], v[42:43], v[44:45], v[0:15]
	v_add_u32_e32 v44, 0x400, v78
	ds_read2_b32 v[42:43], v44 offset1:32
	ds_read2_b32 v[44:45], v44 offset0:128 offset1:160
	ds_write_b32 v74, v75 offset:30724
	s_waitcnt lgkmcnt(2)
	v_mfma_f32_32x32x16_fp8_fp8 v[0:15], v[40:41], v[42:43], v[0:15]
	v_add_u32_e32 v40, s43, v73
	v_add_u32_e32 v41, 2, v47
	v_cmp_lt_i32_e32 vcc, 2, v40
	s_nop 1
	v_cndmask_b32_e32 v47, v47, v41, vcc
	v_cmp_le_i32_e32 vcc, s76, v71
	s_waitcnt lgkmcnt(1)
	v_mfma_f32_32x32x16_fp8_fp8 v[0:15], v[38:39], v[44:45], v[0:15]
	s_or_b64 s[8:9], vcc, s[8:9]
	s_andn2_b64 exec, exec, s[8:9]
	s_cbranch_execz .LBB324_19
.LBB324_13:                             ;   Parent Loop BB324_7 Depth=1
                                        ; =>  This Loop Header: Depth=2
                                        ;       Child Loop BB324_15 Depth 3
                                        ;       Child Loop BB324_18 Depth 3
	v_cmp_gt_i32_e32 vcc, 3, v40
	s_nop 1
	v_cndmask_b32_e64 v38, -3, 0, vcc
	v_add_u32_e32 v73, v38, v40
	v_lshlrev_b32_e32 v74, 3, v73
	ds_read_b32 v38, v74 offset:30720
	s_waitcnt lgkmcnt(0)
	v_cmp_ne_u32_e32 vcc, v38, v47
	s_and_saveexec_b64 s[10:11], vcc
	s_cbranch_execz .LBB324_16
; %bb.14:                               ;   in Loop: Header=BB324_13 Depth=2
	s_mov_b64 s[12:13], 0
.LBB324_15:                             ;   Parent Loop BB324_7 Depth=1
                                        ;     Parent Loop BB324_13 Depth=2
                                        ; =>    This Inner Loop Header: Depth=3
	;;#ASMSTART
	s_sleep 0
	;;#ASMEND
	ds_read_b32 v38, v74 offset:30720
	s_waitcnt lgkmcnt(0)
	v_cmp_eq_u32_e32 vcc, v38, v47
	s_or_b64 s[12:13], vcc, s[12:13]
	s_andn2_b64 exec, exec, s[12:13]
	s_cbranch_execnz .LBB324_15
.LBB324_16:                             ;   in Loop: Header=BB324_13 Depth=2
	s_or_b64 exec, exec, s[10:11]
	v_lshlrev_b32_e32 v76, 11, v73
	v_or_b32_e32 v38, v49, v76
	ds_read2_b32 v[44:45], v38 offset1:32
	ds_read2_b32 v[42:43], v38 offset0:128 offset1:160
	v_add_u32_e32 v38, 0x400, v38
	ds_read2_b32 v[40:41], v38 offset1:32
	ds_read_b32 v77, v74 offset:30724
	ds_read2_b32 v[38:39], v38 offset0:128 offset1:160
	v_add_u32_e32 v75, 1, v47
	ds_write_b32 v74, v75 offset:30720
	s_waitcnt lgkmcnt(2)
	v_cmp_ne_u32_e32 vcc, v77, v47
	s_and_saveexec_b64 s[10:11], vcc
	s_cbranch_execz .LBB324_12
; %bb.17:                               ;   in Loop: Header=BB324_13 Depth=2
	s_mov_b64 s[12:13], 0
.LBB324_18:                             ;   Parent Loop BB324_7 Depth=1
                                        ;     Parent Loop BB324_13 Depth=2
                                        ; =>    This Inner Loop Header: Depth=3
	;;#ASMSTART
	s_sleep 0
	;;#ASMEND
	ds_read_b32 v77, v74 offset:30724
	s_waitcnt lgkmcnt(0)
	v_cmp_eq_u32_e32 vcc, v77, v47
	s_or_b64 s[12:13], vcc, s[12:13]
	s_andn2_b64 exec, exec, s[12:13]
	s_cbranch_execnz .LBB324_18
	s_branch .LBB324_12
.LBB324_19:                             ;   in Loop: Header=BB324_7 Depth=1
	s_or_b64 exec, exec, s[8:9]
.LBB324_20:                             ;   in Loop: Header=BB324_7 Depth=1
	s_or_b64 exec, exec, s[6:7]
	v_cmp_le_i32_e32 vcc, s14, v48
	v_cmp_eq_u32_e64 s[6:7], 3, v51
	v_cmp_eq_u32_e64 s[8:9], 4, v51
	s_waitcnt vmcnt(0)
	v_cndmask_b32_e32 v38, 0, v72, vcc
	s_nop 1
	v_pk_mul_f32 v[0:1], v[38:39], v[0:1] op_sel_hi:[0,1]
	v_cmp_eq_u32_e32 vcc, 1, v51
	v_pk_mul_f32 v[14:15], v[38:39], v[14:15] op_sel_hi:[0,1]
	v_pk_mul_f32 v[12:13], v[38:39], v[12:13] op_sel_hi:[0,1]
	;; [unrolled: 1-line block ×7, first 2 shown]
	v_cndmask_b32_e32 v38, v0, v1, vcc
	v_cmp_eq_u32_e32 vcc, 2, v51
	v_cmp_eq_u32_e64 s[10:11], 5, v51
	v_cmp_eq_u32_e64 s[12:13], 6, v51
	v_cndmask_b32_e32 v38, v38, v2, vcc
	v_cndmask_b32_e64 v38, v38, v3, s[6:7]
	v_cndmask_b32_e64 v38, v38, v4, s[8:9]
	;; [unrolled: 1-line block ×4, first 2 shown]
	v_cmp_eq_u32_e64 s[14:15], 7, v51
	v_cmp_eq_u32_e64 s[16:17], 8, v51
	v_cmp_eq_u32_e64 s[18:19], 9, v51
	v_cndmask_b32_e64 v38, v38, v7, s[14:15]
	v_cndmask_b32_e64 v38, v38, v8, s[16:17]
	v_cndmask_b32_e64 v38, v38, v9, s[18:19]
	v_cmp_eq_u32_e64 s[20:21], 10, v51
	v_cmp_eq_u32_e64 s[22:23], 11, v51
	v_cmp_eq_u32_e64 s[24:25], 12, v51
	v_cndmask_b32_e64 v38, v38, v10, s[20:21]
	v_cndmask_b32_e64 v38, v38, v11, s[22:23]
	v_cndmask_b32_e64 v38, v38, v12, s[24:25]
	;; [unrolled: 6-line block ×3, first 2 shown]
	ds_bpermute_b32 v38, v70, v38
	v_cmp_eq_u32_e64 s[34:35], 15, v52
	s_waitcnt lgkmcnt(0)
	v_cndmask_b32_e32 v2, v2, v38, vcc
	v_cmp_ne_u32_e32 vcc, 0, v51
	v_cndmask_b32_e64 v15, v15, v38, s[30:31]
	v_cndmask_b32_e64 v14, v14, v38, s[28:29]
	v_cndmask_b32_e32 v1, v1, v38, vcc
	v_cmp_eq_u32_e32 vcc, 0, v51
	v_cndmask_b32_e64 v13, v13, v38, s[26:27]
	v_cndmask_b32_e64 v12, v12, v38, s[24:25]
	v_cndmask_b32_e32 v0, v0, v38, vcc
	v_cmp_eq_u32_e32 vcc, 1, v52
	v_cndmask_b32_e64 v11, v11, v38, s[22:23]
	v_cndmask_b32_e64 v10, v10, v38, s[20:21]
	;; [unrolled: 1-line block ×9, first 2 shown]
	v_cndmask_b32_e32 v38, v0, v1, vcc
	v_cmp_eq_u32_e64 s[6:7], 2, v52
	v_cmp_eq_u32_e64 s[8:9], 3, v52
	v_cmp_eq_u32_e64 s[10:11], 4, v52
	v_cndmask_b32_e64 v38, v38, v2, s[6:7]
	v_cndmask_b32_e64 v38, v38, v3, s[8:9]
	v_cndmask_b32_e64 v38, v38, v4, s[10:11]
	v_cmp_eq_u32_e64 s[12:13], 5, v52
	v_cmp_eq_u32_e64 s[14:15], 6, v52
	v_cmp_eq_u32_e64 s[16:17], 7, v52
	v_cndmask_b32_e64 v38, v38, v5, s[12:13]
	v_cndmask_b32_e64 v38, v38, v6, s[14:15]
	v_cndmask_b32_e64 v38, v38, v7, s[16:17]
	;; [unrolled: 6-line block ×4, first 2 shown]
	v_cmp_eq_u32_e64 s[30:31], 14, v52
	s_nop 1
	v_cndmask_b32_e64 v38, v38, v14, s[30:31]
	v_cndmask_b32_e64 v38, v38, v15, s[34:35]
	ds_bpermute_b32 v38, v70, v38
	s_waitcnt lgkmcnt(0)
	v_cndmask_b32_e32 v1, v1, v38, vcc
	v_cmp_eq_u32_e32 vcc, 0, v52
	v_cndmask_b32_e64 v15, v15, v38, s[34:35]
	v_cndmask_b32_e64 v14, v14, v38, s[30:31]
	v_cndmask_b32_e32 v0, v0, v38, vcc
	v_cmp_eq_u32_e32 vcc, 1, v53
	v_cndmask_b32_e64 v13, v13, v38, s[28:29]
	v_cndmask_b32_e64 v12, v12, v38, s[26:27]
	v_cndmask_b32_e64 v11, v11, v38, s[24:25]
	v_cndmask_b32_e64 v10, v10, v38, s[22:23]
	v_cndmask_b32_e64 v9, v9, v38, s[20:21]
	v_cndmask_b32_e64 v8, v8, v38, s[18:19]
	v_cndmask_b32_e64 v7, v7, v38, s[16:17]
	v_cndmask_b32_e64 v6, v6, v38, s[14:15]
	v_cndmask_b32_e64 v5, v5, v38, s[12:13]
	v_cndmask_b32_e64 v4, v4, v38, s[10:11]
	v_cndmask_b32_e64 v3, v3, v38, s[8:9]
	v_cndmask_b32_e64 v2, v2, v38, s[6:7]
	v_cndmask_b32_e32 v38, v0, v1, vcc
	v_cmp_eq_u32_e64 s[6:7], 2, v53
	v_cmp_eq_u32_e64 s[8:9], 3, v53
	v_cmp_eq_u32_e64 s[10:11], 4, v53
	v_cndmask_b32_e64 v38, v38, v2, s[6:7]
	v_cndmask_b32_e64 v38, v38, v3, s[8:9]
	v_cndmask_b32_e64 v38, v38, v4, s[10:11]
	v_cmp_eq_u32_e64 s[12:13], 5, v53
	v_cmp_eq_u32_e64 s[14:15], 6, v53
	v_cmp_eq_u32_e64 s[16:17], 7, v53
	v_cndmask_b32_e64 v38, v38, v5, s[12:13]
	v_cndmask_b32_e64 v38, v38, v6, s[14:15]
	v_cndmask_b32_e64 v38, v38, v7, s[16:17]
	v_cmp_eq_u32_e64 s[18:19], 8, v53
	v_cmp_eq_u32_e64 s[20:21], 9, v53
	v_cmp_eq_u32_e64 s[22:23], 10, v53
	v_cndmask_b32_e64 v38, v38, v8, s[18:19]
	v_cndmask_b32_e64 v38, v38, v9, s[20:21]
	v_cndmask_b32_e64 v38, v38, v10, s[22:23]
	v_cmp_eq_u32_e64 s[24:25], 11, v53
	v_cmp_eq_u32_e64 s[26:27], 12, v53
	v_cmp_eq_u32_e64 s[28:29], 13, v53
	v_cndmask_b32_e64 v38, v38, v11, s[24:25]
	v_cndmask_b32_e64 v38, v38, v12, s[26:27]
	v_cndmask_b32_e64 v38, v38, v13, s[28:29]
	v_cmp_eq_u32_e64 s[30:31], 14, v53
	v_cmp_eq_u32_e64 s[34:35], 15, v53
	s_nop 0
	v_cndmask_b32_e64 v38, v38, v14, s[30:31]
	v_cndmask_b32_e64 v38, v38, v15, s[34:35]
	ds_bpermute_b32 v38, v70, v38
	s_waitcnt lgkmcnt(0)
	v_cndmask_b32_e32 v1, v1, v38, vcc
	v_cmp_eq_u32_e32 vcc, 0, v53
	v_cndmask_b32_e64 v15, v15, v38, s[34:35]
	v_cndmask_b32_e64 v14, v14, v38, s[30:31]
	v_cndmask_b32_e32 v0, v0, v38, vcc
	v_cmp_eq_u32_e32 vcc, 1, v54
	v_cndmask_b32_e64 v13, v13, v38, s[28:29]
	v_cndmask_b32_e64 v12, v12, v38, s[26:27]
	v_cndmask_b32_e64 v11, v11, v38, s[24:25]
	v_cndmask_b32_e64 v10, v10, v38, s[22:23]
	v_cndmask_b32_e64 v9, v9, v38, s[20:21]
	v_cndmask_b32_e64 v8, v8, v38, s[18:19]
	v_cndmask_b32_e64 v7, v7, v38, s[16:17]
	v_cndmask_b32_e64 v6, v6, v38, s[14:15]
	v_cndmask_b32_e64 v5, v5, v38, s[12:13]
	v_cndmask_b32_e64 v4, v4, v38, s[10:11]
	v_cndmask_b32_e64 v3, v3, v38, s[8:9]
	v_cndmask_b32_e64 v2, v2, v38, s[6:7]
	v_cndmask_b32_e32 v38, v0, v1, vcc
	v_cmp_eq_u32_e64 s[6:7], 2, v54
	v_cmp_eq_u32_e64 s[8:9], 3, v54
	v_cmp_eq_u32_e64 s[10:11], 4, v54
	v_cndmask_b32_e64 v38, v38, v2, s[6:7]
	v_cndmask_b32_e64 v38, v38, v3, s[8:9]
	v_cndmask_b32_e64 v38, v38, v4, s[10:11]
	v_cmp_eq_u32_e64 s[12:13], 5, v54
	v_cmp_eq_u32_e64 s[14:15], 6, v54
	v_cmp_eq_u32_e64 s[16:17], 7, v54
	v_cndmask_b32_e64 v38, v38, v5, s[12:13]
	v_cndmask_b32_e64 v38, v38, v6, s[14:15]
	v_cndmask_b32_e64 v38, v38, v7, s[16:17]
	v_cmp_eq_u32_e64 s[18:19], 8, v54
	v_cmp_eq_u32_e64 s[20:21], 9, v54
	v_cmp_eq_u32_e64 s[22:23], 10, v54
	v_cndmask_b32_e64 v38, v38, v8, s[18:19]
	v_cndmask_b32_e64 v38, v38, v9, s[20:21]
	v_cndmask_b32_e64 v38, v38, v10, s[22:23]
	v_cmp_eq_u32_e64 s[24:25], 11, v54
	v_cmp_eq_u32_e64 s[26:27], 12, v54
	v_cmp_eq_u32_e64 s[28:29], 13, v54
	v_cndmask_b32_e64 v38, v38, v11, s[24:25]
	v_cndmask_b32_e64 v38, v38, v12, s[26:27]
	v_cndmask_b32_e64 v38, v38, v13, s[28:29]
	v_cmp_eq_u32_e64 s[30:31], 14, v54
	;; [unrolled: 50-line block ×4, first 2 shown]
	v_cmp_eq_u32_e64 s[34:35], 15, v56
	s_nop 0
	v_cndmask_b32_e64 v38, v38, v14, s[30:31]
	v_cndmask_b32_e64 v38, v38, v15, s[34:35]
	ds_bpermute_b32 v38, v70, v38
	s_waitcnt lgkmcnt(0)
	v_cndmask_b32_e32 v1, v1, v38, vcc
	v_cmp_eq_u32_e32 vcc, 0, v56
	v_cndmask_b32_e64 v15, v15, v38, s[34:35]
	v_cndmask_b32_e64 v14, v14, v38, s[30:31]
	;; [unrolled: 1-line block ×14, first 2 shown]
	v_cndmask_b32_e32 v38, v0, v38, vcc
	v_cmp_eq_u32_e32 vcc, 1, v57
	v_cmp_eq_u32_e64 s[6:7], 2, v57
	v_cmp_eq_u32_e64 s[8:9], 3, v57
	v_cndmask_b32_e32 v0, v38, v1, vcc
	v_cndmask_b32_e64 v0, v0, v73, s[6:7]
	v_cndmask_b32_e64 v0, v0, v72, s[8:9]
	v_cmp_eq_u32_e64 s[10:11], 4, v57
	v_cmp_eq_u32_e64 s[12:13], 5, v57
	v_cmp_eq_u32_e64 s[14:15], 6, v57
	v_cndmask_b32_e64 v0, v0, v45, s[10:11]
	v_cndmask_b32_e64 v0, v0, v44, s[12:13]
	v_cndmask_b32_e64 v0, v0, v43, s[14:15]
	v_cmp_eq_u32_e64 s[16:17], 7, v57
	v_cmp_eq_u32_e64 s[18:19], 8, v57
	v_cmp_eq_u32_e64 s[20:21], 9, v57
	v_cndmask_b32_e64 v0, v0, v42, s[16:17]
	;; [unrolled: 6-line block ×4, first 2 shown]
	v_cndmask_b32_e64 v0, v0, v14, s[30:31]
	v_cndmask_b32_e64 v0, v0, v15, s[34:35]
	ds_bpermute_b32 v74, v70, v0
	s_waitcnt lgkmcnt(0)
	v_cndmask_b32_e32 v0, v1, v74, vcc
	v_cmp_eq_u32_e32 vcc, 0, v57
	v_cndmask_b32_e64 v4, v15, v74, s[34:35]
	v_cndmask_b32_e64 v15, v73, v74, s[6:7]
	v_cndmask_b32_e32 v1, v38, v74, vcc
	v_cmp_eq_u32_e32 vcc, 1, v58
	v_cndmask_b32_e64 v5, v14, v74, s[30:31]
	v_cndmask_b32_e64 v14, v72, v74, s[8:9]
	;; [unrolled: 4-line block ×7, first 2 shown]
	v_cndmask_b32_e32 v38, v38, v13, vcc
	v_cmp_eq_u32_e32 vcc, 7, v58
	s_nop 1
	v_cndmask_b32_e32 v38, v38, v12, vcc
	v_cmp_eq_u32_e32 vcc, 8, v58
	s_nop 1
	;; [unrolled: 3-line block ×9, first 2 shown]
	v_cndmask_b32_e32 v38, v38, v4, vcc
	ds_bpermute_b32 v38, v70, v38
	v_cmp_lt_i32_e32 vcc, s75, v59
	s_and_saveexec_b64 s[60:61], vcc
	s_cbranch_execz .LBB324_29
; %bb.21:                               ;   in Loop: Header=BB324_7 Depth=1
	s_mul_i32 s6, s73, s37
	s_ashr_i32 s7, s6, 31
	s_lshl_b64 s[6:7], s[6:7], 1
	v_cmp_eq_u32_e64 s[30:31], 1, v58
	s_add_u32 s8, s48, s6
	s_addc_u32 s9, s49, s7
	s_waitcnt lgkmcnt(0)
	v_cndmask_b32_e64 v0, v0, v38, s[30:31]
	v_cmp_eq_u32_e64 s[30:31], 0, v58
	s_ashr_i32 s55, s54, 31
	s_lshl_b64 s[6:7], s[54:55], 1
	v_cndmask_b32_e64 v1, v1, v38, s[30:31]
	v_cvt_f16_f32_e32 v39, v1
	v_cvt_f16_f32_sdwa v41, v0 dst_sel:WORD_1 dst_unused:UNUSED_PAD src0_sel:DWORD
	s_add_u32 s34, s8, s6
	s_addc_u32 s35, s9, s7
	v_cmp_eq_u32_e64 s[8:9], 15, v58
	v_cmp_eq_u32_e64 s[10:11], 14, v58
	;; [unrolled: 1-line block ×10, first 2 shown]
	v_cmp_eq_u32_e32 vcc, 5, v58
	v_cmp_eq_u32_e64 s[6:7], 4, v58
	v_cmp_eq_u32_e64 s[28:29], 3, v58
	;; [unrolled: 1-line block ×3, first 2 shown]
	v_lshl_add_u64 v[0:1], s[34:35], 0, v[16:17]
	v_cmp_lt_i32_e64 s[34:35], s75, v60
	v_lshl_add_u64 v[42:43], v[18:19], 1, v[0:1]
	v_or_b32_e32 v39, v41, v39
	;;#ASMSTART
	global_atomic_pk_add_f16 v[42:43], v39, off
	
	;;#ASMEND
	s_and_b64 exec, exec, s[34:35]
	s_cbranch_execz .LBB324_29
; %bb.22:                               ;   in Loop: Header=BB324_7 Depth=1
	v_cndmask_b32_e64 v14, v14, v38, s[28:29]
	v_cndmask_b32_e64 v15, v15, v38, s[30:31]
	v_cvt_f16_f32_e32 v39, v15
	v_cvt_f16_f32_sdwa v41, v14 dst_sel:WORD_1 dst_unused:UNUSED_PAD src0_sel:DWORD
	v_cndmask_b32_e64 v4, v4, v38, s[8:9]
	v_cndmask_b32_e64 v5, v5, v38, s[10:11]
	;; [unrolled: 1-line block ×10, first 2 shown]
	v_cndmask_b32_e32 v2, v2, v38, vcc
	v_cndmask_b32_e64 v3, v3, v38, s[6:7]
	v_cmp_lt_i32_e32 vcc, s75, v61
	v_lshl_add_u64 v[14:15], v[20:21], 1, v[0:1]
	v_or_b32_e32 v38, v41, v39
	;;#ASMSTART
	global_atomic_pk_add_f16 v[14:15], v38, off
	
	;;#ASMEND
	s_and_b64 exec, exec, vcc
	s_cbranch_execz .LBB324_29
; %bb.23:                               ;   in Loop: Header=BB324_7 Depth=1
	v_cvt_f16_f32_e32 v14, v3
	v_cvt_f16_f32_sdwa v15, v2 dst_sel:WORD_1 dst_unused:UNUSED_PAD src0_sel:DWORD
	v_cmp_lt_i32_e32 vcc, s75, v62
	v_lshl_add_u64 v[2:3], v[22:23], 1, v[0:1]
	v_or_b32_e32 v14, v15, v14
	;;#ASMSTART
	global_atomic_pk_add_f16 v[2:3], v14, off
	
	;;#ASMEND
	s_and_b64 exec, exec, vcc
	s_cbranch_execz .LBB324_29
; %bb.24:                               ;   in Loop: Header=BB324_7 Depth=1
	v_cvt_f16_f32_e32 v13, v13
	v_cvt_f16_f32_sdwa v12, v12 dst_sel:WORD_1 dst_unused:UNUSED_PAD src0_sel:DWORD
	;; [unrolled: 12-line block ×6, first 2 shown]
	v_lshl_add_u64 v[0:1], v[32:33], 1, v[0:1]
	v_or_b32_e32 v2, v3, v2
	;;#ASMSTART
	global_atomic_pk_add_f16 v[0:1], v2, off
	
	;;#ASMEND
.LBB324_29:                             ;   in Loop: Header=BB324_7 Depth=1
	s_or_b64 exec, exec, s[60:61]
	v_subrev_u32_e32 v71, s76, v71
.LBB324_30:                             ;   in Loop: Header=BB324_7 Depth=1
	s_or_b64 exec, exec, s[58:59]
.LBB324_31:                             ;   in Loop: Header=BB324_7 Depth=1
	s_andn2_saveexec_b64 s[6:7], s[56:57]
	s_cbranch_execz .LBB324_40
; %bb.32:                               ;   in Loop: Header=BB324_7 Depth=1
	v_cmp_gt_i32_e32 vcc, s76, v71
	s_and_saveexec_b64 s[8:9], vcc
	s_cbranch_execz .LBB324_39
; %bb.33:                               ;   in Loop: Header=BB324_7 Depth=1
	s_mul_i32 s10, s54, s39
	s_ashr_i32 s11, s10, 31
	s_waitcnt lgkmcnt(0)
	s_add_u32 s10, s46, s10
	s_addc_u32 s11, s47, s11
	s_ashr_i32 s12, s74, 31
	s_add_u32 s10, s10, s74
	s_addc_u32 s11, s11, s12
	v_lshl_add_u64 v[0:1], s[10:11], 0, v[36:37]
	v_lshl_add_u64 v[8:9], v[0:1], 0, v[34:35]
	s_mov_b64 s[10:11], 0
	s_branch .LBB324_35
.LBB324_34:                             ;   in Loop: Header=BB324_35 Depth=2
	s_or_b64 exec, exec, s[12:13]
	v_lshl_add_u32 v12, v10, 11, v67
	;;#ASMSTART
	s_waitcnt vmcnt(1)
	;;#ASMEND
	ds_write2_b32 v12, v4, v5 offset1:32
	ds_write2_b32 v12, v6, v7 offset0:64 offset1:96
	v_add_u32_e32 v4, 0x400, v12
	v_add_u32_e32 v71, s42, v71
	;;#ASMSTART
	s_waitcnt vmcnt(0)
	;;#ASMEND
	ds_write2_b32 v4, v0, v1 offset1:32
	ds_write2_b32 v4, v2, v3 offset0:64 offset1:96
	v_add_u32_e32 v0, 1, v47
	v_add_u32_e32 v40, s42, v10
	v_cmp_le_i32_e32 vcc, s76, v71
	ds_write_b32 v11, v0 offset:48
	v_add_u32_e32 v0, 2, v47
	s_or_b64 s[10:11], vcc, s[10:11]
	v_cmp_lt_i32_e32 vcc, 2, v40
	s_nop 1
	v_cndmask_b32_e32 v47, v47, v0, vcc
	s_andn2_b64 exec, exec, s[10:11]
	s_cbranch_execz .LBB324_38
.LBB324_35:                             ;   Parent Loop BB324_7 Depth=1
                                        ; =>  This Loop Header: Depth=2
                                        ;       Child Loop BB324_37 Depth 3
	v_cmp_gt_i32_e32 vcc, 3, v40
	s_nop 1
	v_cndmask_b32_e64 v0, -3, 0, vcc
	v_add_u32_e32 v10, v0, v40
	v_lshlrev_b32_e32 v0, 6, v71
	v_ashrrev_i32_e32 v1, 31, v0
	v_lshl_add_u64 v[0:1], v[8:9], 0, v[0:1]
	v_lshlrev_b32_e32 v11, 2, v10
	;;#ASMSTART
	global_load_dwordx4 v[4:7], v[0:1], off offset:0   sc0 sc1 nt  
	global_load_dwordx4 v[0:3], v[0:1], off offset:32  sc0 sc1 nt  
	
	;;#ASMEND
	ds_read_b32 v12, v11 offset:30768
	v_add_u32_e32 v11, 0x7800, v11
	s_waitcnt lgkmcnt(0)
	v_cmp_ne_u32_e32 vcc, v12, v47
	s_and_saveexec_b64 s[12:13], vcc
	s_cbranch_execz .LBB324_34
; %bb.36:                               ;   in Loop: Header=BB324_35 Depth=2
	s_mov_b64 s[14:15], 0
.LBB324_37:                             ;   Parent Loop BB324_7 Depth=1
                                        ;     Parent Loop BB324_35 Depth=2
                                        ; =>    This Inner Loop Header: Depth=3
	;;#ASMSTART
	s_sleep 0
	;;#ASMEND
	ds_read_b32 v12, v11 offset:48
	s_waitcnt lgkmcnt(0)
	v_cmp_eq_u32_e32 vcc, v12, v47
	s_or_b64 s[14:15], vcc, s[14:15]
	s_andn2_b64 exec, exec, s[14:15]
	s_cbranch_execnz .LBB324_37
	s_branch .LBB324_34
.LBB324_38:                             ;   in Loop: Header=BB324_7 Depth=1
	s_or_b64 exec, exec, s[10:11]
.LBB324_39:                             ;   in Loop: Header=BB324_7 Depth=1
	s_or_b64 exec, exec, s[8:9]
	v_subrev_u32_e32 v71, s76, v71
.LBB324_40:                             ;   in Loop: Header=BB324_7 Depth=1
	s_or_b64 exec, exec, s[6:7]
.LBB324_41:                             ;   in Loop: Header=BB324_7 Depth=1
	s_andn2_saveexec_b64 s[6:7], s[52:53]
	s_cbranch_execz .LBB324_6
; %bb.42:                               ;   in Loop: Header=BB324_7 Depth=1
	s_lshl_b32 s16, s76, 2
	v_cmp_gt_i32_e32 vcc, s16, v71
	s_and_saveexec_b64 s[8:9], vcc
	s_cbranch_execz .LBB324_5
; %bb.43:                               ;   in Loop: Header=BB324_7 Depth=1
	s_mul_i32 s73, s73, s38
	s_max_i32 s12, s75, 0
	s_ashr_i32 s10, s73, 31
	s_waitcnt lgkmcnt(0)
	s_add_u32 s11, s44, s73
	v_add_u32_e32 v2, s12, v48
	s_addc_u32 s13, s45, s10
	s_ashr_i32 s14, s74, 31
	v_cmp_gt_u32_e32 vcc, s72, v2
	s_add_u32 s10, s11, s74
	s_addc_u32 s11, s13, s14
	v_cndmask_b32_e32 v0, 0, v68, vcc
	v_ashrrev_i32_e32 v1, 31, v0
	v_lshl_add_u64 v[0:1], s[10:11], 0, v[0:1]
	v_lshl_add_u64 v[8:9], v[0:1], 0, v[34:35]
	v_sub_u32_e32 v10, 0x7f, v2
	s_mov_b64 s[10:11], 0
	s_branch .LBB324_45
.LBB324_44:                             ;   in Loop: Header=BB324_45 Depth=2
	s_or_b64 exec, exec, s[12:13]
	v_lshl_or_b32 v13, v11, 11, v69
	;;#ASMSTART
	s_waitcnt vmcnt(1)
	;;#ASMEND
	ds_write2_b32 v13, v4, v5 offset1:32
	ds_write2_b32 v13, v6, v7 offset0:64 offset1:96
	v_add_u32_e32 v4, 0x400, v13
	v_add_u32_e32 v71, s41, v71
	;;#ASMSTART
	s_waitcnt vmcnt(0)
	;;#ASMEND
	ds_write2_b32 v4, v0, v1 offset1:32
	ds_write2_b32 v4, v2, v3 offset0:64 offset1:96
	v_add_u32_e32 v0, 1, v47
	v_add_u32_e32 v40, s41, v11
	v_cmp_le_i32_e32 vcc, s16, v71
	ds_write_b32 v12, v0
	v_add_u32_e32 v0, 2, v47
	s_or_b64 s[10:11], vcc, s[10:11]
	v_cmp_lt_i32_e32 vcc, 11, v40
	s_nop 1
	v_cndmask_b32_e32 v47, v47, v0, vcc
	s_andn2_b64 exec, exec, s[10:11]
	s_cbranch_execz .LBB324_4
.LBB324_45:                             ;   Parent Loop BB324_7 Depth=1
                                        ; =>  This Loop Header: Depth=2
                                        ;       Child Loop BB324_47 Depth 3
	v_cmp_gt_i32_e32 vcc, 12, v40
	s_nop 1
	v_cndmask_b32_e64 v0, -12, 0, vcc
	v_add_u32_e32 v11, v0, v40
	v_ashrrev_i32_e32 v0, 31, v71
	v_lshrrev_b32_e32 v0, 30, v0
	v_add_u32_e32 v0, v71, v0
	v_and_b32_e32 v1, 0x7fffffc, v0
	v_sub_u32_e32 v1, v71, v1
	v_lshlrev_b32_e32 v1, 5, v1
	v_cmp_le_i32_e32 vcc, v1, v10
	v_lshlrev_b32_e32 v0, 4, v0
	v_and_b32_e32 v0, 0xffffffc0, v0
	v_cndmask_b32_e32 v2, 0, v1, vcc
	v_ashrrev_i32_e32 v1, 31, v0
	v_mul_lo_u32 v2, v2, s38
	v_lshl_add_u64 v[0:1], v[8:9], 0, v[0:1]
	v_ashrrev_i32_e32 v3, 31, v2
	v_lshl_add_u64 v[0:1], v[0:1], 0, v[2:3]
	v_lshlrev_b32_e32 v12, 2, v11
	;;#ASMSTART
	global_load_dwordx4 v[4:7], v[0:1], off offset:0   
	global_load_dwordx4 v[0:3], v[0:1], off offset:32  
	
	;;#ASMEND
	ds_read_b32 v13, v12 offset:30720
	v_add_u32_e32 v12, 0x7800, v12
	s_waitcnt lgkmcnt(0)
	v_cmp_ne_u32_e32 vcc, v13, v47
	s_and_saveexec_b64 s[12:13], vcc
	s_cbranch_execz .LBB324_44
; %bb.46:                               ;   in Loop: Header=BB324_45 Depth=2
	s_mov_b64 s[14:15], 0
.LBB324_47:                             ;   Parent Loop BB324_7 Depth=1
                                        ;     Parent Loop BB324_45 Depth=2
                                        ; =>    This Inner Loop Header: Depth=3
	;;#ASMSTART
	s_sleep 0
	;;#ASMEND
	ds_read_b32 v13, v12
	s_waitcnt lgkmcnt(0)
	v_cmp_eq_u32_e32 vcc, v13, v47
	s_or_b64 s[14:15], vcc, s[14:15]
	s_andn2_b64 exec, exec, s[14:15]
	s_cbranch_execnz .LBB324_47
	s_branch .LBB324_44
.LBB324_48:
	s_endpgm
	.section	.rodata,"a",@progbits
	.p2align	6, 0x0
	.amdhsa_kernel _Z19_skinny_gemm_kernelILi4ELi1ELi3ELi32ELi4EEvPKhS1_P6__halfPKfiiiiiiii
		.amdhsa_group_segment_fixed_size 30780
		.amdhsa_private_segment_fixed_size 0
		.amdhsa_kernarg_size 64
		.amdhsa_user_sgpr_count 2
		.amdhsa_user_sgpr_dispatch_ptr 0
		.amdhsa_user_sgpr_queue_ptr 0
		.amdhsa_user_sgpr_kernarg_segment_ptr 1
		.amdhsa_user_sgpr_dispatch_id 0
		.amdhsa_user_sgpr_kernarg_preload_length 0
		.amdhsa_user_sgpr_kernarg_preload_offset 0
		.amdhsa_user_sgpr_private_segment_size 0
		.amdhsa_uses_dynamic_stack 0
		.amdhsa_enable_private_segment 0
		.amdhsa_system_sgpr_workgroup_id_x 1
		.amdhsa_system_sgpr_workgroup_id_y 0
		.amdhsa_system_sgpr_workgroup_id_z 0
		.amdhsa_system_sgpr_workgroup_info 0
		.amdhsa_system_vgpr_workitem_id 0
		.amdhsa_next_free_vgpr 79
		.amdhsa_next_free_sgpr 77
		.amdhsa_accum_offset 80
		.amdhsa_reserve_vcc 1
		.amdhsa_float_round_mode_32 0
		.amdhsa_float_round_mode_16_64 0
		.amdhsa_float_denorm_mode_32 3
		.amdhsa_float_denorm_mode_16_64 3
		.amdhsa_dx10_clamp 1
		.amdhsa_ieee_mode 1
		.amdhsa_fp16_overflow 0
		.amdhsa_tg_split 0
		.amdhsa_exception_fp_ieee_invalid_op 0
		.amdhsa_exception_fp_denorm_src 0
		.amdhsa_exception_fp_ieee_div_zero 0
		.amdhsa_exception_fp_ieee_overflow 0
		.amdhsa_exception_fp_ieee_underflow 0
		.amdhsa_exception_fp_ieee_inexact 0
		.amdhsa_exception_int_div_zero 0
	.end_amdhsa_kernel
	.section	.text._Z19_skinny_gemm_kernelILi4ELi1ELi3ELi32ELi4EEvPKhS1_P6__halfPKfiiiiiiii,"axG",@progbits,_Z19_skinny_gemm_kernelILi4ELi1ELi3ELi32ELi4EEvPKhS1_P6__halfPKfiiiiiiii,comdat
.Lfunc_end324:
	.size	_Z19_skinny_gemm_kernelILi4ELi1ELi3ELi32ELi4EEvPKhS1_P6__halfPKfiiiiiiii, .Lfunc_end324-_Z19_skinny_gemm_kernelILi4ELi1ELi3ELi32ELi4EEvPKhS1_P6__halfPKfiiiiiiii
                                        ; -- End function
	.set _Z19_skinny_gemm_kernelILi4ELi1ELi3ELi32ELi4EEvPKhS1_P6__halfPKfiiiiiiii.num_vgpr, 79
	.set _Z19_skinny_gemm_kernelILi4ELi1ELi3ELi32ELi4EEvPKhS1_P6__halfPKfiiiiiiii.num_agpr, 0
	.set _Z19_skinny_gemm_kernelILi4ELi1ELi3ELi32ELi4EEvPKhS1_P6__halfPKfiiiiiiii.numbered_sgpr, 77
	.set _Z19_skinny_gemm_kernelILi4ELi1ELi3ELi32ELi4EEvPKhS1_P6__halfPKfiiiiiiii.num_named_barrier, 0
	.set _Z19_skinny_gemm_kernelILi4ELi1ELi3ELi32ELi4EEvPKhS1_P6__halfPKfiiiiiiii.private_seg_size, 0
	.set _Z19_skinny_gemm_kernelILi4ELi1ELi3ELi32ELi4EEvPKhS1_P6__halfPKfiiiiiiii.uses_vcc, 1
	.set _Z19_skinny_gemm_kernelILi4ELi1ELi3ELi32ELi4EEvPKhS1_P6__halfPKfiiiiiiii.uses_flat_scratch, 0
	.set _Z19_skinny_gemm_kernelILi4ELi1ELi3ELi32ELi4EEvPKhS1_P6__halfPKfiiiiiiii.has_dyn_sized_stack, 0
	.set _Z19_skinny_gemm_kernelILi4ELi1ELi3ELi32ELi4EEvPKhS1_P6__halfPKfiiiiiiii.has_recursion, 0
	.set _Z19_skinny_gemm_kernelILi4ELi1ELi3ELi32ELi4EEvPKhS1_P6__halfPKfiiiiiiii.has_indirect_call, 0
	.section	.AMDGPU.csdata,"",@progbits
; Kernel info:
; codeLenInByte = 6056
; TotalNumSgprs: 83
; NumVgprs: 79
; NumAgprs: 0
; TotalNumVgprs: 79
; ScratchSize: 0
; MemoryBound: 0
; FloatMode: 240
; IeeeMode: 1
; LDSByteSize: 30780 bytes/workgroup (compile time only)
; SGPRBlocks: 10
; VGPRBlocks: 9
; NumSGPRsForWavesPerEU: 83
; NumVGPRsForWavesPerEU: 79
; AccumOffset: 80
; Occupancy: 6
; WaveLimiterHint : 0
; COMPUTE_PGM_RSRC2:SCRATCH_EN: 0
; COMPUTE_PGM_RSRC2:USER_SGPR: 2
; COMPUTE_PGM_RSRC2:TRAP_HANDLER: 0
; COMPUTE_PGM_RSRC2:TGID_X_EN: 1
; COMPUTE_PGM_RSRC2:TGID_Y_EN: 0
; COMPUTE_PGM_RSRC2:TGID_Z_EN: 0
; COMPUTE_PGM_RSRC2:TIDIG_COMP_CNT: 0
; COMPUTE_PGM_RSRC3_GFX90A:ACCUM_OFFSET: 19
; COMPUTE_PGM_RSRC3_GFX90A:TG_SPLIT: 0
	.section	.text._Z19_skinny_gemm_kernelILi4ELi1ELi3ELi32ELi8EEvPKhS1_P6__halfPKfiiiiiiii,"axG",@progbits,_Z19_skinny_gemm_kernelILi4ELi1ELi3ELi32ELi8EEvPKhS1_P6__halfPKfiiiiiiii,comdat
	.protected	_Z19_skinny_gemm_kernelILi4ELi1ELi3ELi32ELi8EEvPKhS1_P6__halfPKfiiiiiiii ; -- Begin function _Z19_skinny_gemm_kernelILi4ELi1ELi3ELi32ELi8EEvPKhS1_P6__halfPKfiiiiiiii
	.globl	_Z19_skinny_gemm_kernelILi4ELi1ELi3ELi32ELi8EEvPKhS1_P6__halfPKfiiiiiiii
	.p2align	8
	.type	_Z19_skinny_gemm_kernelILi4ELi1ELi3ELi32ELi8EEvPKhS1_P6__halfPKfiiiiiiii,@function
_Z19_skinny_gemm_kernelILi4ELi1ELi3ELi32ELi8EEvPKhS1_P6__halfPKfiiiiiiii: ; @_Z19_skinny_gemm_kernelILi4ELi1ELi3ELi32ELi8EEvPKhS1_P6__halfPKfiiiiiiii
; %bb.0:
	v_cmp_gt_u32_e32 vcc, 15, v0
	s_and_saveexec_b64 s[4:5], vcc
; %bb.1:
	v_lshlrev_b32_e32 v1, 2, v0
	v_mov_b32_e32 v2, 0
	ds_write_b32 v1, v2 offset:61440
; %bb.2:
	s_or_b64 exec, exec, s[4:5]
	s_load_dwordx8 s[36:43], s[0:1], 0x20
	s_waitcnt lgkmcnt(0)
	s_barrier
	s_add_i32 s3, s36, 0x7f
	s_ashr_i32 s5, s3, 31
	s_add_i32 s4, s37, 31
	s_lshr_b32 s5, s5, 25
	s_ashr_i32 s6, s4, 31
	s_add_i32 s3, s3, s5
	s_ashr_i32 s33, s3, 7
	s_lshr_b32 s3, s6, 27
	s_add_i32 s4, s4, s3
	s_ashr_i32 s62, s4, 5
	s_mul_i32 s3, s62, s33
	s_mul_i32 s3, s3, s40
	s_add_i32 s4, s3, 0x12f
	s_mul_hi_i32 s4, s4, 0x6bca1af3
	s_lshr_b32 s5, s4, 31
	s_ashr_i32 s4, s4, 7
	s_add_i32 s4, s4, s5
	s_add_i32 s5, s2, 1
	s_mul_i32 s5, s4, s5
	v_cvt_f64_i32_e32 v[2:3], s3
	v_cvt_f64_u32_e32 v[4:5], s5
	v_min_f64 v[2:3], v[2:3], v[4:5]
	v_cvt_i32_f64_e32 v54, v[2:3]
	s_mul_i32 s63, s4, s2
	v_cmp_ge_i32_e32 vcc, s63, v54
	s_cbranch_vccnz .LBB325_48
; %bb.3:
	v_lshrrev_b32_e32 v1, 6, v0
	s_add_i32 s4, s42, s41
	s_load_dwordx8 s[44:51], s[0:1], 0x0
	v_cmp_le_i32_e64 s[0:1], s4, v1
	v_mov_b32_e32 v2, s41
	v_cmp_le_i32_e64 s[2:3], s41, v1
	v_mov_b32_e32 v3, s42
	v_cndmask_b32_e64 v3, 0, v3, s[0:1]
	v_cndmask_b32_e64 v2, 0, v2, s[2:3]
	s_abs_i32 s5, s40
	v_add_u32_e32 v2, v2, v3
	v_cvt_f32_u32_e32 v3, s5
	v_sub_u32_e32 v40, v1, v2
	s_ashr_i32 s6, s38, 31
	s_lshr_b32 s6, s6, 25
	v_rcp_iflag_f32_e32 v2, v3
	s_sub_i32 s9, 0, s5
	s_add_i32 s6, s38, s6
	s_ashr_i32 s6, s6, 7
	v_mul_f32_e32 v2, 0x4f7ffffe, v2
	v_cvt_u32_f32_e32 v2, v2
	s_abs_i32 s8, s6
	s_xor_b32 s7, s6, s40
	s_ashr_i32 s7, s7, 31
	v_readfirstlane_b32 s10, v2
	s_mul_i32 s9, s9, s10
	s_mul_hi_u32 s9, s10, s9
	s_add_i32 s10, s10, s9
	s_mul_hi_u32 s9, s8, s10
	s_mul_i32 s10, s9, s5
	s_sub_i32 s8, s8, s10
	s_add_i32 s10, s9, 1
	s_sub_i32 s11, s8, s5
	s_cmp_ge_u32 s8, s5
	s_cselect_b32 s9, s10, s9
	s_cselect_b32 s8, s11, s8
	s_add_i32 s10, s9, 1
	s_cmp_ge_u32 s8, s5
	s_cselect_b32 s5, s10, s9
	s_xor_b32 s5, s5, s7
	s_sub_i32 s64, s5, s7
	s_add_i32 s40, s40, -1
	s_mul_i32 s5, s64, s40
	s_add_i32 s4, s4, s43
	v_and_b32_e32 v56, 31, v0
	v_lshrrev_b32_e32 v2, 3, v0
	s_sub_i32 s65, s6, s5
	v_cmp_gt_i32_e64 s[4:5], s4, v1
	v_lshlrev_b32_e32 v1, 2, v56
	v_and_b32_e32 v3, 4, v2
	v_and_b32_e32 v5, 1, v0
	v_lshlrev_b32_e32 v2, 6, v3
	v_or_b32_e32 v4, 0xc000, v1
	v_or_b32_e32 v3, v3, v5
	;; [unrolled: 1-line block ×4, first 2 shown]
	v_lshlrev_b32_e32 v2, 1, v5
	v_or_b32_e32 v5, 2, v3
	v_sub_u32_e32 v68, 32, v5
	v_or_b32_e32 v5, 8, v3
	v_sub_u32_e32 v69, 32, v5
	;; [unrolled: 2-line block ×5, first 2 shown]
	v_mul_lo_u32 v18, s37, v3
	v_sub_u32_e32 v72, 32, v5
	v_or_b32_e32 v5, 24, v3
	v_or_b32_e32 v3, 26, v3
	v_sub_u32_e32 v74, 32, v3
	v_lshrrev_b32_e32 v3, 1, v0
	s_abs_i32 s66, s33
	v_and_b32_e32 v34, 16, v3
	v_cvt_f32_u32_e32 v3, s66
	v_sub_u32_e32 v2, v0, v2
	v_add_u32_e32 v2, 1, v2
	v_and_b32_e32 v6, 63, v2
	v_bitop3_b32 v59, v0, 1, v0 bitop3:0xc
	v_bitop3_b32 v60, v0, 3, 1 bitop3:0x6c
	;; [unrolled: 1-line block ×8, first 2 shown]
	v_and_b32_e32 v2, 30, v0
	v_lshlrev_b32_e32 v0, 4, v0
	v_and_b32_e32 v0, 0x200, v0
	v_rcp_iflag_f32_e32 v3, v3
	s_abs_i32 s67, s62
	v_or_b32_e32 v77, v1, v0
	v_cvt_f32_u32_e32 v1, s67
	s_lshl_b32 s6, s37, 1
	v_add_u32_e32 v20, s6, v18
	s_mul_i32 s7, s37, 6
	v_or_b32_e32 v75, v4, v0
	v_mul_f32_e32 v0, 0x4f7ffffe, v3
	v_add_u32_e32 v22, s7, v20
	v_cvt_u32_f32_e32 v0, v0
	v_rcp_iflag_f32_e32 v1, v1
	v_add_u32_e32 v24, s6, v22
	v_add_u32_e32 v26, s7, v24
	;; [unrolled: 1-line block ×4, first 2 shown]
	v_readfirstlane_b32 s7, v0
	v_mul_f32_e32 v0, 0x4f7ffffe, v1
	v_cvt_u32_f32_e32 v0, v0
	v_add_u32_e32 v32, s6, v30
	s_sub_i32 s6, 0, s66
	s_mul_i32 s6, s6, s7
	s_mul_hi_u32 s6, s7, s6
	s_add_i32 s69, s7, s6
	s_sub_i32 s6, 0, s67
	v_readfirstlane_b32 s7, v0
	v_mbcnt_lo_u32_b32 v0, -1, 0
	s_mul_i32 s6, s6, s7
	v_mbcnt_hi_u32_b32 v0, -1, v0
	v_mov_b32_e32 v17, 0
	v_mul_lo_u32 v36, s39, v56
	s_mul_hi_u32 s6, s7, s6
	v_and_or_b32 v0, v0, 64, v6
	v_cndmask_b32_e64 v55, 0, 1, s[0:1]
	v_ashrrev_i32_e32 v19, 31, v18
	v_ashrrev_i32_e32 v21, 31, v20
	;; [unrolled: 1-line block ×6, first 2 shown]
	v_sub_u32_e32 v73, 32, v5
	v_ashrrev_i32_e32 v31, 31, v30
	v_ashrrev_i32_e32 v33, 31, v32
	;; [unrolled: 1-line block ×3, first 2 shown]
	v_mov_b32_e32 v35, v17
	v_mul_lo_u32 v76, s38, v56
	s_ashr_i32 s68, s33, 31
	s_ashr_i32 s70, s62, 31
	s_add_i32 s71, s7, s6
	s_movk_i32 s72, 0x80
	v_lshlrev_b32_e32 v16, 1, v2
	v_lshlrev_b32_e32 v78, 2, v0
	v_mov_b32_e32 v79, v40
	s_branch .LBB325_7
.LBB325_4:                              ;   in Loop: Header=BB325_7 Depth=1
	s_or_b64 exec, exec, s[10:11]
.LBB325_5:                              ;   in Loop: Header=BB325_7 Depth=1
	s_or_b64 exec, exec, s[8:9]
	v_subrev_u32_e32 v79, s16, v79
.LBB325_6:                              ;   in Loop: Header=BB325_7 Depth=1
	s_or_b64 exec, exec, s[6:7]
	s_add_i32 s63, s63, 1
	v_cmp_ge_i32_e32 vcc, s63, v54
	s_cbranch_vccnz .LBB325_48
.LBB325_7:                              ; =>This Loop Header: Depth=1
                                        ;     Child Loop BB325_13 Depth 2
                                        ;       Child Loop BB325_15 Depth 3
                                        ;       Child Loop BB325_18 Depth 3
                                        ;     Child Loop BB325_35 Depth 2
                                        ;       Child Loop BB325_37 Depth 3
                                        ;     Child Loop BB325_45 Depth 2
                                        ;       Child Loop BB325_47 Depth 3
	s_abs_i32 s7, s63
	s_mul_hi_u32 s8, s7, s69
	s_mul_i32 s9, s8, s66
	s_ashr_i32 s6, s63, 31
	s_sub_i32 s7, s7, s9
	s_xor_b32 s6, s6, s68
	s_add_i32 s9, s8, 1
	s_sub_i32 s10, s7, s66
	s_cmp_ge_u32 s7, s66
	s_cselect_b32 s8, s9, s8
	s_cselect_b32 s7, s10, s7
	s_add_i32 s9, s8, 1
	s_cmp_ge_u32 s7, s66
	s_cselect_b32 s7, s9, s8
	s_xor_b32 s7, s7, s6
	s_sub_i32 s6, s7, s6
	s_abs_i32 s8, s6
	s_mul_i32 s7, s6, s33
	s_mul_hi_u32 s9, s8, s71
	s_sub_i32 s7, s63, s7
	s_mul_i32 s10, s9, s67
	s_lshl_b32 s73, s7, 7
	s_ashr_i32 s7, s6, 31
	s_sub_i32 s8, s8, s10
	s_xor_b32 s7, s7, s70
	s_add_i32 s10, s9, 1
	s_sub_i32 s11, s8, s67
	s_cmp_ge_u32 s8, s67
	s_cselect_b32 s9, s10, s9
	s_cselect_b32 s8, s11, s8
	s_add_i32 s10, s9, 1
	s_cmp_ge_u32 s8, s67
	s_cselect_b32 s8, s10, s9
	s_xor_b32 s8, s8, s7
	s_sub_i32 s7, s8, s7
	s_mul_i32 s8, s7, s64
	s_lshl_b32 s74, s8, 7
	s_cmp_eq_u32 s7, s40
	s_cselect_b32 s76, s65, s64
	s_sub_i32 s75, s73, s36
	s_addk_i32 s75, 0x80
	s_and_saveexec_b64 s[8:9], s[2:3]
	s_xor_b64 s[52:53], exec, s[8:9]
	s_cbranch_execz .LBB325_41
; %bb.8:                                ;   in Loop: Header=BB325_7 Depth=1
	s_mul_i32 s7, s7, s62
	s_sub_i32 s6, s6, s7
	s_lshl_b32 s6, s6, 5
	s_sub_i32 s14, s6, s37
	s_add_i32 s14, s14, 32
	s_max_i32 s7, s14, 0
	s_sub_i32 s54, s6, s7
	s_and_saveexec_b64 s[6:7], s[0:1]
	s_xor_b64 s[56:57], exec, s[6:7]
	s_cbranch_execz .LBB325_31
; %bb.9:                                ;   in Loop: Header=BB325_7 Depth=1
	s_and_saveexec_b64 s[58:59], s[4:5]
	s_cbranch_execz .LBB325_30
; %bb.10:                               ;   in Loop: Header=BB325_7 Depth=1
	s_waitcnt lgkmcnt(0)
	global_load_dword v80, v17, s[50:51]
	v_mov_b32_e32 v15, 0
	v_cmp_gt_i32_e32 vcc, s76, v79
	v_mov_b32_e32 v14, v15
	v_mov_b32_e32 v13, v15
	;; [unrolled: 1-line block ×15, first 2 shown]
	s_and_saveexec_b64 s[6:7], vcc
	s_cbranch_execz .LBB325_20
; %bb.11:                               ;   in Loop: Header=BB325_7 Depth=1
	v_mov_b32_e32 v0, 0
	s_mov_b64 s[8:9], 0
	v_mov_b32_e32 v1, v0
	v_mov_b32_e32 v2, v0
	;; [unrolled: 1-line block ×15, first 2 shown]
	s_branch .LBB325_13
.LBB325_12:                             ;   in Loop: Header=BB325_13 Depth=2
	s_or_b64 exec, exec, s[10:11]
	v_add_u32_e32 v86, v58, v84
	ds_read2_b32 v[84:85], v86 offset1:32
	v_add_u32_e32 v79, s43, v79
	s_waitcnt lgkmcnt(0)
	v_mfma_f32_32x32x16_fp8_fp8 v[0:15], v[52:53], v[84:85], v[0:15]
	ds_read2_b32 v[52:53], v86 offset0:128 offset1:160
	s_waitcnt lgkmcnt(0)
	v_mfma_f32_32x32x16_fp8_fp8 v[0:15], v[50:51], v[52:53], v[0:15]
	v_add_u32_e32 v52, 0x400, v86
	ds_read2_b32 v[50:51], v52 offset1:32
	s_waitcnt lgkmcnt(0)
	v_mfma_f32_32x32x16_fp8_fp8 v[0:15], v[48:49], v[50:51], v[0:15]
	ds_read2_b32 v[48:49], v52 offset0:128 offset1:160
	s_waitcnt lgkmcnt(0)
	v_mfma_f32_32x32x16_fp8_fp8 v[0:15], v[46:47], v[48:49], v[0:15]
	v_add_u32_e32 v48, 0x800, v86
	ds_read2_b32 v[46:47], v48 offset1:32
	;; [unrolled: 7-line block ×3, first 2 shown]
	ds_read2_b32 v[44:45], v44 offset0:128 offset1:160
	ds_write_b32 v82, v83 offset:61444
	s_waitcnt lgkmcnt(2)
	v_mfma_f32_32x32x16_fp8_fp8 v[0:15], v[40:41], v[42:43], v[0:15]
	v_add_u32_e32 v40, s43, v81
	v_add_u32_e32 v41, 2, v55
	v_cmp_lt_i32_e32 vcc, 2, v40
	s_nop 1
	v_cndmask_b32_e32 v55, v55, v41, vcc
	v_cmp_le_i32_e32 vcc, s76, v79
	s_waitcnt lgkmcnt(1)
	v_mfma_f32_32x32x16_fp8_fp8 v[0:15], v[38:39], v[44:45], v[0:15]
	s_or_b64 s[8:9], vcc, s[8:9]
	s_andn2_b64 exec, exec, s[8:9]
	s_cbranch_execz .LBB325_19
.LBB325_13:                             ;   Parent Loop BB325_7 Depth=1
                                        ; =>  This Loop Header: Depth=2
                                        ;       Child Loop BB325_15 Depth 3
                                        ;       Child Loop BB325_18 Depth 3
	v_cmp_gt_i32_e32 vcc, 3, v40
	s_nop 1
	v_cndmask_b32_e64 v38, -3, 0, vcc
	v_add_u32_e32 v81, v38, v40
	v_lshlrev_b32_e32 v82, 3, v81
	ds_read_b32 v38, v82 offset:61440
	s_waitcnt lgkmcnt(0)
	v_cmp_ne_u32_e32 vcc, v38, v55
	s_and_saveexec_b64 s[10:11], vcc
	s_cbranch_execz .LBB325_16
; %bb.14:                               ;   in Loop: Header=BB325_13 Depth=2
	s_mov_b64 s[12:13], 0
.LBB325_15:                             ;   Parent Loop BB325_7 Depth=1
                                        ;     Parent Loop BB325_13 Depth=2
                                        ; =>    This Inner Loop Header: Depth=3
	;;#ASMSTART
	s_sleep 0
	;;#ASMEND
	ds_read_b32 v38, v82 offset:61440
	s_waitcnt lgkmcnt(0)
	v_cmp_eq_u32_e32 vcc, v38, v55
	s_or_b64 s[12:13], vcc, s[12:13]
	s_andn2_b64 exec, exec, s[12:13]
	s_cbranch_execnz .LBB325_15
.LBB325_16:                             ;   in Loop: Header=BB325_13 Depth=2
	s_or_b64 exec, exec, s[10:11]
	v_lshlrev_b32_e32 v84, 12, v81
	v_or_b32_e32 v38, v57, v84
	v_add_u32_e32 v39, 0x400, v38
	ds_read2_b32 v[52:53], v38 offset1:32
	ds_read2_b32 v[50:51], v38 offset0:128 offset1:160
	ds_read2_b32 v[48:49], v39 offset1:32
	ds_read2_b32 v[46:47], v39 offset0:128 offset1:160
	v_add_u32_e32 v39, 0x800, v38
	v_add_u32_e32 v38, 0xc00, v38
	ds_read2_b32 v[44:45], v39 offset1:32
	ds_read2_b32 v[42:43], v39 offset0:128 offset1:160
	ds_read2_b32 v[40:41], v38 offset1:32
	ds_read_b32 v85, v82 offset:61444
	ds_read2_b32 v[38:39], v38 offset0:128 offset1:160
	v_add_u32_e32 v83, 1, v55
	ds_write_b32 v82, v83 offset:61440
	s_waitcnt lgkmcnt(2)
	v_cmp_ne_u32_e32 vcc, v85, v55
	s_and_saveexec_b64 s[10:11], vcc
	s_cbranch_execz .LBB325_12
; %bb.17:                               ;   in Loop: Header=BB325_13 Depth=2
	s_mov_b64 s[12:13], 0
.LBB325_18:                             ;   Parent Loop BB325_7 Depth=1
                                        ;     Parent Loop BB325_13 Depth=2
                                        ; =>    This Inner Loop Header: Depth=3
	;;#ASMSTART
	s_sleep 0
	;;#ASMEND
	ds_read_b32 v85, v82 offset:61444
	s_waitcnt lgkmcnt(0)
	v_cmp_eq_u32_e32 vcc, v85, v55
	s_or_b64 s[12:13], vcc, s[12:13]
	s_andn2_b64 exec, exec, s[12:13]
	s_cbranch_execnz .LBB325_18
	s_branch .LBB325_12
.LBB325_19:                             ;   in Loop: Header=BB325_7 Depth=1
	s_or_b64 exec, exec, s[8:9]
.LBB325_20:                             ;   in Loop: Header=BB325_7 Depth=1
	s_or_b64 exec, exec, s[6:7]
	v_cmp_le_i32_e32 vcc, s14, v56
	v_cmp_eq_u32_e64 s[6:7], 3, v59
	v_cmp_eq_u32_e64 s[8:9], 4, v59
	s_waitcnt vmcnt(0)
	v_cndmask_b32_e32 v38, 0, v80, vcc
	s_nop 1
	v_pk_mul_f32 v[0:1], v[38:39], v[0:1] op_sel_hi:[0,1]
	v_cmp_eq_u32_e32 vcc, 1, v59
	v_pk_mul_f32 v[14:15], v[38:39], v[14:15] op_sel_hi:[0,1]
	v_pk_mul_f32 v[12:13], v[38:39], v[12:13] op_sel_hi:[0,1]
	;; [unrolled: 1-line block ×7, first 2 shown]
	v_cndmask_b32_e32 v38, v0, v1, vcc
	v_cmp_eq_u32_e32 vcc, 2, v59
	v_cmp_eq_u32_e64 s[10:11], 5, v59
	v_cmp_eq_u32_e64 s[12:13], 6, v59
	v_cndmask_b32_e32 v38, v38, v2, vcc
	v_cndmask_b32_e64 v38, v38, v3, s[6:7]
	v_cndmask_b32_e64 v38, v38, v4, s[8:9]
	;; [unrolled: 1-line block ×4, first 2 shown]
	v_cmp_eq_u32_e64 s[14:15], 7, v59
	v_cmp_eq_u32_e64 s[16:17], 8, v59
	v_cmp_eq_u32_e64 s[18:19], 9, v59
	v_cndmask_b32_e64 v38, v38, v7, s[14:15]
	v_cndmask_b32_e64 v38, v38, v8, s[16:17]
	v_cndmask_b32_e64 v38, v38, v9, s[18:19]
	v_cmp_eq_u32_e64 s[20:21], 10, v59
	v_cmp_eq_u32_e64 s[22:23], 11, v59
	v_cmp_eq_u32_e64 s[24:25], 12, v59
	v_cndmask_b32_e64 v38, v38, v10, s[20:21]
	v_cndmask_b32_e64 v38, v38, v11, s[22:23]
	v_cndmask_b32_e64 v38, v38, v12, s[24:25]
	;; [unrolled: 6-line block ×3, first 2 shown]
	ds_bpermute_b32 v38, v78, v38
	v_cmp_eq_u32_e64 s[34:35], 15, v60
	s_waitcnt lgkmcnt(0)
	v_cndmask_b32_e32 v2, v2, v38, vcc
	v_cmp_ne_u32_e32 vcc, 0, v59
	v_cndmask_b32_e64 v15, v15, v38, s[30:31]
	v_cndmask_b32_e64 v14, v14, v38, s[28:29]
	v_cndmask_b32_e32 v1, v1, v38, vcc
	v_cmp_eq_u32_e32 vcc, 0, v59
	v_cndmask_b32_e64 v13, v13, v38, s[26:27]
	v_cndmask_b32_e64 v12, v12, v38, s[24:25]
	v_cndmask_b32_e32 v0, v0, v38, vcc
	v_cmp_eq_u32_e32 vcc, 1, v60
	v_cndmask_b32_e64 v11, v11, v38, s[22:23]
	v_cndmask_b32_e64 v10, v10, v38, s[20:21]
	;; [unrolled: 1-line block ×9, first 2 shown]
	v_cndmask_b32_e32 v38, v0, v1, vcc
	v_cmp_eq_u32_e64 s[6:7], 2, v60
	v_cmp_eq_u32_e64 s[8:9], 3, v60
	v_cmp_eq_u32_e64 s[10:11], 4, v60
	v_cndmask_b32_e64 v38, v38, v2, s[6:7]
	v_cndmask_b32_e64 v38, v38, v3, s[8:9]
	v_cndmask_b32_e64 v38, v38, v4, s[10:11]
	v_cmp_eq_u32_e64 s[12:13], 5, v60
	v_cmp_eq_u32_e64 s[14:15], 6, v60
	v_cmp_eq_u32_e64 s[16:17], 7, v60
	v_cndmask_b32_e64 v38, v38, v5, s[12:13]
	v_cndmask_b32_e64 v38, v38, v6, s[14:15]
	v_cndmask_b32_e64 v38, v38, v7, s[16:17]
	;; [unrolled: 6-line block ×4, first 2 shown]
	v_cmp_eq_u32_e64 s[30:31], 14, v60
	s_nop 1
	v_cndmask_b32_e64 v38, v38, v14, s[30:31]
	v_cndmask_b32_e64 v38, v38, v15, s[34:35]
	ds_bpermute_b32 v38, v78, v38
	s_waitcnt lgkmcnt(0)
	v_cndmask_b32_e32 v1, v1, v38, vcc
	v_cmp_eq_u32_e32 vcc, 0, v60
	v_cndmask_b32_e64 v15, v15, v38, s[34:35]
	v_cndmask_b32_e64 v14, v14, v38, s[30:31]
	v_cndmask_b32_e32 v0, v0, v38, vcc
	v_cmp_eq_u32_e32 vcc, 1, v61
	v_cndmask_b32_e64 v13, v13, v38, s[28:29]
	v_cndmask_b32_e64 v12, v12, v38, s[26:27]
	v_cndmask_b32_e64 v11, v11, v38, s[24:25]
	v_cndmask_b32_e64 v10, v10, v38, s[22:23]
	v_cndmask_b32_e64 v9, v9, v38, s[20:21]
	v_cndmask_b32_e64 v8, v8, v38, s[18:19]
	v_cndmask_b32_e64 v7, v7, v38, s[16:17]
	v_cndmask_b32_e64 v6, v6, v38, s[14:15]
	v_cndmask_b32_e64 v5, v5, v38, s[12:13]
	v_cndmask_b32_e64 v4, v4, v38, s[10:11]
	v_cndmask_b32_e64 v3, v3, v38, s[8:9]
	v_cndmask_b32_e64 v2, v2, v38, s[6:7]
	v_cndmask_b32_e32 v38, v0, v1, vcc
	v_cmp_eq_u32_e64 s[6:7], 2, v61
	v_cmp_eq_u32_e64 s[8:9], 3, v61
	v_cmp_eq_u32_e64 s[10:11], 4, v61
	v_cndmask_b32_e64 v38, v38, v2, s[6:7]
	v_cndmask_b32_e64 v38, v38, v3, s[8:9]
	v_cndmask_b32_e64 v38, v38, v4, s[10:11]
	v_cmp_eq_u32_e64 s[12:13], 5, v61
	v_cmp_eq_u32_e64 s[14:15], 6, v61
	v_cmp_eq_u32_e64 s[16:17], 7, v61
	v_cndmask_b32_e64 v38, v38, v5, s[12:13]
	v_cndmask_b32_e64 v38, v38, v6, s[14:15]
	v_cndmask_b32_e64 v38, v38, v7, s[16:17]
	v_cmp_eq_u32_e64 s[18:19], 8, v61
	v_cmp_eq_u32_e64 s[20:21], 9, v61
	v_cmp_eq_u32_e64 s[22:23], 10, v61
	v_cndmask_b32_e64 v38, v38, v8, s[18:19]
	v_cndmask_b32_e64 v38, v38, v9, s[20:21]
	v_cndmask_b32_e64 v38, v38, v10, s[22:23]
	v_cmp_eq_u32_e64 s[24:25], 11, v61
	v_cmp_eq_u32_e64 s[26:27], 12, v61
	v_cmp_eq_u32_e64 s[28:29], 13, v61
	v_cndmask_b32_e64 v38, v38, v11, s[24:25]
	v_cndmask_b32_e64 v38, v38, v12, s[26:27]
	v_cndmask_b32_e64 v38, v38, v13, s[28:29]
	v_cmp_eq_u32_e64 s[30:31], 14, v61
	v_cmp_eq_u32_e64 s[34:35], 15, v61
	s_nop 0
	v_cndmask_b32_e64 v38, v38, v14, s[30:31]
	v_cndmask_b32_e64 v38, v38, v15, s[34:35]
	ds_bpermute_b32 v38, v78, v38
	s_waitcnt lgkmcnt(0)
	v_cndmask_b32_e32 v1, v1, v38, vcc
	v_cmp_eq_u32_e32 vcc, 0, v61
	v_cndmask_b32_e64 v15, v15, v38, s[34:35]
	v_cndmask_b32_e64 v14, v14, v38, s[30:31]
	v_cndmask_b32_e32 v0, v0, v38, vcc
	v_cmp_eq_u32_e32 vcc, 1, v62
	v_cndmask_b32_e64 v13, v13, v38, s[28:29]
	v_cndmask_b32_e64 v12, v12, v38, s[26:27]
	v_cndmask_b32_e64 v11, v11, v38, s[24:25]
	v_cndmask_b32_e64 v10, v10, v38, s[22:23]
	v_cndmask_b32_e64 v9, v9, v38, s[20:21]
	v_cndmask_b32_e64 v8, v8, v38, s[18:19]
	v_cndmask_b32_e64 v7, v7, v38, s[16:17]
	v_cndmask_b32_e64 v6, v6, v38, s[14:15]
	v_cndmask_b32_e64 v5, v5, v38, s[12:13]
	v_cndmask_b32_e64 v4, v4, v38, s[10:11]
	v_cndmask_b32_e64 v3, v3, v38, s[8:9]
	v_cndmask_b32_e64 v2, v2, v38, s[6:7]
	v_cndmask_b32_e32 v38, v0, v1, vcc
	v_cmp_eq_u32_e64 s[6:7], 2, v62
	v_cmp_eq_u32_e64 s[8:9], 3, v62
	v_cmp_eq_u32_e64 s[10:11], 4, v62
	v_cndmask_b32_e64 v38, v38, v2, s[6:7]
	v_cndmask_b32_e64 v38, v38, v3, s[8:9]
	v_cndmask_b32_e64 v38, v38, v4, s[10:11]
	v_cmp_eq_u32_e64 s[12:13], 5, v62
	v_cmp_eq_u32_e64 s[14:15], 6, v62
	v_cmp_eq_u32_e64 s[16:17], 7, v62
	v_cndmask_b32_e64 v38, v38, v5, s[12:13]
	v_cndmask_b32_e64 v38, v38, v6, s[14:15]
	v_cndmask_b32_e64 v38, v38, v7, s[16:17]
	v_cmp_eq_u32_e64 s[18:19], 8, v62
	v_cmp_eq_u32_e64 s[20:21], 9, v62
	v_cmp_eq_u32_e64 s[22:23], 10, v62
	v_cndmask_b32_e64 v38, v38, v8, s[18:19]
	v_cndmask_b32_e64 v38, v38, v9, s[20:21]
	v_cndmask_b32_e64 v38, v38, v10, s[22:23]
	v_cmp_eq_u32_e64 s[24:25], 11, v62
	v_cmp_eq_u32_e64 s[26:27], 12, v62
	v_cmp_eq_u32_e64 s[28:29], 13, v62
	v_cndmask_b32_e64 v38, v38, v11, s[24:25]
	v_cndmask_b32_e64 v38, v38, v12, s[26:27]
	v_cndmask_b32_e64 v38, v38, v13, s[28:29]
	v_cmp_eq_u32_e64 s[30:31], 14, v62
	;; [unrolled: 50-line block ×4, first 2 shown]
	v_cmp_eq_u32_e64 s[34:35], 15, v64
	s_nop 0
	v_cndmask_b32_e64 v38, v38, v14, s[30:31]
	v_cndmask_b32_e64 v38, v38, v15, s[34:35]
	ds_bpermute_b32 v38, v78, v38
	s_waitcnt lgkmcnt(0)
	v_cndmask_b32_e32 v1, v1, v38, vcc
	v_cmp_eq_u32_e32 vcc, 0, v64
	v_cndmask_b32_e64 v15, v15, v38, s[34:35]
	v_cndmask_b32_e64 v14, v14, v38, s[30:31]
	;; [unrolled: 1-line block ×14, first 2 shown]
	v_cndmask_b32_e32 v38, v0, v38, vcc
	v_cmp_eq_u32_e32 vcc, 1, v65
	v_cmp_eq_u32_e64 s[6:7], 2, v65
	v_cmp_eq_u32_e64 s[8:9], 3, v65
	v_cndmask_b32_e32 v0, v38, v1, vcc
	v_cndmask_b32_e64 v0, v0, v47, s[6:7]
	v_cndmask_b32_e64 v0, v0, v46, s[8:9]
	v_cmp_eq_u32_e64 s[10:11], 4, v65
	v_cmp_eq_u32_e64 s[12:13], 5, v65
	v_cmp_eq_u32_e64 s[14:15], 6, v65
	v_cndmask_b32_e64 v0, v0, v45, s[10:11]
	v_cndmask_b32_e64 v0, v0, v44, s[12:13]
	v_cndmask_b32_e64 v0, v0, v43, s[14:15]
	v_cmp_eq_u32_e64 s[16:17], 7, v65
	v_cmp_eq_u32_e64 s[18:19], 8, v65
	v_cmp_eq_u32_e64 s[20:21], 9, v65
	v_cndmask_b32_e64 v0, v0, v42, s[16:17]
	;; [unrolled: 6-line block ×4, first 2 shown]
	v_cndmask_b32_e64 v0, v0, v14, s[30:31]
	v_cndmask_b32_e64 v0, v0, v15, s[34:35]
	ds_bpermute_b32 v48, v78, v0
	s_waitcnt lgkmcnt(0)
	v_cndmask_b32_e32 v0, v1, v48, vcc
	v_cmp_eq_u32_e32 vcc, 0, v65
	v_cndmask_b32_e64 v4, v15, v48, s[34:35]
	v_cndmask_b32_e64 v15, v47, v48, s[6:7]
	v_cndmask_b32_e32 v1, v38, v48, vcc
	v_cmp_eq_u32_e32 vcc, 1, v66
	v_cndmask_b32_e64 v5, v14, v48, s[30:31]
	v_cndmask_b32_e64 v14, v46, v48, s[8:9]
	;; [unrolled: 4-line block ×7, first 2 shown]
	v_cndmask_b32_e32 v38, v38, v13, vcc
	v_cmp_eq_u32_e32 vcc, 7, v66
	s_nop 1
	v_cndmask_b32_e32 v38, v38, v12, vcc
	v_cmp_eq_u32_e32 vcc, 8, v66
	s_nop 1
	;; [unrolled: 3-line block ×9, first 2 shown]
	v_cndmask_b32_e32 v38, v38, v4, vcc
	ds_bpermute_b32 v38, v78, v38
	v_cmp_lt_i32_e32 vcc, s75, v67
	s_and_saveexec_b64 s[60:61], vcc
	s_cbranch_execz .LBB325_29
; %bb.21:                               ;   in Loop: Header=BB325_7 Depth=1
	s_mul_i32 s6, s73, s37
	s_ashr_i32 s7, s6, 31
	s_lshl_b64 s[6:7], s[6:7], 1
	v_cmp_eq_u32_e64 s[30:31], 1, v66
	s_add_u32 s8, s48, s6
	s_addc_u32 s9, s49, s7
	s_waitcnt lgkmcnt(0)
	v_cndmask_b32_e64 v0, v0, v38, s[30:31]
	v_cmp_eq_u32_e64 s[30:31], 0, v66
	s_ashr_i32 s55, s54, 31
	s_lshl_b64 s[6:7], s[54:55], 1
	v_cndmask_b32_e64 v1, v1, v38, s[30:31]
	v_cvt_f16_f32_e32 v39, v1
	v_cvt_f16_f32_sdwa v41, v0 dst_sel:WORD_1 dst_unused:UNUSED_PAD src0_sel:DWORD
	s_add_u32 s34, s8, s6
	s_addc_u32 s35, s9, s7
	v_cmp_eq_u32_e64 s[8:9], 15, v66
	v_cmp_eq_u32_e64 s[10:11], 14, v66
	;; [unrolled: 1-line block ×10, first 2 shown]
	v_cmp_eq_u32_e32 vcc, 5, v66
	v_cmp_eq_u32_e64 s[6:7], 4, v66
	v_cmp_eq_u32_e64 s[28:29], 3, v66
	;; [unrolled: 1-line block ×3, first 2 shown]
	v_lshl_add_u64 v[0:1], s[34:35], 0, v[16:17]
	v_cmp_lt_i32_e64 s[34:35], s75, v68
	v_lshl_add_u64 v[42:43], v[18:19], 1, v[0:1]
	v_or_b32_e32 v39, v41, v39
	;;#ASMSTART
	global_atomic_pk_add_f16 v[42:43], v39, off
	
	;;#ASMEND
	s_and_b64 exec, exec, s[34:35]
	s_cbranch_execz .LBB325_29
; %bb.22:                               ;   in Loop: Header=BB325_7 Depth=1
	v_cndmask_b32_e64 v14, v14, v38, s[28:29]
	v_cndmask_b32_e64 v15, v15, v38, s[30:31]
	v_cvt_f16_f32_e32 v39, v15
	v_cvt_f16_f32_sdwa v41, v14 dst_sel:WORD_1 dst_unused:UNUSED_PAD src0_sel:DWORD
	v_cndmask_b32_e64 v4, v4, v38, s[8:9]
	v_cndmask_b32_e64 v5, v5, v38, s[10:11]
	;; [unrolled: 1-line block ×10, first 2 shown]
	v_cndmask_b32_e32 v2, v2, v38, vcc
	v_cndmask_b32_e64 v3, v3, v38, s[6:7]
	v_cmp_lt_i32_e32 vcc, s75, v69
	v_lshl_add_u64 v[14:15], v[20:21], 1, v[0:1]
	v_or_b32_e32 v38, v41, v39
	;;#ASMSTART
	global_atomic_pk_add_f16 v[14:15], v38, off
	
	;;#ASMEND
	s_and_b64 exec, exec, vcc
	s_cbranch_execz .LBB325_29
; %bb.23:                               ;   in Loop: Header=BB325_7 Depth=1
	v_cvt_f16_f32_e32 v14, v3
	v_cvt_f16_f32_sdwa v15, v2 dst_sel:WORD_1 dst_unused:UNUSED_PAD src0_sel:DWORD
	v_cmp_lt_i32_e32 vcc, s75, v70
	v_lshl_add_u64 v[2:3], v[22:23], 1, v[0:1]
	v_or_b32_e32 v14, v15, v14
	;;#ASMSTART
	global_atomic_pk_add_f16 v[2:3], v14, off
	
	;;#ASMEND
	s_and_b64 exec, exec, vcc
	s_cbranch_execz .LBB325_29
; %bb.24:                               ;   in Loop: Header=BB325_7 Depth=1
	v_cvt_f16_f32_e32 v13, v13
	v_cvt_f16_f32_sdwa v12, v12 dst_sel:WORD_1 dst_unused:UNUSED_PAD src0_sel:DWORD
	;; [unrolled: 12-line block ×6, first 2 shown]
	v_lshl_add_u64 v[0:1], v[32:33], 1, v[0:1]
	v_or_b32_e32 v2, v3, v2
	;;#ASMSTART
	global_atomic_pk_add_f16 v[0:1], v2, off
	
	;;#ASMEND
.LBB325_29:                             ;   in Loop: Header=BB325_7 Depth=1
	s_or_b64 exec, exec, s[60:61]
	v_subrev_u32_e32 v79, s76, v79
.LBB325_30:                             ;   in Loop: Header=BB325_7 Depth=1
	s_or_b64 exec, exec, s[58:59]
.LBB325_31:                             ;   in Loop: Header=BB325_7 Depth=1
	s_andn2_saveexec_b64 s[6:7], s[56:57]
	s_cbranch_execz .LBB325_40
; %bb.32:                               ;   in Loop: Header=BB325_7 Depth=1
	v_cmp_gt_i32_e32 vcc, s76, v79
	s_and_saveexec_b64 s[8:9], vcc
	s_cbranch_execz .LBB325_39
; %bb.33:                               ;   in Loop: Header=BB325_7 Depth=1
	s_mul_i32 s10, s54, s39
	s_ashr_i32 s11, s10, 31
	s_waitcnt lgkmcnt(0)
	s_add_u32 s10, s46, s10
	s_addc_u32 s11, s47, s11
	s_ashr_i32 s12, s74, 31
	s_add_u32 s10, s10, s74
	s_addc_u32 s11, s11, s12
	v_lshl_add_u64 v[0:1], s[10:11], 0, v[36:37]
	v_lshl_add_u64 v[38:39], v[0:1], 0, v[34:35]
	s_mov_b64 s[10:11], 0
	s_branch .LBB325_35
.LBB325_34:                             ;   in Loop: Header=BB325_35 Depth=2
	s_or_b64 exec, exec, s[12:13]
	v_lshl_add_u32 v42, v40, 12, v75
	;;#ASMSTART
	s_waitcnt vmcnt(3)
	;;#ASMEND
	ds_write2_b32 v42, v12, v13 offset1:32
	ds_write2_b32 v42, v14, v15 offset0:64 offset1:96
	v_add_u32_e32 v12, 0x400, v42
	;;#ASMSTART
	s_waitcnt vmcnt(2)
	;;#ASMEND
	ds_write2_b32 v12, v8, v9 offset1:32
	ds_write2_b32 v12, v10, v11 offset0:64 offset1:96
	v_add_u32_e32 v8, 0x800, v42
	;; [unrolled: 6-line block ×3, first 2 shown]
	v_add_u32_e32 v79, s42, v79
	;;#ASMSTART
	s_waitcnt vmcnt(0)
	;;#ASMEND
	ds_write2_b32 v4, v0, v1 offset1:32
	ds_write2_b32 v4, v2, v3 offset0:64 offset1:96
	v_add_u32_e32 v0, 1, v55
	v_add_u32_e32 v40, s42, v40
	v_cmp_le_i32_e32 vcc, s76, v79
	ds_write_b32 v41, v0 offset:48
	v_add_u32_e32 v0, 2, v55
	s_or_b64 s[10:11], vcc, s[10:11]
	v_cmp_lt_i32_e32 vcc, 2, v40
	s_nop 1
	v_cndmask_b32_e32 v55, v55, v0, vcc
	s_andn2_b64 exec, exec, s[10:11]
	s_cbranch_execz .LBB325_38
.LBB325_35:                             ;   Parent Loop BB325_7 Depth=1
                                        ; =>  This Loop Header: Depth=2
                                        ;       Child Loop BB325_37 Depth 3
	v_cmp_gt_i32_e32 vcc, 3, v40
	s_nop 1
	v_cndmask_b32_e64 v0, -3, 0, vcc
	v_add_u32_e32 v40, v0, v40
	v_lshlrev_b32_e32 v0, 7, v79
	v_ashrrev_i32_e32 v1, 31, v0
	v_lshl_add_u64 v[0:1], v[38:39], 0, v[0:1]
	v_lshlrev_b32_e32 v41, 2, v40
	;;#ASMSTART
	global_load_dwordx4 v[12:15], v[0:1], off offset:0   sc0 sc1 nt  
	global_load_dwordx4 v[8:11], v[0:1], off offset:32  sc0 sc1 nt  
	global_load_dwordx4 v[4:7], v[0:1], off offset:64  sc0 sc1 nt  
	;; [unrolled: 1-line block ×3, first 2 shown]
	
	;;#ASMEND
	ds_read_b32 v42, v41 offset:61488
	v_add_u32_e32 v41, 0xf000, v41
	s_waitcnt lgkmcnt(0)
	v_cmp_ne_u32_e32 vcc, v42, v55
	s_and_saveexec_b64 s[12:13], vcc
	s_cbranch_execz .LBB325_34
; %bb.36:                               ;   in Loop: Header=BB325_35 Depth=2
	s_mov_b64 s[14:15], 0
.LBB325_37:                             ;   Parent Loop BB325_7 Depth=1
                                        ;     Parent Loop BB325_35 Depth=2
                                        ; =>    This Inner Loop Header: Depth=3
	;;#ASMSTART
	s_sleep 0
	;;#ASMEND
	ds_read_b32 v42, v41 offset:48
	s_waitcnt lgkmcnt(0)
	v_cmp_eq_u32_e32 vcc, v42, v55
	s_or_b64 s[14:15], vcc, s[14:15]
	s_andn2_b64 exec, exec, s[14:15]
	s_cbranch_execnz .LBB325_37
	s_branch .LBB325_34
.LBB325_38:                             ;   in Loop: Header=BB325_7 Depth=1
	s_or_b64 exec, exec, s[10:11]
.LBB325_39:                             ;   in Loop: Header=BB325_7 Depth=1
	s_or_b64 exec, exec, s[8:9]
	v_subrev_u32_e32 v79, s76, v79
.LBB325_40:                             ;   in Loop: Header=BB325_7 Depth=1
	s_or_b64 exec, exec, s[6:7]
.LBB325_41:                             ;   in Loop: Header=BB325_7 Depth=1
	s_andn2_saveexec_b64 s[6:7], s[52:53]
	s_cbranch_execz .LBB325_6
; %bb.42:                               ;   in Loop: Header=BB325_7 Depth=1
	s_lshl_b32 s16, s76, 2
	v_cmp_gt_i32_e32 vcc, s16, v79
	s_and_saveexec_b64 s[8:9], vcc
	s_cbranch_execz .LBB325_5
; %bb.43:                               ;   in Loop: Header=BB325_7 Depth=1
	s_mul_i32 s73, s73, s38
	s_max_i32 s12, s75, 0
	s_ashr_i32 s10, s73, 31
	s_waitcnt lgkmcnt(0)
	s_add_u32 s11, s44, s73
	v_add_u32_e32 v2, s12, v56
	s_addc_u32 s13, s45, s10
	s_ashr_i32 s14, s74, 31
	v_cmp_gt_u32_e32 vcc, s72, v2
	s_add_u32 s10, s11, s74
	s_addc_u32 s11, s13, s14
	v_cndmask_b32_e32 v0, 0, v76, vcc
	v_ashrrev_i32_e32 v1, 31, v0
	v_lshl_add_u64 v[0:1], s[10:11], 0, v[0:1]
	v_lshl_add_u64 v[38:39], v[0:1], 0, v[34:35]
	v_sub_u32_e32 v41, 0x7f, v2
	s_mov_b64 s[10:11], 0
	s_branch .LBB325_45
.LBB325_44:                             ;   in Loop: Header=BB325_45 Depth=2
	s_or_b64 exec, exec, s[12:13]
	v_lshl_or_b32 v43, v40, 12, v77
	;;#ASMSTART
	s_waitcnt vmcnt(3)
	;;#ASMEND
	ds_write2_b32 v43, v12, v13 offset1:32
	ds_write2_b32 v43, v14, v15 offset0:64 offset1:96
	v_add_u32_e32 v12, 0x400, v43
	;;#ASMSTART
	s_waitcnt vmcnt(2)
	;;#ASMEND
	ds_write2_b32 v12, v8, v9 offset1:32
	ds_write2_b32 v12, v10, v11 offset0:64 offset1:96
	v_add_u32_e32 v8, 0x800, v43
	;;#ASMSTART
	s_waitcnt vmcnt(1)
	;;#ASMEND
	ds_write2_b32 v8, v4, v5 offset1:32
	ds_write2_b32 v8, v6, v7 offset0:64 offset1:96
	v_add_u32_e32 v4, 0xc00, v43
	v_add_u32_e32 v79, s41, v79
	;;#ASMSTART
	s_waitcnt vmcnt(0)
	;;#ASMEND
	ds_write2_b32 v4, v0, v1 offset1:32
	ds_write2_b32 v4, v2, v3 offset0:64 offset1:96
	v_add_u32_e32 v0, 1, v55
	v_add_u32_e32 v40, s41, v40
	v_cmp_le_i32_e32 vcc, s16, v79
	ds_write_b32 v42, v0
	v_add_u32_e32 v0, 2, v55
	s_or_b64 s[10:11], vcc, s[10:11]
	v_cmp_lt_i32_e32 vcc, 11, v40
	s_nop 1
	v_cndmask_b32_e32 v55, v55, v0, vcc
	s_andn2_b64 exec, exec, s[10:11]
	s_cbranch_execz .LBB325_4
.LBB325_45:                             ;   Parent Loop BB325_7 Depth=1
                                        ; =>  This Loop Header: Depth=2
                                        ;       Child Loop BB325_47 Depth 3
	v_cmp_gt_i32_e32 vcc, 12, v40
	s_nop 1
	v_cndmask_b32_e64 v0, -12, 0, vcc
	v_add_u32_e32 v40, v0, v40
	v_ashrrev_i32_e32 v0, 31, v79
	v_lshrrev_b32_e32 v0, 30, v0
	v_add_u32_e32 v0, v79, v0
	v_and_b32_e32 v1, 0x7fffffc, v0
	v_sub_u32_e32 v1, v79, v1
	v_lshlrev_b32_e32 v1, 5, v1
	v_cmp_le_i32_e32 vcc, v1, v41
	v_lshlrev_b32_e32 v0, 5, v0
	v_and_b32_e32 v0, 0xffffff80, v0
	v_cndmask_b32_e32 v2, 0, v1, vcc
	v_ashrrev_i32_e32 v1, 31, v0
	v_mul_lo_u32 v2, v2, s38
	v_lshl_add_u64 v[0:1], v[38:39], 0, v[0:1]
	v_ashrrev_i32_e32 v3, 31, v2
	v_lshl_add_u64 v[0:1], v[0:1], 0, v[2:3]
	v_lshlrev_b32_e32 v42, 2, v40
	;;#ASMSTART
	global_load_dwordx4 v[12:15], v[0:1], off offset:0   
	global_load_dwordx4 v[8:11], v[0:1], off offset:32  
	;; [unrolled: 1-line block ×4, first 2 shown]
	
	;;#ASMEND
	ds_read_b32 v43, v42 offset:61440
	v_add_u32_e32 v42, 0xf000, v42
	s_waitcnt lgkmcnt(0)
	v_cmp_ne_u32_e32 vcc, v43, v55
	s_and_saveexec_b64 s[12:13], vcc
	s_cbranch_execz .LBB325_44
; %bb.46:                               ;   in Loop: Header=BB325_45 Depth=2
	s_mov_b64 s[14:15], 0
.LBB325_47:                             ;   Parent Loop BB325_7 Depth=1
                                        ;     Parent Loop BB325_45 Depth=2
                                        ; =>    This Inner Loop Header: Depth=3
	;;#ASMSTART
	s_sleep 0
	;;#ASMEND
	ds_read_b32 v43, v42
	s_waitcnt lgkmcnt(0)
	v_cmp_eq_u32_e32 vcc, v43, v55
	s_or_b64 s[14:15], vcc, s[14:15]
	s_andn2_b64 exec, exec, s[14:15]
	s_cbranch_execnz .LBB325_47
	s_branch .LBB325_44
.LBB325_48:
	s_endpgm
	.section	.rodata,"a",@progbits
	.p2align	6, 0x0
	.amdhsa_kernel _Z19_skinny_gemm_kernelILi4ELi1ELi3ELi32ELi8EEvPKhS1_P6__halfPKfiiiiiiii
		.amdhsa_group_segment_fixed_size 61500
		.amdhsa_private_segment_fixed_size 0
		.amdhsa_kernarg_size 64
		.amdhsa_user_sgpr_count 2
		.amdhsa_user_sgpr_dispatch_ptr 0
		.amdhsa_user_sgpr_queue_ptr 0
		.amdhsa_user_sgpr_kernarg_segment_ptr 1
		.amdhsa_user_sgpr_dispatch_id 0
		.amdhsa_user_sgpr_kernarg_preload_length 0
		.amdhsa_user_sgpr_kernarg_preload_offset 0
		.amdhsa_user_sgpr_private_segment_size 0
		.amdhsa_uses_dynamic_stack 0
		.amdhsa_enable_private_segment 0
		.amdhsa_system_sgpr_workgroup_id_x 1
		.amdhsa_system_sgpr_workgroup_id_y 0
		.amdhsa_system_sgpr_workgroup_id_z 0
		.amdhsa_system_sgpr_workgroup_info 0
		.amdhsa_system_vgpr_workitem_id 0
		.amdhsa_next_free_vgpr 87
		.amdhsa_next_free_sgpr 77
		.amdhsa_accum_offset 88
		.amdhsa_reserve_vcc 1
		.amdhsa_float_round_mode_32 0
		.amdhsa_float_round_mode_16_64 0
		.amdhsa_float_denorm_mode_32 3
		.amdhsa_float_denorm_mode_16_64 3
		.amdhsa_dx10_clamp 1
		.amdhsa_ieee_mode 1
		.amdhsa_fp16_overflow 0
		.amdhsa_tg_split 0
		.amdhsa_exception_fp_ieee_invalid_op 0
		.amdhsa_exception_fp_denorm_src 0
		.amdhsa_exception_fp_ieee_div_zero 0
		.amdhsa_exception_fp_ieee_overflow 0
		.amdhsa_exception_fp_ieee_underflow 0
		.amdhsa_exception_fp_ieee_inexact 0
		.amdhsa_exception_int_div_zero 0
	.end_amdhsa_kernel
	.section	.text._Z19_skinny_gemm_kernelILi4ELi1ELi3ELi32ELi8EEvPKhS1_P6__halfPKfiiiiiiii,"axG",@progbits,_Z19_skinny_gemm_kernelILi4ELi1ELi3ELi32ELi8EEvPKhS1_P6__halfPKfiiiiiiii,comdat
.Lfunc_end325:
	.size	_Z19_skinny_gemm_kernelILi4ELi1ELi3ELi32ELi8EEvPKhS1_P6__halfPKfiiiiiiii, .Lfunc_end325-_Z19_skinny_gemm_kernelILi4ELi1ELi3ELi32ELi8EEvPKhS1_P6__halfPKfiiiiiiii
                                        ; -- End function
	.set _Z19_skinny_gemm_kernelILi4ELi1ELi3ELi32ELi8EEvPKhS1_P6__halfPKfiiiiiiii.num_vgpr, 87
	.set _Z19_skinny_gemm_kernelILi4ELi1ELi3ELi32ELi8EEvPKhS1_P6__halfPKfiiiiiiii.num_agpr, 0
	.set _Z19_skinny_gemm_kernelILi4ELi1ELi3ELi32ELi8EEvPKhS1_P6__halfPKfiiiiiiii.numbered_sgpr, 77
	.set _Z19_skinny_gemm_kernelILi4ELi1ELi3ELi32ELi8EEvPKhS1_P6__halfPKfiiiiiiii.num_named_barrier, 0
	.set _Z19_skinny_gemm_kernelILi4ELi1ELi3ELi32ELi8EEvPKhS1_P6__halfPKfiiiiiiii.private_seg_size, 0
	.set _Z19_skinny_gemm_kernelILi4ELi1ELi3ELi32ELi8EEvPKhS1_P6__halfPKfiiiiiiii.uses_vcc, 1
	.set _Z19_skinny_gemm_kernelILi4ELi1ELi3ELi32ELi8EEvPKhS1_P6__halfPKfiiiiiiii.uses_flat_scratch, 0
	.set _Z19_skinny_gemm_kernelILi4ELi1ELi3ELi32ELi8EEvPKhS1_P6__halfPKfiiiiiiii.has_dyn_sized_stack, 0
	.set _Z19_skinny_gemm_kernelILi4ELi1ELi3ELi32ELi8EEvPKhS1_P6__halfPKfiiiiiiii.has_recursion, 0
	.set _Z19_skinny_gemm_kernelILi4ELi1ELi3ELi32ELi8EEvPKhS1_P6__halfPKfiiiiiiii.has_indirect_call, 0
	.section	.AMDGPU.csdata,"",@progbits
; Kernel info:
; codeLenInByte = 6424
; TotalNumSgprs: 83
; NumVgprs: 87
; NumAgprs: 0
; TotalNumVgprs: 87
; ScratchSize: 0
; MemoryBound: 0
; FloatMode: 240
; IeeeMode: 1
; LDSByteSize: 61500 bytes/workgroup (compile time only)
; SGPRBlocks: 10
; VGPRBlocks: 10
; NumSGPRsForWavesPerEU: 83
; NumVGPRsForWavesPerEU: 87
; AccumOffset: 88
; Occupancy: 5
; WaveLimiterHint : 0
; COMPUTE_PGM_RSRC2:SCRATCH_EN: 0
; COMPUTE_PGM_RSRC2:USER_SGPR: 2
; COMPUTE_PGM_RSRC2:TRAP_HANDLER: 0
; COMPUTE_PGM_RSRC2:TGID_X_EN: 1
; COMPUTE_PGM_RSRC2:TGID_Y_EN: 0
; COMPUTE_PGM_RSRC2:TGID_Z_EN: 0
; COMPUTE_PGM_RSRC2:TIDIG_COMP_CNT: 0
; COMPUTE_PGM_RSRC3_GFX90A:ACCUM_OFFSET: 21
; COMPUTE_PGM_RSRC3_GFX90A:TG_SPLIT: 0
	.section	.text._Z19_skinny_gemm_kernelILi4ELi1ELi4ELi16ELi4EEvPKhS1_P6__halfPKfiiiiiiii,"axG",@progbits,_Z19_skinny_gemm_kernelILi4ELi1ELi4ELi16ELi4EEvPKhS1_P6__halfPKfiiiiiiii,comdat
	.protected	_Z19_skinny_gemm_kernelILi4ELi1ELi4ELi16ELi4EEvPKhS1_P6__halfPKfiiiiiiii ; -- Begin function _Z19_skinny_gemm_kernelILi4ELi1ELi4ELi16ELi4EEvPKhS1_P6__halfPKfiiiiiiii
	.globl	_Z19_skinny_gemm_kernelILi4ELi1ELi4ELi16ELi4EEvPKhS1_P6__halfPKfiiiiiiii
	.p2align	8
	.type	_Z19_skinny_gemm_kernelILi4ELi1ELi4ELi16ELi4EEvPKhS1_P6__halfPKfiiiiiiii,@function
_Z19_skinny_gemm_kernelILi4ELi1ELi4ELi16ELi4EEvPKhS1_P6__halfPKfiiiiiiii: ; @_Z19_skinny_gemm_kernelILi4ELi1ELi4ELi16ELi4EEvPKhS1_P6__halfPKfiiiiiiii
; %bb.0:
	v_cmp_gt_u32_e32 vcc, 20, v0
	v_lshlrev_b32_e32 v1, 2, v0
	s_and_saveexec_b64 s[4:5], vcc
; %bb.1:
	v_mov_b32_e32 v2, 0
	ds_write_b32 v1, v2 offset:40960
; %bb.2:
	s_or_b64 exec, exec, s[4:5]
	s_load_dwordx8 s[12:19], s[0:1], 0x20
	s_waitcnt lgkmcnt(0)
	s_barrier
	s_add_i32 s3, s12, 63
	s_ashr_i32 s5, s3, 31
	s_add_i32 s4, s13, 15
	s_lshr_b32 s5, s5, 26
	s_ashr_i32 s6, s4, 31
	s_add_i32 s3, s3, s5
	s_ashr_i32 s33, s3, 6
	s_lshr_b32 s3, s6, 28
	s_add_i32 s4, s4, s3
	s_ashr_i32 s42, s4, 4
	s_mul_i32 s3, s42, s33
	s_mul_i32 s3, s3, s16
	s_add_i32 s4, s3, 0x12f
	s_mul_hi_i32 s4, s4, 0x6bca1af3
	s_lshr_b32 s5, s4, 31
	s_ashr_i32 s4, s4, 7
	s_add_i32 s4, s4, s5
	s_add_i32 s5, s2, 1
	s_mul_i32 s5, s4, s5
	v_cvt_f64_i32_e32 v[2:3], s3
	v_cvt_f64_u32_e32 v[4:5], s5
	v_min_f64 v[2:3], v[2:3], v[4:5]
	v_cvt_i32_f64_e32 v17, v[2:3]
	s_mul_i32 s43, s4, s2
	v_cmp_ge_i32_e32 vcc, s43, v17
	s_cbranch_vccnz .LBB326_57
; %bb.3:
	v_lshrrev_b32_e32 v2, 6, v0
	s_add_i32 s4, s18, s17
	s_load_dwordx8 s[20:27], s[0:1], 0x0
	v_cmp_le_i32_e64 s[0:1], s4, v2
	v_mov_b32_e32 v3, s17
	v_cmp_le_i32_e64 s[2:3], s17, v2
	v_mov_b32_e32 v4, s18
	v_cndmask_b32_e64 v4, 0, v4, s[0:1]
	v_cndmask_b32_e64 v3, 0, v3, s[2:3]
	s_abs_i32 s5, s16
	v_add_u32_e32 v3, v3, v4
	v_cvt_f32_u32_e32 v4, s5
	v_sub_u32_e32 v34, v2, v3
	s_ashr_i32 s6, s14, 31
	s_lshr_b32 s6, s6, 25
	v_rcp_iflag_f32_e32 v3, v4
	s_sub_i32 s9, 0, s5
	s_add_i32 s6, s14, s6
	s_ashr_i32 s6, s6, 7
	v_mul_f32_e32 v3, 0x4f7ffffe, v3
	v_cvt_u32_f32_e32 v3, v3
	s_abs_i32 s8, s6
	s_xor_b32 s7, s6, s16
	s_ashr_i32 s7, s7, 31
	v_readfirstlane_b32 s10, v3
	s_mul_i32 s9, s9, s10
	s_mul_hi_u32 s9, s10, s9
	s_add_i32 s10, s10, s9
	s_mul_hi_u32 s9, s8, s10
	s_mul_i32 s10, s9, s5
	s_sub_i32 s8, s8, s10
	s_add_i32 s10, s9, 1
	s_sub_i32 s11, s8, s5
	s_cmp_ge_u32 s8, s5
	s_cselect_b32 s9, s10, s9
	s_cselect_b32 s8, s11, s8
	s_add_i32 s10, s9, 1
	s_cmp_ge_u32 s8, s5
	s_cselect_b32 s5, s10, s9
	s_xor_b32 s5, s5, s7
	s_sub_i32 s44, s5, s7
	s_add_i32 s16, s16, -1
	s_mul_i32 s5, s44, s16
	s_add_i32 s4, s4, s19
	s_sub_i32 s45, s6, s5
	v_cmp_gt_i32_e64 s[4:5], s4, v2
	v_lshlrev_b32_e32 v2, 1, v0
	v_lshlrev_b32_e32 v3, 4, v0
	v_and_b32_e32 v1, 60, v1
	v_and_b32_e32 v2, 64, v2
	;; [unrolled: 1-line block ×3, first 2 shown]
	v_or3_b32 v39, v1, v2, v4
	v_and_b32_e32 v1, 1, v0
	v_lshrrev_b32_e32 v4, 2, v0
	s_abs_i32 s46, s33
	v_and_or_b32 v42, v4, 12, v1
	v_cvt_f32_u32_e32 v4, s46
	v_lshlrev_b32_e32 v2, 1, v1
	v_and_b32_e32 v16, 14, v0
	v_sub_u32_e32 v2, v0, v2
	v_bitop3_b32 v40, v0, 1, v0 bitop3:0xc
	v_bitop3_b32 v41, v0, 3, 1 bitop3:0x6c
	v_and_b32_e32 v26, 48, v3
	v_bfe_u32 v44, v0, 2, 4
	v_and_b32_e32 v1, 60, v0
	v_lshlrev_b32_e32 v3, 8, v0
	v_lshlrev_b32_e32 v0, 6, v0
	v_and_b32_e32 v3, 0x200, v3
	v_and_b32_e32 v0, 64, v0
	v_rcp_iflag_f32_e32 v4, v4
	s_abs_i32 s47, s42
	v_or3_b32 v45, v1, v3, v0
	v_cvt_f32_u32_e32 v1, s47
	v_mul_f32_e32 v0, 0x4f7ffffe, v4
	v_cvt_u32_f32_e32 v0, v0
	v_mad_u64_u32 v[18:19], s[6:7], s13, v42, v[16:17]
	v_rcp_iflag_f32_e32 v1, v1
	s_lshl_b32 s6, s13, 4
	v_add_u32_e32 v20, s6, v18
	v_readfirstlane_b32 s7, v0
	v_mul_f32_e32 v0, 0x4f7ffffe, v1
	v_add_u32_e32 v22, s6, v20
	v_cvt_u32_f32_e32 v0, v0
	v_add_u32_e32 v24, s6, v22
	s_sub_i32 s6, 0, s46
	s_mul_i32 s6, s6, s7
	s_mul_hi_u32 s6, s7, s6
	v_add_u32_e32 v2, 1, v2
	s_add_i32 s49, s7, s6
	s_sub_i32 s6, 0, s47
	v_readfirstlane_b32 s7, v0
	v_mbcnt_lo_u32_b32 v0, -1, 0
	v_and_b32_e32 v2, 63, v2
	s_mul_i32 s6, s6, s7
	v_mbcnt_hi_u32_b32 v0, -1, v0
	v_mul_lo_u32 v28, s15, v44
	s_mul_hi_u32 s6, s7, s6
	v_and_or_b32 v0, v0, 64, v2
	v_cndmask_b32_e64 v38, 0, 1, s[0:1]
	s_ashr_i32 s11, s13, 31
	s_mov_b32 s10, s13
	v_ashrrev_i32_e32 v19, 31, v18
	v_ashrrev_i32_e32 v21, 31, v20
	;; [unrolled: 1-line block ×3, first 2 shown]
	v_or_b32_e32 v43, 48, v42
	v_ashrrev_i32_e32 v25, 31, v24
	v_ashrrev_i32_e32 v29, 31, v28
	v_mov_b32_e32 v27, 0
	v_or_b32_e32 v46, 0x8000, v45
	v_mul_lo_u32 v47, s14, v44
	s_ashr_i32 s48, s33, 31
	s_ashr_i32 s50, s42, 31
	s_add_i32 s51, s7, s6
	v_lshlrev_b32_e32 v48, 2, v0
	v_mov_b32_e32 v49, v34
	s_branch .LBB326_7
.LBB326_4:                              ;   in Loop: Header=BB326_7 Depth=1
	s_or_b64 exec, exec, s[28:29]
.LBB326_5:                              ;   in Loop: Header=BB326_7 Depth=1
	s_or_b64 exec, exec, s[8:9]
	v_subrev_u32_e32 v49, s36, v49
.LBB326_6:                              ;   in Loop: Header=BB326_7 Depth=1
	s_or_b64 exec, exec, s[6:7]
	s_add_i32 s43, s43, 1
	v_cmp_ge_i32_e32 vcc, s43, v17
	s_cbranch_vccnz .LBB326_57
.LBB326_7:                              ; =>This Loop Header: Depth=1
                                        ;     Child Loop BB326_13 Depth 2
                                        ;       Child Loop BB326_15 Depth 3
                                        ;       Child Loop BB326_18 Depth 3
	;; [unrolled: 1-line block ×5, first 2 shown]
                                        ;     Child Loop BB326_44 Depth 2
                                        ;       Child Loop BB326_46 Depth 3
                                        ;     Child Loop BB326_54 Depth 2
                                        ;       Child Loop BB326_56 Depth 3
	s_abs_i32 s7, s43
	s_mul_hi_u32 s8, s7, s49
	s_mul_i32 s9, s8, s46
	s_ashr_i32 s6, s43, 31
	s_sub_i32 s7, s7, s9
	s_xor_b32 s6, s6, s48
	s_add_i32 s9, s8, 1
	s_sub_i32 s28, s7, s46
	s_cmp_ge_u32 s7, s46
	s_cselect_b32 s8, s9, s8
	s_cselect_b32 s7, s28, s7
	s_add_i32 s9, s8, 1
	s_cmp_ge_u32 s7, s46
	s_cselect_b32 s7, s9, s8
	s_xor_b32 s7, s7, s6
	s_sub_i32 s6, s7, s6
	s_abs_i32 s8, s6
	s_mul_i32 s7, s6, s33
	s_mul_hi_u32 s9, s8, s51
	s_sub_i32 s7, s43, s7
	s_mul_i32 s28, s9, s47
	s_lshl_b32 s52, s7, 6
	s_ashr_i32 s7, s6, 31
	s_sub_i32 s8, s8, s28
	s_xor_b32 s7, s7, s50
	s_add_i32 s28, s9, 1
	s_sub_i32 s29, s8, s47
	s_cmp_ge_u32 s8, s47
	s_cselect_b32 s9, s28, s9
	s_cselect_b32 s8, s29, s8
	s_add_i32 s28, s9, 1
	s_cmp_ge_u32 s8, s47
	s_cselect_b32 s8, s28, s9
	s_xor_b32 s8, s8, s7
	s_sub_i32 s7, s8, s7
	s_mul_i32 s8, s7, s44
	s_lshl_b32 s53, s8, 7
	s_cmp_eq_u32 s7, s16
	s_cselect_b32 s55, s45, s44
	s_sub_i32 s8, s52, s12
	s_add_i32 s8, s8, 64
	s_max_i32 s54, s8, 0
	s_and_saveexec_b64 s[8:9], s[2:3]
	s_xor_b64 s[28:29], exec, s[8:9]
	s_cbranch_execz .LBB326_50
; %bb.8:                                ;   in Loop: Header=BB326_7 Depth=1
	s_mul_i32 s7, s7, s42
	s_sub_i32 s6, s6, s7
	s_lshl_b32 s6, s6, 4
	s_sub_i32 s31, s6, s13
	s_add_i32 s31, s31, 16
	s_max_i32 s7, s31, 0
	s_sub_i32 s30, s6, s7
	s_and_saveexec_b64 s[6:7], s[0:1]
	s_xor_b64 s[34:35], exec, s[6:7]
	s_cbranch_execz .LBB326_40
; %bb.9:                                ;   in Loop: Header=BB326_7 Depth=1
	s_and_saveexec_b64 s[36:37], s[4:5]
	s_cbranch_execz .LBB326_39
; %bb.10:                               ;   in Loop: Header=BB326_7 Depth=1
	s_waitcnt lgkmcnt(0)
	global_load_dword v50, v27, s[26:27]
	v_mov_b32_e32 v15, 0
	v_cmp_gt_i32_e32 vcc, s55, v49
	v_mov_b32_e32 v14, v15
	v_mov_b32_e32 v13, v15
	v_mov_b32_e32 v12, v15
	v_mov_b32_e32 v11, v15
	v_mov_b32_e32 v10, v15
	v_mov_b32_e32 v9, v15
	v_mov_b32_e32 v8, v15
	v_mov_b32_e32 v7, v15
	v_mov_b32_e32 v6, v15
	v_mov_b32_e32 v5, v15
	v_mov_b32_e32 v4, v15
	v_mov_b32_e32 v3, v15
	v_mov_b32_e32 v2, v15
	v_mov_b32_e32 v1, v15
	v_mov_b32_e32 v0, v15
	s_and_saveexec_b64 s[6:7], vcc
	s_cbranch_execz .LBB326_29
; %bb.11:                               ;   in Loop: Header=BB326_7 Depth=1
	v_mov_b32_e32 v0, 0
	s_mov_b64 s[8:9], 0
	v_mov_b32_e32 v1, v0
	v_mov_b32_e32 v2, v0
	;; [unrolled: 1-line block ×15, first 2 shown]
	s_branch .LBB326_13
.LBB326_12:                             ;   in Loop: Header=BB326_13 Depth=2
	s_or_b64 exec, exec, s[38:39]
	v_add_u32_e32 v55, 0x1800, v54
	ds_read2_b32 v[56:57], v55 offset1:32
	ds_read2_b32 v[58:59], v55 offset0:128 offset1:160
	v_add_u32_e32 v60, 0x1c00, v54
	ds_read2_b32 v[54:55], v60 offset1:32
	v_add_u32_e32 v49, s19, v49
	s_waitcnt lgkmcnt(2)
	v_mfma_f32_16x16x32_fp8_fp8 v[0:3], v[56:57], v[34:35], v[0:3]
	v_add_u32_e32 v34, s19, v51
	v_cmp_le_i32_e32 vcc, s55, v49
	v_add_u32_e32 v35, 2, v38
	s_waitcnt lgkmcnt(1)
	v_mfma_f32_16x16x32_fp8_fp8 v[0:3], v[58:59], v[36:37], v[0:3]
	ds_read2_b32 v[36:37], v60 offset0:128 offset1:160
	s_or_b64 s[8:9], vcc, s[8:9]
	v_cmp_lt_i32_e32 vcc, 3, v34
	s_waitcnt lgkmcnt(1)
	v_mfma_f32_16x16x32_fp8_fp8 v[0:3], v[54:55], v[32:33], v[0:3]
	;;#ASMSTART
	s_waitcnt lgkmcnt(0)
	;;#ASMEND
	ds_write_b32 v53, v52 offset:40972
	v_cndmask_b32_e32 v38, v38, v35, vcc
	s_waitcnt lgkmcnt(1)
	v_mfma_f32_16x16x32_fp8_fp8 v[0:3], v[36:37], v[30:31], v[0:3]
	s_andn2_b64 exec, exec, s[8:9]
	s_cbranch_execz .LBB326_28
.LBB326_13:                             ;   Parent Loop BB326_7 Depth=1
                                        ; =>  This Loop Header: Depth=2
                                        ;       Child Loop BB326_15 Depth 3
                                        ;       Child Loop BB326_18 Depth 3
	;; [unrolled: 1-line block ×5, first 2 shown]
	v_cmp_gt_i32_e32 vcc, 4, v34
	s_nop 1
	v_cndmask_b32_e64 v30, -4, 0, vcc
	v_add_u32_e32 v51, v30, v34
	v_lshlrev_b32_e32 v30, 2, v51
	ds_read_b32 v31, v30 offset:41024
	v_add_u32_e32 v53, 0xa000, v30
	s_waitcnt lgkmcnt(0)
	v_cmp_ne_u32_e32 vcc, v31, v38
	s_and_saveexec_b64 s[38:39], vcc
	s_cbranch_execz .LBB326_16
; %bb.14:                               ;   in Loop: Header=BB326_13 Depth=2
	s_mov_b64 s[40:41], 0
.LBB326_15:                             ;   Parent Loop BB326_7 Depth=1
                                        ;     Parent Loop BB326_13 Depth=2
                                        ; =>    This Inner Loop Header: Depth=3
	;;#ASMSTART
	s_sleep 0
	;;#ASMEND
	ds_read_b32 v30, v53 offset:64
	s_waitcnt lgkmcnt(0)
	v_cmp_eq_u32_e32 vcc, v30, v38
	s_or_b64 s[40:41], vcc, s[40:41]
	s_andn2_b64 exec, exec, s[40:41]
	s_cbranch_execnz .LBB326_15
.LBB326_16:                             ;   in Loop: Header=BB326_13 Depth=2
	s_or_b64 exec, exec, s[38:39]
	v_or_b32_e32 v30, 0x8000, v39
	v_lshl_add_u32 v30, v51, 11, v30
	ds_read2_b32 v[34:35], v30 offset1:32
	ds_read2_b32 v[36:37], v30 offset0:128 offset1:160
	v_add_u32_e32 v30, 0x400, v30
	v_add_u32_e32 v52, 1, v38
	ds_read2_b32 v[32:33], v30 offset1:32
	ds_read2_b32 v[30:31], v30 offset0:128 offset1:160
	;;#ASMSTART
	s_waitcnt lgkmcnt(0)
	;;#ASMEND
	ds_write_b32 v53, v52 offset:64
	v_lshlrev_b32_e32 v53, 4, v51
	ds_read_b32 v54, v53 offset:40960
	s_waitcnt lgkmcnt(0)
	v_cmp_ne_u32_e32 vcc, v54, v38
	s_and_saveexec_b64 s[38:39], vcc
	s_cbranch_execz .LBB326_19
; %bb.17:                               ;   in Loop: Header=BB326_13 Depth=2
	s_mov_b64 s[40:41], 0
.LBB326_18:                             ;   Parent Loop BB326_7 Depth=1
                                        ;     Parent Loop BB326_13 Depth=2
                                        ; =>    This Inner Loop Header: Depth=3
	;;#ASMSTART
	s_sleep 0
	;;#ASMEND
	ds_read_b32 v54, v53 offset:40960
	s_waitcnt lgkmcnt(0)
	v_cmp_eq_u32_e32 vcc, v54, v38
	s_or_b64 s[40:41], vcc, s[40:41]
	s_andn2_b64 exec, exec, s[40:41]
	s_cbranch_execnz .LBB326_18
.LBB326_19:                             ;   in Loop: Header=BB326_13 Depth=2
	s_or_b64 exec, exec, s[38:39]
	v_lshlrev_b32_e32 v54, 13, v51
	v_or_b32_e32 v55, v39, v54
	ds_read2_b32 v[56:57], v55 offset1:32
	ds_read2_b32 v[58:59], v55 offset0:128 offset1:160
	v_add_u32_e32 v55, 0x400, v55
	s_waitcnt lgkmcnt(1)
	v_mfma_f32_16x16x32_fp8_fp8 v[12:15], v[56:57], v[34:35], v[12:15]
	ds_read2_b32 v[56:57], v55 offset1:32
	s_waitcnt lgkmcnt(1)
	v_mfma_f32_16x16x32_fp8_fp8 v[12:15], v[58:59], v[36:37], v[12:15]
	ds_read2_b32 v[58:59], v55 offset0:128 offset1:160
	;;#ASMSTART
	s_waitcnt lgkmcnt(0)
	;;#ASMEND
	ds_read_b32 v55, v53 offset:40964
	ds_write_b32 v53, v52 offset:40960
	s_waitcnt lgkmcnt(3)
	v_mfma_f32_16x16x32_fp8_fp8 v[12:15], v[56:57], v[32:33], v[12:15]
	s_waitcnt lgkmcnt(1)
	v_cmp_ne_u32_e32 vcc, v55, v38
	v_mfma_f32_16x16x32_fp8_fp8 v[12:15], v[58:59], v[30:31], v[12:15]
	s_and_saveexec_b64 s[38:39], vcc
	s_cbranch_execz .LBB326_22
; %bb.20:                               ;   in Loop: Header=BB326_13 Depth=2
	s_mov_b64 s[40:41], 0
.LBB326_21:                             ;   Parent Loop BB326_7 Depth=1
                                        ;     Parent Loop BB326_13 Depth=2
                                        ; =>    This Inner Loop Header: Depth=3
	;;#ASMSTART
	s_sleep 0
	;;#ASMEND
	ds_read_b32 v55, v53 offset:40964
	s_waitcnt lgkmcnt(0)
	v_cmp_eq_u32_e32 vcc, v55, v38
	s_or_b64 s[40:41], vcc, s[40:41]
	s_andn2_b64 exec, exec, s[40:41]
	s_cbranch_execnz .LBB326_21
.LBB326_22:                             ;   in Loop: Header=BB326_13 Depth=2
	s_or_b64 exec, exec, s[38:39]
	v_add_u32_e32 v54, v39, v54
	v_add_u32_e32 v55, 0x800, v54
	ds_read2_b32 v[56:57], v55 offset1:32
	ds_read2_b32 v[58:59], v55 offset0:128 offset1:160
	v_add_u32_e32 v55, 0xc00, v54
	s_waitcnt lgkmcnt(1)
	v_mfma_f32_16x16x32_fp8_fp8 v[8:11], v[56:57], v[34:35], v[8:11]
	ds_read2_b32 v[56:57], v55 offset1:32
	s_waitcnt lgkmcnt(1)
	v_mfma_f32_16x16x32_fp8_fp8 v[8:11], v[58:59], v[36:37], v[8:11]
	ds_read2_b32 v[58:59], v55 offset0:128 offset1:160
	;;#ASMSTART
	s_waitcnt lgkmcnt(0)
	;;#ASMEND
	ds_read_b32 v55, v53 offset:40968
	ds_write_b32 v53, v52 offset:40964
	s_waitcnt lgkmcnt(3)
	v_mfma_f32_16x16x32_fp8_fp8 v[8:11], v[56:57], v[32:33], v[8:11]
	s_waitcnt lgkmcnt(1)
	v_cmp_ne_u32_e32 vcc, v55, v38
	v_mfma_f32_16x16x32_fp8_fp8 v[8:11], v[58:59], v[30:31], v[8:11]
	s_and_saveexec_b64 s[38:39], vcc
	s_cbranch_execz .LBB326_25
; %bb.23:                               ;   in Loop: Header=BB326_13 Depth=2
	s_mov_b64 s[40:41], 0
.LBB326_24:                             ;   Parent Loop BB326_7 Depth=1
                                        ;     Parent Loop BB326_13 Depth=2
                                        ; =>    This Inner Loop Header: Depth=3
	;;#ASMSTART
	s_sleep 0
	;;#ASMEND
	ds_read_b32 v55, v53 offset:40968
	s_waitcnt lgkmcnt(0)
	v_cmp_eq_u32_e32 vcc, v55, v38
	s_or_b64 s[40:41], vcc, s[40:41]
	s_andn2_b64 exec, exec, s[40:41]
	s_cbranch_execnz .LBB326_24
.LBB326_25:                             ;   in Loop: Header=BB326_13 Depth=2
	s_or_b64 exec, exec, s[38:39]
	v_add_u32_e32 v55, 0x1000, v54
	ds_read2_b32 v[56:57], v55 offset1:32
	ds_read2_b32 v[58:59], v55 offset0:128 offset1:160
	v_add_u32_e32 v55, 0x1400, v54
	s_waitcnt lgkmcnt(1)
	v_mfma_f32_16x16x32_fp8_fp8 v[4:7], v[56:57], v[34:35], v[4:7]
	ds_read2_b32 v[56:57], v55 offset1:32
	s_waitcnt lgkmcnt(1)
	v_mfma_f32_16x16x32_fp8_fp8 v[4:7], v[58:59], v[36:37], v[4:7]
	ds_read2_b32 v[58:59], v55 offset0:128 offset1:160
	;;#ASMSTART
	s_waitcnt lgkmcnt(0)
	;;#ASMEND
	ds_read_b32 v55, v53 offset:40972
	ds_write_b32 v53, v52 offset:40968
	s_waitcnt lgkmcnt(3)
	v_mfma_f32_16x16x32_fp8_fp8 v[4:7], v[56:57], v[32:33], v[4:7]
	s_waitcnt lgkmcnt(1)
	v_cmp_ne_u32_e32 vcc, v55, v38
	v_mfma_f32_16x16x32_fp8_fp8 v[4:7], v[58:59], v[30:31], v[4:7]
	s_and_saveexec_b64 s[38:39], vcc
	s_cbranch_execz .LBB326_12
; %bb.26:                               ;   in Loop: Header=BB326_13 Depth=2
	s_mov_b64 s[40:41], 0
.LBB326_27:                             ;   Parent Loop BB326_7 Depth=1
                                        ;     Parent Loop BB326_13 Depth=2
                                        ; =>    This Inner Loop Header: Depth=3
	;;#ASMSTART
	s_sleep 0
	;;#ASMEND
	ds_read_b32 v55, v53 offset:40972
	s_waitcnt lgkmcnt(0)
	v_cmp_eq_u32_e32 vcc, v55, v38
	s_or_b64 s[40:41], vcc, s[40:41]
	s_andn2_b64 exec, exec, s[40:41]
	s_cbranch_execnz .LBB326_27
	s_branch .LBB326_12
.LBB326_28:                             ;   in Loop: Header=BB326_7 Depth=1
	s_or_b64 exec, exec, s[8:9]
.LBB326_29:                             ;   in Loop: Header=BB326_7 Depth=1
	s_or_b64 exec, exec, s[6:7]
	v_cmp_le_i32_e32 vcc, s31, v16
	v_cmp_eq_u32_e64 s[6:7], 3, v40
	s_waitcnt vmcnt(0)
	v_cndmask_b32_e32 v30, 0, v50, vcc
	v_pk_mul_f32 v[36:37], v[30:31], v[12:13] op_sel_hi:[0,1]
	v_cmp_eq_u32_e32 vcc, 1, v40
	v_pk_mul_f32 v[14:15], v[30:31], v[14:15] op_sel_hi:[0,1]
	v_add_u32_e32 v31, s54, v42
	v_cndmask_b32_e32 v12, v36, v37, vcc
	v_cmp_eq_u32_e32 vcc, 2, v40
	s_nop 1
	v_cndmask_b32_e32 v12, v12, v14, vcc
	v_cndmask_b32_e64 v12, v12, v15, s[6:7]
	ds_bpermute_b32 v13, v48, v12
	s_waitcnt lgkmcnt(0)
	v_cndmask_b32_e32 v14, v14, v13, vcc
	v_cmp_ne_u32_e32 vcc, 0, v40
	v_cndmask_b32_e64 v32, v15, v13, s[6:7]
	s_nop 0
	v_cndmask_b32_e32 v12, v37, v13, vcc
	v_cmp_eq_u32_e32 vcc, 0, v40
	s_nop 1
	v_cndmask_b32_e32 v13, v36, v13, vcc
	v_cmp_eq_u32_e32 vcc, 1, v41
	;; [unrolled: 3-line block ×4, first 2 shown]
	s_nop 1
	v_cndmask_b32_e32 v15, v15, v32, vcc
	ds_bpermute_b32 v15, v48, v15
	v_cmp_gt_u32_e32 vcc, 64, v31
	s_and_saveexec_b64 s[38:39], vcc
	s_cbranch_execz .LBB326_38
; %bb.30:                               ;   in Loop: Header=BB326_7 Depth=1
	v_cmp_eq_u32_e64 s[8:9], 1, v41
	v_cmp_eq_u32_e64 s[6:7], 3, v41
	v_cmp_eq_u32_e32 vcc, 2, v41
	s_waitcnt lgkmcnt(0)
	v_cndmask_b32_e64 v12, v12, v15, s[8:9]
	v_cmp_eq_u32_e64 s[8:9], 0, v41
	v_cvt_f16_f32_sdwa v35, v12 dst_sel:WORD_1 dst_unused:UNUSED_PAD src0_sel:DWORD
	s_nop 0
	v_cndmask_b32_e64 v13, v13, v15, s[8:9]
	s_mul_i32 s8, s52, s13
	s_ashr_i32 s9, s8, 31
	s_lshl_b64 s[8:9], s[8:9], 1
	s_add_u32 s40, s24, s8
	s_addc_u32 s41, s25, s9
	s_ashr_i32 s31, s30, 31
	s_lshl_b64 s[8:9], s[30:31], 1
	v_cvt_f16_f32_e32 v33, v13
	s_add_u32 s40, s40, s8
	s_addc_u32 s41, s41, s9
	v_lshl_add_u64 v[12:13], v[18:19], 1, s[40:41]
	v_cmp_gt_u32_e64 s[8:9], 62, v31
	v_or_b32_e32 v33, v35, v33
	;;#ASMSTART
	global_atomic_pk_add_f16 v[12:13], v33, off
	
	;;#ASMEND
	s_and_b64 exec, exec, s[8:9]
	s_cbranch_execz .LBB326_38
; %bb.31:                               ;   in Loop: Header=BB326_7 Depth=1
	v_mov_b32_e32 v31, v30
	v_cndmask_b32_e64 v35, v32, v15, s[6:7]
	v_mov_b32_e32 v32, v30
	v_mov_b32_e32 v33, v30
	v_pk_mul_f32 v[10:11], v[32:33], v[10:11]
	v_pk_mul_f32 v[32:33], v[30:31], v[8:9]
	v_cmp_eq_u32_e64 s[6:7], 1, v40
	v_cmp_eq_u32_e64 s[8:9], 3, v40
	v_cvt_f16_f32_sdwa v35, v35 dst_sel:WORD_1 dst_unused:UNUSED_PAD src0_sel:DWORD
	v_cndmask_b32_e64 v8, v32, v33, s[6:7]
	v_cmp_eq_u32_e64 s[6:7], 2, v40
	s_nop 1
	v_cndmask_b32_e64 v8, v8, v10, s[6:7]
	v_cndmask_b32_e64 v8, v8, v11, s[8:9]
	ds_bpermute_b32 v9, v48, v8
	v_cndmask_b32_e32 v8, v14, v15, vcc
	v_cmp_ne_u32_e32 vcc, 0, v40
	v_lshl_add_u64 v[14:15], s[10:11], 2, v[12:13]
	v_cvt_f16_f32_e32 v13, v8
	s_waitcnt lgkmcnt(0)
	v_cndmask_b32_e32 v8, v33, v9, vcc
	v_cmp_eq_u32_e32 vcc, 0, v40
	v_cndmask_b32_e64 v12, v11, v9, s[8:9]
	v_cndmask_b32_e64 v10, v10, v9, s[6:7]
	v_cndmask_b32_e32 v9, v32, v9, vcc
	v_cmp_eq_u32_e32 vcc, 1, v41
	v_or_b32_e32 v13, v35, v13
	;;#ASMSTART
	global_atomic_pk_add_f16 v[14:15], v13, off
	
	;;#ASMEND
	v_or_b32_e32 v13, 16, v42
	v_cndmask_b32_e32 v11, v9, v8, vcc
	v_cmp_eq_u32_e32 vcc, 2, v41
	v_add_u32_e32 v13, s54, v13
	s_nop 0
	v_cndmask_b32_e32 v11, v11, v10, vcc
	v_cmp_eq_u32_e32 vcc, 3, v41
	s_nop 1
	v_cndmask_b32_e32 v11, v11, v12, vcc
	ds_bpermute_b32 v11, v48, v11
	v_cmp_gt_u32_e32 vcc, 64, v13
	s_and_b64 exec, exec, vcc
	s_cbranch_execz .LBB326_38
; %bb.32:                               ;   in Loop: Header=BB326_7 Depth=1
	v_cmp_eq_u32_e32 vcc, 1, v41
	v_cmp_eq_u32_e64 s[6:7], 3, v41
	v_cmp_gt_u32_e64 s[8:9], 62, v13
	s_waitcnt lgkmcnt(0)
	v_cndmask_b32_e32 v8, v8, v11, vcc
	v_cmp_eq_u32_e32 vcc, 0, v41
	v_cvt_f16_f32_sdwa v15, v8 dst_sel:WORD_1 dst_unused:UNUSED_PAD src0_sel:DWORD
	s_nop 0
	v_cndmask_b32_e32 v9, v9, v11, vcc
	v_cvt_f16_f32_e32 v14, v9
	v_cmp_eq_u32_e32 vcc, 2, v41
	v_lshl_add_u64 v[8:9], v[20:21], 1, s[40:41]
	v_or_b32_e32 v14, v15, v14
	;;#ASMSTART
	global_atomic_pk_add_f16 v[8:9], v14, off
	
	;;#ASMEND
	s_and_b64 exec, exec, s[8:9]
	s_cbranch_execz .LBB326_38
; %bb.33:                               ;   in Loop: Header=BB326_7 Depth=1
	v_cndmask_b32_e64 v14, v12, v11, s[6:7]
	v_mov_b32_e32 v12, v30
	v_mov_b32_e32 v13, v30
	v_pk_mul_f32 v[6:7], v[12:13], v[6:7]
	v_pk_mul_f32 v[12:13], v[30:31], v[4:5]
	v_cmp_eq_u32_e64 s[6:7], 1, v40
	v_cmp_eq_u32_e64 s[8:9], 3, v40
	v_cvt_f16_f32_sdwa v14, v14 dst_sel:WORD_1 dst_unused:UNUSED_PAD src0_sel:DWORD
	v_cndmask_b32_e64 v4, v12, v13, s[6:7]
	v_cmp_eq_u32_e64 s[6:7], 2, v40
	s_nop 1
	v_cndmask_b32_e64 v4, v4, v6, s[6:7]
	v_cndmask_b32_e64 v4, v4, v7, s[8:9]
	ds_bpermute_b32 v5, v48, v4
	v_cndmask_b32_e32 v4, v10, v11, vcc
	v_cmp_ne_u32_e32 vcc, 0, v40
	v_lshl_add_u64 v[10:11], s[10:11], 2, v[8:9]
	v_cvt_f16_f32_e32 v9, v4
	s_waitcnt lgkmcnt(0)
	v_cndmask_b32_e32 v4, v13, v5, vcc
	v_cmp_eq_u32_e32 vcc, 0, v40
	v_cndmask_b32_e64 v8, v7, v5, s[8:9]
	v_cndmask_b32_e64 v6, v6, v5, s[6:7]
	v_cndmask_b32_e32 v5, v12, v5, vcc
	v_cmp_eq_u32_e32 vcc, 1, v41
	v_or_b32_e32 v9, v14, v9
	;;#ASMSTART
	global_atomic_pk_add_f16 v[10:11], v9, off
	
	;;#ASMEND
	v_or_b32_e32 v9, 32, v42
	v_cndmask_b32_e32 v7, v5, v4, vcc
	v_cmp_eq_u32_e32 vcc, 2, v41
	v_add_u32_e32 v9, s54, v9
	s_nop 0
	v_cndmask_b32_e32 v7, v7, v6, vcc
	v_cmp_eq_u32_e32 vcc, 3, v41
	s_nop 1
	v_cndmask_b32_e32 v7, v7, v8, vcc
	ds_bpermute_b32 v7, v48, v7
	v_cmp_gt_u32_e32 vcc, 64, v9
	s_and_b64 exec, exec, vcc
	s_cbranch_execz .LBB326_38
; %bb.34:                               ;   in Loop: Header=BB326_7 Depth=1
	v_cmp_eq_u32_e32 vcc, 1, v41
	v_cmp_eq_u32_e64 s[6:7], 3, v41
	v_cmp_gt_u32_e64 s[8:9], 62, v9
	s_waitcnt lgkmcnt(0)
	v_cndmask_b32_e32 v4, v4, v7, vcc
	v_cmp_eq_u32_e32 vcc, 0, v41
	v_cvt_f16_f32_sdwa v11, v4 dst_sel:WORD_1 dst_unused:UNUSED_PAD src0_sel:DWORD
	s_nop 0
	v_cndmask_b32_e32 v5, v5, v7, vcc
	v_cvt_f16_f32_e32 v10, v5
	v_cmp_eq_u32_e32 vcc, 2, v41
	v_lshl_add_u64 v[4:5], v[22:23], 1, s[40:41]
	v_or_b32_e32 v10, v11, v10
	;;#ASMSTART
	global_atomic_pk_add_f16 v[4:5], v10, off
	
	;;#ASMEND
	s_and_b64 exec, exec, s[8:9]
	s_cbranch_execz .LBB326_38
; %bb.35:                               ;   in Loop: Header=BB326_7 Depth=1
	v_cndmask_b32_e64 v12, v8, v7, s[6:7]
	v_mov_b32_e32 v8, v30
	v_mov_b32_e32 v9, v30
	v_pk_mul_f32 v[10:11], v[30:31], v[0:1]
	v_cmp_eq_u32_e64 s[6:7], 1, v40
	v_pk_mul_f32 v[8:9], v[8:9], v[2:3]
	v_cmp_eq_u32_e64 s[8:9], 3, v40
	v_cndmask_b32_e64 v0, v10, v11, s[6:7]
	v_cmp_eq_u32_e64 s[6:7], 2, v40
	v_cvt_f16_f32_sdwa v12, v12 dst_sel:WORD_1 dst_unused:UNUSED_PAD src0_sel:DWORD
	s_nop 0
	v_cndmask_b32_e64 v0, v0, v8, s[6:7]
	v_cndmask_b32_e64 v0, v0, v9, s[8:9]
	ds_bpermute_b32 v1, v48, v0
	v_cndmask_b32_e32 v0, v6, v7, vcc
	v_cmp_ne_u32_e32 vcc, 0, v40
	v_lshl_add_u64 v[6:7], s[10:11], 2, v[4:5]
	v_cvt_f16_f32_e32 v5, v0
	s_waitcnt lgkmcnt(0)
	v_cndmask_b32_e32 v0, v11, v1, vcc
	v_cmp_eq_u32_e32 vcc, 0, v40
	v_cndmask_b32_e64 v2, v9, v1, s[8:9]
	v_cndmask_b32_e64 v3, v8, v1, s[6:7]
	v_cndmask_b32_e32 v1, v10, v1, vcc
	v_cmp_eq_u32_e32 vcc, 1, v41
	v_or_b32_e32 v5, v12, v5
	;;#ASMSTART
	global_atomic_pk_add_f16 v[6:7], v5, off
	
	;;#ASMEND
	v_add_u32_e32 v5, s54, v43
	v_cndmask_b32_e32 v4, v1, v0, vcc
	v_cmp_eq_u32_e32 vcc, 2, v41
	s_nop 1
	v_cndmask_b32_e32 v4, v4, v3, vcc
	v_cmp_eq_u32_e32 vcc, 3, v41
	s_nop 1
	v_cndmask_b32_e32 v4, v4, v2, vcc
	ds_bpermute_b32 v4, v48, v4
	v_cmp_gt_u32_e32 vcc, 64, v5
	s_and_b64 exec, exec, vcc
	s_cbranch_execz .LBB326_38
; %bb.36:                               ;   in Loop: Header=BB326_7 Depth=1
	v_cmp_eq_u32_e32 vcc, 1, v41
	v_cmp_eq_u32_e64 s[6:7], 2, v41
	v_cmp_gt_u32_e64 s[8:9], 62, v5
	s_waitcnt lgkmcnt(0)
	v_cndmask_b32_e32 v0, v0, v4, vcc
	v_cmp_eq_u32_e32 vcc, 0, v41
	v_cvt_f16_f32_sdwa v7, v0 dst_sel:WORD_1 dst_unused:UNUSED_PAD src0_sel:DWORD
	s_nop 0
	v_cndmask_b32_e32 v1, v1, v4, vcc
	v_cvt_f16_f32_e32 v6, v1
	v_cmp_eq_u32_e32 vcc, 3, v41
	v_lshl_add_u64 v[0:1], v[24:25], 1, s[40:41]
	v_or_b32_e32 v6, v7, v6
	;;#ASMSTART
	global_atomic_pk_add_f16 v[0:1], v6, off
	
	;;#ASMEND
	s_and_b64 exec, exec, s[8:9]
	s_cbranch_execz .LBB326_38
; %bb.37:                               ;   in Loop: Header=BB326_7 Depth=1
	v_cndmask_b32_e32 v2, v2, v4, vcc
	v_cndmask_b32_e64 v3, v3, v4, s[6:7]
	v_cvt_f16_f32_sdwa v2, v2 dst_sel:WORD_1 dst_unused:UNUSED_PAD src0_sel:DWORD
	v_cvt_f16_f32_e32 v3, v3
	v_lshl_add_u64 v[0:1], s[10:11], 2, v[0:1]
	v_or_b32_e32 v2, v2, v3
	;;#ASMSTART
	global_atomic_pk_add_f16 v[0:1], v2, off
	
	;;#ASMEND
.LBB326_38:                             ;   in Loop: Header=BB326_7 Depth=1
	s_or_b64 exec, exec, s[38:39]
	v_subrev_u32_e32 v49, s55, v49
.LBB326_39:                             ;   in Loop: Header=BB326_7 Depth=1
	s_or_b64 exec, exec, s[36:37]
.LBB326_40:                             ;   in Loop: Header=BB326_7 Depth=1
	s_andn2_saveexec_b64 s[6:7], s[34:35]
	s_cbranch_execz .LBB326_49
; %bb.41:                               ;   in Loop: Header=BB326_7 Depth=1
	v_cmp_gt_i32_e32 vcc, s55, v49
	s_and_saveexec_b64 s[8:9], vcc
	s_cbranch_execz .LBB326_48
; %bb.42:                               ;   in Loop: Header=BB326_7 Depth=1
	s_mul_i32 s30, s30, s15
	s_ashr_i32 s31, s30, 31
	s_waitcnt lgkmcnt(0)
	s_add_u32 s30, s22, s30
	s_addc_u32 s31, s23, s31
	s_ashr_i32 s34, s53, 31
	s_add_u32 s30, s30, s53
	s_addc_u32 s31, s31, s34
	v_lshl_add_u64 v[0:1], s[30:31], 0, v[28:29]
	v_lshl_add_u64 v[8:9], v[0:1], 0, v[26:27]
	s_mov_b64 s[30:31], 0
	s_branch .LBB326_44
.LBB326_43:                             ;   in Loop: Header=BB326_44 Depth=2
	s_or_b64 exec, exec, s[34:35]
	v_lshl_add_u32 v12, v10, 11, v46
	;;#ASMSTART
	s_waitcnt vmcnt(1)
	;;#ASMEND
	ds_write2_b32 v12, v4, v5 offset1:32
	ds_write2_b32 v12, v6, v7 offset0:64 offset1:96
	v_add_u32_e32 v4, 0x400, v12
	v_add_u32_e32 v49, s18, v49
	;;#ASMSTART
	s_waitcnt vmcnt(0)
	;;#ASMEND
	ds_write2_b32 v4, v0, v1 offset1:32
	ds_write2_b32 v4, v2, v3 offset0:64 offset1:96
	v_add_u32_e32 v0, 1, v38
	v_add_u32_e32 v34, s18, v10
	v_cmp_le_i32_e32 vcc, s55, v49
	ds_write_b32 v11, v0 offset:64
	v_add_u32_e32 v0, 2, v38
	s_or_b64 s[30:31], vcc, s[30:31]
	v_cmp_lt_i32_e32 vcc, 3, v34
	s_nop 1
	v_cndmask_b32_e32 v38, v38, v0, vcc
	s_andn2_b64 exec, exec, s[30:31]
	s_cbranch_execz .LBB326_47
.LBB326_44:                             ;   Parent Loop BB326_7 Depth=1
                                        ; =>  This Loop Header: Depth=2
                                        ;       Child Loop BB326_46 Depth 3
	v_cmp_gt_i32_e32 vcc, 4, v34
	s_nop 1
	v_cndmask_b32_e64 v0, -4, 0, vcc
	v_add_u32_e32 v10, v0, v34
	v_lshlrev_b32_e32 v0, 7, v49
	v_ashrrev_i32_e32 v1, 31, v0
	v_lshl_add_u64 v[0:1], v[8:9], 0, v[0:1]
	v_lshlrev_b32_e32 v11, 2, v10
	;;#ASMSTART
	global_load_dwordx4 v[4:7], v[0:1], off offset:0   sc0 sc1 nt  
	global_load_dwordx4 v[0:3], v[0:1], off offset:64  sc0 sc1 nt  
	
	;;#ASMEND
	ds_read_b32 v12, v11 offset:41024
	v_add_u32_e32 v11, 0xa000, v11
	s_waitcnt lgkmcnt(0)
	v_cmp_ne_u32_e32 vcc, v12, v38
	s_and_saveexec_b64 s[34:35], vcc
	s_cbranch_execz .LBB326_43
; %bb.45:                               ;   in Loop: Header=BB326_44 Depth=2
	s_mov_b64 s[36:37], 0
.LBB326_46:                             ;   Parent Loop BB326_7 Depth=1
                                        ;     Parent Loop BB326_44 Depth=2
                                        ; =>    This Inner Loop Header: Depth=3
	;;#ASMSTART
	s_sleep 0
	;;#ASMEND
	ds_read_b32 v12, v11 offset:64
	s_waitcnt lgkmcnt(0)
	v_cmp_eq_u32_e32 vcc, v12, v38
	s_or_b64 s[36:37], vcc, s[36:37]
	s_andn2_b64 exec, exec, s[36:37]
	s_cbranch_execnz .LBB326_46
	s_branch .LBB326_43
.LBB326_47:                             ;   in Loop: Header=BB326_7 Depth=1
	s_or_b64 exec, exec, s[30:31]
.LBB326_48:                             ;   in Loop: Header=BB326_7 Depth=1
	s_or_b64 exec, exec, s[8:9]
	v_subrev_u32_e32 v49, s55, v49
.LBB326_49:                             ;   in Loop: Header=BB326_7 Depth=1
	s_or_b64 exec, exec, s[6:7]
.LBB326_50:                             ;   in Loop: Header=BB326_7 Depth=1
	s_andn2_saveexec_b64 s[6:7], s[28:29]
	s_cbranch_execz .LBB326_6
; %bb.51:                               ;   in Loop: Header=BB326_7 Depth=1
	s_lshl_b32 s36, s55, 2
	v_cmp_gt_i32_e32 vcc, s36, v49
	s_and_saveexec_b64 s[8:9], vcc
	s_cbranch_execz .LBB326_5
; %bb.52:                               ;   in Loop: Header=BB326_7 Depth=1
	s_mul_i32 s52, s52, s14
	s_ashr_i32 s28, s52, 31
	s_waitcnt lgkmcnt(0)
	s_add_u32 s29, s20, s52
	v_add_u32_e32 v2, s54, v44
	s_addc_u32 s30, s21, s28
	s_ashr_i32 s31, s53, 31
	v_cmp_gt_u32_e32 vcc, 64, v2
	s_add_u32 s28, s29, s53
	s_addc_u32 s29, s30, s31
	v_cndmask_b32_e32 v0, 0, v47, vcc
	v_ashrrev_i32_e32 v1, 31, v0
	v_lshl_add_u64 v[0:1], s[28:29], 0, v[0:1]
	v_lshl_add_u64 v[8:9], v[0:1], 0, v[26:27]
	v_sub_u32_e32 v10, 63, v2
	s_mov_b64 s[28:29], 0
	s_branch .LBB326_54
.LBB326_53:                             ;   in Loop: Header=BB326_54 Depth=2
	s_or_b64 exec, exec, s[30:31]
	v_lshl_or_b32 v13, v11, 11, v45
	;;#ASMSTART
	s_waitcnt vmcnt(1)
	;;#ASMEND
	ds_write2_b32 v13, v4, v5 offset1:32
	ds_write2_b32 v13, v6, v7 offset0:64 offset1:96
	v_add_u32_e32 v4, 0x400, v13
	v_add_u32_e32 v49, s17, v49
	;;#ASMSTART
	s_waitcnt vmcnt(0)
	;;#ASMEND
	ds_write2_b32 v4, v0, v1 offset1:32
	ds_write2_b32 v4, v2, v3 offset0:64 offset1:96
	v_add_u32_e32 v0, 1, v38
	v_add_u32_e32 v34, s17, v11
	v_cmp_le_i32_e32 vcc, s36, v49
	ds_write_b32 v12, v0
	v_add_u32_e32 v0, 2, v38
	s_or_b64 s[28:29], vcc, s[28:29]
	v_cmp_lt_i32_e32 vcc, 15, v34
	s_nop 1
	v_cndmask_b32_e32 v38, v38, v0, vcc
	s_andn2_b64 exec, exec, s[28:29]
	s_cbranch_execz .LBB326_4
.LBB326_54:                             ;   Parent Loop BB326_7 Depth=1
                                        ; =>  This Loop Header: Depth=2
                                        ;       Child Loop BB326_56 Depth 3
	v_cmp_gt_i32_e32 vcc, 16, v34
	s_nop 1
	v_cndmask_b32_e64 v0, -16, 0, vcc
	v_add_u32_e32 v11, v0, v34
	v_ashrrev_i32_e32 v0, 31, v49
	v_lshrrev_b32_e32 v0, 30, v0
	v_add_u32_e32 v0, v49, v0
	v_and_b32_e32 v1, 0xffffffc, v0
	v_sub_u32_e32 v1, v49, v1
	v_lshlrev_b32_e32 v1, 4, v1
	v_cmp_le_i32_e32 vcc, v1, v10
	v_lshlrev_b32_e32 v0, 5, v0
	v_and_b32_e32 v0, 0xffffff80, v0
	v_cndmask_b32_e32 v2, 0, v1, vcc
	v_ashrrev_i32_e32 v1, 31, v0
	v_mul_lo_u32 v2, v2, s14
	v_lshl_add_u64 v[0:1], v[8:9], 0, v[0:1]
	v_ashrrev_i32_e32 v3, 31, v2
	v_lshl_add_u64 v[0:1], v[0:1], 0, v[2:3]
	v_lshlrev_b32_e32 v12, 2, v11
	;;#ASMSTART
	global_load_dwordx4 v[4:7], v[0:1], off offset:0   
	global_load_dwordx4 v[0:3], v[0:1], off offset:64  
	
	;;#ASMEND
	ds_read_b32 v13, v12 offset:40960
	v_add_u32_e32 v12, 0xa000, v12
	s_waitcnt lgkmcnt(0)
	v_cmp_ne_u32_e32 vcc, v13, v38
	s_and_saveexec_b64 s[30:31], vcc
	s_cbranch_execz .LBB326_53
; %bb.55:                               ;   in Loop: Header=BB326_54 Depth=2
	s_mov_b64 s[34:35], 0
.LBB326_56:                             ;   Parent Loop BB326_7 Depth=1
                                        ;     Parent Loop BB326_54 Depth=2
                                        ; =>    This Inner Loop Header: Depth=3
	;;#ASMSTART
	s_sleep 0
	;;#ASMEND
	ds_read_b32 v13, v12
	s_waitcnt lgkmcnt(0)
	v_cmp_eq_u32_e32 vcc, v13, v38
	s_or_b64 s[34:35], vcc, s[34:35]
	s_andn2_b64 exec, exec, s[34:35]
	s_cbranch_execnz .LBB326_56
	s_branch .LBB326_53
.LBB326_57:
	s_endpgm
	.section	.rodata,"a",@progbits
	.p2align	6, 0x0
	.amdhsa_kernel _Z19_skinny_gemm_kernelILi4ELi1ELi4ELi16ELi4EEvPKhS1_P6__halfPKfiiiiiiii
		.amdhsa_group_segment_fixed_size 41040
		.amdhsa_private_segment_fixed_size 0
		.amdhsa_kernarg_size 64
		.amdhsa_user_sgpr_count 2
		.amdhsa_user_sgpr_dispatch_ptr 0
		.amdhsa_user_sgpr_queue_ptr 0
		.amdhsa_user_sgpr_kernarg_segment_ptr 1
		.amdhsa_user_sgpr_dispatch_id 0
		.amdhsa_user_sgpr_kernarg_preload_length 0
		.amdhsa_user_sgpr_kernarg_preload_offset 0
		.amdhsa_user_sgpr_private_segment_size 0
		.amdhsa_uses_dynamic_stack 0
		.amdhsa_enable_private_segment 0
		.amdhsa_system_sgpr_workgroup_id_x 1
		.amdhsa_system_sgpr_workgroup_id_y 0
		.amdhsa_system_sgpr_workgroup_id_z 0
		.amdhsa_system_sgpr_workgroup_info 0
		.amdhsa_system_vgpr_workitem_id 0
		.amdhsa_next_free_vgpr 61
		.amdhsa_next_free_sgpr 56
		.amdhsa_accum_offset 64
		.amdhsa_reserve_vcc 1
		.amdhsa_float_round_mode_32 0
		.amdhsa_float_round_mode_16_64 0
		.amdhsa_float_denorm_mode_32 3
		.amdhsa_float_denorm_mode_16_64 3
		.amdhsa_dx10_clamp 1
		.amdhsa_ieee_mode 1
		.amdhsa_fp16_overflow 0
		.amdhsa_tg_split 0
		.amdhsa_exception_fp_ieee_invalid_op 0
		.amdhsa_exception_fp_denorm_src 0
		.amdhsa_exception_fp_ieee_div_zero 0
		.amdhsa_exception_fp_ieee_overflow 0
		.amdhsa_exception_fp_ieee_underflow 0
		.amdhsa_exception_fp_ieee_inexact 0
		.amdhsa_exception_int_div_zero 0
	.end_amdhsa_kernel
	.section	.text._Z19_skinny_gemm_kernelILi4ELi1ELi4ELi16ELi4EEvPKhS1_P6__halfPKfiiiiiiii,"axG",@progbits,_Z19_skinny_gemm_kernelILi4ELi1ELi4ELi16ELi4EEvPKhS1_P6__halfPKfiiiiiiii,comdat
.Lfunc_end326:
	.size	_Z19_skinny_gemm_kernelILi4ELi1ELi4ELi16ELi4EEvPKhS1_P6__halfPKfiiiiiiii, .Lfunc_end326-_Z19_skinny_gemm_kernelILi4ELi1ELi4ELi16ELi4EEvPKhS1_P6__halfPKfiiiiiiii
                                        ; -- End function
	.set _Z19_skinny_gemm_kernelILi4ELi1ELi4ELi16ELi4EEvPKhS1_P6__halfPKfiiiiiiii.num_vgpr, 61
	.set _Z19_skinny_gemm_kernelILi4ELi1ELi4ELi16ELi4EEvPKhS1_P6__halfPKfiiiiiiii.num_agpr, 0
	.set _Z19_skinny_gemm_kernelILi4ELi1ELi4ELi16ELi4EEvPKhS1_P6__halfPKfiiiiiiii.numbered_sgpr, 56
	.set _Z19_skinny_gemm_kernelILi4ELi1ELi4ELi16ELi4EEvPKhS1_P6__halfPKfiiiiiiii.num_named_barrier, 0
	.set _Z19_skinny_gemm_kernelILi4ELi1ELi4ELi16ELi4EEvPKhS1_P6__halfPKfiiiiiiii.private_seg_size, 0
	.set _Z19_skinny_gemm_kernelILi4ELi1ELi4ELi16ELi4EEvPKhS1_P6__halfPKfiiiiiiii.uses_vcc, 1
	.set _Z19_skinny_gemm_kernelILi4ELi1ELi4ELi16ELi4EEvPKhS1_P6__halfPKfiiiiiiii.uses_flat_scratch, 0
	.set _Z19_skinny_gemm_kernelILi4ELi1ELi4ELi16ELi4EEvPKhS1_P6__halfPKfiiiiiiii.has_dyn_sized_stack, 0
	.set _Z19_skinny_gemm_kernelILi4ELi1ELi4ELi16ELi4EEvPKhS1_P6__halfPKfiiiiiiii.has_recursion, 0
	.set _Z19_skinny_gemm_kernelILi4ELi1ELi4ELi16ELi4EEvPKhS1_P6__halfPKfiiiiiiii.has_indirect_call, 0
	.section	.AMDGPU.csdata,"",@progbits
; Kernel info:
; codeLenInByte = 4356
; TotalNumSgprs: 62
; NumVgprs: 61
; NumAgprs: 0
; TotalNumVgprs: 61
; ScratchSize: 0
; MemoryBound: 0
; FloatMode: 240
; IeeeMode: 1
; LDSByteSize: 41040 bytes/workgroup (compile time only)
; SGPRBlocks: 7
; VGPRBlocks: 7
; NumSGPRsForWavesPerEU: 62
; NumVGPRsForWavesPerEU: 61
; AccumOffset: 64
; Occupancy: 8
; WaveLimiterHint : 0
; COMPUTE_PGM_RSRC2:SCRATCH_EN: 0
; COMPUTE_PGM_RSRC2:USER_SGPR: 2
; COMPUTE_PGM_RSRC2:TRAP_HANDLER: 0
; COMPUTE_PGM_RSRC2:TGID_X_EN: 1
; COMPUTE_PGM_RSRC2:TGID_Y_EN: 0
; COMPUTE_PGM_RSRC2:TGID_Z_EN: 0
; COMPUTE_PGM_RSRC2:TIDIG_COMP_CNT: 0
; COMPUTE_PGM_RSRC3_GFX90A:ACCUM_OFFSET: 15
; COMPUTE_PGM_RSRC3_GFX90A:TG_SPLIT: 0
	.section	.text._Z19_skinny_gemm_kernelILi4ELi1ELi4ELi32ELi4EEvPKhS1_P6__halfPKfiiiiiiii,"axG",@progbits,_Z19_skinny_gemm_kernelILi4ELi1ELi4ELi32ELi4EEvPKhS1_P6__halfPKfiiiiiiii,comdat
	.protected	_Z19_skinny_gemm_kernelILi4ELi1ELi4ELi32ELi4EEvPKhS1_P6__halfPKfiiiiiiii ; -- Begin function _Z19_skinny_gemm_kernelILi4ELi1ELi4ELi32ELi4EEvPKhS1_P6__halfPKfiiiiiiii
	.globl	_Z19_skinny_gemm_kernelILi4ELi1ELi4ELi32ELi4EEvPKhS1_P6__halfPKfiiiiiiii
	.p2align	8
	.type	_Z19_skinny_gemm_kernelILi4ELi1ELi4ELi32ELi4EEvPKhS1_P6__halfPKfiiiiiiii,@function
_Z19_skinny_gemm_kernelILi4ELi1ELi4ELi32ELi4EEvPKhS1_P6__halfPKfiiiiiiii: ; @_Z19_skinny_gemm_kernelILi4ELi1ELi4ELi32ELi4EEvPKhS1_P6__halfPKfiiiiiiii
; %bb.0:
	v_cmp_gt_u32_e32 vcc, 20, v0
	s_and_saveexec_b64 s[4:5], vcc
; %bb.1:
	v_lshlrev_b32_e32 v1, 2, v0
	v_mov_b32_e32 v2, 0
	ds_write_b32 v1, v2 offset:40960
; %bb.2:
	s_or_b64 exec, exec, s[4:5]
	s_load_dwordx8 s[36:43], s[0:1], 0x20
	s_waitcnt lgkmcnt(0)
	s_barrier
	s_add_i32 s3, s36, 0x7f
	s_ashr_i32 s5, s3, 31
	s_add_i32 s4, s37, 31
	s_lshr_b32 s5, s5, 25
	s_ashr_i32 s6, s4, 31
	s_add_i32 s3, s3, s5
	s_ashr_i32 s33, s3, 7
	s_lshr_b32 s3, s6, 27
	s_add_i32 s4, s4, s3
	s_ashr_i32 s62, s4, 5
	s_mul_i32 s3, s62, s33
	s_mul_i32 s3, s3, s40
	s_add_i32 s4, s3, 0x12f
	s_mul_hi_i32 s4, s4, 0x6bca1af3
	s_lshr_b32 s5, s4, 31
	s_ashr_i32 s4, s4, 7
	s_add_i32 s4, s4, s5
	s_add_i32 s5, s2, 1
	s_mul_i32 s5, s4, s5
	v_cvt_f64_i32_e32 v[2:3], s3
	v_cvt_f64_u32_e32 v[4:5], s5
	v_min_f64 v[2:3], v[2:3], v[4:5]
	v_cvt_i32_f64_e32 v46, v[2:3]
	s_mul_i32 s63, s4, s2
	v_cmp_ge_i32_e32 vcc, s63, v46
	s_cbranch_vccnz .LBB327_48
; %bb.3:
	v_lshrrev_b32_e32 v1, 6, v0
	s_add_i32 s4, s42, s41
	s_load_dwordx8 s[44:51], s[0:1], 0x0
	v_cmp_le_i32_e64 s[0:1], s4, v1
	v_mov_b32_e32 v2, s41
	v_cmp_le_i32_e64 s[2:3], s41, v1
	v_mov_b32_e32 v3, s42
	v_cndmask_b32_e64 v3, 0, v3, s[0:1]
	v_cndmask_b32_e64 v2, 0, v2, s[2:3]
	s_abs_i32 s5, s40
	v_add_u32_e32 v2, v2, v3
	v_cvt_f32_u32_e32 v3, s5
	v_sub_u32_e32 v40, v1, v2
	s_ashr_i32 s6, s38, 31
	s_lshr_b32 s6, s6, 26
	v_rcp_iflag_f32_e32 v2, v3
	s_sub_i32 s9, 0, s5
	s_add_i32 s6, s38, s6
	s_ashr_i32 s6, s6, 6
	v_mul_f32_e32 v2, 0x4f7ffffe, v2
	v_cvt_u32_f32_e32 v2, v2
	s_abs_i32 s8, s6
	s_xor_b32 s7, s6, s40
	s_ashr_i32 s7, s7, 31
	v_readfirstlane_b32 s10, v2
	s_mul_i32 s9, s9, s10
	s_mul_hi_u32 s9, s10, s9
	s_add_i32 s10, s10, s9
	s_mul_hi_u32 s9, s8, s10
	s_mul_i32 s10, s9, s5
	s_sub_i32 s8, s8, s10
	s_add_i32 s10, s9, 1
	s_sub_i32 s11, s8, s5
	s_cmp_ge_u32 s8, s5
	s_cselect_b32 s9, s10, s9
	s_cselect_b32 s8, s11, s8
	s_add_i32 s10, s9, 1
	s_cmp_ge_u32 s8, s5
	s_cselect_b32 s5, s10, s9
	s_xor_b32 s5, s5, s7
	s_sub_i32 s64, s5, s7
	s_add_i32 s40, s40, -1
	s_mul_i32 s5, s64, s40
	s_add_i32 s4, s4, s43
	v_and_b32_e32 v48, 31, v0
	v_lshrrev_b32_e32 v2, 3, v0
	s_sub_i32 s65, s6, s5
	v_cmp_gt_i32_e64 s[4:5], s4, v1
	v_lshlrev_b32_e32 v1, 2, v48
	v_and_b32_e32 v3, 4, v2
	v_and_b32_e32 v5, 1, v0
	v_lshlrev_b32_e32 v2, 6, v3
	v_or_b32_e32 v4, 0x8000, v1
	v_or_b32_e32 v3, v3, v5
	;; [unrolled: 1-line block ×4, first 2 shown]
	v_lshlrev_b32_e32 v2, 1, v5
	v_or_b32_e32 v5, 2, v3
	v_sub_u32_e32 v60, 32, v5
	v_or_b32_e32 v5, 8, v3
	v_sub_u32_e32 v61, 32, v5
	v_or_b32_e32 v5, 10, v3
	v_sub_u32_e32 v62, 32, v5
	v_or_b32_e32 v5, 16, v3
	v_sub_u32_e32 v63, 32, v5
	v_or_b32_e32 v5, 18, v3
	v_sub_u32_e32 v59, 32, v3
	v_mul_lo_u32 v18, s37, v3
	v_sub_u32_e32 v64, 32, v5
	v_or_b32_e32 v5, 24, v3
	v_or_b32_e32 v3, 26, v3
	v_sub_u32_e32 v66, 32, v3
	v_lshrrev_b32_e32 v3, 1, v0
	s_abs_i32 s66, s33
	v_and_b32_e32 v34, 16, v3
	v_cvt_f32_u32_e32 v3, s66
	v_sub_u32_e32 v2, v0, v2
	v_add_u32_e32 v2, 1, v2
	v_and_b32_e32 v6, 63, v2
	v_bitop3_b32 v51, v0, 1, v0 bitop3:0xc
	v_bitop3_b32 v52, v0, 3, 1 bitop3:0x6c
	;; [unrolled: 1-line block ×8, first 2 shown]
	v_and_b32_e32 v2, 30, v0
	v_lshlrev_b32_e32 v0, 4, v0
	v_and_b32_e32 v0, 0x200, v0
	v_rcp_iflag_f32_e32 v3, v3
	s_abs_i32 s67, s62
	v_or_b32_e32 v69, v1, v0
	v_cvt_f32_u32_e32 v1, s67
	s_lshl_b32 s6, s37, 1
	v_add_u32_e32 v20, s6, v18
	s_mul_i32 s7, s37, 6
	v_or_b32_e32 v67, v4, v0
	v_mul_f32_e32 v0, 0x4f7ffffe, v3
	v_add_u32_e32 v22, s7, v20
	v_cvt_u32_f32_e32 v0, v0
	v_rcp_iflag_f32_e32 v1, v1
	v_add_u32_e32 v24, s6, v22
	v_add_u32_e32 v26, s7, v24
	;; [unrolled: 1-line block ×4, first 2 shown]
	v_readfirstlane_b32 s7, v0
	v_mul_f32_e32 v0, 0x4f7ffffe, v1
	v_cvt_u32_f32_e32 v0, v0
	v_add_u32_e32 v32, s6, v30
	s_sub_i32 s6, 0, s66
	s_mul_i32 s6, s6, s7
	s_mul_hi_u32 s6, s7, s6
	s_add_i32 s69, s7, s6
	s_sub_i32 s6, 0, s67
	v_readfirstlane_b32 s7, v0
	v_mbcnt_lo_u32_b32 v0, -1, 0
	s_mul_i32 s6, s6, s7
	v_mbcnt_hi_u32_b32 v0, -1, v0
	v_mov_b32_e32 v17, 0
	v_mul_lo_u32 v36, s39, v48
	s_mul_hi_u32 s6, s7, s6
	v_and_or_b32 v0, v0, 64, v6
	v_cndmask_b32_e64 v47, 0, 1, s[0:1]
	v_ashrrev_i32_e32 v19, 31, v18
	v_ashrrev_i32_e32 v21, 31, v20
	;; [unrolled: 1-line block ×6, first 2 shown]
	v_sub_u32_e32 v65, 32, v5
	v_ashrrev_i32_e32 v31, 31, v30
	v_ashrrev_i32_e32 v33, 31, v32
	;; [unrolled: 1-line block ×3, first 2 shown]
	v_mov_b32_e32 v35, v17
	v_mul_lo_u32 v68, s38, v48
	s_ashr_i32 s68, s33, 31
	s_ashr_i32 s70, s62, 31
	s_add_i32 s71, s7, s6
	s_movk_i32 s72, 0x80
	v_lshlrev_b32_e32 v16, 1, v2
	v_lshlrev_b32_e32 v70, 2, v0
	v_mov_b32_e32 v71, v40
	s_branch .LBB327_7
.LBB327_4:                              ;   in Loop: Header=BB327_7 Depth=1
	s_or_b64 exec, exec, s[10:11]
.LBB327_5:                              ;   in Loop: Header=BB327_7 Depth=1
	s_or_b64 exec, exec, s[8:9]
	v_subrev_u32_e32 v71, s16, v71
.LBB327_6:                              ;   in Loop: Header=BB327_7 Depth=1
	s_or_b64 exec, exec, s[6:7]
	s_add_i32 s63, s63, 1
	v_cmp_ge_i32_e32 vcc, s63, v46
	s_cbranch_vccnz .LBB327_48
.LBB327_7:                              ; =>This Loop Header: Depth=1
                                        ;     Child Loop BB327_13 Depth 2
                                        ;       Child Loop BB327_15 Depth 3
                                        ;       Child Loop BB327_18 Depth 3
                                        ;     Child Loop BB327_35 Depth 2
                                        ;       Child Loop BB327_37 Depth 3
                                        ;     Child Loop BB327_45 Depth 2
                                        ;       Child Loop BB327_47 Depth 3
	s_abs_i32 s7, s63
	s_mul_hi_u32 s8, s7, s69
	s_mul_i32 s9, s8, s66
	s_ashr_i32 s6, s63, 31
	s_sub_i32 s7, s7, s9
	s_xor_b32 s6, s6, s68
	s_add_i32 s9, s8, 1
	s_sub_i32 s10, s7, s66
	s_cmp_ge_u32 s7, s66
	s_cselect_b32 s8, s9, s8
	s_cselect_b32 s7, s10, s7
	s_add_i32 s9, s8, 1
	s_cmp_ge_u32 s7, s66
	s_cselect_b32 s7, s9, s8
	s_xor_b32 s7, s7, s6
	s_sub_i32 s6, s7, s6
	s_abs_i32 s8, s6
	s_mul_i32 s7, s6, s33
	s_mul_hi_u32 s9, s8, s71
	s_sub_i32 s7, s63, s7
	s_mul_i32 s10, s9, s67
	s_lshl_b32 s73, s7, 7
	s_ashr_i32 s7, s6, 31
	s_sub_i32 s8, s8, s10
	s_xor_b32 s7, s7, s70
	s_add_i32 s10, s9, 1
	s_sub_i32 s11, s8, s67
	s_cmp_ge_u32 s8, s67
	s_cselect_b32 s9, s10, s9
	s_cselect_b32 s8, s11, s8
	s_add_i32 s10, s9, 1
	s_cmp_ge_u32 s8, s67
	s_cselect_b32 s8, s10, s9
	s_xor_b32 s8, s8, s7
	s_sub_i32 s7, s8, s7
	s_mul_i32 s8, s7, s64
	s_lshl_b32 s74, s8, 6
	s_cmp_eq_u32 s7, s40
	s_cselect_b32 s76, s65, s64
	s_sub_i32 s75, s73, s36
	s_addk_i32 s75, 0x80
	s_and_saveexec_b64 s[8:9], s[2:3]
	s_xor_b64 s[52:53], exec, s[8:9]
	s_cbranch_execz .LBB327_41
; %bb.8:                                ;   in Loop: Header=BB327_7 Depth=1
	s_mul_i32 s7, s7, s62
	s_sub_i32 s6, s6, s7
	s_lshl_b32 s6, s6, 5
	s_sub_i32 s14, s6, s37
	s_add_i32 s14, s14, 32
	s_max_i32 s7, s14, 0
	s_sub_i32 s54, s6, s7
	s_and_saveexec_b64 s[6:7], s[0:1]
	s_xor_b64 s[56:57], exec, s[6:7]
	s_cbranch_execz .LBB327_31
; %bb.9:                                ;   in Loop: Header=BB327_7 Depth=1
	s_and_saveexec_b64 s[58:59], s[4:5]
	s_cbranch_execz .LBB327_30
; %bb.10:                               ;   in Loop: Header=BB327_7 Depth=1
	s_waitcnt lgkmcnt(0)
	global_load_dword v72, v17, s[50:51]
	v_mov_b32_e32 v15, 0
	v_cmp_gt_i32_e32 vcc, s76, v71
	v_mov_b32_e32 v14, v15
	v_mov_b32_e32 v13, v15
	;; [unrolled: 1-line block ×15, first 2 shown]
	s_and_saveexec_b64 s[6:7], vcc
	s_cbranch_execz .LBB327_20
; %bb.11:                               ;   in Loop: Header=BB327_7 Depth=1
	v_mov_b32_e32 v0, 0
	s_mov_b64 s[8:9], 0
	v_mov_b32_e32 v1, v0
	v_mov_b32_e32 v2, v0
	;; [unrolled: 1-line block ×15, first 2 shown]
	s_branch .LBB327_13
.LBB327_12:                             ;   in Loop: Header=BB327_13 Depth=2
	s_or_b64 exec, exec, s[10:11]
	v_add_u32_e32 v78, v50, v76
	ds_read2_b32 v[76:77], v78 offset1:32
	v_add_u32_e32 v71, s43, v71
	s_waitcnt lgkmcnt(0)
	v_mfma_f32_32x32x16_fp8_fp8 v[0:15], v[44:45], v[76:77], v[0:15]
	ds_read2_b32 v[44:45], v78 offset0:128 offset1:160
	s_waitcnt lgkmcnt(0)
	v_mfma_f32_32x32x16_fp8_fp8 v[0:15], v[42:43], v[44:45], v[0:15]
	v_add_u32_e32 v44, 0x400, v78
	ds_read2_b32 v[42:43], v44 offset1:32
	ds_read2_b32 v[44:45], v44 offset0:128 offset1:160
	ds_write_b32 v74, v75 offset:40964
	s_waitcnt lgkmcnt(2)
	v_mfma_f32_32x32x16_fp8_fp8 v[0:15], v[40:41], v[42:43], v[0:15]
	v_add_u32_e32 v40, s43, v73
	v_add_u32_e32 v41, 2, v47
	v_cmp_lt_i32_e32 vcc, 3, v40
	s_nop 1
	v_cndmask_b32_e32 v47, v47, v41, vcc
	v_cmp_le_i32_e32 vcc, s76, v71
	s_waitcnt lgkmcnt(1)
	v_mfma_f32_32x32x16_fp8_fp8 v[0:15], v[38:39], v[44:45], v[0:15]
	s_or_b64 s[8:9], vcc, s[8:9]
	s_andn2_b64 exec, exec, s[8:9]
	s_cbranch_execz .LBB327_19
.LBB327_13:                             ;   Parent Loop BB327_7 Depth=1
                                        ; =>  This Loop Header: Depth=2
                                        ;       Child Loop BB327_15 Depth 3
                                        ;       Child Loop BB327_18 Depth 3
	v_cmp_gt_i32_e32 vcc, 4, v40
	s_nop 1
	v_cndmask_b32_e64 v38, -4, 0, vcc
	v_add_u32_e32 v73, v38, v40
	v_lshlrev_b32_e32 v74, 3, v73
	ds_read_b32 v38, v74 offset:40960
	s_waitcnt lgkmcnt(0)
	v_cmp_ne_u32_e32 vcc, v38, v47
	s_and_saveexec_b64 s[10:11], vcc
	s_cbranch_execz .LBB327_16
; %bb.14:                               ;   in Loop: Header=BB327_13 Depth=2
	s_mov_b64 s[12:13], 0
.LBB327_15:                             ;   Parent Loop BB327_7 Depth=1
                                        ;     Parent Loop BB327_13 Depth=2
                                        ; =>    This Inner Loop Header: Depth=3
	;;#ASMSTART
	s_sleep 0
	;;#ASMEND
	ds_read_b32 v38, v74 offset:40960
	s_waitcnt lgkmcnt(0)
	v_cmp_eq_u32_e32 vcc, v38, v47
	s_or_b64 s[12:13], vcc, s[12:13]
	s_andn2_b64 exec, exec, s[12:13]
	s_cbranch_execnz .LBB327_15
.LBB327_16:                             ;   in Loop: Header=BB327_13 Depth=2
	s_or_b64 exec, exec, s[10:11]
	v_lshlrev_b32_e32 v76, 11, v73
	v_or_b32_e32 v38, v49, v76
	ds_read2_b32 v[44:45], v38 offset1:32
	ds_read2_b32 v[42:43], v38 offset0:128 offset1:160
	v_add_u32_e32 v38, 0x400, v38
	ds_read2_b32 v[40:41], v38 offset1:32
	ds_read_b32 v77, v74 offset:40964
	ds_read2_b32 v[38:39], v38 offset0:128 offset1:160
	v_add_u32_e32 v75, 1, v47
	ds_write_b32 v74, v75 offset:40960
	s_waitcnt lgkmcnt(2)
	v_cmp_ne_u32_e32 vcc, v77, v47
	s_and_saveexec_b64 s[10:11], vcc
	s_cbranch_execz .LBB327_12
; %bb.17:                               ;   in Loop: Header=BB327_13 Depth=2
	s_mov_b64 s[12:13], 0
.LBB327_18:                             ;   Parent Loop BB327_7 Depth=1
                                        ;     Parent Loop BB327_13 Depth=2
                                        ; =>    This Inner Loop Header: Depth=3
	;;#ASMSTART
	s_sleep 0
	;;#ASMEND
	ds_read_b32 v77, v74 offset:40964
	s_waitcnt lgkmcnt(0)
	v_cmp_eq_u32_e32 vcc, v77, v47
	s_or_b64 s[12:13], vcc, s[12:13]
	s_andn2_b64 exec, exec, s[12:13]
	s_cbranch_execnz .LBB327_18
	s_branch .LBB327_12
.LBB327_19:                             ;   in Loop: Header=BB327_7 Depth=1
	s_or_b64 exec, exec, s[8:9]
.LBB327_20:                             ;   in Loop: Header=BB327_7 Depth=1
	s_or_b64 exec, exec, s[6:7]
	v_cmp_le_i32_e32 vcc, s14, v48
	v_cmp_eq_u32_e64 s[6:7], 3, v51
	v_cmp_eq_u32_e64 s[8:9], 4, v51
	s_waitcnt vmcnt(0)
	v_cndmask_b32_e32 v38, 0, v72, vcc
	s_nop 1
	v_pk_mul_f32 v[0:1], v[38:39], v[0:1] op_sel_hi:[0,1]
	v_cmp_eq_u32_e32 vcc, 1, v51
	v_pk_mul_f32 v[14:15], v[38:39], v[14:15] op_sel_hi:[0,1]
	v_pk_mul_f32 v[12:13], v[38:39], v[12:13] op_sel_hi:[0,1]
	;; [unrolled: 1-line block ×7, first 2 shown]
	v_cndmask_b32_e32 v38, v0, v1, vcc
	v_cmp_eq_u32_e32 vcc, 2, v51
	v_cmp_eq_u32_e64 s[10:11], 5, v51
	v_cmp_eq_u32_e64 s[12:13], 6, v51
	v_cndmask_b32_e32 v38, v38, v2, vcc
	v_cndmask_b32_e64 v38, v38, v3, s[6:7]
	v_cndmask_b32_e64 v38, v38, v4, s[8:9]
	;; [unrolled: 1-line block ×4, first 2 shown]
	v_cmp_eq_u32_e64 s[14:15], 7, v51
	v_cmp_eq_u32_e64 s[16:17], 8, v51
	v_cmp_eq_u32_e64 s[18:19], 9, v51
	v_cndmask_b32_e64 v38, v38, v7, s[14:15]
	v_cndmask_b32_e64 v38, v38, v8, s[16:17]
	v_cndmask_b32_e64 v38, v38, v9, s[18:19]
	v_cmp_eq_u32_e64 s[20:21], 10, v51
	v_cmp_eq_u32_e64 s[22:23], 11, v51
	v_cmp_eq_u32_e64 s[24:25], 12, v51
	v_cndmask_b32_e64 v38, v38, v10, s[20:21]
	v_cndmask_b32_e64 v38, v38, v11, s[22:23]
	v_cndmask_b32_e64 v38, v38, v12, s[24:25]
	;; [unrolled: 6-line block ×3, first 2 shown]
	ds_bpermute_b32 v38, v70, v38
	v_cmp_eq_u32_e64 s[34:35], 15, v52
	s_waitcnt lgkmcnt(0)
	v_cndmask_b32_e32 v2, v2, v38, vcc
	v_cmp_ne_u32_e32 vcc, 0, v51
	v_cndmask_b32_e64 v15, v15, v38, s[30:31]
	v_cndmask_b32_e64 v14, v14, v38, s[28:29]
	v_cndmask_b32_e32 v1, v1, v38, vcc
	v_cmp_eq_u32_e32 vcc, 0, v51
	v_cndmask_b32_e64 v13, v13, v38, s[26:27]
	v_cndmask_b32_e64 v12, v12, v38, s[24:25]
	v_cndmask_b32_e32 v0, v0, v38, vcc
	v_cmp_eq_u32_e32 vcc, 1, v52
	v_cndmask_b32_e64 v11, v11, v38, s[22:23]
	v_cndmask_b32_e64 v10, v10, v38, s[20:21]
	;; [unrolled: 1-line block ×9, first 2 shown]
	v_cndmask_b32_e32 v38, v0, v1, vcc
	v_cmp_eq_u32_e64 s[6:7], 2, v52
	v_cmp_eq_u32_e64 s[8:9], 3, v52
	v_cmp_eq_u32_e64 s[10:11], 4, v52
	v_cndmask_b32_e64 v38, v38, v2, s[6:7]
	v_cndmask_b32_e64 v38, v38, v3, s[8:9]
	v_cndmask_b32_e64 v38, v38, v4, s[10:11]
	v_cmp_eq_u32_e64 s[12:13], 5, v52
	v_cmp_eq_u32_e64 s[14:15], 6, v52
	v_cmp_eq_u32_e64 s[16:17], 7, v52
	v_cndmask_b32_e64 v38, v38, v5, s[12:13]
	v_cndmask_b32_e64 v38, v38, v6, s[14:15]
	v_cndmask_b32_e64 v38, v38, v7, s[16:17]
	;; [unrolled: 6-line block ×4, first 2 shown]
	v_cmp_eq_u32_e64 s[30:31], 14, v52
	s_nop 1
	v_cndmask_b32_e64 v38, v38, v14, s[30:31]
	v_cndmask_b32_e64 v38, v38, v15, s[34:35]
	ds_bpermute_b32 v38, v70, v38
	s_waitcnt lgkmcnt(0)
	v_cndmask_b32_e32 v1, v1, v38, vcc
	v_cmp_eq_u32_e32 vcc, 0, v52
	v_cndmask_b32_e64 v15, v15, v38, s[34:35]
	v_cndmask_b32_e64 v14, v14, v38, s[30:31]
	v_cndmask_b32_e32 v0, v0, v38, vcc
	v_cmp_eq_u32_e32 vcc, 1, v53
	v_cndmask_b32_e64 v13, v13, v38, s[28:29]
	v_cndmask_b32_e64 v12, v12, v38, s[26:27]
	v_cndmask_b32_e64 v11, v11, v38, s[24:25]
	v_cndmask_b32_e64 v10, v10, v38, s[22:23]
	v_cndmask_b32_e64 v9, v9, v38, s[20:21]
	v_cndmask_b32_e64 v8, v8, v38, s[18:19]
	v_cndmask_b32_e64 v7, v7, v38, s[16:17]
	v_cndmask_b32_e64 v6, v6, v38, s[14:15]
	v_cndmask_b32_e64 v5, v5, v38, s[12:13]
	v_cndmask_b32_e64 v4, v4, v38, s[10:11]
	v_cndmask_b32_e64 v3, v3, v38, s[8:9]
	v_cndmask_b32_e64 v2, v2, v38, s[6:7]
	v_cndmask_b32_e32 v38, v0, v1, vcc
	v_cmp_eq_u32_e64 s[6:7], 2, v53
	v_cmp_eq_u32_e64 s[8:9], 3, v53
	v_cmp_eq_u32_e64 s[10:11], 4, v53
	v_cndmask_b32_e64 v38, v38, v2, s[6:7]
	v_cndmask_b32_e64 v38, v38, v3, s[8:9]
	v_cndmask_b32_e64 v38, v38, v4, s[10:11]
	v_cmp_eq_u32_e64 s[12:13], 5, v53
	v_cmp_eq_u32_e64 s[14:15], 6, v53
	v_cmp_eq_u32_e64 s[16:17], 7, v53
	v_cndmask_b32_e64 v38, v38, v5, s[12:13]
	v_cndmask_b32_e64 v38, v38, v6, s[14:15]
	v_cndmask_b32_e64 v38, v38, v7, s[16:17]
	v_cmp_eq_u32_e64 s[18:19], 8, v53
	v_cmp_eq_u32_e64 s[20:21], 9, v53
	v_cmp_eq_u32_e64 s[22:23], 10, v53
	v_cndmask_b32_e64 v38, v38, v8, s[18:19]
	v_cndmask_b32_e64 v38, v38, v9, s[20:21]
	v_cndmask_b32_e64 v38, v38, v10, s[22:23]
	v_cmp_eq_u32_e64 s[24:25], 11, v53
	v_cmp_eq_u32_e64 s[26:27], 12, v53
	v_cmp_eq_u32_e64 s[28:29], 13, v53
	v_cndmask_b32_e64 v38, v38, v11, s[24:25]
	v_cndmask_b32_e64 v38, v38, v12, s[26:27]
	v_cndmask_b32_e64 v38, v38, v13, s[28:29]
	v_cmp_eq_u32_e64 s[30:31], 14, v53
	v_cmp_eq_u32_e64 s[34:35], 15, v53
	s_nop 0
	v_cndmask_b32_e64 v38, v38, v14, s[30:31]
	v_cndmask_b32_e64 v38, v38, v15, s[34:35]
	ds_bpermute_b32 v38, v70, v38
	s_waitcnt lgkmcnt(0)
	v_cndmask_b32_e32 v1, v1, v38, vcc
	v_cmp_eq_u32_e32 vcc, 0, v53
	v_cndmask_b32_e64 v15, v15, v38, s[34:35]
	v_cndmask_b32_e64 v14, v14, v38, s[30:31]
	v_cndmask_b32_e32 v0, v0, v38, vcc
	v_cmp_eq_u32_e32 vcc, 1, v54
	v_cndmask_b32_e64 v13, v13, v38, s[28:29]
	v_cndmask_b32_e64 v12, v12, v38, s[26:27]
	v_cndmask_b32_e64 v11, v11, v38, s[24:25]
	v_cndmask_b32_e64 v10, v10, v38, s[22:23]
	v_cndmask_b32_e64 v9, v9, v38, s[20:21]
	v_cndmask_b32_e64 v8, v8, v38, s[18:19]
	v_cndmask_b32_e64 v7, v7, v38, s[16:17]
	v_cndmask_b32_e64 v6, v6, v38, s[14:15]
	v_cndmask_b32_e64 v5, v5, v38, s[12:13]
	v_cndmask_b32_e64 v4, v4, v38, s[10:11]
	v_cndmask_b32_e64 v3, v3, v38, s[8:9]
	v_cndmask_b32_e64 v2, v2, v38, s[6:7]
	v_cndmask_b32_e32 v38, v0, v1, vcc
	v_cmp_eq_u32_e64 s[6:7], 2, v54
	v_cmp_eq_u32_e64 s[8:9], 3, v54
	v_cmp_eq_u32_e64 s[10:11], 4, v54
	v_cndmask_b32_e64 v38, v38, v2, s[6:7]
	v_cndmask_b32_e64 v38, v38, v3, s[8:9]
	v_cndmask_b32_e64 v38, v38, v4, s[10:11]
	v_cmp_eq_u32_e64 s[12:13], 5, v54
	v_cmp_eq_u32_e64 s[14:15], 6, v54
	v_cmp_eq_u32_e64 s[16:17], 7, v54
	v_cndmask_b32_e64 v38, v38, v5, s[12:13]
	v_cndmask_b32_e64 v38, v38, v6, s[14:15]
	v_cndmask_b32_e64 v38, v38, v7, s[16:17]
	v_cmp_eq_u32_e64 s[18:19], 8, v54
	v_cmp_eq_u32_e64 s[20:21], 9, v54
	v_cmp_eq_u32_e64 s[22:23], 10, v54
	v_cndmask_b32_e64 v38, v38, v8, s[18:19]
	v_cndmask_b32_e64 v38, v38, v9, s[20:21]
	v_cndmask_b32_e64 v38, v38, v10, s[22:23]
	v_cmp_eq_u32_e64 s[24:25], 11, v54
	v_cmp_eq_u32_e64 s[26:27], 12, v54
	v_cmp_eq_u32_e64 s[28:29], 13, v54
	v_cndmask_b32_e64 v38, v38, v11, s[24:25]
	v_cndmask_b32_e64 v38, v38, v12, s[26:27]
	v_cndmask_b32_e64 v38, v38, v13, s[28:29]
	v_cmp_eq_u32_e64 s[30:31], 14, v54
	;; [unrolled: 50-line block ×4, first 2 shown]
	v_cmp_eq_u32_e64 s[34:35], 15, v56
	s_nop 0
	v_cndmask_b32_e64 v38, v38, v14, s[30:31]
	v_cndmask_b32_e64 v38, v38, v15, s[34:35]
	ds_bpermute_b32 v38, v70, v38
	s_waitcnt lgkmcnt(0)
	v_cndmask_b32_e32 v1, v1, v38, vcc
	v_cmp_eq_u32_e32 vcc, 0, v56
	v_cndmask_b32_e64 v15, v15, v38, s[34:35]
	v_cndmask_b32_e64 v14, v14, v38, s[30:31]
	;; [unrolled: 1-line block ×14, first 2 shown]
	v_cndmask_b32_e32 v38, v0, v38, vcc
	v_cmp_eq_u32_e32 vcc, 1, v57
	v_cmp_eq_u32_e64 s[6:7], 2, v57
	v_cmp_eq_u32_e64 s[8:9], 3, v57
	v_cndmask_b32_e32 v0, v38, v1, vcc
	v_cndmask_b32_e64 v0, v0, v73, s[6:7]
	v_cndmask_b32_e64 v0, v0, v72, s[8:9]
	v_cmp_eq_u32_e64 s[10:11], 4, v57
	v_cmp_eq_u32_e64 s[12:13], 5, v57
	v_cmp_eq_u32_e64 s[14:15], 6, v57
	v_cndmask_b32_e64 v0, v0, v45, s[10:11]
	v_cndmask_b32_e64 v0, v0, v44, s[12:13]
	v_cndmask_b32_e64 v0, v0, v43, s[14:15]
	v_cmp_eq_u32_e64 s[16:17], 7, v57
	v_cmp_eq_u32_e64 s[18:19], 8, v57
	v_cmp_eq_u32_e64 s[20:21], 9, v57
	v_cndmask_b32_e64 v0, v0, v42, s[16:17]
	;; [unrolled: 6-line block ×4, first 2 shown]
	v_cndmask_b32_e64 v0, v0, v14, s[30:31]
	v_cndmask_b32_e64 v0, v0, v15, s[34:35]
	ds_bpermute_b32 v74, v70, v0
	s_waitcnt lgkmcnt(0)
	v_cndmask_b32_e32 v0, v1, v74, vcc
	v_cmp_eq_u32_e32 vcc, 0, v57
	v_cndmask_b32_e64 v4, v15, v74, s[34:35]
	v_cndmask_b32_e64 v15, v73, v74, s[6:7]
	v_cndmask_b32_e32 v1, v38, v74, vcc
	v_cmp_eq_u32_e32 vcc, 1, v58
	v_cndmask_b32_e64 v5, v14, v74, s[30:31]
	v_cndmask_b32_e64 v14, v72, v74, s[8:9]
	;; [unrolled: 4-line block ×7, first 2 shown]
	v_cndmask_b32_e32 v38, v38, v13, vcc
	v_cmp_eq_u32_e32 vcc, 7, v58
	s_nop 1
	v_cndmask_b32_e32 v38, v38, v12, vcc
	v_cmp_eq_u32_e32 vcc, 8, v58
	s_nop 1
	;; [unrolled: 3-line block ×9, first 2 shown]
	v_cndmask_b32_e32 v38, v38, v4, vcc
	ds_bpermute_b32 v38, v70, v38
	v_cmp_lt_i32_e32 vcc, s75, v59
	s_and_saveexec_b64 s[60:61], vcc
	s_cbranch_execz .LBB327_29
; %bb.21:                               ;   in Loop: Header=BB327_7 Depth=1
	s_mul_i32 s6, s73, s37
	s_ashr_i32 s7, s6, 31
	s_lshl_b64 s[6:7], s[6:7], 1
	v_cmp_eq_u32_e64 s[30:31], 1, v58
	s_add_u32 s8, s48, s6
	s_addc_u32 s9, s49, s7
	s_waitcnt lgkmcnt(0)
	v_cndmask_b32_e64 v0, v0, v38, s[30:31]
	v_cmp_eq_u32_e64 s[30:31], 0, v58
	s_ashr_i32 s55, s54, 31
	s_lshl_b64 s[6:7], s[54:55], 1
	v_cndmask_b32_e64 v1, v1, v38, s[30:31]
	v_cvt_f16_f32_e32 v39, v1
	v_cvt_f16_f32_sdwa v41, v0 dst_sel:WORD_1 dst_unused:UNUSED_PAD src0_sel:DWORD
	s_add_u32 s34, s8, s6
	s_addc_u32 s35, s9, s7
	v_cmp_eq_u32_e64 s[8:9], 15, v58
	v_cmp_eq_u32_e64 s[10:11], 14, v58
	;; [unrolled: 1-line block ×10, first 2 shown]
	v_cmp_eq_u32_e32 vcc, 5, v58
	v_cmp_eq_u32_e64 s[6:7], 4, v58
	v_cmp_eq_u32_e64 s[28:29], 3, v58
	;; [unrolled: 1-line block ×3, first 2 shown]
	v_lshl_add_u64 v[0:1], s[34:35], 0, v[16:17]
	v_cmp_lt_i32_e64 s[34:35], s75, v60
	v_lshl_add_u64 v[42:43], v[18:19], 1, v[0:1]
	v_or_b32_e32 v39, v41, v39
	;;#ASMSTART
	global_atomic_pk_add_f16 v[42:43], v39, off
	
	;;#ASMEND
	s_and_b64 exec, exec, s[34:35]
	s_cbranch_execz .LBB327_29
; %bb.22:                               ;   in Loop: Header=BB327_7 Depth=1
	v_cndmask_b32_e64 v14, v14, v38, s[28:29]
	v_cndmask_b32_e64 v15, v15, v38, s[30:31]
	v_cvt_f16_f32_e32 v39, v15
	v_cvt_f16_f32_sdwa v41, v14 dst_sel:WORD_1 dst_unused:UNUSED_PAD src0_sel:DWORD
	v_cndmask_b32_e64 v4, v4, v38, s[8:9]
	v_cndmask_b32_e64 v5, v5, v38, s[10:11]
	;; [unrolled: 1-line block ×10, first 2 shown]
	v_cndmask_b32_e32 v2, v2, v38, vcc
	v_cndmask_b32_e64 v3, v3, v38, s[6:7]
	v_cmp_lt_i32_e32 vcc, s75, v61
	v_lshl_add_u64 v[14:15], v[20:21], 1, v[0:1]
	v_or_b32_e32 v38, v41, v39
	;;#ASMSTART
	global_atomic_pk_add_f16 v[14:15], v38, off
	
	;;#ASMEND
	s_and_b64 exec, exec, vcc
	s_cbranch_execz .LBB327_29
; %bb.23:                               ;   in Loop: Header=BB327_7 Depth=1
	v_cvt_f16_f32_e32 v14, v3
	v_cvt_f16_f32_sdwa v15, v2 dst_sel:WORD_1 dst_unused:UNUSED_PAD src0_sel:DWORD
	v_cmp_lt_i32_e32 vcc, s75, v62
	v_lshl_add_u64 v[2:3], v[22:23], 1, v[0:1]
	v_or_b32_e32 v14, v15, v14
	;;#ASMSTART
	global_atomic_pk_add_f16 v[2:3], v14, off
	
	;;#ASMEND
	s_and_b64 exec, exec, vcc
	s_cbranch_execz .LBB327_29
; %bb.24:                               ;   in Loop: Header=BB327_7 Depth=1
	v_cvt_f16_f32_e32 v13, v13
	v_cvt_f16_f32_sdwa v12, v12 dst_sel:WORD_1 dst_unused:UNUSED_PAD src0_sel:DWORD
	;; [unrolled: 12-line block ×6, first 2 shown]
	v_lshl_add_u64 v[0:1], v[32:33], 1, v[0:1]
	v_or_b32_e32 v2, v3, v2
	;;#ASMSTART
	global_atomic_pk_add_f16 v[0:1], v2, off
	
	;;#ASMEND
.LBB327_29:                             ;   in Loop: Header=BB327_7 Depth=1
	s_or_b64 exec, exec, s[60:61]
	v_subrev_u32_e32 v71, s76, v71
.LBB327_30:                             ;   in Loop: Header=BB327_7 Depth=1
	s_or_b64 exec, exec, s[58:59]
.LBB327_31:                             ;   in Loop: Header=BB327_7 Depth=1
	s_andn2_saveexec_b64 s[6:7], s[56:57]
	s_cbranch_execz .LBB327_40
; %bb.32:                               ;   in Loop: Header=BB327_7 Depth=1
	v_cmp_gt_i32_e32 vcc, s76, v71
	s_and_saveexec_b64 s[8:9], vcc
	s_cbranch_execz .LBB327_39
; %bb.33:                               ;   in Loop: Header=BB327_7 Depth=1
	s_mul_i32 s10, s54, s39
	s_ashr_i32 s11, s10, 31
	s_waitcnt lgkmcnt(0)
	s_add_u32 s10, s46, s10
	s_addc_u32 s11, s47, s11
	s_ashr_i32 s12, s74, 31
	s_add_u32 s10, s10, s74
	s_addc_u32 s11, s11, s12
	v_lshl_add_u64 v[0:1], s[10:11], 0, v[36:37]
	v_lshl_add_u64 v[8:9], v[0:1], 0, v[34:35]
	s_mov_b64 s[10:11], 0
	s_branch .LBB327_35
.LBB327_34:                             ;   in Loop: Header=BB327_35 Depth=2
	s_or_b64 exec, exec, s[12:13]
	v_lshl_add_u32 v12, v10, 11, v67
	;;#ASMSTART
	s_waitcnt vmcnt(1)
	;;#ASMEND
	ds_write2_b32 v12, v4, v5 offset1:32
	ds_write2_b32 v12, v6, v7 offset0:64 offset1:96
	v_add_u32_e32 v4, 0x400, v12
	v_add_u32_e32 v71, s42, v71
	;;#ASMSTART
	s_waitcnt vmcnt(0)
	;;#ASMEND
	ds_write2_b32 v4, v0, v1 offset1:32
	ds_write2_b32 v4, v2, v3 offset0:64 offset1:96
	v_add_u32_e32 v0, 1, v47
	v_add_u32_e32 v40, s42, v10
	v_cmp_le_i32_e32 vcc, s76, v71
	ds_write_b32 v11, v0 offset:64
	v_add_u32_e32 v0, 2, v47
	s_or_b64 s[10:11], vcc, s[10:11]
	v_cmp_lt_i32_e32 vcc, 3, v40
	s_nop 1
	v_cndmask_b32_e32 v47, v47, v0, vcc
	s_andn2_b64 exec, exec, s[10:11]
	s_cbranch_execz .LBB327_38
.LBB327_35:                             ;   Parent Loop BB327_7 Depth=1
                                        ; =>  This Loop Header: Depth=2
                                        ;       Child Loop BB327_37 Depth 3
	v_cmp_gt_i32_e32 vcc, 4, v40
	s_nop 1
	v_cndmask_b32_e64 v0, -4, 0, vcc
	v_add_u32_e32 v10, v0, v40
	v_lshlrev_b32_e32 v0, 6, v71
	v_ashrrev_i32_e32 v1, 31, v0
	v_lshl_add_u64 v[0:1], v[8:9], 0, v[0:1]
	v_lshlrev_b32_e32 v11, 2, v10
	;;#ASMSTART
	global_load_dwordx4 v[4:7], v[0:1], off offset:0   sc0 sc1 nt  
	global_load_dwordx4 v[0:3], v[0:1], off offset:32  sc0 sc1 nt  
	
	;;#ASMEND
	ds_read_b32 v12, v11 offset:41024
	v_add_u32_e32 v11, 0xa000, v11
	s_waitcnt lgkmcnt(0)
	v_cmp_ne_u32_e32 vcc, v12, v47
	s_and_saveexec_b64 s[12:13], vcc
	s_cbranch_execz .LBB327_34
; %bb.36:                               ;   in Loop: Header=BB327_35 Depth=2
	s_mov_b64 s[14:15], 0
.LBB327_37:                             ;   Parent Loop BB327_7 Depth=1
                                        ;     Parent Loop BB327_35 Depth=2
                                        ; =>    This Inner Loop Header: Depth=3
	;;#ASMSTART
	s_sleep 0
	;;#ASMEND
	ds_read_b32 v12, v11 offset:64
	s_waitcnt lgkmcnt(0)
	v_cmp_eq_u32_e32 vcc, v12, v47
	s_or_b64 s[14:15], vcc, s[14:15]
	s_andn2_b64 exec, exec, s[14:15]
	s_cbranch_execnz .LBB327_37
	s_branch .LBB327_34
.LBB327_38:                             ;   in Loop: Header=BB327_7 Depth=1
	s_or_b64 exec, exec, s[10:11]
.LBB327_39:                             ;   in Loop: Header=BB327_7 Depth=1
	s_or_b64 exec, exec, s[8:9]
	v_subrev_u32_e32 v71, s76, v71
.LBB327_40:                             ;   in Loop: Header=BB327_7 Depth=1
	s_or_b64 exec, exec, s[6:7]
.LBB327_41:                             ;   in Loop: Header=BB327_7 Depth=1
	s_andn2_saveexec_b64 s[6:7], s[52:53]
	s_cbranch_execz .LBB327_6
; %bb.42:                               ;   in Loop: Header=BB327_7 Depth=1
	s_lshl_b32 s16, s76, 2
	v_cmp_gt_i32_e32 vcc, s16, v71
	s_and_saveexec_b64 s[8:9], vcc
	s_cbranch_execz .LBB327_5
; %bb.43:                               ;   in Loop: Header=BB327_7 Depth=1
	s_mul_i32 s73, s73, s38
	s_max_i32 s12, s75, 0
	s_ashr_i32 s10, s73, 31
	s_waitcnt lgkmcnt(0)
	s_add_u32 s11, s44, s73
	v_add_u32_e32 v2, s12, v48
	s_addc_u32 s13, s45, s10
	s_ashr_i32 s14, s74, 31
	v_cmp_gt_u32_e32 vcc, s72, v2
	s_add_u32 s10, s11, s74
	s_addc_u32 s11, s13, s14
	v_cndmask_b32_e32 v0, 0, v68, vcc
	v_ashrrev_i32_e32 v1, 31, v0
	v_lshl_add_u64 v[0:1], s[10:11], 0, v[0:1]
	v_lshl_add_u64 v[8:9], v[0:1], 0, v[34:35]
	v_sub_u32_e32 v10, 0x7f, v2
	s_mov_b64 s[10:11], 0
	s_branch .LBB327_45
.LBB327_44:                             ;   in Loop: Header=BB327_45 Depth=2
	s_or_b64 exec, exec, s[12:13]
	v_lshl_or_b32 v13, v11, 11, v69
	;;#ASMSTART
	s_waitcnt vmcnt(1)
	;;#ASMEND
	ds_write2_b32 v13, v4, v5 offset1:32
	ds_write2_b32 v13, v6, v7 offset0:64 offset1:96
	v_add_u32_e32 v4, 0x400, v13
	v_add_u32_e32 v71, s41, v71
	;;#ASMSTART
	s_waitcnt vmcnt(0)
	;;#ASMEND
	ds_write2_b32 v4, v0, v1 offset1:32
	ds_write2_b32 v4, v2, v3 offset0:64 offset1:96
	v_add_u32_e32 v0, 1, v47
	v_add_u32_e32 v40, s41, v11
	v_cmp_le_i32_e32 vcc, s16, v71
	ds_write_b32 v12, v0
	v_add_u32_e32 v0, 2, v47
	s_or_b64 s[10:11], vcc, s[10:11]
	v_cmp_lt_i32_e32 vcc, 15, v40
	s_nop 1
	v_cndmask_b32_e32 v47, v47, v0, vcc
	s_andn2_b64 exec, exec, s[10:11]
	s_cbranch_execz .LBB327_4
.LBB327_45:                             ;   Parent Loop BB327_7 Depth=1
                                        ; =>  This Loop Header: Depth=2
                                        ;       Child Loop BB327_47 Depth 3
	v_cmp_gt_i32_e32 vcc, 16, v40
	s_nop 1
	v_cndmask_b32_e64 v0, -16, 0, vcc
	v_add_u32_e32 v11, v0, v40
	v_ashrrev_i32_e32 v0, 31, v71
	v_lshrrev_b32_e32 v0, 30, v0
	v_add_u32_e32 v0, v71, v0
	v_and_b32_e32 v1, 0x7fffffc, v0
	v_sub_u32_e32 v1, v71, v1
	v_lshlrev_b32_e32 v1, 5, v1
	v_cmp_le_i32_e32 vcc, v1, v10
	v_lshlrev_b32_e32 v0, 4, v0
	v_and_b32_e32 v0, 0xffffffc0, v0
	v_cndmask_b32_e32 v2, 0, v1, vcc
	v_ashrrev_i32_e32 v1, 31, v0
	v_mul_lo_u32 v2, v2, s38
	v_lshl_add_u64 v[0:1], v[8:9], 0, v[0:1]
	v_ashrrev_i32_e32 v3, 31, v2
	v_lshl_add_u64 v[0:1], v[0:1], 0, v[2:3]
	v_lshlrev_b32_e32 v12, 2, v11
	;;#ASMSTART
	global_load_dwordx4 v[4:7], v[0:1], off offset:0   
	global_load_dwordx4 v[0:3], v[0:1], off offset:32  
	
	;;#ASMEND
	ds_read_b32 v13, v12 offset:40960
	v_add_u32_e32 v12, 0xa000, v12
	s_waitcnt lgkmcnt(0)
	v_cmp_ne_u32_e32 vcc, v13, v47
	s_and_saveexec_b64 s[12:13], vcc
	s_cbranch_execz .LBB327_44
; %bb.46:                               ;   in Loop: Header=BB327_45 Depth=2
	s_mov_b64 s[14:15], 0
.LBB327_47:                             ;   Parent Loop BB327_7 Depth=1
                                        ;     Parent Loop BB327_45 Depth=2
                                        ; =>    This Inner Loop Header: Depth=3
	;;#ASMSTART
	s_sleep 0
	;;#ASMEND
	ds_read_b32 v13, v12
	s_waitcnt lgkmcnt(0)
	v_cmp_eq_u32_e32 vcc, v13, v47
	s_or_b64 s[14:15], vcc, s[14:15]
	s_andn2_b64 exec, exec, s[14:15]
	s_cbranch_execnz .LBB327_47
	s_branch .LBB327_44
.LBB327_48:
	s_endpgm
	.section	.rodata,"a",@progbits
	.p2align	6, 0x0
	.amdhsa_kernel _Z19_skinny_gemm_kernelILi4ELi1ELi4ELi32ELi4EEvPKhS1_P6__halfPKfiiiiiiii
		.amdhsa_group_segment_fixed_size 41040
		.amdhsa_private_segment_fixed_size 0
		.amdhsa_kernarg_size 64
		.amdhsa_user_sgpr_count 2
		.amdhsa_user_sgpr_dispatch_ptr 0
		.amdhsa_user_sgpr_queue_ptr 0
		.amdhsa_user_sgpr_kernarg_segment_ptr 1
		.amdhsa_user_sgpr_dispatch_id 0
		.amdhsa_user_sgpr_kernarg_preload_length 0
		.amdhsa_user_sgpr_kernarg_preload_offset 0
		.amdhsa_user_sgpr_private_segment_size 0
		.amdhsa_uses_dynamic_stack 0
		.amdhsa_enable_private_segment 0
		.amdhsa_system_sgpr_workgroup_id_x 1
		.amdhsa_system_sgpr_workgroup_id_y 0
		.amdhsa_system_sgpr_workgroup_id_z 0
		.amdhsa_system_sgpr_workgroup_info 0
		.amdhsa_system_vgpr_workitem_id 0
		.amdhsa_next_free_vgpr 79
		.amdhsa_next_free_sgpr 77
		.amdhsa_accum_offset 80
		.amdhsa_reserve_vcc 1
		.amdhsa_float_round_mode_32 0
		.amdhsa_float_round_mode_16_64 0
		.amdhsa_float_denorm_mode_32 3
		.amdhsa_float_denorm_mode_16_64 3
		.amdhsa_dx10_clamp 1
		.amdhsa_ieee_mode 1
		.amdhsa_fp16_overflow 0
		.amdhsa_tg_split 0
		.amdhsa_exception_fp_ieee_invalid_op 0
		.amdhsa_exception_fp_denorm_src 0
		.amdhsa_exception_fp_ieee_div_zero 0
		.amdhsa_exception_fp_ieee_overflow 0
		.amdhsa_exception_fp_ieee_underflow 0
		.amdhsa_exception_fp_ieee_inexact 0
		.amdhsa_exception_int_div_zero 0
	.end_amdhsa_kernel
	.section	.text._Z19_skinny_gemm_kernelILi4ELi1ELi4ELi32ELi4EEvPKhS1_P6__halfPKfiiiiiiii,"axG",@progbits,_Z19_skinny_gemm_kernelILi4ELi1ELi4ELi32ELi4EEvPKhS1_P6__halfPKfiiiiiiii,comdat
.Lfunc_end327:
	.size	_Z19_skinny_gemm_kernelILi4ELi1ELi4ELi32ELi4EEvPKhS1_P6__halfPKfiiiiiiii, .Lfunc_end327-_Z19_skinny_gemm_kernelILi4ELi1ELi4ELi32ELi4EEvPKhS1_P6__halfPKfiiiiiiii
                                        ; -- End function
	.set _Z19_skinny_gemm_kernelILi4ELi1ELi4ELi32ELi4EEvPKhS1_P6__halfPKfiiiiiiii.num_vgpr, 79
	.set _Z19_skinny_gemm_kernelILi4ELi1ELi4ELi32ELi4EEvPKhS1_P6__halfPKfiiiiiiii.num_agpr, 0
	.set _Z19_skinny_gemm_kernelILi4ELi1ELi4ELi32ELi4EEvPKhS1_P6__halfPKfiiiiiiii.numbered_sgpr, 77
	.set _Z19_skinny_gemm_kernelILi4ELi1ELi4ELi32ELi4EEvPKhS1_P6__halfPKfiiiiiiii.num_named_barrier, 0
	.set _Z19_skinny_gemm_kernelILi4ELi1ELi4ELi32ELi4EEvPKhS1_P6__halfPKfiiiiiiii.private_seg_size, 0
	.set _Z19_skinny_gemm_kernelILi4ELi1ELi4ELi32ELi4EEvPKhS1_P6__halfPKfiiiiiiii.uses_vcc, 1
	.set _Z19_skinny_gemm_kernelILi4ELi1ELi4ELi32ELi4EEvPKhS1_P6__halfPKfiiiiiiii.uses_flat_scratch, 0
	.set _Z19_skinny_gemm_kernelILi4ELi1ELi4ELi32ELi4EEvPKhS1_P6__halfPKfiiiiiiii.has_dyn_sized_stack, 0
	.set _Z19_skinny_gemm_kernelILi4ELi1ELi4ELi32ELi4EEvPKhS1_P6__halfPKfiiiiiiii.has_recursion, 0
	.set _Z19_skinny_gemm_kernelILi4ELi1ELi4ELi32ELi4EEvPKhS1_P6__halfPKfiiiiiiii.has_indirect_call, 0
	.section	.AMDGPU.csdata,"",@progbits
; Kernel info:
; codeLenInByte = 6056
; TotalNumSgprs: 83
; NumVgprs: 79
; NumAgprs: 0
; TotalNumVgprs: 79
; ScratchSize: 0
; MemoryBound: 0
; FloatMode: 240
; IeeeMode: 1
; LDSByteSize: 41040 bytes/workgroup (compile time only)
; SGPRBlocks: 10
; VGPRBlocks: 9
; NumSGPRsForWavesPerEU: 83
; NumVGPRsForWavesPerEU: 79
; AccumOffset: 80
; Occupancy: 6
; WaveLimiterHint : 0
; COMPUTE_PGM_RSRC2:SCRATCH_EN: 0
; COMPUTE_PGM_RSRC2:USER_SGPR: 2
; COMPUTE_PGM_RSRC2:TRAP_HANDLER: 0
; COMPUTE_PGM_RSRC2:TGID_X_EN: 1
; COMPUTE_PGM_RSRC2:TGID_Y_EN: 0
; COMPUTE_PGM_RSRC2:TGID_Z_EN: 0
; COMPUTE_PGM_RSRC2:TIDIG_COMP_CNT: 0
; COMPUTE_PGM_RSRC3_GFX90A:ACCUM_OFFSET: 19
; COMPUTE_PGM_RSRC3_GFX90A:TG_SPLIT: 0
	.section	.text._Z19_skinny_gemm_kernelILi4ELi1ELi5ELi16ELi4EEvPKhS1_P6__halfPKfiiiiiiii,"axG",@progbits,_Z19_skinny_gemm_kernelILi4ELi1ELi5ELi16ELi4EEvPKhS1_P6__halfPKfiiiiiiii,comdat
	.protected	_Z19_skinny_gemm_kernelILi4ELi1ELi5ELi16ELi4EEvPKhS1_P6__halfPKfiiiiiiii ; -- Begin function _Z19_skinny_gemm_kernelILi4ELi1ELi5ELi16ELi4EEvPKhS1_P6__halfPKfiiiiiiii
	.globl	_Z19_skinny_gemm_kernelILi4ELi1ELi5ELi16ELi4EEvPKhS1_P6__halfPKfiiiiiiii
	.p2align	8
	.type	_Z19_skinny_gemm_kernelILi4ELi1ELi5ELi16ELi4EEvPKhS1_P6__halfPKfiiiiiiii,@function
_Z19_skinny_gemm_kernelILi4ELi1ELi5ELi16ELi4EEvPKhS1_P6__halfPKfiiiiiiii: ; @_Z19_skinny_gemm_kernelILi4ELi1ELi5ELi16ELi4EEvPKhS1_P6__halfPKfiiiiiiii
; %bb.0:
	v_cmp_gt_u32_e32 vcc, 25, v0
	v_lshlrev_b32_e32 v1, 2, v0
	s_and_saveexec_b64 s[4:5], vcc
; %bb.1:
	v_mov_b32_e32 v2, 0
	ds_write_b32 v1, v2 offset:51200
; %bb.2:
	s_or_b64 exec, exec, s[4:5]
	s_load_dwordx8 s[12:19], s[0:1], 0x20
	s_waitcnt lgkmcnt(0)
	s_barrier
	s_add_i32 s3, s12, 63
	s_ashr_i32 s5, s3, 31
	s_add_i32 s4, s13, 15
	s_lshr_b32 s5, s5, 26
	s_ashr_i32 s6, s4, 31
	s_add_i32 s3, s3, s5
	s_ashr_i32 s33, s3, 6
	s_lshr_b32 s3, s6, 28
	s_add_i32 s4, s4, s3
	s_ashr_i32 s42, s4, 4
	s_mul_i32 s3, s42, s33
	s_mul_i32 s3, s3, s16
	s_add_i32 s4, s3, 0x12f
	s_mul_hi_i32 s4, s4, 0x6bca1af3
	s_lshr_b32 s5, s4, 31
	s_ashr_i32 s4, s4, 7
	s_add_i32 s4, s4, s5
	s_add_i32 s5, s2, 1
	s_mul_i32 s5, s4, s5
	v_cvt_f64_i32_e32 v[2:3], s3
	v_cvt_f64_u32_e32 v[4:5], s5
	v_min_f64 v[2:3], v[2:3], v[4:5]
	v_cvt_i32_f64_e32 v17, v[2:3]
	s_mul_i32 s43, s4, s2
	v_cmp_ge_i32_e32 vcc, s43, v17
	s_cbranch_vccnz .LBB328_57
; %bb.3:
	v_lshrrev_b32_e32 v2, 6, v0
	s_add_i32 s4, s18, s17
	s_load_dwordx8 s[20:27], s[0:1], 0x0
	v_cmp_le_i32_e64 s[0:1], s4, v2
	v_mov_b32_e32 v3, s17
	v_cmp_le_i32_e64 s[2:3], s17, v2
	v_mov_b32_e32 v4, s18
	v_cndmask_b32_e64 v4, 0, v4, s[0:1]
	v_cndmask_b32_e64 v3, 0, v3, s[2:3]
	s_abs_i32 s5, s16
	v_add_u32_e32 v3, v3, v4
	v_cvt_f32_u32_e32 v4, s5
	v_sub_u32_e32 v34, v2, v3
	s_ashr_i32 s6, s14, 31
	s_lshr_b32 s6, s6, 25
	v_rcp_iflag_f32_e32 v3, v4
	s_sub_i32 s9, 0, s5
	s_add_i32 s6, s14, s6
	s_ashr_i32 s6, s6, 7
	v_mul_f32_e32 v3, 0x4f7ffffe, v3
	v_cvt_u32_f32_e32 v3, v3
	s_abs_i32 s8, s6
	s_xor_b32 s7, s6, s16
	s_ashr_i32 s7, s7, 31
	v_readfirstlane_b32 s10, v3
	s_mul_i32 s9, s9, s10
	s_mul_hi_u32 s9, s10, s9
	s_add_i32 s10, s10, s9
	s_mul_hi_u32 s9, s8, s10
	s_mul_i32 s10, s9, s5
	s_sub_i32 s8, s8, s10
	s_add_i32 s10, s9, 1
	s_sub_i32 s11, s8, s5
	s_cmp_ge_u32 s8, s5
	s_cselect_b32 s9, s10, s9
	s_cselect_b32 s8, s11, s8
	s_add_i32 s10, s9, 1
	s_cmp_ge_u32 s8, s5
	s_cselect_b32 s5, s10, s9
	s_xor_b32 s5, s5, s7
	s_sub_i32 s44, s5, s7
	s_add_i32 s16, s16, -1
	s_mul_i32 s5, s44, s16
	s_add_i32 s4, s4, s19
	s_sub_i32 s45, s6, s5
	v_cmp_gt_i32_e64 s[4:5], s4, v2
	v_lshlrev_b32_e32 v2, 1, v0
	v_lshlrev_b32_e32 v3, 4, v0
	v_and_b32_e32 v1, 60, v1
	v_and_b32_e32 v2, 64, v2
	;; [unrolled: 1-line block ×3, first 2 shown]
	v_or3_b32 v39, v1, v2, v4
	v_and_b32_e32 v1, 1, v0
	v_lshrrev_b32_e32 v4, 2, v0
	s_abs_i32 s46, s33
	v_and_or_b32 v42, v4, 12, v1
	v_cvt_f32_u32_e32 v4, s46
	v_lshlrev_b32_e32 v2, 1, v1
	v_and_b32_e32 v16, 14, v0
	v_sub_u32_e32 v2, v0, v2
	v_bitop3_b32 v40, v0, 1, v0 bitop3:0xc
	v_bitop3_b32 v41, v0, 3, 1 bitop3:0x6c
	v_and_b32_e32 v26, 48, v3
	v_bfe_u32 v43, v0, 2, 4
	v_and_b32_e32 v1, 60, v0
	v_lshlrev_b32_e32 v3, 8, v0
	v_lshlrev_b32_e32 v0, 6, v0
	v_and_b32_e32 v3, 0x200, v3
	v_and_b32_e32 v0, 64, v0
	v_rcp_iflag_f32_e32 v4, v4
	s_abs_i32 s47, s42
	v_or3_b32 v44, v1, v3, v0
	v_cvt_f32_u32_e32 v1, s47
	v_mul_f32_e32 v0, 0x4f7ffffe, v4
	v_cvt_u32_f32_e32 v0, v0
	v_mad_u64_u32 v[18:19], s[6:7], s13, v42, v[16:17]
	v_rcp_iflag_f32_e32 v1, v1
	s_lshl_b32 s6, s13, 4
	v_add_u32_e32 v20, s6, v18
	v_readfirstlane_b32 s7, v0
	v_mul_f32_e32 v0, 0x4f7ffffe, v1
	v_add_u32_e32 v22, s6, v20
	v_cvt_u32_f32_e32 v0, v0
	v_add_u32_e32 v24, s6, v22
	s_sub_i32 s6, 0, s46
	s_mul_i32 s6, s6, s7
	s_mul_hi_u32 s6, s7, s6
	v_add_u32_e32 v2, 1, v2
	s_add_i32 s49, s7, s6
	s_sub_i32 s6, 0, s47
	v_readfirstlane_b32 s7, v0
	v_mbcnt_lo_u32_b32 v0, -1, 0
	v_and_b32_e32 v2, 63, v2
	s_mul_i32 s6, s6, s7
	v_mbcnt_hi_u32_b32 v0, -1, v0
	v_mul_lo_u32 v28, s15, v43
	s_mul_hi_u32 s6, s7, s6
	v_and_or_b32 v0, v0, 64, v2
	v_cndmask_b32_e64 v38, 0, 1, s[0:1]
	s_ashr_i32 s11, s13, 31
	s_mov_b32 s10, s13
	v_ashrrev_i32_e32 v19, 31, v18
	v_ashrrev_i32_e32 v21, 31, v20
	;; [unrolled: 1-line block ×5, first 2 shown]
	v_mov_b32_e32 v27, 0
	v_or_b32_e32 v45, 0xa000, v44
	v_mul_lo_u32 v46, s14, v43
	s_ashr_i32 s48, s33, 31
	s_ashr_i32 s50, s42, 31
	s_add_i32 s51, s7, s6
	v_lshlrev_b32_e32 v47, 2, v0
	v_not_b32_e32 v48, 19
	v_mov_b32_e32 v49, v34
	s_branch .LBB328_7
.LBB328_4:                              ;   in Loop: Header=BB328_7 Depth=1
	s_or_b64 exec, exec, s[28:29]
.LBB328_5:                              ;   in Loop: Header=BB328_7 Depth=1
	s_or_b64 exec, exec, s[8:9]
	v_subrev_u32_e32 v49, s36, v49
.LBB328_6:                              ;   in Loop: Header=BB328_7 Depth=1
	s_or_b64 exec, exec, s[6:7]
	s_add_i32 s43, s43, 1
	v_cmp_ge_i32_e32 vcc, s43, v17
	s_cbranch_vccnz .LBB328_57
.LBB328_7:                              ; =>This Loop Header: Depth=1
                                        ;     Child Loop BB328_13 Depth 2
                                        ;       Child Loop BB328_15 Depth 3
                                        ;       Child Loop BB328_18 Depth 3
	;; [unrolled: 1-line block ×5, first 2 shown]
                                        ;     Child Loop BB328_44 Depth 2
                                        ;       Child Loop BB328_46 Depth 3
                                        ;     Child Loop BB328_54 Depth 2
                                        ;       Child Loop BB328_56 Depth 3
	s_abs_i32 s7, s43
	s_mul_hi_u32 s8, s7, s49
	s_mul_i32 s9, s8, s46
	s_ashr_i32 s6, s43, 31
	s_sub_i32 s7, s7, s9
	s_xor_b32 s6, s6, s48
	s_add_i32 s9, s8, 1
	s_sub_i32 s28, s7, s46
	s_cmp_ge_u32 s7, s46
	s_cselect_b32 s8, s9, s8
	s_cselect_b32 s7, s28, s7
	s_add_i32 s9, s8, 1
	s_cmp_ge_u32 s7, s46
	s_cselect_b32 s7, s9, s8
	s_xor_b32 s7, s7, s6
	s_sub_i32 s6, s7, s6
	s_abs_i32 s8, s6
	s_mul_i32 s7, s6, s33
	s_mul_hi_u32 s9, s8, s51
	s_sub_i32 s7, s43, s7
	s_mul_i32 s28, s9, s47
	s_lshl_b32 s52, s7, 6
	s_ashr_i32 s7, s6, 31
	s_sub_i32 s8, s8, s28
	s_xor_b32 s7, s7, s50
	s_add_i32 s28, s9, 1
	s_sub_i32 s29, s8, s47
	s_cmp_ge_u32 s8, s47
	s_cselect_b32 s9, s28, s9
	s_cselect_b32 s8, s29, s8
	s_add_i32 s28, s9, 1
	s_cmp_ge_u32 s8, s47
	s_cselect_b32 s8, s28, s9
	s_xor_b32 s8, s8, s7
	s_sub_i32 s7, s8, s7
	s_mul_i32 s8, s7, s44
	s_lshl_b32 s53, s8, 7
	s_cmp_eq_u32 s7, s16
	s_cselect_b32 s55, s45, s44
	s_sub_i32 s8, s52, s12
	s_add_i32 s8, s8, 64
	s_max_i32 s54, s8, 0
	s_and_saveexec_b64 s[8:9], s[2:3]
	s_xor_b64 s[28:29], exec, s[8:9]
	s_cbranch_execz .LBB328_50
; %bb.8:                                ;   in Loop: Header=BB328_7 Depth=1
	s_mul_i32 s7, s7, s42
	s_sub_i32 s6, s6, s7
	s_lshl_b32 s6, s6, 4
	s_sub_i32 s31, s6, s13
	s_add_i32 s31, s31, 16
	s_max_i32 s7, s31, 0
	s_sub_i32 s30, s6, s7
	s_and_saveexec_b64 s[6:7], s[0:1]
	s_xor_b64 s[34:35], exec, s[6:7]
	s_cbranch_execz .LBB328_40
; %bb.9:                                ;   in Loop: Header=BB328_7 Depth=1
	s_and_saveexec_b64 s[36:37], s[4:5]
	s_cbranch_execz .LBB328_39
; %bb.10:                               ;   in Loop: Header=BB328_7 Depth=1
	s_waitcnt lgkmcnt(0)
	global_load_dword v50, v27, s[26:27]
	v_mov_b32_e32 v15, 0
	v_cmp_gt_i32_e32 vcc, s55, v49
	v_mov_b32_e32 v14, v15
	v_mov_b32_e32 v13, v15
	;; [unrolled: 1-line block ×15, first 2 shown]
	s_and_saveexec_b64 s[6:7], vcc
	s_cbranch_execz .LBB328_29
; %bb.11:                               ;   in Loop: Header=BB328_7 Depth=1
	v_mov_b32_e32 v0, 0
	s_mov_b64 s[8:9], 0
	v_mov_b32_e32 v1, v0
	v_mov_b32_e32 v2, v0
	;; [unrolled: 1-line block ×15, first 2 shown]
	s_branch .LBB328_13
.LBB328_12:                             ;   in Loop: Header=BB328_13 Depth=2
	s_or_b64 exec, exec, s[38:39]
	v_add_u32_e32 v55, 0x1800, v54
	ds_read2_b32 v[56:57], v55 offset1:32
	ds_read2_b32 v[58:59], v55 offset0:128 offset1:160
	v_add_u32_e32 v60, 0x1c00, v54
	ds_read2_b32 v[54:55], v60 offset1:32
	v_add_u32_e32 v49, s19, v49
	s_waitcnt lgkmcnt(2)
	v_mfma_f32_16x16x32_fp8_fp8 v[0:3], v[56:57], v[34:35], v[0:3]
	v_add_u32_e32 v34, s19, v51
	v_cmp_le_i32_e32 vcc, s55, v49
	v_add_u32_e32 v35, 2, v38
	s_waitcnt lgkmcnt(1)
	v_mfma_f32_16x16x32_fp8_fp8 v[0:3], v[58:59], v[36:37], v[0:3]
	ds_read2_b32 v[36:37], v60 offset0:128 offset1:160
	s_or_b64 s[8:9], vcc, s[8:9]
	v_cmp_lt_i32_e32 vcc, 4, v34
	s_waitcnt lgkmcnt(1)
	v_mfma_f32_16x16x32_fp8_fp8 v[0:3], v[54:55], v[32:33], v[0:3]
	;;#ASMSTART
	s_waitcnt lgkmcnt(0)
	;;#ASMEND
	ds_write_b32 v53, v52 offset:51212
	v_cndmask_b32_e32 v38, v38, v35, vcc
	s_waitcnt lgkmcnt(1)
	v_mfma_f32_16x16x32_fp8_fp8 v[0:3], v[36:37], v[30:31], v[0:3]
	s_andn2_b64 exec, exec, s[8:9]
	s_cbranch_execz .LBB328_28
.LBB328_13:                             ;   Parent Loop BB328_7 Depth=1
                                        ; =>  This Loop Header: Depth=2
                                        ;       Child Loop BB328_15 Depth 3
                                        ;       Child Loop BB328_18 Depth 3
	;; [unrolled: 1-line block ×5, first 2 shown]
	v_cmp_gt_i32_e32 vcc, 5, v34
	s_nop 1
	v_cndmask_b32_e64 v30, -5, 0, vcc
	v_add_u32_e32 v51, v30, v34
	v_lshlrev_b32_e32 v30, 2, v51
	ds_read_b32 v31, v30 offset:51280
	v_add_u32_e32 v53, 0xc800, v30
	s_waitcnt lgkmcnt(0)
	v_cmp_ne_u32_e32 vcc, v31, v38
	s_and_saveexec_b64 s[38:39], vcc
	s_cbranch_execz .LBB328_16
; %bb.14:                               ;   in Loop: Header=BB328_13 Depth=2
	s_mov_b64 s[40:41], 0
.LBB328_15:                             ;   Parent Loop BB328_7 Depth=1
                                        ;     Parent Loop BB328_13 Depth=2
                                        ; =>    This Inner Loop Header: Depth=3
	;;#ASMSTART
	s_sleep 0
	;;#ASMEND
	ds_read_b32 v30, v53 offset:80
	s_waitcnt lgkmcnt(0)
	v_cmp_eq_u32_e32 vcc, v30, v38
	s_or_b64 s[40:41], vcc, s[40:41]
	s_andn2_b64 exec, exec, s[40:41]
	s_cbranch_execnz .LBB328_15
.LBB328_16:                             ;   in Loop: Header=BB328_13 Depth=2
	s_or_b64 exec, exec, s[38:39]
	v_or_b32_e32 v30, 0xa000, v39
	v_lshl_add_u32 v30, v51, 11, v30
	ds_read2_b32 v[34:35], v30 offset1:32
	ds_read2_b32 v[36:37], v30 offset0:128 offset1:160
	v_add_u32_e32 v30, 0x400, v30
	v_add_u32_e32 v52, 1, v38
	ds_read2_b32 v[32:33], v30 offset1:32
	ds_read2_b32 v[30:31], v30 offset0:128 offset1:160
	;;#ASMSTART
	s_waitcnt lgkmcnt(0)
	;;#ASMEND
	ds_write_b32 v53, v52 offset:80
	v_lshlrev_b32_e32 v53, 4, v51
	ds_read_b32 v54, v53 offset:51200
	s_waitcnt lgkmcnt(0)
	v_cmp_ne_u32_e32 vcc, v54, v38
	s_and_saveexec_b64 s[38:39], vcc
	s_cbranch_execz .LBB328_19
; %bb.17:                               ;   in Loop: Header=BB328_13 Depth=2
	s_mov_b64 s[40:41], 0
.LBB328_18:                             ;   Parent Loop BB328_7 Depth=1
                                        ;     Parent Loop BB328_13 Depth=2
                                        ; =>    This Inner Loop Header: Depth=3
	;;#ASMSTART
	s_sleep 0
	;;#ASMEND
	ds_read_b32 v54, v53 offset:51200
	s_waitcnt lgkmcnt(0)
	v_cmp_eq_u32_e32 vcc, v54, v38
	s_or_b64 s[40:41], vcc, s[40:41]
	s_andn2_b64 exec, exec, s[40:41]
	s_cbranch_execnz .LBB328_18
.LBB328_19:                             ;   in Loop: Header=BB328_13 Depth=2
	s_or_b64 exec, exec, s[38:39]
	v_lshlrev_b32_e32 v54, 13, v51
	v_or_b32_e32 v55, v39, v54
	ds_read2_b32 v[56:57], v55 offset1:32
	ds_read2_b32 v[58:59], v55 offset0:128 offset1:160
	v_add_u32_e32 v55, 0x400, v55
	s_waitcnt lgkmcnt(1)
	v_mfma_f32_16x16x32_fp8_fp8 v[12:15], v[56:57], v[34:35], v[12:15]
	ds_read2_b32 v[56:57], v55 offset1:32
	s_waitcnt lgkmcnt(1)
	v_mfma_f32_16x16x32_fp8_fp8 v[12:15], v[58:59], v[36:37], v[12:15]
	ds_read2_b32 v[58:59], v55 offset0:128 offset1:160
	;;#ASMSTART
	s_waitcnt lgkmcnt(0)
	;;#ASMEND
	ds_read_b32 v55, v53 offset:51204
	ds_write_b32 v53, v52 offset:51200
	s_waitcnt lgkmcnt(3)
	v_mfma_f32_16x16x32_fp8_fp8 v[12:15], v[56:57], v[32:33], v[12:15]
	s_waitcnt lgkmcnt(1)
	v_cmp_ne_u32_e32 vcc, v55, v38
	v_mfma_f32_16x16x32_fp8_fp8 v[12:15], v[58:59], v[30:31], v[12:15]
	s_and_saveexec_b64 s[38:39], vcc
	s_cbranch_execz .LBB328_22
; %bb.20:                               ;   in Loop: Header=BB328_13 Depth=2
	s_mov_b64 s[40:41], 0
.LBB328_21:                             ;   Parent Loop BB328_7 Depth=1
                                        ;     Parent Loop BB328_13 Depth=2
                                        ; =>    This Inner Loop Header: Depth=3
	;;#ASMSTART
	s_sleep 0
	;;#ASMEND
	ds_read_b32 v55, v53 offset:51204
	s_waitcnt lgkmcnt(0)
	v_cmp_eq_u32_e32 vcc, v55, v38
	s_or_b64 s[40:41], vcc, s[40:41]
	s_andn2_b64 exec, exec, s[40:41]
	s_cbranch_execnz .LBB328_21
.LBB328_22:                             ;   in Loop: Header=BB328_13 Depth=2
	s_or_b64 exec, exec, s[38:39]
	v_add_u32_e32 v54, v39, v54
	v_add_u32_e32 v55, 0x800, v54
	ds_read2_b32 v[56:57], v55 offset1:32
	ds_read2_b32 v[58:59], v55 offset0:128 offset1:160
	v_add_u32_e32 v55, 0xc00, v54
	s_waitcnt lgkmcnt(1)
	v_mfma_f32_16x16x32_fp8_fp8 v[8:11], v[56:57], v[34:35], v[8:11]
	ds_read2_b32 v[56:57], v55 offset1:32
	s_waitcnt lgkmcnt(1)
	v_mfma_f32_16x16x32_fp8_fp8 v[8:11], v[58:59], v[36:37], v[8:11]
	ds_read2_b32 v[58:59], v55 offset0:128 offset1:160
	;;#ASMSTART
	s_waitcnt lgkmcnt(0)
	;;#ASMEND
	ds_read_b32 v55, v53 offset:51208
	ds_write_b32 v53, v52 offset:51204
	s_waitcnt lgkmcnt(3)
	v_mfma_f32_16x16x32_fp8_fp8 v[8:11], v[56:57], v[32:33], v[8:11]
	s_waitcnt lgkmcnt(1)
	v_cmp_ne_u32_e32 vcc, v55, v38
	v_mfma_f32_16x16x32_fp8_fp8 v[8:11], v[58:59], v[30:31], v[8:11]
	s_and_saveexec_b64 s[38:39], vcc
	s_cbranch_execz .LBB328_25
; %bb.23:                               ;   in Loop: Header=BB328_13 Depth=2
	s_mov_b64 s[40:41], 0
.LBB328_24:                             ;   Parent Loop BB328_7 Depth=1
                                        ;     Parent Loop BB328_13 Depth=2
                                        ; =>    This Inner Loop Header: Depth=3
	;;#ASMSTART
	s_sleep 0
	;;#ASMEND
	ds_read_b32 v55, v53 offset:51208
	s_waitcnt lgkmcnt(0)
	v_cmp_eq_u32_e32 vcc, v55, v38
	s_or_b64 s[40:41], vcc, s[40:41]
	s_andn2_b64 exec, exec, s[40:41]
	s_cbranch_execnz .LBB328_24
.LBB328_25:                             ;   in Loop: Header=BB328_13 Depth=2
	s_or_b64 exec, exec, s[38:39]
	v_add_u32_e32 v55, 0x1000, v54
	ds_read2_b32 v[56:57], v55 offset1:32
	ds_read2_b32 v[58:59], v55 offset0:128 offset1:160
	v_add_u32_e32 v55, 0x1400, v54
	s_waitcnt lgkmcnt(1)
	v_mfma_f32_16x16x32_fp8_fp8 v[4:7], v[56:57], v[34:35], v[4:7]
	ds_read2_b32 v[56:57], v55 offset1:32
	s_waitcnt lgkmcnt(1)
	v_mfma_f32_16x16x32_fp8_fp8 v[4:7], v[58:59], v[36:37], v[4:7]
	ds_read2_b32 v[58:59], v55 offset0:128 offset1:160
	;;#ASMSTART
	s_waitcnt lgkmcnt(0)
	;;#ASMEND
	ds_read_b32 v55, v53 offset:51212
	ds_write_b32 v53, v52 offset:51208
	s_waitcnt lgkmcnt(3)
	v_mfma_f32_16x16x32_fp8_fp8 v[4:7], v[56:57], v[32:33], v[4:7]
	s_waitcnt lgkmcnt(1)
	v_cmp_ne_u32_e32 vcc, v55, v38
	v_mfma_f32_16x16x32_fp8_fp8 v[4:7], v[58:59], v[30:31], v[4:7]
	s_and_saveexec_b64 s[38:39], vcc
	s_cbranch_execz .LBB328_12
; %bb.26:                               ;   in Loop: Header=BB328_13 Depth=2
	s_mov_b64 s[40:41], 0
.LBB328_27:                             ;   Parent Loop BB328_7 Depth=1
                                        ;     Parent Loop BB328_13 Depth=2
                                        ; =>    This Inner Loop Header: Depth=3
	;;#ASMSTART
	s_sleep 0
	;;#ASMEND
	ds_read_b32 v55, v53 offset:51212
	s_waitcnt lgkmcnt(0)
	v_cmp_eq_u32_e32 vcc, v55, v38
	s_or_b64 s[40:41], vcc, s[40:41]
	s_andn2_b64 exec, exec, s[40:41]
	s_cbranch_execnz .LBB328_27
	s_branch .LBB328_12
.LBB328_28:                             ;   in Loop: Header=BB328_7 Depth=1
	s_or_b64 exec, exec, s[8:9]
.LBB328_29:                             ;   in Loop: Header=BB328_7 Depth=1
	s_or_b64 exec, exec, s[6:7]
	v_cmp_le_i32_e32 vcc, s31, v16
	v_cmp_eq_u32_e64 s[6:7], 3, v40
	s_waitcnt vmcnt(0)
	v_cndmask_b32_e32 v30, 0, v50, vcc
	v_pk_mul_f32 v[36:37], v[30:31], v[12:13] op_sel_hi:[0,1]
	v_cmp_eq_u32_e32 vcc, 1, v40
	v_pk_mul_f32 v[14:15], v[30:31], v[14:15] op_sel_hi:[0,1]
	v_add_u32_e32 v31, s54, v42
	v_cndmask_b32_e32 v12, v36, v37, vcc
	v_cmp_eq_u32_e32 vcc, 2, v40
	s_nop 1
	v_cndmask_b32_e32 v12, v12, v14, vcc
	v_cndmask_b32_e64 v12, v12, v15, s[6:7]
	ds_bpermute_b32 v13, v47, v12
	s_waitcnt lgkmcnt(0)
	v_cndmask_b32_e32 v14, v14, v13, vcc
	v_cmp_ne_u32_e32 vcc, 0, v40
	v_cndmask_b32_e64 v32, v15, v13, s[6:7]
	s_nop 0
	v_cndmask_b32_e32 v12, v37, v13, vcc
	v_cmp_eq_u32_e32 vcc, 0, v40
	s_nop 1
	v_cndmask_b32_e32 v13, v36, v13, vcc
	v_cmp_eq_u32_e32 vcc, 1, v41
	s_nop 1
	v_cndmask_b32_e32 v15, v13, v12, vcc
	v_cmp_eq_u32_e32 vcc, 2, v41
	s_nop 1
	v_cndmask_b32_e32 v15, v15, v14, vcc
	v_cmp_eq_u32_e32 vcc, 3, v41
	s_nop 1
	v_cndmask_b32_e32 v15, v15, v32, vcc
	ds_bpermute_b32 v15, v47, v15
	v_cmp_gt_u32_e32 vcc, 64, v31
	s_and_saveexec_b64 s[38:39], vcc
	s_cbranch_execz .LBB328_38
; %bb.30:                               ;   in Loop: Header=BB328_7 Depth=1
	v_cmp_eq_u32_e64 s[8:9], 1, v41
	v_cmp_eq_u32_e64 s[6:7], 3, v41
	v_cmp_eq_u32_e32 vcc, 2, v41
	s_waitcnt lgkmcnt(0)
	v_cndmask_b32_e64 v12, v12, v15, s[8:9]
	v_cmp_eq_u32_e64 s[8:9], 0, v41
	v_cvt_f16_f32_sdwa v35, v12 dst_sel:WORD_1 dst_unused:UNUSED_PAD src0_sel:DWORD
	s_nop 0
	v_cndmask_b32_e64 v13, v13, v15, s[8:9]
	s_mul_i32 s8, s52, s13
	s_ashr_i32 s9, s8, 31
	s_lshl_b64 s[8:9], s[8:9], 1
	s_add_u32 s40, s24, s8
	s_addc_u32 s41, s25, s9
	s_ashr_i32 s31, s30, 31
	s_lshl_b64 s[8:9], s[30:31], 1
	v_cvt_f16_f32_e32 v33, v13
	s_add_u32 s40, s40, s8
	s_addc_u32 s41, s41, s9
	v_lshl_add_u64 v[12:13], v[18:19], 1, s[40:41]
	v_cmp_gt_u32_e64 s[8:9], 62, v31
	v_or_b32_e32 v33, v35, v33
	;;#ASMSTART
	global_atomic_pk_add_f16 v[12:13], v33, off
	
	;;#ASMEND
	s_and_b64 exec, exec, s[8:9]
	s_cbranch_execz .LBB328_38
; %bb.31:                               ;   in Loop: Header=BB328_7 Depth=1
	v_mov_b32_e32 v31, v30
	v_cndmask_b32_e64 v35, v32, v15, s[6:7]
	v_mov_b32_e32 v32, v30
	v_mov_b32_e32 v33, v30
	v_pk_mul_f32 v[10:11], v[32:33], v[10:11]
	v_pk_mul_f32 v[32:33], v[30:31], v[8:9]
	v_cmp_eq_u32_e64 s[6:7], 1, v40
	v_cmp_eq_u32_e64 s[8:9], 3, v40
	v_cvt_f16_f32_sdwa v35, v35 dst_sel:WORD_1 dst_unused:UNUSED_PAD src0_sel:DWORD
	v_cndmask_b32_e64 v8, v32, v33, s[6:7]
	v_cmp_eq_u32_e64 s[6:7], 2, v40
	s_nop 1
	v_cndmask_b32_e64 v8, v8, v10, s[6:7]
	v_cndmask_b32_e64 v8, v8, v11, s[8:9]
	ds_bpermute_b32 v9, v47, v8
	v_cndmask_b32_e32 v8, v14, v15, vcc
	v_cmp_ne_u32_e32 vcc, 0, v40
	v_lshl_add_u64 v[14:15], s[10:11], 2, v[12:13]
	v_cvt_f16_f32_e32 v13, v8
	s_waitcnt lgkmcnt(0)
	v_cndmask_b32_e32 v8, v33, v9, vcc
	v_cmp_eq_u32_e32 vcc, 0, v40
	v_cndmask_b32_e64 v12, v11, v9, s[8:9]
	v_cndmask_b32_e64 v10, v10, v9, s[6:7]
	v_cndmask_b32_e32 v9, v32, v9, vcc
	v_cmp_eq_u32_e32 vcc, 1, v41
	v_or_b32_e32 v13, v35, v13
	;;#ASMSTART
	global_atomic_pk_add_f16 v[14:15], v13, off
	
	;;#ASMEND
	v_or_b32_e32 v13, 16, v42
	v_cndmask_b32_e32 v11, v9, v8, vcc
	v_cmp_eq_u32_e32 vcc, 2, v41
	v_add_u32_e32 v13, s54, v13
	s_nop 0
	v_cndmask_b32_e32 v11, v11, v10, vcc
	v_cmp_eq_u32_e32 vcc, 3, v41
	s_nop 1
	v_cndmask_b32_e32 v11, v11, v12, vcc
	ds_bpermute_b32 v11, v47, v11
	v_cmp_gt_u32_e32 vcc, 64, v13
	s_and_b64 exec, exec, vcc
	s_cbranch_execz .LBB328_38
; %bb.32:                               ;   in Loop: Header=BB328_7 Depth=1
	v_cmp_eq_u32_e32 vcc, 1, v41
	v_cmp_eq_u32_e64 s[6:7], 3, v41
	v_cmp_gt_u32_e64 s[8:9], 62, v13
	s_waitcnt lgkmcnt(0)
	v_cndmask_b32_e32 v8, v8, v11, vcc
	v_cmp_eq_u32_e32 vcc, 0, v41
	v_cvt_f16_f32_sdwa v15, v8 dst_sel:WORD_1 dst_unused:UNUSED_PAD src0_sel:DWORD
	s_nop 0
	v_cndmask_b32_e32 v9, v9, v11, vcc
	v_cvt_f16_f32_e32 v14, v9
	v_cmp_eq_u32_e32 vcc, 2, v41
	v_lshl_add_u64 v[8:9], v[20:21], 1, s[40:41]
	v_or_b32_e32 v14, v15, v14
	;;#ASMSTART
	global_atomic_pk_add_f16 v[8:9], v14, off
	
	;;#ASMEND
	s_and_b64 exec, exec, s[8:9]
	s_cbranch_execz .LBB328_38
; %bb.33:                               ;   in Loop: Header=BB328_7 Depth=1
	v_cndmask_b32_e64 v14, v12, v11, s[6:7]
	v_mov_b32_e32 v12, v30
	v_mov_b32_e32 v13, v30
	v_pk_mul_f32 v[6:7], v[12:13], v[6:7]
	v_pk_mul_f32 v[12:13], v[30:31], v[4:5]
	v_cmp_eq_u32_e64 s[6:7], 1, v40
	v_cmp_eq_u32_e64 s[8:9], 3, v40
	v_cvt_f16_f32_sdwa v14, v14 dst_sel:WORD_1 dst_unused:UNUSED_PAD src0_sel:DWORD
	v_cndmask_b32_e64 v4, v12, v13, s[6:7]
	v_cmp_eq_u32_e64 s[6:7], 2, v40
	s_nop 1
	v_cndmask_b32_e64 v4, v4, v6, s[6:7]
	v_cndmask_b32_e64 v4, v4, v7, s[8:9]
	ds_bpermute_b32 v5, v47, v4
	v_cndmask_b32_e32 v4, v10, v11, vcc
	v_cmp_ne_u32_e32 vcc, 0, v40
	v_lshl_add_u64 v[10:11], s[10:11], 2, v[8:9]
	v_cvt_f16_f32_e32 v9, v4
	s_waitcnt lgkmcnt(0)
	v_cndmask_b32_e32 v4, v13, v5, vcc
	v_cmp_eq_u32_e32 vcc, 0, v40
	v_cndmask_b32_e64 v8, v7, v5, s[8:9]
	v_cndmask_b32_e64 v6, v6, v5, s[6:7]
	v_cndmask_b32_e32 v5, v12, v5, vcc
	v_cmp_eq_u32_e32 vcc, 1, v41
	v_or_b32_e32 v9, v14, v9
	;;#ASMSTART
	global_atomic_pk_add_f16 v[10:11], v9, off
	
	;;#ASMEND
	v_or_b32_e32 v9, 32, v42
	v_cndmask_b32_e32 v7, v5, v4, vcc
	v_cmp_eq_u32_e32 vcc, 2, v41
	v_add_u32_e32 v9, s54, v9
	s_nop 0
	v_cndmask_b32_e32 v7, v7, v6, vcc
	v_cmp_eq_u32_e32 vcc, 3, v41
	s_nop 1
	v_cndmask_b32_e32 v7, v7, v8, vcc
	ds_bpermute_b32 v7, v47, v7
	v_cmp_gt_u32_e32 vcc, 64, v9
	s_and_b64 exec, exec, vcc
	s_cbranch_execz .LBB328_38
; %bb.34:                               ;   in Loop: Header=BB328_7 Depth=1
	v_cmp_eq_u32_e32 vcc, 1, v41
	v_cmp_eq_u32_e64 s[6:7], 3, v41
	v_cmp_gt_u32_e64 s[8:9], 62, v9
	s_waitcnt lgkmcnt(0)
	v_cndmask_b32_e32 v4, v4, v7, vcc
	v_cmp_eq_u32_e32 vcc, 0, v41
	v_cvt_f16_f32_sdwa v11, v4 dst_sel:WORD_1 dst_unused:UNUSED_PAD src0_sel:DWORD
	s_nop 0
	v_cndmask_b32_e32 v5, v5, v7, vcc
	v_cvt_f16_f32_e32 v10, v5
	v_cmp_eq_u32_e32 vcc, 2, v41
	v_lshl_add_u64 v[4:5], v[22:23], 1, s[40:41]
	v_or_b32_e32 v10, v11, v10
	;;#ASMSTART
	global_atomic_pk_add_f16 v[4:5], v10, off
	
	;;#ASMEND
	s_and_b64 exec, exec, s[8:9]
	s_cbranch_execz .LBB328_38
; %bb.35:                               ;   in Loop: Header=BB328_7 Depth=1
	v_cndmask_b32_e64 v12, v8, v7, s[6:7]
	v_mov_b32_e32 v8, v30
	v_mov_b32_e32 v9, v30
	v_pk_mul_f32 v[10:11], v[30:31], v[0:1]
	v_cmp_eq_u32_e64 s[6:7], 1, v40
	v_pk_mul_f32 v[8:9], v[8:9], v[2:3]
	v_cmp_eq_u32_e64 s[8:9], 3, v40
	v_cndmask_b32_e64 v0, v10, v11, s[6:7]
	v_cmp_eq_u32_e64 s[6:7], 2, v40
	v_cvt_f16_f32_sdwa v12, v12 dst_sel:WORD_1 dst_unused:UNUSED_PAD src0_sel:DWORD
	s_nop 0
	v_cndmask_b32_e64 v0, v0, v8, s[6:7]
	v_cndmask_b32_e64 v0, v0, v9, s[8:9]
	ds_bpermute_b32 v1, v47, v0
	v_cndmask_b32_e32 v0, v6, v7, vcc
	v_cmp_ne_u32_e32 vcc, 0, v40
	v_lshl_add_u64 v[6:7], s[10:11], 2, v[4:5]
	v_cvt_f16_f32_e32 v5, v0
	s_waitcnt lgkmcnt(0)
	v_cndmask_b32_e32 v0, v11, v1, vcc
	v_cmp_eq_u32_e32 vcc, 0, v40
	v_cndmask_b32_e64 v2, v9, v1, s[8:9]
	v_cndmask_b32_e64 v3, v8, v1, s[6:7]
	v_cndmask_b32_e32 v1, v10, v1, vcc
	v_cmp_eq_u32_e32 vcc, 1, v41
	v_or_b32_e32 v5, v12, v5
	;;#ASMSTART
	global_atomic_pk_add_f16 v[6:7], v5, off
	
	;;#ASMEND
	v_or_b32_e32 v5, 48, v42
	v_cndmask_b32_e32 v4, v1, v0, vcc
	v_cmp_eq_u32_e32 vcc, 2, v41
	v_add_u32_e32 v5, s54, v5
	s_nop 0
	v_cndmask_b32_e32 v4, v4, v3, vcc
	v_cmp_eq_u32_e32 vcc, 3, v41
	s_nop 1
	v_cndmask_b32_e32 v4, v4, v2, vcc
	ds_bpermute_b32 v4, v47, v4
	v_cmp_gt_u32_e32 vcc, 64, v5
	s_and_b64 exec, exec, vcc
	s_cbranch_execz .LBB328_38
; %bb.36:                               ;   in Loop: Header=BB328_7 Depth=1
	v_cmp_eq_u32_e32 vcc, 1, v41
	v_cmp_eq_u32_e64 s[6:7], 2, v41
	v_cmp_gt_u32_e64 s[8:9], 62, v5
	s_waitcnt lgkmcnt(0)
	v_cndmask_b32_e32 v0, v0, v4, vcc
	v_cmp_eq_u32_e32 vcc, 0, v41
	v_cvt_f16_f32_sdwa v7, v0 dst_sel:WORD_1 dst_unused:UNUSED_PAD src0_sel:DWORD
	s_nop 0
	v_cndmask_b32_e32 v1, v1, v4, vcc
	v_cvt_f16_f32_e32 v6, v1
	v_cmp_eq_u32_e32 vcc, 3, v41
	v_lshl_add_u64 v[0:1], v[24:25], 1, s[40:41]
	v_or_b32_e32 v6, v7, v6
	;;#ASMSTART
	global_atomic_pk_add_f16 v[0:1], v6, off
	
	;;#ASMEND
	s_and_b64 exec, exec, s[8:9]
	s_cbranch_execz .LBB328_38
; %bb.37:                               ;   in Loop: Header=BB328_7 Depth=1
	v_cndmask_b32_e32 v2, v2, v4, vcc
	v_cndmask_b32_e64 v3, v3, v4, s[6:7]
	v_cvt_f16_f32_sdwa v2, v2 dst_sel:WORD_1 dst_unused:UNUSED_PAD src0_sel:DWORD
	v_cvt_f16_f32_e32 v3, v3
	v_lshl_add_u64 v[0:1], s[10:11], 2, v[0:1]
	v_or_b32_e32 v2, v2, v3
	;;#ASMSTART
	global_atomic_pk_add_f16 v[0:1], v2, off
	
	;;#ASMEND
.LBB328_38:                             ;   in Loop: Header=BB328_7 Depth=1
	s_or_b64 exec, exec, s[38:39]
	v_subrev_u32_e32 v49, s55, v49
.LBB328_39:                             ;   in Loop: Header=BB328_7 Depth=1
	s_or_b64 exec, exec, s[36:37]
.LBB328_40:                             ;   in Loop: Header=BB328_7 Depth=1
	s_andn2_saveexec_b64 s[6:7], s[34:35]
	s_cbranch_execz .LBB328_49
; %bb.41:                               ;   in Loop: Header=BB328_7 Depth=1
	v_cmp_gt_i32_e32 vcc, s55, v49
	s_and_saveexec_b64 s[8:9], vcc
	s_cbranch_execz .LBB328_48
; %bb.42:                               ;   in Loop: Header=BB328_7 Depth=1
	s_mul_i32 s30, s30, s15
	s_ashr_i32 s31, s30, 31
	s_waitcnt lgkmcnt(0)
	s_add_u32 s30, s22, s30
	s_addc_u32 s31, s23, s31
	s_ashr_i32 s34, s53, 31
	s_add_u32 s30, s30, s53
	s_addc_u32 s31, s31, s34
	v_lshl_add_u64 v[0:1], s[30:31], 0, v[28:29]
	v_lshl_add_u64 v[8:9], v[0:1], 0, v[26:27]
	s_mov_b64 s[30:31], 0
	s_branch .LBB328_44
.LBB328_43:                             ;   in Loop: Header=BB328_44 Depth=2
	s_or_b64 exec, exec, s[34:35]
	v_lshl_add_u32 v12, v10, 11, v45
	;;#ASMSTART
	s_waitcnt vmcnt(1)
	;;#ASMEND
	ds_write2_b32 v12, v4, v5 offset1:32
	ds_write2_b32 v12, v6, v7 offset0:64 offset1:96
	v_add_u32_e32 v4, 0x400, v12
	v_add_u32_e32 v49, s18, v49
	;;#ASMSTART
	s_waitcnt vmcnt(0)
	;;#ASMEND
	ds_write2_b32 v4, v0, v1 offset1:32
	ds_write2_b32 v4, v2, v3 offset0:64 offset1:96
	v_add_u32_e32 v0, 1, v38
	v_add_u32_e32 v34, s18, v10
	v_cmp_le_i32_e32 vcc, s55, v49
	ds_write_b32 v11, v0 offset:80
	v_add_u32_e32 v0, 2, v38
	s_or_b64 s[30:31], vcc, s[30:31]
	v_cmp_lt_i32_e32 vcc, 4, v34
	s_nop 1
	v_cndmask_b32_e32 v38, v38, v0, vcc
	s_andn2_b64 exec, exec, s[30:31]
	s_cbranch_execz .LBB328_47
.LBB328_44:                             ;   Parent Loop BB328_7 Depth=1
                                        ; =>  This Loop Header: Depth=2
                                        ;       Child Loop BB328_46 Depth 3
	v_cmp_gt_i32_e32 vcc, 5, v34
	s_nop 1
	v_cndmask_b32_e64 v0, -5, 0, vcc
	v_add_u32_e32 v10, v0, v34
	v_lshlrev_b32_e32 v0, 7, v49
	v_ashrrev_i32_e32 v1, 31, v0
	v_lshl_add_u64 v[0:1], v[8:9], 0, v[0:1]
	v_lshlrev_b32_e32 v11, 2, v10
	;;#ASMSTART
	global_load_dwordx4 v[4:7], v[0:1], off offset:0   sc0 sc1 nt  
	global_load_dwordx4 v[0:3], v[0:1], off offset:64  sc0 sc1 nt  
	
	;;#ASMEND
	ds_read_b32 v12, v11 offset:51280
	v_add_u32_e32 v11, 0xc800, v11
	s_waitcnt lgkmcnt(0)
	v_cmp_ne_u32_e32 vcc, v12, v38
	s_and_saveexec_b64 s[34:35], vcc
	s_cbranch_execz .LBB328_43
; %bb.45:                               ;   in Loop: Header=BB328_44 Depth=2
	s_mov_b64 s[36:37], 0
.LBB328_46:                             ;   Parent Loop BB328_7 Depth=1
                                        ;     Parent Loop BB328_44 Depth=2
                                        ; =>    This Inner Loop Header: Depth=3
	;;#ASMSTART
	s_sleep 0
	;;#ASMEND
	ds_read_b32 v12, v11 offset:80
	s_waitcnt lgkmcnt(0)
	v_cmp_eq_u32_e32 vcc, v12, v38
	s_or_b64 s[36:37], vcc, s[36:37]
	s_andn2_b64 exec, exec, s[36:37]
	s_cbranch_execnz .LBB328_46
	s_branch .LBB328_43
.LBB328_47:                             ;   in Loop: Header=BB328_7 Depth=1
	s_or_b64 exec, exec, s[30:31]
.LBB328_48:                             ;   in Loop: Header=BB328_7 Depth=1
	s_or_b64 exec, exec, s[8:9]
	v_subrev_u32_e32 v49, s55, v49
.LBB328_49:                             ;   in Loop: Header=BB328_7 Depth=1
	s_or_b64 exec, exec, s[6:7]
.LBB328_50:                             ;   in Loop: Header=BB328_7 Depth=1
	s_andn2_saveexec_b64 s[6:7], s[28:29]
	s_cbranch_execz .LBB328_6
; %bb.51:                               ;   in Loop: Header=BB328_7 Depth=1
	s_lshl_b32 s36, s55, 2
	v_cmp_gt_i32_e32 vcc, s36, v49
	s_and_saveexec_b64 s[8:9], vcc
	s_cbranch_execz .LBB328_5
; %bb.52:                               ;   in Loop: Header=BB328_7 Depth=1
	s_mul_i32 s52, s52, s14
	s_ashr_i32 s28, s52, 31
	s_waitcnt lgkmcnt(0)
	s_add_u32 s29, s20, s52
	v_add_u32_e32 v2, s54, v43
	s_addc_u32 s30, s21, s28
	s_ashr_i32 s31, s53, 31
	v_cmp_gt_u32_e32 vcc, 64, v2
	s_add_u32 s28, s29, s53
	s_addc_u32 s29, s30, s31
	v_cndmask_b32_e32 v0, 0, v46, vcc
	v_ashrrev_i32_e32 v1, 31, v0
	v_lshl_add_u64 v[0:1], s[28:29], 0, v[0:1]
	v_lshl_add_u64 v[8:9], v[0:1], 0, v[26:27]
	v_sub_u32_e32 v10, 63, v2
	s_mov_b64 s[28:29], 0
	s_branch .LBB328_54
.LBB328_53:                             ;   in Loop: Header=BB328_54 Depth=2
	s_or_b64 exec, exec, s[30:31]
	v_lshl_or_b32 v13, v11, 11, v44
	;;#ASMSTART
	s_waitcnt vmcnt(1)
	;;#ASMEND
	ds_write2_b32 v13, v4, v5 offset1:32
	ds_write2_b32 v13, v6, v7 offset0:64 offset1:96
	v_add_u32_e32 v4, 0x400, v13
	v_add_u32_e32 v49, s17, v49
	;;#ASMSTART
	s_waitcnt vmcnt(0)
	;;#ASMEND
	ds_write2_b32 v4, v0, v1 offset1:32
	ds_write2_b32 v4, v2, v3 offset0:64 offset1:96
	v_add_u32_e32 v0, 1, v38
	v_add_u32_e32 v34, s17, v11
	v_cmp_le_i32_e32 vcc, s36, v49
	ds_write_b32 v12, v0
	v_add_u32_e32 v0, 2, v38
	s_or_b64 s[28:29], vcc, s[28:29]
	v_cmp_lt_i32_e32 vcc, 19, v34
	s_nop 1
	v_cndmask_b32_e32 v38, v38, v0, vcc
	s_andn2_b64 exec, exec, s[28:29]
	s_cbranch_execz .LBB328_4
.LBB328_54:                             ;   Parent Loop BB328_7 Depth=1
                                        ; =>  This Loop Header: Depth=2
                                        ;       Child Loop BB328_56 Depth 3
	v_cmp_gt_i32_e32 vcc, 20, v34
	s_nop 1
	v_cndmask_b32_e64 v0, v48, 0, vcc
	v_add_u32_e32 v11, v0, v34
	v_ashrrev_i32_e32 v0, 31, v49
	v_lshrrev_b32_e32 v0, 30, v0
	v_add_u32_e32 v0, v49, v0
	v_and_b32_e32 v1, 0xffffffc, v0
	v_sub_u32_e32 v1, v49, v1
	v_lshlrev_b32_e32 v1, 4, v1
	v_cmp_le_i32_e32 vcc, v1, v10
	v_lshlrev_b32_e32 v0, 5, v0
	v_and_b32_e32 v0, 0xffffff80, v0
	v_cndmask_b32_e32 v2, 0, v1, vcc
	v_ashrrev_i32_e32 v1, 31, v0
	v_mul_lo_u32 v2, v2, s14
	v_lshl_add_u64 v[0:1], v[8:9], 0, v[0:1]
	v_ashrrev_i32_e32 v3, 31, v2
	v_lshl_add_u64 v[0:1], v[0:1], 0, v[2:3]
	v_lshlrev_b32_e32 v12, 2, v11
	;;#ASMSTART
	global_load_dwordx4 v[4:7], v[0:1], off offset:0   
	global_load_dwordx4 v[0:3], v[0:1], off offset:64  
	
	;;#ASMEND
	ds_read_b32 v13, v12 offset:51200
	v_add_u32_e32 v12, 0xc800, v12
	s_waitcnt lgkmcnt(0)
	v_cmp_ne_u32_e32 vcc, v13, v38
	s_and_saveexec_b64 s[30:31], vcc
	s_cbranch_execz .LBB328_53
; %bb.55:                               ;   in Loop: Header=BB328_54 Depth=2
	s_mov_b64 s[34:35], 0
.LBB328_56:                             ;   Parent Loop BB328_7 Depth=1
                                        ;     Parent Loop BB328_54 Depth=2
                                        ; =>    This Inner Loop Header: Depth=3
	;;#ASMSTART
	s_sleep 0
	;;#ASMEND
	ds_read_b32 v13, v12
	s_waitcnt lgkmcnt(0)
	v_cmp_eq_u32_e32 vcc, v13, v38
	s_or_b64 s[34:35], vcc, s[34:35]
	s_andn2_b64 exec, exec, s[34:35]
	s_cbranch_execnz .LBB328_56
	s_branch .LBB328_53
.LBB328_57:
	s_endpgm
	.section	.rodata,"a",@progbits
	.p2align	6, 0x0
	.amdhsa_kernel _Z19_skinny_gemm_kernelILi4ELi1ELi5ELi16ELi4EEvPKhS1_P6__halfPKfiiiiiiii
		.amdhsa_group_segment_fixed_size 51300
		.amdhsa_private_segment_fixed_size 0
		.amdhsa_kernarg_size 64
		.amdhsa_user_sgpr_count 2
		.amdhsa_user_sgpr_dispatch_ptr 0
		.amdhsa_user_sgpr_queue_ptr 0
		.amdhsa_user_sgpr_kernarg_segment_ptr 1
		.amdhsa_user_sgpr_dispatch_id 0
		.amdhsa_user_sgpr_kernarg_preload_length 0
		.amdhsa_user_sgpr_kernarg_preload_offset 0
		.amdhsa_user_sgpr_private_segment_size 0
		.amdhsa_uses_dynamic_stack 0
		.amdhsa_enable_private_segment 0
		.amdhsa_system_sgpr_workgroup_id_x 1
		.amdhsa_system_sgpr_workgroup_id_y 0
		.amdhsa_system_sgpr_workgroup_id_z 0
		.amdhsa_system_sgpr_workgroup_info 0
		.amdhsa_system_vgpr_workitem_id 0
		.amdhsa_next_free_vgpr 61
		.amdhsa_next_free_sgpr 56
		.amdhsa_accum_offset 64
		.amdhsa_reserve_vcc 1
		.amdhsa_float_round_mode_32 0
		.amdhsa_float_round_mode_16_64 0
		.amdhsa_float_denorm_mode_32 3
		.amdhsa_float_denorm_mode_16_64 3
		.amdhsa_dx10_clamp 1
		.amdhsa_ieee_mode 1
		.amdhsa_fp16_overflow 0
		.amdhsa_tg_split 0
		.amdhsa_exception_fp_ieee_invalid_op 0
		.amdhsa_exception_fp_denorm_src 0
		.amdhsa_exception_fp_ieee_div_zero 0
		.amdhsa_exception_fp_ieee_overflow 0
		.amdhsa_exception_fp_ieee_underflow 0
		.amdhsa_exception_fp_ieee_inexact 0
		.amdhsa_exception_int_div_zero 0
	.end_amdhsa_kernel
	.section	.text._Z19_skinny_gemm_kernelILi4ELi1ELi5ELi16ELi4EEvPKhS1_P6__halfPKfiiiiiiii,"axG",@progbits,_Z19_skinny_gemm_kernelILi4ELi1ELi5ELi16ELi4EEvPKhS1_P6__halfPKfiiiiiiii,comdat
.Lfunc_end328:
	.size	_Z19_skinny_gemm_kernelILi4ELi1ELi5ELi16ELi4EEvPKhS1_P6__halfPKfiiiiiiii, .Lfunc_end328-_Z19_skinny_gemm_kernelILi4ELi1ELi5ELi16ELi4EEvPKhS1_P6__halfPKfiiiiiiii
                                        ; -- End function
	.set _Z19_skinny_gemm_kernelILi4ELi1ELi5ELi16ELi4EEvPKhS1_P6__halfPKfiiiiiiii.num_vgpr, 61
	.set _Z19_skinny_gemm_kernelILi4ELi1ELi5ELi16ELi4EEvPKhS1_P6__halfPKfiiiiiiii.num_agpr, 0
	.set _Z19_skinny_gemm_kernelILi4ELi1ELi5ELi16ELi4EEvPKhS1_P6__halfPKfiiiiiiii.numbered_sgpr, 56
	.set _Z19_skinny_gemm_kernelILi4ELi1ELi5ELi16ELi4EEvPKhS1_P6__halfPKfiiiiiiii.num_named_barrier, 0
	.set _Z19_skinny_gemm_kernelILi4ELi1ELi5ELi16ELi4EEvPKhS1_P6__halfPKfiiiiiiii.private_seg_size, 0
	.set _Z19_skinny_gemm_kernelILi4ELi1ELi5ELi16ELi4EEvPKhS1_P6__halfPKfiiiiiiii.uses_vcc, 1
	.set _Z19_skinny_gemm_kernelILi4ELi1ELi5ELi16ELi4EEvPKhS1_P6__halfPKfiiiiiiii.uses_flat_scratch, 0
	.set _Z19_skinny_gemm_kernelILi4ELi1ELi5ELi16ELi4EEvPKhS1_P6__halfPKfiiiiiiii.has_dyn_sized_stack, 0
	.set _Z19_skinny_gemm_kernelILi4ELi1ELi5ELi16ELi4EEvPKhS1_P6__halfPKfiiiiiiii.has_recursion, 0
	.set _Z19_skinny_gemm_kernelILi4ELi1ELi5ELi16ELi4EEvPKhS1_P6__halfPKfiiiiiiii.has_indirect_call, 0
	.section	.AMDGPU.csdata,"",@progbits
; Kernel info:
; codeLenInByte = 4360
; TotalNumSgprs: 62
; NumVgprs: 61
; NumAgprs: 0
; TotalNumVgprs: 61
; ScratchSize: 0
; MemoryBound: 0
; FloatMode: 240
; IeeeMode: 1
; LDSByteSize: 51300 bytes/workgroup (compile time only)
; SGPRBlocks: 7
; VGPRBlocks: 7
; NumSGPRsForWavesPerEU: 62
; NumVGPRsForWavesPerEU: 61
; AccumOffset: 64
; Occupancy: 8
; WaveLimiterHint : 0
; COMPUTE_PGM_RSRC2:SCRATCH_EN: 0
; COMPUTE_PGM_RSRC2:USER_SGPR: 2
; COMPUTE_PGM_RSRC2:TRAP_HANDLER: 0
; COMPUTE_PGM_RSRC2:TGID_X_EN: 1
; COMPUTE_PGM_RSRC2:TGID_Y_EN: 0
; COMPUTE_PGM_RSRC2:TGID_Z_EN: 0
; COMPUTE_PGM_RSRC2:TIDIG_COMP_CNT: 0
; COMPUTE_PGM_RSRC3_GFX90A:ACCUM_OFFSET: 15
; COMPUTE_PGM_RSRC3_GFX90A:TG_SPLIT: 0
	.section	.text._Z19_skinny_gemm_kernelILi4ELi1ELi5ELi32ELi4EEvPKhS1_P6__halfPKfiiiiiiii,"axG",@progbits,_Z19_skinny_gemm_kernelILi4ELi1ELi5ELi32ELi4EEvPKhS1_P6__halfPKfiiiiiiii,comdat
	.protected	_Z19_skinny_gemm_kernelILi4ELi1ELi5ELi32ELi4EEvPKhS1_P6__halfPKfiiiiiiii ; -- Begin function _Z19_skinny_gemm_kernelILi4ELi1ELi5ELi32ELi4EEvPKhS1_P6__halfPKfiiiiiiii
	.globl	_Z19_skinny_gemm_kernelILi4ELi1ELi5ELi32ELi4EEvPKhS1_P6__halfPKfiiiiiiii
	.p2align	8
	.type	_Z19_skinny_gemm_kernelILi4ELi1ELi5ELi32ELi4EEvPKhS1_P6__halfPKfiiiiiiii,@function
_Z19_skinny_gemm_kernelILi4ELi1ELi5ELi32ELi4EEvPKhS1_P6__halfPKfiiiiiiii: ; @_Z19_skinny_gemm_kernelILi4ELi1ELi5ELi32ELi4EEvPKhS1_P6__halfPKfiiiiiiii
; %bb.0:
	v_cmp_gt_u32_e32 vcc, 25, v0
	s_and_saveexec_b64 s[4:5], vcc
; %bb.1:
	v_lshlrev_b32_e32 v1, 2, v0
	v_mov_b32_e32 v2, 0
	ds_write_b32 v1, v2 offset:51200
; %bb.2:
	s_or_b64 exec, exec, s[4:5]
	s_load_dwordx8 s[36:43], s[0:1], 0x20
	s_waitcnt lgkmcnt(0)
	s_barrier
	s_add_i32 s3, s36, 0x7f
	s_ashr_i32 s5, s3, 31
	s_add_i32 s4, s37, 31
	s_lshr_b32 s5, s5, 25
	s_ashr_i32 s6, s4, 31
	s_add_i32 s3, s3, s5
	s_ashr_i32 s33, s3, 7
	s_lshr_b32 s3, s6, 27
	s_add_i32 s4, s4, s3
	s_ashr_i32 s62, s4, 5
	s_mul_i32 s3, s62, s33
	s_mul_i32 s3, s3, s40
	s_add_i32 s4, s3, 0x12f
	s_mul_hi_i32 s4, s4, 0x6bca1af3
	s_lshr_b32 s5, s4, 31
	s_ashr_i32 s4, s4, 7
	s_add_i32 s4, s4, s5
	s_add_i32 s5, s2, 1
	s_mul_i32 s5, s4, s5
	v_cvt_f64_i32_e32 v[2:3], s3
	v_cvt_f64_u32_e32 v[4:5], s5
	v_min_f64 v[2:3], v[2:3], v[4:5]
	v_cvt_i32_f64_e32 v46, v[2:3]
	s_mul_i32 s63, s4, s2
	v_cmp_ge_i32_e32 vcc, s63, v46
	s_cbranch_vccnz .LBB329_48
; %bb.3:
	v_lshrrev_b32_e32 v1, 6, v0
	s_add_i32 s4, s42, s41
	s_load_dwordx8 s[44:51], s[0:1], 0x0
	v_cmp_le_i32_e64 s[0:1], s4, v1
	v_mov_b32_e32 v2, s41
	v_cmp_le_i32_e64 s[2:3], s41, v1
	v_mov_b32_e32 v3, s42
	v_cndmask_b32_e64 v3, 0, v3, s[0:1]
	v_cndmask_b32_e64 v2, 0, v2, s[2:3]
	s_abs_i32 s5, s40
	v_add_u32_e32 v2, v2, v3
	v_cvt_f32_u32_e32 v3, s5
	v_sub_u32_e32 v40, v1, v2
	s_ashr_i32 s6, s38, 31
	s_lshr_b32 s6, s6, 26
	v_rcp_iflag_f32_e32 v2, v3
	s_sub_i32 s9, 0, s5
	s_add_i32 s6, s38, s6
	s_ashr_i32 s6, s6, 6
	v_mul_f32_e32 v2, 0x4f7ffffe, v2
	v_cvt_u32_f32_e32 v2, v2
	s_abs_i32 s8, s6
	s_xor_b32 s7, s6, s40
	s_ashr_i32 s7, s7, 31
	v_readfirstlane_b32 s10, v2
	s_mul_i32 s9, s9, s10
	s_mul_hi_u32 s9, s10, s9
	s_add_i32 s10, s10, s9
	s_mul_hi_u32 s9, s8, s10
	s_mul_i32 s10, s9, s5
	s_sub_i32 s8, s8, s10
	s_add_i32 s10, s9, 1
	s_sub_i32 s11, s8, s5
	s_cmp_ge_u32 s8, s5
	s_cselect_b32 s9, s10, s9
	s_cselect_b32 s8, s11, s8
	s_add_i32 s10, s9, 1
	s_cmp_ge_u32 s8, s5
	s_cselect_b32 s5, s10, s9
	s_xor_b32 s5, s5, s7
	s_sub_i32 s64, s5, s7
	s_add_i32 s40, s40, -1
	s_mul_i32 s5, s64, s40
	s_add_i32 s4, s4, s43
	v_and_b32_e32 v48, 31, v0
	v_lshrrev_b32_e32 v2, 3, v0
	s_sub_i32 s65, s6, s5
	v_cmp_gt_i32_e64 s[4:5], s4, v1
	v_lshlrev_b32_e32 v1, 2, v48
	v_and_b32_e32 v3, 4, v2
	v_and_b32_e32 v5, 1, v0
	v_lshlrev_b32_e32 v2, 6, v3
	v_or_b32_e32 v4, 0xa000, v1
	v_or_b32_e32 v3, v3, v5
	;; [unrolled: 1-line block ×4, first 2 shown]
	v_lshlrev_b32_e32 v2, 1, v5
	v_or_b32_e32 v5, 2, v3
	v_sub_u32_e32 v60, 32, v5
	v_or_b32_e32 v5, 8, v3
	v_sub_u32_e32 v61, 32, v5
	;; [unrolled: 2-line block ×5, first 2 shown]
	v_mul_lo_u32 v18, s37, v3
	v_sub_u32_e32 v64, 32, v5
	v_or_b32_e32 v5, 24, v3
	v_or_b32_e32 v3, 26, v3
	v_sub_u32_e32 v66, 32, v3
	v_lshrrev_b32_e32 v3, 1, v0
	s_abs_i32 s66, s33
	v_and_b32_e32 v34, 16, v3
	v_cvt_f32_u32_e32 v3, s66
	v_sub_u32_e32 v2, v0, v2
	v_add_u32_e32 v2, 1, v2
	v_and_b32_e32 v6, 63, v2
	v_bitop3_b32 v51, v0, 1, v0 bitop3:0xc
	v_bitop3_b32 v52, v0, 3, 1 bitop3:0x6c
	;; [unrolled: 1-line block ×8, first 2 shown]
	v_and_b32_e32 v2, 30, v0
	v_lshlrev_b32_e32 v0, 4, v0
	v_and_b32_e32 v0, 0x200, v0
	v_rcp_iflag_f32_e32 v3, v3
	s_abs_i32 s67, s62
	v_or_b32_e32 v69, v1, v0
	v_cvt_f32_u32_e32 v1, s67
	s_lshl_b32 s6, s37, 1
	v_add_u32_e32 v20, s6, v18
	s_mul_i32 s7, s37, 6
	v_or_b32_e32 v67, v4, v0
	v_mul_f32_e32 v0, 0x4f7ffffe, v3
	v_add_u32_e32 v22, s7, v20
	v_cvt_u32_f32_e32 v0, v0
	v_rcp_iflag_f32_e32 v1, v1
	v_add_u32_e32 v24, s6, v22
	v_add_u32_e32 v26, s7, v24
	;; [unrolled: 1-line block ×4, first 2 shown]
	v_readfirstlane_b32 s7, v0
	v_mul_f32_e32 v0, 0x4f7ffffe, v1
	v_cvt_u32_f32_e32 v0, v0
	v_add_u32_e32 v32, s6, v30
	s_sub_i32 s6, 0, s66
	s_mul_i32 s6, s6, s7
	s_mul_hi_u32 s6, s7, s6
	s_add_i32 s69, s7, s6
	s_sub_i32 s6, 0, s67
	v_readfirstlane_b32 s7, v0
	v_mbcnt_lo_u32_b32 v0, -1, 0
	s_mul_i32 s6, s6, s7
	v_mbcnt_hi_u32_b32 v0, -1, v0
	v_mov_b32_e32 v17, 0
	v_mul_lo_u32 v36, s39, v48
	s_mul_hi_u32 s6, s7, s6
	v_and_or_b32 v0, v0, 64, v6
	v_cndmask_b32_e64 v47, 0, 1, s[0:1]
	v_ashrrev_i32_e32 v19, 31, v18
	v_ashrrev_i32_e32 v21, 31, v20
	;; [unrolled: 1-line block ×6, first 2 shown]
	v_sub_u32_e32 v65, 32, v5
	v_ashrrev_i32_e32 v31, 31, v30
	v_ashrrev_i32_e32 v33, 31, v32
	;; [unrolled: 1-line block ×3, first 2 shown]
	v_mov_b32_e32 v35, v17
	v_mul_lo_u32 v68, s38, v48
	s_ashr_i32 s68, s33, 31
	s_ashr_i32 s70, s62, 31
	s_add_i32 s71, s7, s6
	s_movk_i32 s72, 0x80
	v_lshlrev_b32_e32 v16, 1, v2
	v_lshlrev_b32_e32 v70, 2, v0
	v_not_b32_e32 v71, 19
	v_mov_b32_e32 v72, v40
	s_branch .LBB329_7
.LBB329_4:                              ;   in Loop: Header=BB329_7 Depth=1
	s_or_b64 exec, exec, s[10:11]
.LBB329_5:                              ;   in Loop: Header=BB329_7 Depth=1
	s_or_b64 exec, exec, s[8:9]
	v_subrev_u32_e32 v72, s16, v72
.LBB329_6:                              ;   in Loop: Header=BB329_7 Depth=1
	s_or_b64 exec, exec, s[6:7]
	s_add_i32 s63, s63, 1
	v_cmp_ge_i32_e32 vcc, s63, v46
	s_cbranch_vccnz .LBB329_48
.LBB329_7:                              ; =>This Loop Header: Depth=1
                                        ;     Child Loop BB329_13 Depth 2
                                        ;       Child Loop BB329_15 Depth 3
                                        ;       Child Loop BB329_18 Depth 3
                                        ;     Child Loop BB329_35 Depth 2
                                        ;       Child Loop BB329_37 Depth 3
                                        ;     Child Loop BB329_45 Depth 2
                                        ;       Child Loop BB329_47 Depth 3
	s_abs_i32 s7, s63
	s_mul_hi_u32 s8, s7, s69
	s_mul_i32 s9, s8, s66
	s_ashr_i32 s6, s63, 31
	s_sub_i32 s7, s7, s9
	s_xor_b32 s6, s6, s68
	s_add_i32 s9, s8, 1
	s_sub_i32 s10, s7, s66
	s_cmp_ge_u32 s7, s66
	s_cselect_b32 s8, s9, s8
	s_cselect_b32 s7, s10, s7
	s_add_i32 s9, s8, 1
	s_cmp_ge_u32 s7, s66
	s_cselect_b32 s7, s9, s8
	s_xor_b32 s7, s7, s6
	s_sub_i32 s6, s7, s6
	s_abs_i32 s8, s6
	s_mul_i32 s7, s6, s33
	s_mul_hi_u32 s9, s8, s71
	s_sub_i32 s7, s63, s7
	s_mul_i32 s10, s9, s67
	s_lshl_b32 s73, s7, 7
	s_ashr_i32 s7, s6, 31
	s_sub_i32 s8, s8, s10
	s_xor_b32 s7, s7, s70
	s_add_i32 s10, s9, 1
	s_sub_i32 s11, s8, s67
	s_cmp_ge_u32 s8, s67
	s_cselect_b32 s9, s10, s9
	s_cselect_b32 s8, s11, s8
	s_add_i32 s10, s9, 1
	s_cmp_ge_u32 s8, s67
	s_cselect_b32 s8, s10, s9
	s_xor_b32 s8, s8, s7
	s_sub_i32 s7, s8, s7
	s_mul_i32 s8, s7, s64
	s_lshl_b32 s74, s8, 6
	s_cmp_eq_u32 s7, s40
	s_cselect_b32 s76, s65, s64
	s_sub_i32 s75, s73, s36
	s_addk_i32 s75, 0x80
	s_and_saveexec_b64 s[8:9], s[2:3]
	s_xor_b64 s[52:53], exec, s[8:9]
	s_cbranch_execz .LBB329_41
; %bb.8:                                ;   in Loop: Header=BB329_7 Depth=1
	s_mul_i32 s7, s7, s62
	s_sub_i32 s6, s6, s7
	s_lshl_b32 s6, s6, 5
	s_sub_i32 s14, s6, s37
	s_add_i32 s14, s14, 32
	s_max_i32 s7, s14, 0
	s_sub_i32 s54, s6, s7
	s_and_saveexec_b64 s[6:7], s[0:1]
	s_xor_b64 s[56:57], exec, s[6:7]
	s_cbranch_execz .LBB329_31
; %bb.9:                                ;   in Loop: Header=BB329_7 Depth=1
	s_and_saveexec_b64 s[58:59], s[4:5]
	s_cbranch_execz .LBB329_30
; %bb.10:                               ;   in Loop: Header=BB329_7 Depth=1
	s_waitcnt lgkmcnt(0)
	global_load_dword v73, v17, s[50:51]
	v_mov_b32_e32 v15, 0
	v_cmp_gt_i32_e32 vcc, s76, v72
	v_mov_b32_e32 v14, v15
	v_mov_b32_e32 v13, v15
	;; [unrolled: 1-line block ×15, first 2 shown]
	s_and_saveexec_b64 s[6:7], vcc
	s_cbranch_execz .LBB329_20
; %bb.11:                               ;   in Loop: Header=BB329_7 Depth=1
	v_mov_b32_e32 v0, 0
	s_mov_b64 s[8:9], 0
	v_mov_b32_e32 v1, v0
	v_mov_b32_e32 v2, v0
	;; [unrolled: 1-line block ×15, first 2 shown]
	s_branch .LBB329_13
.LBB329_12:                             ;   in Loop: Header=BB329_13 Depth=2
	s_or_b64 exec, exec, s[10:11]
	v_add_u32_e32 v77, v50, v77
	ds_read2_b32 v[78:79], v77 offset1:32
	v_add_u32_e32 v72, s43, v72
	s_waitcnt lgkmcnt(0)
	v_mfma_f32_32x32x16_fp8_fp8 v[0:15], v[44:45], v[78:79], v[0:15]
	ds_read2_b32 v[44:45], v77 offset0:128 offset1:160
	s_waitcnt lgkmcnt(0)
	v_mfma_f32_32x32x16_fp8_fp8 v[0:15], v[42:43], v[44:45], v[0:15]
	v_add_u32_e32 v44, 0x400, v77
	ds_read2_b32 v[42:43], v44 offset1:32
	ds_read2_b32 v[44:45], v44 offset0:128 offset1:160
	ds_write_b32 v75, v76 offset:51204
	s_waitcnt lgkmcnt(2)
	v_mfma_f32_32x32x16_fp8_fp8 v[0:15], v[40:41], v[42:43], v[0:15]
	v_add_u32_e32 v40, s43, v74
	v_add_u32_e32 v41, 2, v47
	v_cmp_lt_i32_e32 vcc, 4, v40
	s_nop 1
	v_cndmask_b32_e32 v47, v47, v41, vcc
	v_cmp_le_i32_e32 vcc, s76, v72
	s_waitcnt lgkmcnt(1)
	v_mfma_f32_32x32x16_fp8_fp8 v[0:15], v[38:39], v[44:45], v[0:15]
	s_or_b64 s[8:9], vcc, s[8:9]
	s_andn2_b64 exec, exec, s[8:9]
	s_cbranch_execz .LBB329_19
.LBB329_13:                             ;   Parent Loop BB329_7 Depth=1
                                        ; =>  This Loop Header: Depth=2
                                        ;       Child Loop BB329_15 Depth 3
                                        ;       Child Loop BB329_18 Depth 3
	v_cmp_gt_i32_e32 vcc, 5, v40
	s_nop 1
	v_cndmask_b32_e64 v38, -5, 0, vcc
	v_add_u32_e32 v74, v38, v40
	v_lshlrev_b32_e32 v75, 3, v74
	ds_read_b32 v38, v75 offset:51200
	s_waitcnt lgkmcnt(0)
	v_cmp_ne_u32_e32 vcc, v38, v47
	s_and_saveexec_b64 s[10:11], vcc
	s_cbranch_execz .LBB329_16
; %bb.14:                               ;   in Loop: Header=BB329_13 Depth=2
	s_mov_b64 s[12:13], 0
.LBB329_15:                             ;   Parent Loop BB329_7 Depth=1
                                        ;     Parent Loop BB329_13 Depth=2
                                        ; =>    This Inner Loop Header: Depth=3
	;;#ASMSTART
	s_sleep 0
	;;#ASMEND
	ds_read_b32 v38, v75 offset:51200
	s_waitcnt lgkmcnt(0)
	v_cmp_eq_u32_e32 vcc, v38, v47
	s_or_b64 s[12:13], vcc, s[12:13]
	s_andn2_b64 exec, exec, s[12:13]
	s_cbranch_execnz .LBB329_15
.LBB329_16:                             ;   in Loop: Header=BB329_13 Depth=2
	s_or_b64 exec, exec, s[10:11]
	v_lshlrev_b32_e32 v77, 11, v74
	v_or_b32_e32 v38, v49, v77
	ds_read2_b32 v[44:45], v38 offset1:32
	ds_read2_b32 v[42:43], v38 offset0:128 offset1:160
	v_add_u32_e32 v38, 0x400, v38
	ds_read2_b32 v[40:41], v38 offset1:32
	ds_read_b32 v78, v75 offset:51204
	ds_read2_b32 v[38:39], v38 offset0:128 offset1:160
	v_add_u32_e32 v76, 1, v47
	ds_write_b32 v75, v76 offset:51200
	s_waitcnt lgkmcnt(2)
	v_cmp_ne_u32_e32 vcc, v78, v47
	s_and_saveexec_b64 s[10:11], vcc
	s_cbranch_execz .LBB329_12
; %bb.17:                               ;   in Loop: Header=BB329_13 Depth=2
	s_mov_b64 s[12:13], 0
.LBB329_18:                             ;   Parent Loop BB329_7 Depth=1
                                        ;     Parent Loop BB329_13 Depth=2
                                        ; =>    This Inner Loop Header: Depth=3
	;;#ASMSTART
	s_sleep 0
	;;#ASMEND
	ds_read_b32 v78, v75 offset:51204
	s_waitcnt lgkmcnt(0)
	v_cmp_eq_u32_e32 vcc, v78, v47
	s_or_b64 s[12:13], vcc, s[12:13]
	s_andn2_b64 exec, exec, s[12:13]
	s_cbranch_execnz .LBB329_18
	s_branch .LBB329_12
.LBB329_19:                             ;   in Loop: Header=BB329_7 Depth=1
	s_or_b64 exec, exec, s[8:9]
.LBB329_20:                             ;   in Loop: Header=BB329_7 Depth=1
	s_or_b64 exec, exec, s[6:7]
	v_cmp_le_i32_e32 vcc, s14, v48
	v_cmp_eq_u32_e64 s[6:7], 3, v51
	v_cmp_eq_u32_e64 s[8:9], 4, v51
	s_waitcnt vmcnt(0)
	v_cndmask_b32_e32 v38, 0, v73, vcc
	s_nop 1
	v_pk_mul_f32 v[0:1], v[38:39], v[0:1] op_sel_hi:[0,1]
	v_cmp_eq_u32_e32 vcc, 1, v51
	v_pk_mul_f32 v[14:15], v[38:39], v[14:15] op_sel_hi:[0,1]
	v_pk_mul_f32 v[12:13], v[38:39], v[12:13] op_sel_hi:[0,1]
	;; [unrolled: 1-line block ×7, first 2 shown]
	v_cndmask_b32_e32 v38, v0, v1, vcc
	v_cmp_eq_u32_e32 vcc, 2, v51
	v_cmp_eq_u32_e64 s[10:11], 5, v51
	v_cmp_eq_u32_e64 s[12:13], 6, v51
	v_cndmask_b32_e32 v38, v38, v2, vcc
	v_cndmask_b32_e64 v38, v38, v3, s[6:7]
	v_cndmask_b32_e64 v38, v38, v4, s[8:9]
	v_cndmask_b32_e64 v38, v38, v5, s[10:11]
	v_cndmask_b32_e64 v38, v38, v6, s[12:13]
	v_cmp_eq_u32_e64 s[14:15], 7, v51
	v_cmp_eq_u32_e64 s[16:17], 8, v51
	v_cmp_eq_u32_e64 s[18:19], 9, v51
	v_cndmask_b32_e64 v38, v38, v7, s[14:15]
	v_cndmask_b32_e64 v38, v38, v8, s[16:17]
	v_cndmask_b32_e64 v38, v38, v9, s[18:19]
	v_cmp_eq_u32_e64 s[20:21], 10, v51
	v_cmp_eq_u32_e64 s[22:23], 11, v51
	v_cmp_eq_u32_e64 s[24:25], 12, v51
	v_cndmask_b32_e64 v38, v38, v10, s[20:21]
	v_cndmask_b32_e64 v38, v38, v11, s[22:23]
	v_cndmask_b32_e64 v38, v38, v12, s[24:25]
	;; [unrolled: 6-line block ×3, first 2 shown]
	ds_bpermute_b32 v38, v70, v38
	v_cmp_eq_u32_e64 s[34:35], 15, v52
	s_waitcnt lgkmcnt(0)
	v_cndmask_b32_e32 v2, v2, v38, vcc
	v_cmp_ne_u32_e32 vcc, 0, v51
	v_cndmask_b32_e64 v15, v15, v38, s[30:31]
	v_cndmask_b32_e64 v14, v14, v38, s[28:29]
	v_cndmask_b32_e32 v1, v1, v38, vcc
	v_cmp_eq_u32_e32 vcc, 0, v51
	v_cndmask_b32_e64 v13, v13, v38, s[26:27]
	v_cndmask_b32_e64 v12, v12, v38, s[24:25]
	v_cndmask_b32_e32 v0, v0, v38, vcc
	v_cmp_eq_u32_e32 vcc, 1, v52
	v_cndmask_b32_e64 v11, v11, v38, s[22:23]
	v_cndmask_b32_e64 v10, v10, v38, s[20:21]
	;; [unrolled: 1-line block ×9, first 2 shown]
	v_cndmask_b32_e32 v38, v0, v1, vcc
	v_cmp_eq_u32_e64 s[6:7], 2, v52
	v_cmp_eq_u32_e64 s[8:9], 3, v52
	v_cmp_eq_u32_e64 s[10:11], 4, v52
	v_cndmask_b32_e64 v38, v38, v2, s[6:7]
	v_cndmask_b32_e64 v38, v38, v3, s[8:9]
	v_cndmask_b32_e64 v38, v38, v4, s[10:11]
	v_cmp_eq_u32_e64 s[12:13], 5, v52
	v_cmp_eq_u32_e64 s[14:15], 6, v52
	v_cmp_eq_u32_e64 s[16:17], 7, v52
	v_cndmask_b32_e64 v38, v38, v5, s[12:13]
	v_cndmask_b32_e64 v38, v38, v6, s[14:15]
	v_cndmask_b32_e64 v38, v38, v7, s[16:17]
	;; [unrolled: 6-line block ×4, first 2 shown]
	v_cmp_eq_u32_e64 s[30:31], 14, v52
	s_nop 1
	v_cndmask_b32_e64 v38, v38, v14, s[30:31]
	v_cndmask_b32_e64 v38, v38, v15, s[34:35]
	ds_bpermute_b32 v38, v70, v38
	s_waitcnt lgkmcnt(0)
	v_cndmask_b32_e32 v1, v1, v38, vcc
	v_cmp_eq_u32_e32 vcc, 0, v52
	v_cndmask_b32_e64 v15, v15, v38, s[34:35]
	v_cndmask_b32_e64 v14, v14, v38, s[30:31]
	v_cndmask_b32_e32 v0, v0, v38, vcc
	v_cmp_eq_u32_e32 vcc, 1, v53
	v_cndmask_b32_e64 v13, v13, v38, s[28:29]
	v_cndmask_b32_e64 v12, v12, v38, s[26:27]
	v_cndmask_b32_e64 v11, v11, v38, s[24:25]
	v_cndmask_b32_e64 v10, v10, v38, s[22:23]
	v_cndmask_b32_e64 v9, v9, v38, s[20:21]
	v_cndmask_b32_e64 v8, v8, v38, s[18:19]
	v_cndmask_b32_e64 v7, v7, v38, s[16:17]
	v_cndmask_b32_e64 v6, v6, v38, s[14:15]
	v_cndmask_b32_e64 v5, v5, v38, s[12:13]
	v_cndmask_b32_e64 v4, v4, v38, s[10:11]
	v_cndmask_b32_e64 v3, v3, v38, s[8:9]
	v_cndmask_b32_e64 v2, v2, v38, s[6:7]
	v_cndmask_b32_e32 v38, v0, v1, vcc
	v_cmp_eq_u32_e64 s[6:7], 2, v53
	v_cmp_eq_u32_e64 s[8:9], 3, v53
	v_cmp_eq_u32_e64 s[10:11], 4, v53
	v_cndmask_b32_e64 v38, v38, v2, s[6:7]
	v_cndmask_b32_e64 v38, v38, v3, s[8:9]
	v_cndmask_b32_e64 v38, v38, v4, s[10:11]
	v_cmp_eq_u32_e64 s[12:13], 5, v53
	v_cmp_eq_u32_e64 s[14:15], 6, v53
	v_cmp_eq_u32_e64 s[16:17], 7, v53
	v_cndmask_b32_e64 v38, v38, v5, s[12:13]
	v_cndmask_b32_e64 v38, v38, v6, s[14:15]
	v_cndmask_b32_e64 v38, v38, v7, s[16:17]
	v_cmp_eq_u32_e64 s[18:19], 8, v53
	v_cmp_eq_u32_e64 s[20:21], 9, v53
	v_cmp_eq_u32_e64 s[22:23], 10, v53
	v_cndmask_b32_e64 v38, v38, v8, s[18:19]
	v_cndmask_b32_e64 v38, v38, v9, s[20:21]
	v_cndmask_b32_e64 v38, v38, v10, s[22:23]
	v_cmp_eq_u32_e64 s[24:25], 11, v53
	v_cmp_eq_u32_e64 s[26:27], 12, v53
	v_cmp_eq_u32_e64 s[28:29], 13, v53
	v_cndmask_b32_e64 v38, v38, v11, s[24:25]
	v_cndmask_b32_e64 v38, v38, v12, s[26:27]
	v_cndmask_b32_e64 v38, v38, v13, s[28:29]
	v_cmp_eq_u32_e64 s[30:31], 14, v53
	v_cmp_eq_u32_e64 s[34:35], 15, v53
	s_nop 0
	v_cndmask_b32_e64 v38, v38, v14, s[30:31]
	v_cndmask_b32_e64 v38, v38, v15, s[34:35]
	ds_bpermute_b32 v38, v70, v38
	s_waitcnt lgkmcnt(0)
	v_cndmask_b32_e32 v1, v1, v38, vcc
	v_cmp_eq_u32_e32 vcc, 0, v53
	v_cndmask_b32_e64 v15, v15, v38, s[34:35]
	v_cndmask_b32_e64 v14, v14, v38, s[30:31]
	v_cndmask_b32_e32 v0, v0, v38, vcc
	v_cmp_eq_u32_e32 vcc, 1, v54
	v_cndmask_b32_e64 v13, v13, v38, s[28:29]
	v_cndmask_b32_e64 v12, v12, v38, s[26:27]
	v_cndmask_b32_e64 v11, v11, v38, s[24:25]
	v_cndmask_b32_e64 v10, v10, v38, s[22:23]
	v_cndmask_b32_e64 v9, v9, v38, s[20:21]
	v_cndmask_b32_e64 v8, v8, v38, s[18:19]
	v_cndmask_b32_e64 v7, v7, v38, s[16:17]
	v_cndmask_b32_e64 v6, v6, v38, s[14:15]
	v_cndmask_b32_e64 v5, v5, v38, s[12:13]
	v_cndmask_b32_e64 v4, v4, v38, s[10:11]
	v_cndmask_b32_e64 v3, v3, v38, s[8:9]
	v_cndmask_b32_e64 v2, v2, v38, s[6:7]
	v_cndmask_b32_e32 v38, v0, v1, vcc
	v_cmp_eq_u32_e64 s[6:7], 2, v54
	v_cmp_eq_u32_e64 s[8:9], 3, v54
	v_cmp_eq_u32_e64 s[10:11], 4, v54
	v_cndmask_b32_e64 v38, v38, v2, s[6:7]
	v_cndmask_b32_e64 v38, v38, v3, s[8:9]
	v_cndmask_b32_e64 v38, v38, v4, s[10:11]
	v_cmp_eq_u32_e64 s[12:13], 5, v54
	v_cmp_eq_u32_e64 s[14:15], 6, v54
	v_cmp_eq_u32_e64 s[16:17], 7, v54
	v_cndmask_b32_e64 v38, v38, v5, s[12:13]
	v_cndmask_b32_e64 v38, v38, v6, s[14:15]
	v_cndmask_b32_e64 v38, v38, v7, s[16:17]
	v_cmp_eq_u32_e64 s[18:19], 8, v54
	v_cmp_eq_u32_e64 s[20:21], 9, v54
	v_cmp_eq_u32_e64 s[22:23], 10, v54
	v_cndmask_b32_e64 v38, v38, v8, s[18:19]
	v_cndmask_b32_e64 v38, v38, v9, s[20:21]
	v_cndmask_b32_e64 v38, v38, v10, s[22:23]
	v_cmp_eq_u32_e64 s[24:25], 11, v54
	v_cmp_eq_u32_e64 s[26:27], 12, v54
	v_cmp_eq_u32_e64 s[28:29], 13, v54
	v_cndmask_b32_e64 v38, v38, v11, s[24:25]
	v_cndmask_b32_e64 v38, v38, v12, s[26:27]
	v_cndmask_b32_e64 v38, v38, v13, s[28:29]
	v_cmp_eq_u32_e64 s[30:31], 14, v54
	;; [unrolled: 50-line block ×4, first 2 shown]
	v_cmp_eq_u32_e64 s[34:35], 15, v56
	s_nop 0
	v_cndmask_b32_e64 v38, v38, v14, s[30:31]
	v_cndmask_b32_e64 v38, v38, v15, s[34:35]
	ds_bpermute_b32 v38, v70, v38
	s_waitcnt lgkmcnt(0)
	v_cndmask_b32_e32 v1, v1, v38, vcc
	v_cmp_eq_u32_e32 vcc, 0, v56
	v_cndmask_b32_e64 v15, v15, v38, s[34:35]
	v_cndmask_b32_e64 v14, v14, v38, s[30:31]
	;; [unrolled: 1-line block ×14, first 2 shown]
	v_cndmask_b32_e32 v38, v0, v38, vcc
	v_cmp_eq_u32_e32 vcc, 1, v57
	v_cmp_eq_u32_e64 s[6:7], 2, v57
	v_cmp_eq_u32_e64 s[8:9], 3, v57
	v_cndmask_b32_e32 v0, v38, v1, vcc
	v_cndmask_b32_e64 v0, v0, v74, s[6:7]
	v_cndmask_b32_e64 v0, v0, v73, s[8:9]
	v_cmp_eq_u32_e64 s[10:11], 4, v57
	v_cmp_eq_u32_e64 s[12:13], 5, v57
	v_cmp_eq_u32_e64 s[14:15], 6, v57
	v_cndmask_b32_e64 v0, v0, v45, s[10:11]
	v_cndmask_b32_e64 v0, v0, v44, s[12:13]
	v_cndmask_b32_e64 v0, v0, v43, s[14:15]
	v_cmp_eq_u32_e64 s[16:17], 7, v57
	v_cmp_eq_u32_e64 s[18:19], 8, v57
	v_cmp_eq_u32_e64 s[20:21], 9, v57
	v_cndmask_b32_e64 v0, v0, v42, s[16:17]
	v_cndmask_b32_e64 v0, v0, v41, s[18:19]
	v_cndmask_b32_e64 v0, v0, v39, s[20:21]
	v_cmp_eq_u32_e64 s[22:23], 10, v57
	v_cmp_eq_u32_e64 s[24:25], 11, v57
	v_cmp_eq_u32_e64 s[26:27], 12, v57
	v_cndmask_b32_e64 v0, v0, v10, s[22:23]
	v_cndmask_b32_e64 v0, v0, v11, s[24:25]
	v_cndmask_b32_e64 v0, v0, v12, s[26:27]
	v_cmp_eq_u32_e64 s[28:29], 13, v57
	v_cmp_eq_u32_e64 s[30:31], 14, v57
	v_cmp_eq_u32_e64 s[34:35], 15, v57
	v_cndmask_b32_e64 v0, v0, v13, s[28:29]
	v_cndmask_b32_e64 v0, v0, v14, s[30:31]
	v_cndmask_b32_e64 v0, v0, v15, s[34:35]
	ds_bpermute_b32 v75, v70, v0
	s_waitcnt lgkmcnt(0)
	v_cndmask_b32_e32 v0, v1, v75, vcc
	v_cmp_eq_u32_e32 vcc, 0, v57
	v_cndmask_b32_e64 v4, v15, v75, s[34:35]
	v_cndmask_b32_e64 v15, v74, v75, s[6:7]
	v_cndmask_b32_e32 v1, v38, v75, vcc
	v_cmp_eq_u32_e32 vcc, 1, v58
	v_cndmask_b32_e64 v5, v14, v75, s[30:31]
	v_cndmask_b32_e64 v14, v73, v75, s[8:9]
	;; [unrolled: 4-line block ×7, first 2 shown]
	v_cndmask_b32_e32 v38, v38, v13, vcc
	v_cmp_eq_u32_e32 vcc, 7, v58
	s_nop 1
	v_cndmask_b32_e32 v38, v38, v12, vcc
	v_cmp_eq_u32_e32 vcc, 8, v58
	s_nop 1
	;; [unrolled: 3-line block ×9, first 2 shown]
	v_cndmask_b32_e32 v38, v38, v4, vcc
	ds_bpermute_b32 v38, v70, v38
	v_cmp_lt_i32_e32 vcc, s75, v59
	s_and_saveexec_b64 s[60:61], vcc
	s_cbranch_execz .LBB329_29
; %bb.21:                               ;   in Loop: Header=BB329_7 Depth=1
	s_mul_i32 s6, s73, s37
	s_ashr_i32 s7, s6, 31
	s_lshl_b64 s[6:7], s[6:7], 1
	v_cmp_eq_u32_e64 s[30:31], 1, v58
	s_add_u32 s8, s48, s6
	s_addc_u32 s9, s49, s7
	s_waitcnt lgkmcnt(0)
	v_cndmask_b32_e64 v0, v0, v38, s[30:31]
	v_cmp_eq_u32_e64 s[30:31], 0, v58
	s_ashr_i32 s55, s54, 31
	s_lshl_b64 s[6:7], s[54:55], 1
	v_cndmask_b32_e64 v1, v1, v38, s[30:31]
	v_cvt_f16_f32_e32 v39, v1
	v_cvt_f16_f32_sdwa v41, v0 dst_sel:WORD_1 dst_unused:UNUSED_PAD src0_sel:DWORD
	s_add_u32 s34, s8, s6
	s_addc_u32 s35, s9, s7
	v_cmp_eq_u32_e64 s[8:9], 15, v58
	v_cmp_eq_u32_e64 s[10:11], 14, v58
	;; [unrolled: 1-line block ×10, first 2 shown]
	v_cmp_eq_u32_e32 vcc, 5, v58
	v_cmp_eq_u32_e64 s[6:7], 4, v58
	v_cmp_eq_u32_e64 s[28:29], 3, v58
	;; [unrolled: 1-line block ×3, first 2 shown]
	v_lshl_add_u64 v[0:1], s[34:35], 0, v[16:17]
	v_cmp_lt_i32_e64 s[34:35], s75, v60
	v_lshl_add_u64 v[42:43], v[18:19], 1, v[0:1]
	v_or_b32_e32 v39, v41, v39
	;;#ASMSTART
	global_atomic_pk_add_f16 v[42:43], v39, off
	
	;;#ASMEND
	s_and_b64 exec, exec, s[34:35]
	s_cbranch_execz .LBB329_29
; %bb.22:                               ;   in Loop: Header=BB329_7 Depth=1
	v_cndmask_b32_e64 v14, v14, v38, s[28:29]
	v_cndmask_b32_e64 v15, v15, v38, s[30:31]
	v_cvt_f16_f32_e32 v39, v15
	v_cvt_f16_f32_sdwa v41, v14 dst_sel:WORD_1 dst_unused:UNUSED_PAD src0_sel:DWORD
	v_cndmask_b32_e64 v4, v4, v38, s[8:9]
	v_cndmask_b32_e64 v5, v5, v38, s[10:11]
	;; [unrolled: 1-line block ×10, first 2 shown]
	v_cndmask_b32_e32 v2, v2, v38, vcc
	v_cndmask_b32_e64 v3, v3, v38, s[6:7]
	v_cmp_lt_i32_e32 vcc, s75, v61
	v_lshl_add_u64 v[14:15], v[20:21], 1, v[0:1]
	v_or_b32_e32 v38, v41, v39
	;;#ASMSTART
	global_atomic_pk_add_f16 v[14:15], v38, off
	
	;;#ASMEND
	s_and_b64 exec, exec, vcc
	s_cbranch_execz .LBB329_29
; %bb.23:                               ;   in Loop: Header=BB329_7 Depth=1
	v_cvt_f16_f32_e32 v14, v3
	v_cvt_f16_f32_sdwa v15, v2 dst_sel:WORD_1 dst_unused:UNUSED_PAD src0_sel:DWORD
	v_cmp_lt_i32_e32 vcc, s75, v62
	v_lshl_add_u64 v[2:3], v[22:23], 1, v[0:1]
	v_or_b32_e32 v14, v15, v14
	;;#ASMSTART
	global_atomic_pk_add_f16 v[2:3], v14, off
	
	;;#ASMEND
	s_and_b64 exec, exec, vcc
	s_cbranch_execz .LBB329_29
; %bb.24:                               ;   in Loop: Header=BB329_7 Depth=1
	v_cvt_f16_f32_e32 v13, v13
	v_cvt_f16_f32_sdwa v12, v12 dst_sel:WORD_1 dst_unused:UNUSED_PAD src0_sel:DWORD
	;; [unrolled: 12-line block ×6, first 2 shown]
	v_lshl_add_u64 v[0:1], v[32:33], 1, v[0:1]
	v_or_b32_e32 v2, v3, v2
	;;#ASMSTART
	global_atomic_pk_add_f16 v[0:1], v2, off
	
	;;#ASMEND
.LBB329_29:                             ;   in Loop: Header=BB329_7 Depth=1
	s_or_b64 exec, exec, s[60:61]
	v_subrev_u32_e32 v72, s76, v72
.LBB329_30:                             ;   in Loop: Header=BB329_7 Depth=1
	s_or_b64 exec, exec, s[58:59]
.LBB329_31:                             ;   in Loop: Header=BB329_7 Depth=1
	s_andn2_saveexec_b64 s[6:7], s[56:57]
	s_cbranch_execz .LBB329_40
; %bb.32:                               ;   in Loop: Header=BB329_7 Depth=1
	v_cmp_gt_i32_e32 vcc, s76, v72
	s_and_saveexec_b64 s[8:9], vcc
	s_cbranch_execz .LBB329_39
; %bb.33:                               ;   in Loop: Header=BB329_7 Depth=1
	s_mul_i32 s10, s54, s39
	s_ashr_i32 s11, s10, 31
	s_waitcnt lgkmcnt(0)
	s_add_u32 s10, s46, s10
	s_addc_u32 s11, s47, s11
	s_ashr_i32 s12, s74, 31
	s_add_u32 s10, s10, s74
	s_addc_u32 s11, s11, s12
	v_lshl_add_u64 v[0:1], s[10:11], 0, v[36:37]
	v_lshl_add_u64 v[8:9], v[0:1], 0, v[34:35]
	s_mov_b64 s[10:11], 0
	s_branch .LBB329_35
.LBB329_34:                             ;   in Loop: Header=BB329_35 Depth=2
	s_or_b64 exec, exec, s[12:13]
	v_lshl_add_u32 v12, v10, 11, v67
	;;#ASMSTART
	s_waitcnt vmcnt(1)
	;;#ASMEND
	ds_write2_b32 v12, v4, v5 offset1:32
	ds_write2_b32 v12, v6, v7 offset0:64 offset1:96
	v_add_u32_e32 v4, 0x400, v12
	v_add_u32_e32 v72, s42, v72
	;;#ASMSTART
	s_waitcnt vmcnt(0)
	;;#ASMEND
	ds_write2_b32 v4, v0, v1 offset1:32
	ds_write2_b32 v4, v2, v3 offset0:64 offset1:96
	v_add_u32_e32 v0, 1, v47
	v_add_u32_e32 v40, s42, v10
	v_cmp_le_i32_e32 vcc, s76, v72
	ds_write_b32 v11, v0 offset:80
	v_add_u32_e32 v0, 2, v47
	s_or_b64 s[10:11], vcc, s[10:11]
	v_cmp_lt_i32_e32 vcc, 4, v40
	s_nop 1
	v_cndmask_b32_e32 v47, v47, v0, vcc
	s_andn2_b64 exec, exec, s[10:11]
	s_cbranch_execz .LBB329_38
.LBB329_35:                             ;   Parent Loop BB329_7 Depth=1
                                        ; =>  This Loop Header: Depth=2
                                        ;       Child Loop BB329_37 Depth 3
	v_cmp_gt_i32_e32 vcc, 5, v40
	s_nop 1
	v_cndmask_b32_e64 v0, -5, 0, vcc
	v_add_u32_e32 v10, v0, v40
	v_lshlrev_b32_e32 v0, 6, v72
	v_ashrrev_i32_e32 v1, 31, v0
	v_lshl_add_u64 v[0:1], v[8:9], 0, v[0:1]
	v_lshlrev_b32_e32 v11, 2, v10
	;;#ASMSTART
	global_load_dwordx4 v[4:7], v[0:1], off offset:0   sc0 sc1 nt  
	global_load_dwordx4 v[0:3], v[0:1], off offset:32  sc0 sc1 nt  
	
	;;#ASMEND
	ds_read_b32 v12, v11 offset:51280
	v_add_u32_e32 v11, 0xc800, v11
	s_waitcnt lgkmcnt(0)
	v_cmp_ne_u32_e32 vcc, v12, v47
	s_and_saveexec_b64 s[12:13], vcc
	s_cbranch_execz .LBB329_34
; %bb.36:                               ;   in Loop: Header=BB329_35 Depth=2
	s_mov_b64 s[14:15], 0
.LBB329_37:                             ;   Parent Loop BB329_7 Depth=1
                                        ;     Parent Loop BB329_35 Depth=2
                                        ; =>    This Inner Loop Header: Depth=3
	;;#ASMSTART
	s_sleep 0
	;;#ASMEND
	ds_read_b32 v12, v11 offset:80
	s_waitcnt lgkmcnt(0)
	v_cmp_eq_u32_e32 vcc, v12, v47
	s_or_b64 s[14:15], vcc, s[14:15]
	s_andn2_b64 exec, exec, s[14:15]
	s_cbranch_execnz .LBB329_37
	s_branch .LBB329_34
.LBB329_38:                             ;   in Loop: Header=BB329_7 Depth=1
	s_or_b64 exec, exec, s[10:11]
.LBB329_39:                             ;   in Loop: Header=BB329_7 Depth=1
	s_or_b64 exec, exec, s[8:9]
	v_subrev_u32_e32 v72, s76, v72
.LBB329_40:                             ;   in Loop: Header=BB329_7 Depth=1
	s_or_b64 exec, exec, s[6:7]
.LBB329_41:                             ;   in Loop: Header=BB329_7 Depth=1
	s_andn2_saveexec_b64 s[6:7], s[52:53]
	s_cbranch_execz .LBB329_6
; %bb.42:                               ;   in Loop: Header=BB329_7 Depth=1
	s_lshl_b32 s16, s76, 2
	v_cmp_gt_i32_e32 vcc, s16, v72
	s_and_saveexec_b64 s[8:9], vcc
	s_cbranch_execz .LBB329_5
; %bb.43:                               ;   in Loop: Header=BB329_7 Depth=1
	s_mul_i32 s73, s73, s38
	s_max_i32 s12, s75, 0
	s_ashr_i32 s10, s73, 31
	s_waitcnt lgkmcnt(0)
	s_add_u32 s11, s44, s73
	v_add_u32_e32 v2, s12, v48
	s_addc_u32 s13, s45, s10
	s_ashr_i32 s14, s74, 31
	v_cmp_gt_u32_e32 vcc, s72, v2
	s_add_u32 s10, s11, s74
	s_addc_u32 s11, s13, s14
	v_cndmask_b32_e32 v0, 0, v68, vcc
	v_ashrrev_i32_e32 v1, 31, v0
	v_lshl_add_u64 v[0:1], s[10:11], 0, v[0:1]
	v_lshl_add_u64 v[8:9], v[0:1], 0, v[34:35]
	v_sub_u32_e32 v10, 0x7f, v2
	s_mov_b64 s[10:11], 0
	s_branch .LBB329_45
.LBB329_44:                             ;   in Loop: Header=BB329_45 Depth=2
	s_or_b64 exec, exec, s[12:13]
	v_lshl_or_b32 v13, v11, 11, v69
	;;#ASMSTART
	s_waitcnt vmcnt(1)
	;;#ASMEND
	ds_write2_b32 v13, v4, v5 offset1:32
	ds_write2_b32 v13, v6, v7 offset0:64 offset1:96
	v_add_u32_e32 v4, 0x400, v13
	v_add_u32_e32 v72, s41, v72
	;;#ASMSTART
	s_waitcnt vmcnt(0)
	;;#ASMEND
	ds_write2_b32 v4, v0, v1 offset1:32
	ds_write2_b32 v4, v2, v3 offset0:64 offset1:96
	v_add_u32_e32 v0, 1, v47
	v_add_u32_e32 v40, s41, v11
	v_cmp_le_i32_e32 vcc, s16, v72
	ds_write_b32 v12, v0
	v_add_u32_e32 v0, 2, v47
	s_or_b64 s[10:11], vcc, s[10:11]
	v_cmp_lt_i32_e32 vcc, 19, v40
	s_nop 1
	v_cndmask_b32_e32 v47, v47, v0, vcc
	s_andn2_b64 exec, exec, s[10:11]
	s_cbranch_execz .LBB329_4
.LBB329_45:                             ;   Parent Loop BB329_7 Depth=1
                                        ; =>  This Loop Header: Depth=2
                                        ;       Child Loop BB329_47 Depth 3
	v_cmp_gt_i32_e32 vcc, 20, v40
	s_nop 1
	v_cndmask_b32_e64 v0, v71, 0, vcc
	v_add_u32_e32 v11, v0, v40
	v_ashrrev_i32_e32 v0, 31, v72
	v_lshrrev_b32_e32 v0, 30, v0
	v_add_u32_e32 v0, v72, v0
	v_and_b32_e32 v1, 0x7fffffc, v0
	v_sub_u32_e32 v1, v72, v1
	v_lshlrev_b32_e32 v1, 5, v1
	v_cmp_le_i32_e32 vcc, v1, v10
	v_lshlrev_b32_e32 v0, 4, v0
	v_and_b32_e32 v0, 0xffffffc0, v0
	v_cndmask_b32_e32 v2, 0, v1, vcc
	v_ashrrev_i32_e32 v1, 31, v0
	v_mul_lo_u32 v2, v2, s38
	v_lshl_add_u64 v[0:1], v[8:9], 0, v[0:1]
	v_ashrrev_i32_e32 v3, 31, v2
	v_lshl_add_u64 v[0:1], v[0:1], 0, v[2:3]
	v_lshlrev_b32_e32 v12, 2, v11
	;;#ASMSTART
	global_load_dwordx4 v[4:7], v[0:1], off offset:0   
	global_load_dwordx4 v[0:3], v[0:1], off offset:32  
	
	;;#ASMEND
	ds_read_b32 v13, v12 offset:51200
	v_add_u32_e32 v12, 0xc800, v12
	s_waitcnt lgkmcnt(0)
	v_cmp_ne_u32_e32 vcc, v13, v47
	s_and_saveexec_b64 s[12:13], vcc
	s_cbranch_execz .LBB329_44
; %bb.46:                               ;   in Loop: Header=BB329_45 Depth=2
	s_mov_b64 s[14:15], 0
.LBB329_47:                             ;   Parent Loop BB329_7 Depth=1
                                        ;     Parent Loop BB329_45 Depth=2
                                        ; =>    This Inner Loop Header: Depth=3
	;;#ASMSTART
	s_sleep 0
	;;#ASMEND
	ds_read_b32 v13, v12
	s_waitcnt lgkmcnt(0)
	v_cmp_eq_u32_e32 vcc, v13, v47
	s_or_b64 s[14:15], vcc, s[14:15]
	s_andn2_b64 exec, exec, s[14:15]
	s_cbranch_execnz .LBB329_47
	s_branch .LBB329_44
.LBB329_48:
	s_endpgm
	.section	.rodata,"a",@progbits
	.p2align	6, 0x0
	.amdhsa_kernel _Z19_skinny_gemm_kernelILi4ELi1ELi5ELi32ELi4EEvPKhS1_P6__halfPKfiiiiiiii
		.amdhsa_group_segment_fixed_size 51300
		.amdhsa_private_segment_fixed_size 0
		.amdhsa_kernarg_size 64
		.amdhsa_user_sgpr_count 2
		.amdhsa_user_sgpr_dispatch_ptr 0
		.amdhsa_user_sgpr_queue_ptr 0
		.amdhsa_user_sgpr_kernarg_segment_ptr 1
		.amdhsa_user_sgpr_dispatch_id 0
		.amdhsa_user_sgpr_kernarg_preload_length 0
		.amdhsa_user_sgpr_kernarg_preload_offset 0
		.amdhsa_user_sgpr_private_segment_size 0
		.amdhsa_uses_dynamic_stack 0
		.amdhsa_enable_private_segment 0
		.amdhsa_system_sgpr_workgroup_id_x 1
		.amdhsa_system_sgpr_workgroup_id_y 0
		.amdhsa_system_sgpr_workgroup_id_z 0
		.amdhsa_system_sgpr_workgroup_info 0
		.amdhsa_system_vgpr_workitem_id 0
		.amdhsa_next_free_vgpr 80
		.amdhsa_next_free_sgpr 77
		.amdhsa_accum_offset 80
		.amdhsa_reserve_vcc 1
		.amdhsa_float_round_mode_32 0
		.amdhsa_float_round_mode_16_64 0
		.amdhsa_float_denorm_mode_32 3
		.amdhsa_float_denorm_mode_16_64 3
		.amdhsa_dx10_clamp 1
		.amdhsa_ieee_mode 1
		.amdhsa_fp16_overflow 0
		.amdhsa_tg_split 0
		.amdhsa_exception_fp_ieee_invalid_op 0
		.amdhsa_exception_fp_denorm_src 0
		.amdhsa_exception_fp_ieee_div_zero 0
		.amdhsa_exception_fp_ieee_overflow 0
		.amdhsa_exception_fp_ieee_underflow 0
		.amdhsa_exception_fp_ieee_inexact 0
		.amdhsa_exception_int_div_zero 0
	.end_amdhsa_kernel
	.section	.text._Z19_skinny_gemm_kernelILi4ELi1ELi5ELi32ELi4EEvPKhS1_P6__halfPKfiiiiiiii,"axG",@progbits,_Z19_skinny_gemm_kernelILi4ELi1ELi5ELi32ELi4EEvPKhS1_P6__halfPKfiiiiiiii,comdat
.Lfunc_end329:
	.size	_Z19_skinny_gemm_kernelILi4ELi1ELi5ELi32ELi4EEvPKhS1_P6__halfPKfiiiiiiii, .Lfunc_end329-_Z19_skinny_gemm_kernelILi4ELi1ELi5ELi32ELi4EEvPKhS1_P6__halfPKfiiiiiiii
                                        ; -- End function
	.set _Z19_skinny_gemm_kernelILi4ELi1ELi5ELi32ELi4EEvPKhS1_P6__halfPKfiiiiiiii.num_vgpr, 80
	.set _Z19_skinny_gemm_kernelILi4ELi1ELi5ELi32ELi4EEvPKhS1_P6__halfPKfiiiiiiii.num_agpr, 0
	.set _Z19_skinny_gemm_kernelILi4ELi1ELi5ELi32ELi4EEvPKhS1_P6__halfPKfiiiiiiii.numbered_sgpr, 77
	.set _Z19_skinny_gemm_kernelILi4ELi1ELi5ELi32ELi4EEvPKhS1_P6__halfPKfiiiiiiii.num_named_barrier, 0
	.set _Z19_skinny_gemm_kernelILi4ELi1ELi5ELi32ELi4EEvPKhS1_P6__halfPKfiiiiiiii.private_seg_size, 0
	.set _Z19_skinny_gemm_kernelILi4ELi1ELi5ELi32ELi4EEvPKhS1_P6__halfPKfiiiiiiii.uses_vcc, 1
	.set _Z19_skinny_gemm_kernelILi4ELi1ELi5ELi32ELi4EEvPKhS1_P6__halfPKfiiiiiiii.uses_flat_scratch, 0
	.set _Z19_skinny_gemm_kernelILi4ELi1ELi5ELi32ELi4EEvPKhS1_P6__halfPKfiiiiiiii.has_dyn_sized_stack, 0
	.set _Z19_skinny_gemm_kernelILi4ELi1ELi5ELi32ELi4EEvPKhS1_P6__halfPKfiiiiiiii.has_recursion, 0
	.set _Z19_skinny_gemm_kernelILi4ELi1ELi5ELi32ELi4EEvPKhS1_P6__halfPKfiiiiiiii.has_indirect_call, 0
	.section	.AMDGPU.csdata,"",@progbits
; Kernel info:
; codeLenInByte = 6060
; TotalNumSgprs: 83
; NumVgprs: 80
; NumAgprs: 0
; TotalNumVgprs: 80
; ScratchSize: 0
; MemoryBound: 0
; FloatMode: 240
; IeeeMode: 1
; LDSByteSize: 51300 bytes/workgroup (compile time only)
; SGPRBlocks: 10
; VGPRBlocks: 9
; NumSGPRsForWavesPerEU: 83
; NumVGPRsForWavesPerEU: 80
; AccumOffset: 80
; Occupancy: 6
; WaveLimiterHint : 0
; COMPUTE_PGM_RSRC2:SCRATCH_EN: 0
; COMPUTE_PGM_RSRC2:USER_SGPR: 2
; COMPUTE_PGM_RSRC2:TRAP_HANDLER: 0
; COMPUTE_PGM_RSRC2:TGID_X_EN: 1
; COMPUTE_PGM_RSRC2:TGID_Y_EN: 0
; COMPUTE_PGM_RSRC2:TGID_Z_EN: 0
; COMPUTE_PGM_RSRC2:TIDIG_COMP_CNT: 0
; COMPUTE_PGM_RSRC3_GFX90A:ACCUM_OFFSET: 19
; COMPUTE_PGM_RSRC3_GFX90A:TG_SPLIT: 0
	.section	.text._Z19_skinny_gemm_kernelILi4ELi1ELi6ELi16ELi4EEvPKhS1_P6__halfPKfiiiiiiii,"axG",@progbits,_Z19_skinny_gemm_kernelILi4ELi1ELi6ELi16ELi4EEvPKhS1_P6__halfPKfiiiiiiii,comdat
	.protected	_Z19_skinny_gemm_kernelILi4ELi1ELi6ELi16ELi4EEvPKhS1_P6__halfPKfiiiiiiii ; -- Begin function _Z19_skinny_gemm_kernelILi4ELi1ELi6ELi16ELi4EEvPKhS1_P6__halfPKfiiiiiiii
	.globl	_Z19_skinny_gemm_kernelILi4ELi1ELi6ELi16ELi4EEvPKhS1_P6__halfPKfiiiiiiii
	.p2align	8
	.type	_Z19_skinny_gemm_kernelILi4ELi1ELi6ELi16ELi4EEvPKhS1_P6__halfPKfiiiiiiii,@function
_Z19_skinny_gemm_kernelILi4ELi1ELi6ELi16ELi4EEvPKhS1_P6__halfPKfiiiiiiii: ; @_Z19_skinny_gemm_kernelILi4ELi1ELi6ELi16ELi4EEvPKhS1_P6__halfPKfiiiiiiii
; %bb.0:
	v_cmp_gt_u32_e32 vcc, 30, v0
	v_lshlrev_b32_e32 v1, 2, v0
	s_and_saveexec_b64 s[4:5], vcc
; %bb.1:
	v_mov_b32_e32 v2, 0
	ds_write_b32 v1, v2 offset:61440
; %bb.2:
	s_or_b64 exec, exec, s[4:5]
	s_load_dwordx8 s[12:19], s[0:1], 0x20
	s_waitcnt lgkmcnt(0)
	s_barrier
	s_add_i32 s3, s12, 63
	s_ashr_i32 s5, s3, 31
	s_add_i32 s4, s13, 15
	s_lshr_b32 s5, s5, 26
	s_ashr_i32 s6, s4, 31
	s_add_i32 s3, s3, s5
	s_ashr_i32 s33, s3, 6
	s_lshr_b32 s3, s6, 28
	s_add_i32 s4, s4, s3
	s_ashr_i32 s42, s4, 4
	s_mul_i32 s3, s42, s33
	s_mul_i32 s3, s3, s16
	s_add_i32 s4, s3, 0x12f
	s_mul_hi_i32 s4, s4, 0x6bca1af3
	s_lshr_b32 s5, s4, 31
	s_ashr_i32 s4, s4, 7
	s_add_i32 s4, s4, s5
	s_add_i32 s5, s2, 1
	s_mul_i32 s5, s4, s5
	v_cvt_f64_i32_e32 v[2:3], s3
	v_cvt_f64_u32_e32 v[4:5], s5
	v_min_f64 v[2:3], v[2:3], v[4:5]
	v_cvt_i32_f64_e32 v17, v[2:3]
	s_mul_i32 s43, s4, s2
	v_cmp_ge_i32_e32 vcc, s43, v17
	s_cbranch_vccnz .LBB330_57
; %bb.3:
	v_lshrrev_b32_e32 v2, 6, v0
	s_add_i32 s4, s18, s17
	s_load_dwordx8 s[20:27], s[0:1], 0x0
	v_cmp_le_i32_e64 s[0:1], s4, v2
	v_mov_b32_e32 v3, s17
	v_cmp_le_i32_e64 s[2:3], s17, v2
	v_mov_b32_e32 v4, s18
	v_cndmask_b32_e64 v4, 0, v4, s[0:1]
	v_cndmask_b32_e64 v3, 0, v3, s[2:3]
	s_abs_i32 s5, s16
	v_add_u32_e32 v3, v3, v4
	v_cvt_f32_u32_e32 v4, s5
	v_sub_u32_e32 v34, v2, v3
	s_ashr_i32 s6, s14, 31
	s_lshr_b32 s6, s6, 25
	v_rcp_iflag_f32_e32 v3, v4
	s_sub_i32 s9, 0, s5
	s_add_i32 s6, s14, s6
	s_ashr_i32 s6, s6, 7
	v_mul_f32_e32 v3, 0x4f7ffffe, v3
	v_cvt_u32_f32_e32 v3, v3
	s_abs_i32 s8, s6
	s_xor_b32 s7, s6, s16
	s_ashr_i32 s7, s7, 31
	v_readfirstlane_b32 s10, v3
	s_mul_i32 s9, s9, s10
	s_mul_hi_u32 s9, s10, s9
	s_add_i32 s10, s10, s9
	s_mul_hi_u32 s9, s8, s10
	s_mul_i32 s10, s9, s5
	s_sub_i32 s8, s8, s10
	s_add_i32 s10, s9, 1
	s_sub_i32 s11, s8, s5
	s_cmp_ge_u32 s8, s5
	s_cselect_b32 s9, s10, s9
	s_cselect_b32 s8, s11, s8
	s_add_i32 s10, s9, 1
	s_cmp_ge_u32 s8, s5
	s_cselect_b32 s5, s10, s9
	s_xor_b32 s5, s5, s7
	s_sub_i32 s44, s5, s7
	s_add_i32 s16, s16, -1
	s_mul_i32 s5, s44, s16
	s_add_i32 s4, s4, s19
	s_sub_i32 s45, s6, s5
	v_cmp_gt_i32_e64 s[4:5], s4, v2
	v_lshlrev_b32_e32 v2, 1, v0
	v_lshlrev_b32_e32 v3, 4, v0
	v_and_b32_e32 v1, 60, v1
	v_and_b32_e32 v2, 64, v2
	;; [unrolled: 1-line block ×3, first 2 shown]
	v_or3_b32 v39, v1, v2, v4
	v_and_b32_e32 v1, 1, v0
	v_lshrrev_b32_e32 v4, 2, v0
	s_abs_i32 s46, s33
	v_and_or_b32 v42, v4, 12, v1
	v_cvt_f32_u32_e32 v4, s46
	v_lshlrev_b32_e32 v2, 1, v1
	v_and_b32_e32 v16, 14, v0
	v_sub_u32_e32 v2, v0, v2
	v_bitop3_b32 v40, v0, 1, v0 bitop3:0xc
	v_bitop3_b32 v41, v0, 3, 1 bitop3:0x6c
	v_and_b32_e32 v26, 48, v3
	v_bfe_u32 v43, v0, 2, 4
	v_and_b32_e32 v1, 60, v0
	v_lshlrev_b32_e32 v3, 8, v0
	v_lshlrev_b32_e32 v0, 6, v0
	v_and_b32_e32 v3, 0x200, v3
	v_and_b32_e32 v0, 64, v0
	v_rcp_iflag_f32_e32 v4, v4
	s_abs_i32 s47, s42
	v_or3_b32 v44, v1, v3, v0
	v_cvt_f32_u32_e32 v1, s47
	v_mul_f32_e32 v0, 0x4f7ffffe, v4
	v_cvt_u32_f32_e32 v0, v0
	v_mad_u64_u32 v[18:19], s[6:7], s13, v42, v[16:17]
	v_rcp_iflag_f32_e32 v1, v1
	s_lshl_b32 s6, s13, 4
	v_add_u32_e32 v20, s6, v18
	v_readfirstlane_b32 s7, v0
	v_mul_f32_e32 v0, 0x4f7ffffe, v1
	v_add_u32_e32 v22, s6, v20
	v_cvt_u32_f32_e32 v0, v0
	v_add_u32_e32 v24, s6, v22
	s_sub_i32 s6, 0, s46
	s_mul_i32 s6, s6, s7
	s_mul_hi_u32 s6, s7, s6
	v_add_u32_e32 v2, 1, v2
	s_add_i32 s49, s7, s6
	s_sub_i32 s6, 0, s47
	v_readfirstlane_b32 s7, v0
	v_mbcnt_lo_u32_b32 v0, -1, 0
	v_and_b32_e32 v2, 63, v2
	s_mul_i32 s6, s6, s7
	v_mbcnt_hi_u32_b32 v0, -1, v0
	v_mul_lo_u32 v28, s15, v43
	s_mul_hi_u32 s6, s7, s6
	v_and_or_b32 v0, v0, 64, v2
	v_cndmask_b32_e64 v38, 0, 1, s[0:1]
	s_ashr_i32 s11, s13, 31
	s_mov_b32 s10, s13
	v_ashrrev_i32_e32 v19, 31, v18
	v_ashrrev_i32_e32 v21, 31, v20
	v_ashrrev_i32_e32 v23, 31, v22
	v_ashrrev_i32_e32 v25, 31, v24
	v_ashrrev_i32_e32 v29, 31, v28
	v_mov_b32_e32 v27, 0
	v_or_b32_e32 v45, 0xc000, v44
	v_mul_lo_u32 v46, s14, v43
	s_ashr_i32 s48, s33, 31
	s_ashr_i32 s50, s42, 31
	s_add_i32 s51, s7, s6
	v_lshlrev_b32_e32 v47, 2, v0
	v_not_b32_e32 v48, 23
	v_mov_b32_e32 v49, v34
	s_branch .LBB330_7
.LBB330_4:                              ;   in Loop: Header=BB330_7 Depth=1
	s_or_b64 exec, exec, s[28:29]
.LBB330_5:                              ;   in Loop: Header=BB330_7 Depth=1
	s_or_b64 exec, exec, s[8:9]
	v_subrev_u32_e32 v49, s36, v49
.LBB330_6:                              ;   in Loop: Header=BB330_7 Depth=1
	s_or_b64 exec, exec, s[6:7]
	s_add_i32 s43, s43, 1
	v_cmp_ge_i32_e32 vcc, s43, v17
	s_cbranch_vccnz .LBB330_57
.LBB330_7:                              ; =>This Loop Header: Depth=1
                                        ;     Child Loop BB330_13 Depth 2
                                        ;       Child Loop BB330_15 Depth 3
                                        ;       Child Loop BB330_18 Depth 3
	;; [unrolled: 1-line block ×5, first 2 shown]
                                        ;     Child Loop BB330_44 Depth 2
                                        ;       Child Loop BB330_46 Depth 3
                                        ;     Child Loop BB330_54 Depth 2
                                        ;       Child Loop BB330_56 Depth 3
	s_abs_i32 s7, s43
	s_mul_hi_u32 s8, s7, s49
	s_mul_i32 s9, s8, s46
	s_ashr_i32 s6, s43, 31
	s_sub_i32 s7, s7, s9
	s_xor_b32 s6, s6, s48
	s_add_i32 s9, s8, 1
	s_sub_i32 s28, s7, s46
	s_cmp_ge_u32 s7, s46
	s_cselect_b32 s8, s9, s8
	s_cselect_b32 s7, s28, s7
	s_add_i32 s9, s8, 1
	s_cmp_ge_u32 s7, s46
	s_cselect_b32 s7, s9, s8
	s_xor_b32 s7, s7, s6
	s_sub_i32 s6, s7, s6
	s_abs_i32 s8, s6
	s_mul_i32 s7, s6, s33
	s_mul_hi_u32 s9, s8, s51
	s_sub_i32 s7, s43, s7
	s_mul_i32 s28, s9, s47
	s_lshl_b32 s52, s7, 6
	s_ashr_i32 s7, s6, 31
	s_sub_i32 s8, s8, s28
	s_xor_b32 s7, s7, s50
	s_add_i32 s28, s9, 1
	s_sub_i32 s29, s8, s47
	s_cmp_ge_u32 s8, s47
	s_cselect_b32 s9, s28, s9
	s_cselect_b32 s8, s29, s8
	s_add_i32 s28, s9, 1
	s_cmp_ge_u32 s8, s47
	s_cselect_b32 s8, s28, s9
	s_xor_b32 s8, s8, s7
	s_sub_i32 s7, s8, s7
	s_mul_i32 s8, s7, s44
	s_lshl_b32 s53, s8, 7
	s_cmp_eq_u32 s7, s16
	s_cselect_b32 s55, s45, s44
	s_sub_i32 s8, s52, s12
	s_add_i32 s8, s8, 64
	s_max_i32 s54, s8, 0
	s_and_saveexec_b64 s[8:9], s[2:3]
	s_xor_b64 s[28:29], exec, s[8:9]
	s_cbranch_execz .LBB330_50
; %bb.8:                                ;   in Loop: Header=BB330_7 Depth=1
	s_mul_i32 s7, s7, s42
	s_sub_i32 s6, s6, s7
	s_lshl_b32 s6, s6, 4
	s_sub_i32 s31, s6, s13
	s_add_i32 s31, s31, 16
	s_max_i32 s7, s31, 0
	s_sub_i32 s30, s6, s7
	s_and_saveexec_b64 s[6:7], s[0:1]
	s_xor_b64 s[34:35], exec, s[6:7]
	s_cbranch_execz .LBB330_40
; %bb.9:                                ;   in Loop: Header=BB330_7 Depth=1
	s_and_saveexec_b64 s[36:37], s[4:5]
	s_cbranch_execz .LBB330_39
; %bb.10:                               ;   in Loop: Header=BB330_7 Depth=1
	s_waitcnt lgkmcnt(0)
	global_load_dword v50, v27, s[26:27]
	v_mov_b32_e32 v15, 0
	v_cmp_gt_i32_e32 vcc, s55, v49
	v_mov_b32_e32 v14, v15
	v_mov_b32_e32 v13, v15
	;; [unrolled: 1-line block ×15, first 2 shown]
	s_and_saveexec_b64 s[6:7], vcc
	s_cbranch_execz .LBB330_29
; %bb.11:                               ;   in Loop: Header=BB330_7 Depth=1
	v_mov_b32_e32 v0, 0
	s_mov_b64 s[8:9], 0
	v_mov_b32_e32 v1, v0
	v_mov_b32_e32 v2, v0
	v_mov_b32_e32 v3, v0
	v_mov_b32_e32 v4, v0
	v_mov_b32_e32 v5, v0
	v_mov_b32_e32 v6, v0
	v_mov_b32_e32 v7, v0
	v_mov_b32_e32 v8, v0
	v_mov_b32_e32 v9, v0
	v_mov_b32_e32 v10, v0
	v_mov_b32_e32 v11, v0
	v_mov_b32_e32 v12, v0
	v_mov_b32_e32 v13, v0
	v_mov_b32_e32 v14, v0
	v_mov_b32_e32 v15, v0
	s_branch .LBB330_13
.LBB330_12:                             ;   in Loop: Header=BB330_13 Depth=2
	s_or_b64 exec, exec, s[38:39]
	v_add_u32_e32 v55, 0x1800, v54
	ds_read2_b32 v[56:57], v55 offset1:32
	ds_read2_b32 v[58:59], v55 offset0:128 offset1:160
	v_add_u32_e32 v60, 0x1c00, v54
	ds_read2_b32 v[54:55], v60 offset1:32
	v_add_u32_e32 v49, s19, v49
	s_waitcnt lgkmcnt(2)
	v_mfma_f32_16x16x32_fp8_fp8 v[0:3], v[56:57], v[34:35], v[0:3]
	v_add_u32_e32 v34, s19, v51
	v_cmp_le_i32_e32 vcc, s55, v49
	v_add_u32_e32 v35, 2, v38
	s_waitcnt lgkmcnt(1)
	v_mfma_f32_16x16x32_fp8_fp8 v[0:3], v[58:59], v[36:37], v[0:3]
	ds_read2_b32 v[36:37], v60 offset0:128 offset1:160
	s_or_b64 s[8:9], vcc, s[8:9]
	v_cmp_lt_i32_e32 vcc, 5, v34
	s_waitcnt lgkmcnt(1)
	v_mfma_f32_16x16x32_fp8_fp8 v[0:3], v[54:55], v[32:33], v[0:3]
	;;#ASMSTART
	s_waitcnt lgkmcnt(0)
	;;#ASMEND
	ds_write_b32 v53, v52 offset:61452
	v_cndmask_b32_e32 v38, v38, v35, vcc
	s_waitcnt lgkmcnt(1)
	v_mfma_f32_16x16x32_fp8_fp8 v[0:3], v[36:37], v[30:31], v[0:3]
	s_andn2_b64 exec, exec, s[8:9]
	s_cbranch_execz .LBB330_28
.LBB330_13:                             ;   Parent Loop BB330_7 Depth=1
                                        ; =>  This Loop Header: Depth=2
                                        ;       Child Loop BB330_15 Depth 3
                                        ;       Child Loop BB330_18 Depth 3
	;; [unrolled: 1-line block ×5, first 2 shown]
	v_cmp_gt_i32_e32 vcc, 6, v34
	s_nop 1
	v_cndmask_b32_e64 v30, -6, 0, vcc
	v_add_u32_e32 v51, v30, v34
	v_lshlrev_b32_e32 v30, 2, v51
	ds_read_b32 v31, v30 offset:61536
	v_add_u32_e32 v53, 0xf000, v30
	s_waitcnt lgkmcnt(0)
	v_cmp_ne_u32_e32 vcc, v31, v38
	s_and_saveexec_b64 s[38:39], vcc
	s_cbranch_execz .LBB330_16
; %bb.14:                               ;   in Loop: Header=BB330_13 Depth=2
	s_mov_b64 s[40:41], 0
.LBB330_15:                             ;   Parent Loop BB330_7 Depth=1
                                        ;     Parent Loop BB330_13 Depth=2
                                        ; =>    This Inner Loop Header: Depth=3
	;;#ASMSTART
	s_sleep 0
	;;#ASMEND
	ds_read_b32 v30, v53 offset:96
	s_waitcnt lgkmcnt(0)
	v_cmp_eq_u32_e32 vcc, v30, v38
	s_or_b64 s[40:41], vcc, s[40:41]
	s_andn2_b64 exec, exec, s[40:41]
	s_cbranch_execnz .LBB330_15
.LBB330_16:                             ;   in Loop: Header=BB330_13 Depth=2
	s_or_b64 exec, exec, s[38:39]
	v_or_b32_e32 v30, 0xc000, v39
	v_lshl_add_u32 v30, v51, 11, v30
	ds_read2_b32 v[34:35], v30 offset1:32
	ds_read2_b32 v[36:37], v30 offset0:128 offset1:160
	v_add_u32_e32 v30, 0x400, v30
	v_add_u32_e32 v52, 1, v38
	ds_read2_b32 v[32:33], v30 offset1:32
	ds_read2_b32 v[30:31], v30 offset0:128 offset1:160
	;;#ASMSTART
	s_waitcnt lgkmcnt(0)
	;;#ASMEND
	ds_write_b32 v53, v52 offset:96
	v_lshlrev_b32_e32 v53, 4, v51
	ds_read_b32 v54, v53 offset:61440
	s_waitcnt lgkmcnt(0)
	v_cmp_ne_u32_e32 vcc, v54, v38
	s_and_saveexec_b64 s[38:39], vcc
	s_cbranch_execz .LBB330_19
; %bb.17:                               ;   in Loop: Header=BB330_13 Depth=2
	s_mov_b64 s[40:41], 0
.LBB330_18:                             ;   Parent Loop BB330_7 Depth=1
                                        ;     Parent Loop BB330_13 Depth=2
                                        ; =>    This Inner Loop Header: Depth=3
	;;#ASMSTART
	s_sleep 0
	;;#ASMEND
	ds_read_b32 v54, v53 offset:61440
	s_waitcnt lgkmcnt(0)
	v_cmp_eq_u32_e32 vcc, v54, v38
	s_or_b64 s[40:41], vcc, s[40:41]
	s_andn2_b64 exec, exec, s[40:41]
	s_cbranch_execnz .LBB330_18
.LBB330_19:                             ;   in Loop: Header=BB330_13 Depth=2
	s_or_b64 exec, exec, s[38:39]
	v_lshlrev_b32_e32 v54, 13, v51
	v_or_b32_e32 v55, v39, v54
	ds_read2_b32 v[56:57], v55 offset1:32
	ds_read2_b32 v[58:59], v55 offset0:128 offset1:160
	v_add_u32_e32 v55, 0x400, v55
	s_waitcnt lgkmcnt(1)
	v_mfma_f32_16x16x32_fp8_fp8 v[12:15], v[56:57], v[34:35], v[12:15]
	ds_read2_b32 v[56:57], v55 offset1:32
	s_waitcnt lgkmcnt(1)
	v_mfma_f32_16x16x32_fp8_fp8 v[12:15], v[58:59], v[36:37], v[12:15]
	ds_read2_b32 v[58:59], v55 offset0:128 offset1:160
	;;#ASMSTART
	s_waitcnt lgkmcnt(0)
	;;#ASMEND
	ds_read_b32 v55, v53 offset:61444
	ds_write_b32 v53, v52 offset:61440
	s_waitcnt lgkmcnt(3)
	v_mfma_f32_16x16x32_fp8_fp8 v[12:15], v[56:57], v[32:33], v[12:15]
	s_waitcnt lgkmcnt(1)
	v_cmp_ne_u32_e32 vcc, v55, v38
	v_mfma_f32_16x16x32_fp8_fp8 v[12:15], v[58:59], v[30:31], v[12:15]
	s_and_saveexec_b64 s[38:39], vcc
	s_cbranch_execz .LBB330_22
; %bb.20:                               ;   in Loop: Header=BB330_13 Depth=2
	s_mov_b64 s[40:41], 0
.LBB330_21:                             ;   Parent Loop BB330_7 Depth=1
                                        ;     Parent Loop BB330_13 Depth=2
                                        ; =>    This Inner Loop Header: Depth=3
	;;#ASMSTART
	s_sleep 0
	;;#ASMEND
	ds_read_b32 v55, v53 offset:61444
	s_waitcnt lgkmcnt(0)
	v_cmp_eq_u32_e32 vcc, v55, v38
	s_or_b64 s[40:41], vcc, s[40:41]
	s_andn2_b64 exec, exec, s[40:41]
	s_cbranch_execnz .LBB330_21
.LBB330_22:                             ;   in Loop: Header=BB330_13 Depth=2
	s_or_b64 exec, exec, s[38:39]
	v_add_u32_e32 v54, v39, v54
	v_add_u32_e32 v55, 0x800, v54
	ds_read2_b32 v[56:57], v55 offset1:32
	ds_read2_b32 v[58:59], v55 offset0:128 offset1:160
	v_add_u32_e32 v55, 0xc00, v54
	s_waitcnt lgkmcnt(1)
	v_mfma_f32_16x16x32_fp8_fp8 v[8:11], v[56:57], v[34:35], v[8:11]
	ds_read2_b32 v[56:57], v55 offset1:32
	s_waitcnt lgkmcnt(1)
	v_mfma_f32_16x16x32_fp8_fp8 v[8:11], v[58:59], v[36:37], v[8:11]
	ds_read2_b32 v[58:59], v55 offset0:128 offset1:160
	;;#ASMSTART
	s_waitcnt lgkmcnt(0)
	;;#ASMEND
	ds_read_b32 v55, v53 offset:61448
	ds_write_b32 v53, v52 offset:61444
	s_waitcnt lgkmcnt(3)
	v_mfma_f32_16x16x32_fp8_fp8 v[8:11], v[56:57], v[32:33], v[8:11]
	s_waitcnt lgkmcnt(1)
	v_cmp_ne_u32_e32 vcc, v55, v38
	v_mfma_f32_16x16x32_fp8_fp8 v[8:11], v[58:59], v[30:31], v[8:11]
	s_and_saveexec_b64 s[38:39], vcc
	s_cbranch_execz .LBB330_25
; %bb.23:                               ;   in Loop: Header=BB330_13 Depth=2
	s_mov_b64 s[40:41], 0
.LBB330_24:                             ;   Parent Loop BB330_7 Depth=1
                                        ;     Parent Loop BB330_13 Depth=2
                                        ; =>    This Inner Loop Header: Depth=3
	;;#ASMSTART
	s_sleep 0
	;;#ASMEND
	ds_read_b32 v55, v53 offset:61448
	s_waitcnt lgkmcnt(0)
	v_cmp_eq_u32_e32 vcc, v55, v38
	s_or_b64 s[40:41], vcc, s[40:41]
	s_andn2_b64 exec, exec, s[40:41]
	s_cbranch_execnz .LBB330_24
.LBB330_25:                             ;   in Loop: Header=BB330_13 Depth=2
	s_or_b64 exec, exec, s[38:39]
	v_add_u32_e32 v55, 0x1000, v54
	ds_read2_b32 v[56:57], v55 offset1:32
	ds_read2_b32 v[58:59], v55 offset0:128 offset1:160
	v_add_u32_e32 v55, 0x1400, v54
	s_waitcnt lgkmcnt(1)
	v_mfma_f32_16x16x32_fp8_fp8 v[4:7], v[56:57], v[34:35], v[4:7]
	ds_read2_b32 v[56:57], v55 offset1:32
	s_waitcnt lgkmcnt(1)
	v_mfma_f32_16x16x32_fp8_fp8 v[4:7], v[58:59], v[36:37], v[4:7]
	ds_read2_b32 v[58:59], v55 offset0:128 offset1:160
	;;#ASMSTART
	s_waitcnt lgkmcnt(0)
	;;#ASMEND
	ds_read_b32 v55, v53 offset:61452
	ds_write_b32 v53, v52 offset:61448
	s_waitcnt lgkmcnt(3)
	v_mfma_f32_16x16x32_fp8_fp8 v[4:7], v[56:57], v[32:33], v[4:7]
	s_waitcnt lgkmcnt(1)
	v_cmp_ne_u32_e32 vcc, v55, v38
	v_mfma_f32_16x16x32_fp8_fp8 v[4:7], v[58:59], v[30:31], v[4:7]
	s_and_saveexec_b64 s[38:39], vcc
	s_cbranch_execz .LBB330_12
; %bb.26:                               ;   in Loop: Header=BB330_13 Depth=2
	s_mov_b64 s[40:41], 0
.LBB330_27:                             ;   Parent Loop BB330_7 Depth=1
                                        ;     Parent Loop BB330_13 Depth=2
                                        ; =>    This Inner Loop Header: Depth=3
	;;#ASMSTART
	s_sleep 0
	;;#ASMEND
	ds_read_b32 v55, v53 offset:61452
	s_waitcnt lgkmcnt(0)
	v_cmp_eq_u32_e32 vcc, v55, v38
	s_or_b64 s[40:41], vcc, s[40:41]
	s_andn2_b64 exec, exec, s[40:41]
	s_cbranch_execnz .LBB330_27
	s_branch .LBB330_12
.LBB330_28:                             ;   in Loop: Header=BB330_7 Depth=1
	s_or_b64 exec, exec, s[8:9]
.LBB330_29:                             ;   in Loop: Header=BB330_7 Depth=1
	s_or_b64 exec, exec, s[6:7]
	v_cmp_le_i32_e32 vcc, s31, v16
	v_cmp_eq_u32_e64 s[6:7], 3, v40
	s_waitcnt vmcnt(0)
	v_cndmask_b32_e32 v30, 0, v50, vcc
	v_pk_mul_f32 v[36:37], v[30:31], v[12:13] op_sel_hi:[0,1]
	v_cmp_eq_u32_e32 vcc, 1, v40
	v_pk_mul_f32 v[14:15], v[30:31], v[14:15] op_sel_hi:[0,1]
	v_add_u32_e32 v31, s54, v42
	v_cndmask_b32_e32 v12, v36, v37, vcc
	v_cmp_eq_u32_e32 vcc, 2, v40
	s_nop 1
	v_cndmask_b32_e32 v12, v12, v14, vcc
	v_cndmask_b32_e64 v12, v12, v15, s[6:7]
	ds_bpermute_b32 v13, v47, v12
	s_waitcnt lgkmcnt(0)
	v_cndmask_b32_e32 v14, v14, v13, vcc
	v_cmp_ne_u32_e32 vcc, 0, v40
	v_cndmask_b32_e64 v32, v15, v13, s[6:7]
	s_nop 0
	v_cndmask_b32_e32 v12, v37, v13, vcc
	v_cmp_eq_u32_e32 vcc, 0, v40
	s_nop 1
	v_cndmask_b32_e32 v13, v36, v13, vcc
	v_cmp_eq_u32_e32 vcc, 1, v41
	;; [unrolled: 3-line block ×4, first 2 shown]
	s_nop 1
	v_cndmask_b32_e32 v15, v15, v32, vcc
	ds_bpermute_b32 v15, v47, v15
	v_cmp_gt_u32_e32 vcc, 64, v31
	s_and_saveexec_b64 s[38:39], vcc
	s_cbranch_execz .LBB330_38
; %bb.30:                               ;   in Loop: Header=BB330_7 Depth=1
	v_cmp_eq_u32_e64 s[8:9], 1, v41
	v_cmp_eq_u32_e64 s[6:7], 3, v41
	v_cmp_eq_u32_e32 vcc, 2, v41
	s_waitcnt lgkmcnt(0)
	v_cndmask_b32_e64 v12, v12, v15, s[8:9]
	v_cmp_eq_u32_e64 s[8:9], 0, v41
	v_cvt_f16_f32_sdwa v35, v12 dst_sel:WORD_1 dst_unused:UNUSED_PAD src0_sel:DWORD
	s_nop 0
	v_cndmask_b32_e64 v13, v13, v15, s[8:9]
	s_mul_i32 s8, s52, s13
	s_ashr_i32 s9, s8, 31
	s_lshl_b64 s[8:9], s[8:9], 1
	s_add_u32 s40, s24, s8
	s_addc_u32 s41, s25, s9
	s_ashr_i32 s31, s30, 31
	s_lshl_b64 s[8:9], s[30:31], 1
	v_cvt_f16_f32_e32 v33, v13
	s_add_u32 s40, s40, s8
	s_addc_u32 s41, s41, s9
	v_lshl_add_u64 v[12:13], v[18:19], 1, s[40:41]
	v_cmp_gt_u32_e64 s[8:9], 62, v31
	v_or_b32_e32 v33, v35, v33
	;;#ASMSTART
	global_atomic_pk_add_f16 v[12:13], v33, off
	
	;;#ASMEND
	s_and_b64 exec, exec, s[8:9]
	s_cbranch_execz .LBB330_38
; %bb.31:                               ;   in Loop: Header=BB330_7 Depth=1
	v_mov_b32_e32 v31, v30
	v_cndmask_b32_e64 v35, v32, v15, s[6:7]
	v_mov_b32_e32 v32, v30
	v_mov_b32_e32 v33, v30
	v_pk_mul_f32 v[10:11], v[32:33], v[10:11]
	v_pk_mul_f32 v[32:33], v[30:31], v[8:9]
	v_cmp_eq_u32_e64 s[6:7], 1, v40
	v_cmp_eq_u32_e64 s[8:9], 3, v40
	v_cvt_f16_f32_sdwa v35, v35 dst_sel:WORD_1 dst_unused:UNUSED_PAD src0_sel:DWORD
	v_cndmask_b32_e64 v8, v32, v33, s[6:7]
	v_cmp_eq_u32_e64 s[6:7], 2, v40
	s_nop 1
	v_cndmask_b32_e64 v8, v8, v10, s[6:7]
	v_cndmask_b32_e64 v8, v8, v11, s[8:9]
	ds_bpermute_b32 v9, v47, v8
	v_cndmask_b32_e32 v8, v14, v15, vcc
	v_cmp_ne_u32_e32 vcc, 0, v40
	v_lshl_add_u64 v[14:15], s[10:11], 2, v[12:13]
	v_cvt_f16_f32_e32 v13, v8
	s_waitcnt lgkmcnt(0)
	v_cndmask_b32_e32 v8, v33, v9, vcc
	v_cmp_eq_u32_e32 vcc, 0, v40
	v_cndmask_b32_e64 v12, v11, v9, s[8:9]
	v_cndmask_b32_e64 v10, v10, v9, s[6:7]
	v_cndmask_b32_e32 v9, v32, v9, vcc
	v_cmp_eq_u32_e32 vcc, 1, v41
	v_or_b32_e32 v13, v35, v13
	;;#ASMSTART
	global_atomic_pk_add_f16 v[14:15], v13, off
	
	;;#ASMEND
	v_or_b32_e32 v13, 16, v42
	v_cndmask_b32_e32 v11, v9, v8, vcc
	v_cmp_eq_u32_e32 vcc, 2, v41
	v_add_u32_e32 v13, s54, v13
	s_nop 0
	v_cndmask_b32_e32 v11, v11, v10, vcc
	v_cmp_eq_u32_e32 vcc, 3, v41
	s_nop 1
	v_cndmask_b32_e32 v11, v11, v12, vcc
	ds_bpermute_b32 v11, v47, v11
	v_cmp_gt_u32_e32 vcc, 64, v13
	s_and_b64 exec, exec, vcc
	s_cbranch_execz .LBB330_38
; %bb.32:                               ;   in Loop: Header=BB330_7 Depth=1
	v_cmp_eq_u32_e32 vcc, 1, v41
	v_cmp_eq_u32_e64 s[6:7], 3, v41
	v_cmp_gt_u32_e64 s[8:9], 62, v13
	s_waitcnt lgkmcnt(0)
	v_cndmask_b32_e32 v8, v8, v11, vcc
	v_cmp_eq_u32_e32 vcc, 0, v41
	v_cvt_f16_f32_sdwa v15, v8 dst_sel:WORD_1 dst_unused:UNUSED_PAD src0_sel:DWORD
	s_nop 0
	v_cndmask_b32_e32 v9, v9, v11, vcc
	v_cvt_f16_f32_e32 v14, v9
	v_cmp_eq_u32_e32 vcc, 2, v41
	v_lshl_add_u64 v[8:9], v[20:21], 1, s[40:41]
	v_or_b32_e32 v14, v15, v14
	;;#ASMSTART
	global_atomic_pk_add_f16 v[8:9], v14, off
	
	;;#ASMEND
	s_and_b64 exec, exec, s[8:9]
	s_cbranch_execz .LBB330_38
; %bb.33:                               ;   in Loop: Header=BB330_7 Depth=1
	v_cndmask_b32_e64 v14, v12, v11, s[6:7]
	v_mov_b32_e32 v12, v30
	v_mov_b32_e32 v13, v30
	v_pk_mul_f32 v[6:7], v[12:13], v[6:7]
	v_pk_mul_f32 v[12:13], v[30:31], v[4:5]
	v_cmp_eq_u32_e64 s[6:7], 1, v40
	v_cmp_eq_u32_e64 s[8:9], 3, v40
	v_cvt_f16_f32_sdwa v14, v14 dst_sel:WORD_1 dst_unused:UNUSED_PAD src0_sel:DWORD
	v_cndmask_b32_e64 v4, v12, v13, s[6:7]
	v_cmp_eq_u32_e64 s[6:7], 2, v40
	s_nop 1
	v_cndmask_b32_e64 v4, v4, v6, s[6:7]
	v_cndmask_b32_e64 v4, v4, v7, s[8:9]
	ds_bpermute_b32 v5, v47, v4
	v_cndmask_b32_e32 v4, v10, v11, vcc
	v_cmp_ne_u32_e32 vcc, 0, v40
	v_lshl_add_u64 v[10:11], s[10:11], 2, v[8:9]
	v_cvt_f16_f32_e32 v9, v4
	s_waitcnt lgkmcnt(0)
	v_cndmask_b32_e32 v4, v13, v5, vcc
	v_cmp_eq_u32_e32 vcc, 0, v40
	v_cndmask_b32_e64 v8, v7, v5, s[8:9]
	v_cndmask_b32_e64 v6, v6, v5, s[6:7]
	v_cndmask_b32_e32 v5, v12, v5, vcc
	v_cmp_eq_u32_e32 vcc, 1, v41
	v_or_b32_e32 v9, v14, v9
	;;#ASMSTART
	global_atomic_pk_add_f16 v[10:11], v9, off
	
	;;#ASMEND
	v_or_b32_e32 v9, 32, v42
	v_cndmask_b32_e32 v7, v5, v4, vcc
	v_cmp_eq_u32_e32 vcc, 2, v41
	v_add_u32_e32 v9, s54, v9
	s_nop 0
	v_cndmask_b32_e32 v7, v7, v6, vcc
	v_cmp_eq_u32_e32 vcc, 3, v41
	s_nop 1
	v_cndmask_b32_e32 v7, v7, v8, vcc
	ds_bpermute_b32 v7, v47, v7
	v_cmp_gt_u32_e32 vcc, 64, v9
	s_and_b64 exec, exec, vcc
	s_cbranch_execz .LBB330_38
; %bb.34:                               ;   in Loop: Header=BB330_7 Depth=1
	v_cmp_eq_u32_e32 vcc, 1, v41
	v_cmp_eq_u32_e64 s[6:7], 3, v41
	v_cmp_gt_u32_e64 s[8:9], 62, v9
	s_waitcnt lgkmcnt(0)
	v_cndmask_b32_e32 v4, v4, v7, vcc
	v_cmp_eq_u32_e32 vcc, 0, v41
	v_cvt_f16_f32_sdwa v11, v4 dst_sel:WORD_1 dst_unused:UNUSED_PAD src0_sel:DWORD
	s_nop 0
	v_cndmask_b32_e32 v5, v5, v7, vcc
	v_cvt_f16_f32_e32 v10, v5
	v_cmp_eq_u32_e32 vcc, 2, v41
	v_lshl_add_u64 v[4:5], v[22:23], 1, s[40:41]
	v_or_b32_e32 v10, v11, v10
	;;#ASMSTART
	global_atomic_pk_add_f16 v[4:5], v10, off
	
	;;#ASMEND
	s_and_b64 exec, exec, s[8:9]
	s_cbranch_execz .LBB330_38
; %bb.35:                               ;   in Loop: Header=BB330_7 Depth=1
	v_cndmask_b32_e64 v12, v8, v7, s[6:7]
	v_mov_b32_e32 v8, v30
	v_mov_b32_e32 v9, v30
	v_pk_mul_f32 v[10:11], v[30:31], v[0:1]
	v_cmp_eq_u32_e64 s[6:7], 1, v40
	v_pk_mul_f32 v[8:9], v[8:9], v[2:3]
	v_cmp_eq_u32_e64 s[8:9], 3, v40
	v_cndmask_b32_e64 v0, v10, v11, s[6:7]
	v_cmp_eq_u32_e64 s[6:7], 2, v40
	v_cvt_f16_f32_sdwa v12, v12 dst_sel:WORD_1 dst_unused:UNUSED_PAD src0_sel:DWORD
	s_nop 0
	v_cndmask_b32_e64 v0, v0, v8, s[6:7]
	v_cndmask_b32_e64 v0, v0, v9, s[8:9]
	ds_bpermute_b32 v1, v47, v0
	v_cndmask_b32_e32 v0, v6, v7, vcc
	v_cmp_ne_u32_e32 vcc, 0, v40
	v_lshl_add_u64 v[6:7], s[10:11], 2, v[4:5]
	v_cvt_f16_f32_e32 v5, v0
	s_waitcnt lgkmcnt(0)
	v_cndmask_b32_e32 v0, v11, v1, vcc
	v_cmp_eq_u32_e32 vcc, 0, v40
	v_cndmask_b32_e64 v2, v9, v1, s[8:9]
	v_cndmask_b32_e64 v3, v8, v1, s[6:7]
	v_cndmask_b32_e32 v1, v10, v1, vcc
	v_cmp_eq_u32_e32 vcc, 1, v41
	v_or_b32_e32 v5, v12, v5
	;;#ASMSTART
	global_atomic_pk_add_f16 v[6:7], v5, off
	
	;;#ASMEND
	v_or_b32_e32 v5, 48, v42
	v_cndmask_b32_e32 v4, v1, v0, vcc
	v_cmp_eq_u32_e32 vcc, 2, v41
	v_add_u32_e32 v5, s54, v5
	s_nop 0
	v_cndmask_b32_e32 v4, v4, v3, vcc
	v_cmp_eq_u32_e32 vcc, 3, v41
	s_nop 1
	v_cndmask_b32_e32 v4, v4, v2, vcc
	ds_bpermute_b32 v4, v47, v4
	v_cmp_gt_u32_e32 vcc, 64, v5
	s_and_b64 exec, exec, vcc
	s_cbranch_execz .LBB330_38
; %bb.36:                               ;   in Loop: Header=BB330_7 Depth=1
	v_cmp_eq_u32_e32 vcc, 1, v41
	v_cmp_eq_u32_e64 s[6:7], 2, v41
	v_cmp_gt_u32_e64 s[8:9], 62, v5
	s_waitcnt lgkmcnt(0)
	v_cndmask_b32_e32 v0, v0, v4, vcc
	v_cmp_eq_u32_e32 vcc, 0, v41
	v_cvt_f16_f32_sdwa v7, v0 dst_sel:WORD_1 dst_unused:UNUSED_PAD src0_sel:DWORD
	s_nop 0
	v_cndmask_b32_e32 v1, v1, v4, vcc
	v_cvt_f16_f32_e32 v6, v1
	v_cmp_eq_u32_e32 vcc, 3, v41
	v_lshl_add_u64 v[0:1], v[24:25], 1, s[40:41]
	v_or_b32_e32 v6, v7, v6
	;;#ASMSTART
	global_atomic_pk_add_f16 v[0:1], v6, off
	
	;;#ASMEND
	s_and_b64 exec, exec, s[8:9]
	s_cbranch_execz .LBB330_38
; %bb.37:                               ;   in Loop: Header=BB330_7 Depth=1
	v_cndmask_b32_e32 v2, v2, v4, vcc
	v_cndmask_b32_e64 v3, v3, v4, s[6:7]
	v_cvt_f16_f32_sdwa v2, v2 dst_sel:WORD_1 dst_unused:UNUSED_PAD src0_sel:DWORD
	v_cvt_f16_f32_e32 v3, v3
	v_lshl_add_u64 v[0:1], s[10:11], 2, v[0:1]
	v_or_b32_e32 v2, v2, v3
	;;#ASMSTART
	global_atomic_pk_add_f16 v[0:1], v2, off
	
	;;#ASMEND
.LBB330_38:                             ;   in Loop: Header=BB330_7 Depth=1
	s_or_b64 exec, exec, s[38:39]
	v_subrev_u32_e32 v49, s55, v49
.LBB330_39:                             ;   in Loop: Header=BB330_7 Depth=1
	s_or_b64 exec, exec, s[36:37]
.LBB330_40:                             ;   in Loop: Header=BB330_7 Depth=1
	s_andn2_saveexec_b64 s[6:7], s[34:35]
	s_cbranch_execz .LBB330_49
; %bb.41:                               ;   in Loop: Header=BB330_7 Depth=1
	v_cmp_gt_i32_e32 vcc, s55, v49
	s_and_saveexec_b64 s[8:9], vcc
	s_cbranch_execz .LBB330_48
; %bb.42:                               ;   in Loop: Header=BB330_7 Depth=1
	s_mul_i32 s30, s30, s15
	s_ashr_i32 s31, s30, 31
	s_waitcnt lgkmcnt(0)
	s_add_u32 s30, s22, s30
	s_addc_u32 s31, s23, s31
	s_ashr_i32 s34, s53, 31
	s_add_u32 s30, s30, s53
	s_addc_u32 s31, s31, s34
	v_lshl_add_u64 v[0:1], s[30:31], 0, v[28:29]
	v_lshl_add_u64 v[8:9], v[0:1], 0, v[26:27]
	s_mov_b64 s[30:31], 0
	s_branch .LBB330_44
.LBB330_43:                             ;   in Loop: Header=BB330_44 Depth=2
	s_or_b64 exec, exec, s[34:35]
	v_lshl_add_u32 v12, v10, 11, v45
	;;#ASMSTART
	s_waitcnt vmcnt(1)
	;;#ASMEND
	ds_write2_b32 v12, v4, v5 offset1:32
	ds_write2_b32 v12, v6, v7 offset0:64 offset1:96
	v_add_u32_e32 v4, 0x400, v12
	v_add_u32_e32 v49, s18, v49
	;;#ASMSTART
	s_waitcnt vmcnt(0)
	;;#ASMEND
	ds_write2_b32 v4, v0, v1 offset1:32
	ds_write2_b32 v4, v2, v3 offset0:64 offset1:96
	v_add_u32_e32 v0, 1, v38
	v_add_u32_e32 v34, s18, v10
	v_cmp_le_i32_e32 vcc, s55, v49
	ds_write_b32 v11, v0 offset:96
	v_add_u32_e32 v0, 2, v38
	s_or_b64 s[30:31], vcc, s[30:31]
	v_cmp_lt_i32_e32 vcc, 5, v34
	s_nop 1
	v_cndmask_b32_e32 v38, v38, v0, vcc
	s_andn2_b64 exec, exec, s[30:31]
	s_cbranch_execz .LBB330_47
.LBB330_44:                             ;   Parent Loop BB330_7 Depth=1
                                        ; =>  This Loop Header: Depth=2
                                        ;       Child Loop BB330_46 Depth 3
	v_cmp_gt_i32_e32 vcc, 6, v34
	s_nop 1
	v_cndmask_b32_e64 v0, -6, 0, vcc
	v_add_u32_e32 v10, v0, v34
	v_lshlrev_b32_e32 v0, 7, v49
	v_ashrrev_i32_e32 v1, 31, v0
	v_lshl_add_u64 v[0:1], v[8:9], 0, v[0:1]
	v_lshlrev_b32_e32 v11, 2, v10
	;;#ASMSTART
	global_load_dwordx4 v[4:7], v[0:1], off offset:0   sc0 sc1 nt  
	global_load_dwordx4 v[0:3], v[0:1], off offset:64  sc0 sc1 nt  
	
	;;#ASMEND
	ds_read_b32 v12, v11 offset:61536
	v_add_u32_e32 v11, 0xf000, v11
	s_waitcnt lgkmcnt(0)
	v_cmp_ne_u32_e32 vcc, v12, v38
	s_and_saveexec_b64 s[34:35], vcc
	s_cbranch_execz .LBB330_43
; %bb.45:                               ;   in Loop: Header=BB330_44 Depth=2
	s_mov_b64 s[36:37], 0
.LBB330_46:                             ;   Parent Loop BB330_7 Depth=1
                                        ;     Parent Loop BB330_44 Depth=2
                                        ; =>    This Inner Loop Header: Depth=3
	;;#ASMSTART
	s_sleep 0
	;;#ASMEND
	ds_read_b32 v12, v11 offset:96
	s_waitcnt lgkmcnt(0)
	v_cmp_eq_u32_e32 vcc, v12, v38
	s_or_b64 s[36:37], vcc, s[36:37]
	s_andn2_b64 exec, exec, s[36:37]
	s_cbranch_execnz .LBB330_46
	s_branch .LBB330_43
.LBB330_47:                             ;   in Loop: Header=BB330_7 Depth=1
	s_or_b64 exec, exec, s[30:31]
.LBB330_48:                             ;   in Loop: Header=BB330_7 Depth=1
	s_or_b64 exec, exec, s[8:9]
	v_subrev_u32_e32 v49, s55, v49
.LBB330_49:                             ;   in Loop: Header=BB330_7 Depth=1
	s_or_b64 exec, exec, s[6:7]
.LBB330_50:                             ;   in Loop: Header=BB330_7 Depth=1
	s_andn2_saveexec_b64 s[6:7], s[28:29]
	s_cbranch_execz .LBB330_6
; %bb.51:                               ;   in Loop: Header=BB330_7 Depth=1
	s_lshl_b32 s36, s55, 2
	v_cmp_gt_i32_e32 vcc, s36, v49
	s_and_saveexec_b64 s[8:9], vcc
	s_cbranch_execz .LBB330_5
; %bb.52:                               ;   in Loop: Header=BB330_7 Depth=1
	s_mul_i32 s52, s52, s14
	s_ashr_i32 s28, s52, 31
	s_waitcnt lgkmcnt(0)
	s_add_u32 s29, s20, s52
	v_add_u32_e32 v2, s54, v43
	s_addc_u32 s30, s21, s28
	s_ashr_i32 s31, s53, 31
	v_cmp_gt_u32_e32 vcc, 64, v2
	s_add_u32 s28, s29, s53
	s_addc_u32 s29, s30, s31
	v_cndmask_b32_e32 v0, 0, v46, vcc
	v_ashrrev_i32_e32 v1, 31, v0
	v_lshl_add_u64 v[0:1], s[28:29], 0, v[0:1]
	v_lshl_add_u64 v[8:9], v[0:1], 0, v[26:27]
	v_sub_u32_e32 v10, 63, v2
	s_mov_b64 s[28:29], 0
	s_branch .LBB330_54
.LBB330_53:                             ;   in Loop: Header=BB330_54 Depth=2
	s_or_b64 exec, exec, s[30:31]
	v_lshl_or_b32 v13, v11, 11, v44
	;;#ASMSTART
	s_waitcnt vmcnt(1)
	;;#ASMEND
	ds_write2_b32 v13, v4, v5 offset1:32
	ds_write2_b32 v13, v6, v7 offset0:64 offset1:96
	v_add_u32_e32 v4, 0x400, v13
	v_add_u32_e32 v49, s17, v49
	;;#ASMSTART
	s_waitcnt vmcnt(0)
	;;#ASMEND
	ds_write2_b32 v4, v0, v1 offset1:32
	ds_write2_b32 v4, v2, v3 offset0:64 offset1:96
	v_add_u32_e32 v0, 1, v38
	v_add_u32_e32 v34, s17, v11
	v_cmp_le_i32_e32 vcc, s36, v49
	ds_write_b32 v12, v0
	v_add_u32_e32 v0, 2, v38
	s_or_b64 s[28:29], vcc, s[28:29]
	v_cmp_lt_i32_e32 vcc, 23, v34
	s_nop 1
	v_cndmask_b32_e32 v38, v38, v0, vcc
	s_andn2_b64 exec, exec, s[28:29]
	s_cbranch_execz .LBB330_4
.LBB330_54:                             ;   Parent Loop BB330_7 Depth=1
                                        ; =>  This Loop Header: Depth=2
                                        ;       Child Loop BB330_56 Depth 3
	v_cmp_gt_i32_e32 vcc, 24, v34
	s_nop 1
	v_cndmask_b32_e64 v0, v48, 0, vcc
	v_add_u32_e32 v11, v0, v34
	v_ashrrev_i32_e32 v0, 31, v49
	v_lshrrev_b32_e32 v0, 30, v0
	v_add_u32_e32 v0, v49, v0
	v_and_b32_e32 v1, 0xffffffc, v0
	v_sub_u32_e32 v1, v49, v1
	v_lshlrev_b32_e32 v1, 4, v1
	v_cmp_le_i32_e32 vcc, v1, v10
	v_lshlrev_b32_e32 v0, 5, v0
	v_and_b32_e32 v0, 0xffffff80, v0
	v_cndmask_b32_e32 v2, 0, v1, vcc
	v_ashrrev_i32_e32 v1, 31, v0
	v_mul_lo_u32 v2, v2, s14
	v_lshl_add_u64 v[0:1], v[8:9], 0, v[0:1]
	v_ashrrev_i32_e32 v3, 31, v2
	v_lshl_add_u64 v[0:1], v[0:1], 0, v[2:3]
	v_lshlrev_b32_e32 v12, 2, v11
	;;#ASMSTART
	global_load_dwordx4 v[4:7], v[0:1], off offset:0   
	global_load_dwordx4 v[0:3], v[0:1], off offset:64  
	
	;;#ASMEND
	ds_read_b32 v13, v12 offset:61440
	v_add_u32_e32 v12, 0xf000, v12
	s_waitcnt lgkmcnt(0)
	v_cmp_ne_u32_e32 vcc, v13, v38
	s_and_saveexec_b64 s[30:31], vcc
	s_cbranch_execz .LBB330_53
; %bb.55:                               ;   in Loop: Header=BB330_54 Depth=2
	s_mov_b64 s[34:35], 0
.LBB330_56:                             ;   Parent Loop BB330_7 Depth=1
                                        ;     Parent Loop BB330_54 Depth=2
                                        ; =>    This Inner Loop Header: Depth=3
	;;#ASMSTART
	s_sleep 0
	;;#ASMEND
	ds_read_b32 v13, v12
	s_waitcnt lgkmcnt(0)
	v_cmp_eq_u32_e32 vcc, v13, v38
	s_or_b64 s[34:35], vcc, s[34:35]
	s_andn2_b64 exec, exec, s[34:35]
	s_cbranch_execnz .LBB330_56
	s_branch .LBB330_53
.LBB330_57:
	s_endpgm
	.section	.rodata,"a",@progbits
	.p2align	6, 0x0
	.amdhsa_kernel _Z19_skinny_gemm_kernelILi4ELi1ELi6ELi16ELi4EEvPKhS1_P6__halfPKfiiiiiiii
		.amdhsa_group_segment_fixed_size 61560
		.amdhsa_private_segment_fixed_size 0
		.amdhsa_kernarg_size 64
		.amdhsa_user_sgpr_count 2
		.amdhsa_user_sgpr_dispatch_ptr 0
		.amdhsa_user_sgpr_queue_ptr 0
		.amdhsa_user_sgpr_kernarg_segment_ptr 1
		.amdhsa_user_sgpr_dispatch_id 0
		.amdhsa_user_sgpr_kernarg_preload_length 0
		.amdhsa_user_sgpr_kernarg_preload_offset 0
		.amdhsa_user_sgpr_private_segment_size 0
		.amdhsa_uses_dynamic_stack 0
		.amdhsa_enable_private_segment 0
		.amdhsa_system_sgpr_workgroup_id_x 1
		.amdhsa_system_sgpr_workgroup_id_y 0
		.amdhsa_system_sgpr_workgroup_id_z 0
		.amdhsa_system_sgpr_workgroup_info 0
		.amdhsa_system_vgpr_workitem_id 0
		.amdhsa_next_free_vgpr 61
		.amdhsa_next_free_sgpr 56
		.amdhsa_accum_offset 64
		.amdhsa_reserve_vcc 1
		.amdhsa_float_round_mode_32 0
		.amdhsa_float_round_mode_16_64 0
		.amdhsa_float_denorm_mode_32 3
		.amdhsa_float_denorm_mode_16_64 3
		.amdhsa_dx10_clamp 1
		.amdhsa_ieee_mode 1
		.amdhsa_fp16_overflow 0
		.amdhsa_tg_split 0
		.amdhsa_exception_fp_ieee_invalid_op 0
		.amdhsa_exception_fp_denorm_src 0
		.amdhsa_exception_fp_ieee_div_zero 0
		.amdhsa_exception_fp_ieee_overflow 0
		.amdhsa_exception_fp_ieee_underflow 0
		.amdhsa_exception_fp_ieee_inexact 0
		.amdhsa_exception_int_div_zero 0
	.end_amdhsa_kernel
	.section	.text._Z19_skinny_gemm_kernelILi4ELi1ELi6ELi16ELi4EEvPKhS1_P6__halfPKfiiiiiiii,"axG",@progbits,_Z19_skinny_gemm_kernelILi4ELi1ELi6ELi16ELi4EEvPKhS1_P6__halfPKfiiiiiiii,comdat
.Lfunc_end330:
	.size	_Z19_skinny_gemm_kernelILi4ELi1ELi6ELi16ELi4EEvPKhS1_P6__halfPKfiiiiiiii, .Lfunc_end330-_Z19_skinny_gemm_kernelILi4ELi1ELi6ELi16ELi4EEvPKhS1_P6__halfPKfiiiiiiii
                                        ; -- End function
	.set _Z19_skinny_gemm_kernelILi4ELi1ELi6ELi16ELi4EEvPKhS1_P6__halfPKfiiiiiiii.num_vgpr, 61
	.set _Z19_skinny_gemm_kernelILi4ELi1ELi6ELi16ELi4EEvPKhS1_P6__halfPKfiiiiiiii.num_agpr, 0
	.set _Z19_skinny_gemm_kernelILi4ELi1ELi6ELi16ELi4EEvPKhS1_P6__halfPKfiiiiiiii.numbered_sgpr, 56
	.set _Z19_skinny_gemm_kernelILi4ELi1ELi6ELi16ELi4EEvPKhS1_P6__halfPKfiiiiiiii.num_named_barrier, 0
	.set _Z19_skinny_gemm_kernelILi4ELi1ELi6ELi16ELi4EEvPKhS1_P6__halfPKfiiiiiiii.private_seg_size, 0
	.set _Z19_skinny_gemm_kernelILi4ELi1ELi6ELi16ELi4EEvPKhS1_P6__halfPKfiiiiiiii.uses_vcc, 1
	.set _Z19_skinny_gemm_kernelILi4ELi1ELi6ELi16ELi4EEvPKhS1_P6__halfPKfiiiiiiii.uses_flat_scratch, 0
	.set _Z19_skinny_gemm_kernelILi4ELi1ELi6ELi16ELi4EEvPKhS1_P6__halfPKfiiiiiiii.has_dyn_sized_stack, 0
	.set _Z19_skinny_gemm_kernelILi4ELi1ELi6ELi16ELi4EEvPKhS1_P6__halfPKfiiiiiiii.has_recursion, 0
	.set _Z19_skinny_gemm_kernelILi4ELi1ELi6ELi16ELi4EEvPKhS1_P6__halfPKfiiiiiiii.has_indirect_call, 0
	.section	.AMDGPU.csdata,"",@progbits
; Kernel info:
; codeLenInByte = 4360
; TotalNumSgprs: 62
; NumVgprs: 61
; NumAgprs: 0
; TotalNumVgprs: 61
; ScratchSize: 0
; MemoryBound: 0
; FloatMode: 240
; IeeeMode: 1
; LDSByteSize: 61560 bytes/workgroup (compile time only)
; SGPRBlocks: 7
; VGPRBlocks: 7
; NumSGPRsForWavesPerEU: 62
; NumVGPRsForWavesPerEU: 61
; AccumOffset: 64
; Occupancy: 8
; WaveLimiterHint : 0
; COMPUTE_PGM_RSRC2:SCRATCH_EN: 0
; COMPUTE_PGM_RSRC2:USER_SGPR: 2
; COMPUTE_PGM_RSRC2:TRAP_HANDLER: 0
; COMPUTE_PGM_RSRC2:TGID_X_EN: 1
; COMPUTE_PGM_RSRC2:TGID_Y_EN: 0
; COMPUTE_PGM_RSRC2:TGID_Z_EN: 0
; COMPUTE_PGM_RSRC2:TIDIG_COMP_CNT: 0
; COMPUTE_PGM_RSRC3_GFX90A:ACCUM_OFFSET: 15
; COMPUTE_PGM_RSRC3_GFX90A:TG_SPLIT: 0
	.section	.text._Z19_skinny_gemm_kernelILi4ELi1ELi6ELi32ELi4EEvPKhS1_P6__halfPKfiiiiiiii,"axG",@progbits,_Z19_skinny_gemm_kernelILi4ELi1ELi6ELi32ELi4EEvPKhS1_P6__halfPKfiiiiiiii,comdat
	.protected	_Z19_skinny_gemm_kernelILi4ELi1ELi6ELi32ELi4EEvPKhS1_P6__halfPKfiiiiiiii ; -- Begin function _Z19_skinny_gemm_kernelILi4ELi1ELi6ELi32ELi4EEvPKhS1_P6__halfPKfiiiiiiii
	.globl	_Z19_skinny_gemm_kernelILi4ELi1ELi6ELi32ELi4EEvPKhS1_P6__halfPKfiiiiiiii
	.p2align	8
	.type	_Z19_skinny_gemm_kernelILi4ELi1ELi6ELi32ELi4EEvPKhS1_P6__halfPKfiiiiiiii,@function
_Z19_skinny_gemm_kernelILi4ELi1ELi6ELi32ELi4EEvPKhS1_P6__halfPKfiiiiiiii: ; @_Z19_skinny_gemm_kernelILi4ELi1ELi6ELi32ELi4EEvPKhS1_P6__halfPKfiiiiiiii
; %bb.0:
	v_cmp_gt_u32_e32 vcc, 30, v0
	s_and_saveexec_b64 s[4:5], vcc
; %bb.1:
	v_lshlrev_b32_e32 v1, 2, v0
	v_mov_b32_e32 v2, 0
	ds_write_b32 v1, v2 offset:61440
; %bb.2:
	s_or_b64 exec, exec, s[4:5]
	s_load_dwordx8 s[36:43], s[0:1], 0x20
	s_waitcnt lgkmcnt(0)
	s_barrier
	s_add_i32 s3, s36, 0x7f
	s_ashr_i32 s5, s3, 31
	s_add_i32 s4, s37, 31
	s_lshr_b32 s5, s5, 25
	s_ashr_i32 s6, s4, 31
	s_add_i32 s3, s3, s5
	s_ashr_i32 s33, s3, 7
	s_lshr_b32 s3, s6, 27
	s_add_i32 s4, s4, s3
	s_ashr_i32 s62, s4, 5
	s_mul_i32 s3, s62, s33
	s_mul_i32 s3, s3, s40
	s_add_i32 s4, s3, 0x12f
	s_mul_hi_i32 s4, s4, 0x6bca1af3
	s_lshr_b32 s5, s4, 31
	s_ashr_i32 s4, s4, 7
	s_add_i32 s4, s4, s5
	s_add_i32 s5, s2, 1
	s_mul_i32 s5, s4, s5
	v_cvt_f64_i32_e32 v[2:3], s3
	v_cvt_f64_u32_e32 v[4:5], s5
	v_min_f64 v[2:3], v[2:3], v[4:5]
	v_cvt_i32_f64_e32 v46, v[2:3]
	s_mul_i32 s63, s4, s2
	v_cmp_ge_i32_e32 vcc, s63, v46
	s_cbranch_vccnz .LBB331_48
; %bb.3:
	v_lshrrev_b32_e32 v1, 6, v0
	s_add_i32 s4, s42, s41
	s_load_dwordx8 s[44:51], s[0:1], 0x0
	v_cmp_le_i32_e64 s[0:1], s4, v1
	v_mov_b32_e32 v2, s41
	v_cmp_le_i32_e64 s[2:3], s41, v1
	v_mov_b32_e32 v3, s42
	v_cndmask_b32_e64 v3, 0, v3, s[0:1]
	v_cndmask_b32_e64 v2, 0, v2, s[2:3]
	s_abs_i32 s5, s40
	v_add_u32_e32 v2, v2, v3
	v_cvt_f32_u32_e32 v3, s5
	v_sub_u32_e32 v40, v1, v2
	s_ashr_i32 s6, s38, 31
	s_lshr_b32 s6, s6, 26
	v_rcp_iflag_f32_e32 v2, v3
	s_sub_i32 s9, 0, s5
	s_add_i32 s6, s38, s6
	s_ashr_i32 s6, s6, 6
	v_mul_f32_e32 v2, 0x4f7ffffe, v2
	v_cvt_u32_f32_e32 v2, v2
	s_abs_i32 s8, s6
	s_xor_b32 s7, s6, s40
	s_ashr_i32 s7, s7, 31
	v_readfirstlane_b32 s10, v2
	s_mul_i32 s9, s9, s10
	s_mul_hi_u32 s9, s10, s9
	s_add_i32 s10, s10, s9
	s_mul_hi_u32 s9, s8, s10
	s_mul_i32 s10, s9, s5
	s_sub_i32 s8, s8, s10
	s_add_i32 s10, s9, 1
	s_sub_i32 s11, s8, s5
	s_cmp_ge_u32 s8, s5
	s_cselect_b32 s9, s10, s9
	s_cselect_b32 s8, s11, s8
	s_add_i32 s10, s9, 1
	s_cmp_ge_u32 s8, s5
	s_cselect_b32 s5, s10, s9
	s_xor_b32 s5, s5, s7
	s_sub_i32 s64, s5, s7
	s_add_i32 s40, s40, -1
	s_mul_i32 s5, s64, s40
	s_add_i32 s4, s4, s43
	v_and_b32_e32 v48, 31, v0
	v_lshrrev_b32_e32 v2, 3, v0
	s_sub_i32 s65, s6, s5
	v_cmp_gt_i32_e64 s[4:5], s4, v1
	v_lshlrev_b32_e32 v1, 2, v48
	v_and_b32_e32 v3, 4, v2
	v_and_b32_e32 v5, 1, v0
	v_lshlrev_b32_e32 v2, 6, v3
	v_or_b32_e32 v4, 0xc000, v1
	v_or_b32_e32 v3, v3, v5
	;; [unrolled: 1-line block ×4, first 2 shown]
	v_lshlrev_b32_e32 v2, 1, v5
	v_or_b32_e32 v5, 2, v3
	v_sub_u32_e32 v60, 32, v5
	v_or_b32_e32 v5, 8, v3
	v_sub_u32_e32 v61, 32, v5
	;; [unrolled: 2-line block ×5, first 2 shown]
	v_mul_lo_u32 v18, s37, v3
	v_sub_u32_e32 v64, 32, v5
	v_or_b32_e32 v5, 24, v3
	v_or_b32_e32 v3, 26, v3
	v_sub_u32_e32 v66, 32, v3
	v_lshrrev_b32_e32 v3, 1, v0
	s_abs_i32 s66, s33
	v_and_b32_e32 v34, 16, v3
	v_cvt_f32_u32_e32 v3, s66
	v_sub_u32_e32 v2, v0, v2
	v_add_u32_e32 v2, 1, v2
	v_and_b32_e32 v6, 63, v2
	v_bitop3_b32 v51, v0, 1, v0 bitop3:0xc
	v_bitop3_b32 v52, v0, 3, 1 bitop3:0x6c
	;; [unrolled: 1-line block ×8, first 2 shown]
	v_and_b32_e32 v2, 30, v0
	v_lshlrev_b32_e32 v0, 4, v0
	v_and_b32_e32 v0, 0x200, v0
	v_rcp_iflag_f32_e32 v3, v3
	s_abs_i32 s67, s62
	v_or_b32_e32 v69, v1, v0
	v_cvt_f32_u32_e32 v1, s67
	s_lshl_b32 s6, s37, 1
	v_add_u32_e32 v20, s6, v18
	s_mul_i32 s7, s37, 6
	v_or_b32_e32 v67, v4, v0
	v_mul_f32_e32 v0, 0x4f7ffffe, v3
	v_add_u32_e32 v22, s7, v20
	v_cvt_u32_f32_e32 v0, v0
	v_rcp_iflag_f32_e32 v1, v1
	v_add_u32_e32 v24, s6, v22
	v_add_u32_e32 v26, s7, v24
	;; [unrolled: 1-line block ×4, first 2 shown]
	v_readfirstlane_b32 s7, v0
	v_mul_f32_e32 v0, 0x4f7ffffe, v1
	v_cvt_u32_f32_e32 v0, v0
	v_add_u32_e32 v32, s6, v30
	s_sub_i32 s6, 0, s66
	s_mul_i32 s6, s6, s7
	s_mul_hi_u32 s6, s7, s6
	s_add_i32 s69, s7, s6
	s_sub_i32 s6, 0, s67
	v_readfirstlane_b32 s7, v0
	v_mbcnt_lo_u32_b32 v0, -1, 0
	s_mul_i32 s6, s6, s7
	v_mbcnt_hi_u32_b32 v0, -1, v0
	v_mov_b32_e32 v17, 0
	v_mul_lo_u32 v36, s39, v48
	s_mul_hi_u32 s6, s7, s6
	v_and_or_b32 v0, v0, 64, v6
	v_cndmask_b32_e64 v47, 0, 1, s[0:1]
	v_ashrrev_i32_e32 v19, 31, v18
	v_ashrrev_i32_e32 v21, 31, v20
	;; [unrolled: 1-line block ×6, first 2 shown]
	v_sub_u32_e32 v65, 32, v5
	v_ashrrev_i32_e32 v31, 31, v30
	v_ashrrev_i32_e32 v33, 31, v32
	;; [unrolled: 1-line block ×3, first 2 shown]
	v_mov_b32_e32 v35, v17
	v_mul_lo_u32 v68, s38, v48
	s_ashr_i32 s68, s33, 31
	s_ashr_i32 s70, s62, 31
	s_add_i32 s71, s7, s6
	s_movk_i32 s72, 0x80
	v_lshlrev_b32_e32 v16, 1, v2
	v_lshlrev_b32_e32 v70, 2, v0
	v_not_b32_e32 v71, 23
	v_mov_b32_e32 v72, v40
	s_branch .LBB331_7
.LBB331_4:                              ;   in Loop: Header=BB331_7 Depth=1
	s_or_b64 exec, exec, s[10:11]
.LBB331_5:                              ;   in Loop: Header=BB331_7 Depth=1
	s_or_b64 exec, exec, s[8:9]
	v_subrev_u32_e32 v72, s16, v72
.LBB331_6:                              ;   in Loop: Header=BB331_7 Depth=1
	s_or_b64 exec, exec, s[6:7]
	s_add_i32 s63, s63, 1
	v_cmp_ge_i32_e32 vcc, s63, v46
	s_cbranch_vccnz .LBB331_48
.LBB331_7:                              ; =>This Loop Header: Depth=1
                                        ;     Child Loop BB331_13 Depth 2
                                        ;       Child Loop BB331_15 Depth 3
                                        ;       Child Loop BB331_18 Depth 3
                                        ;     Child Loop BB331_35 Depth 2
                                        ;       Child Loop BB331_37 Depth 3
                                        ;     Child Loop BB331_45 Depth 2
                                        ;       Child Loop BB331_47 Depth 3
	s_abs_i32 s7, s63
	s_mul_hi_u32 s8, s7, s69
	s_mul_i32 s9, s8, s66
	s_ashr_i32 s6, s63, 31
	s_sub_i32 s7, s7, s9
	s_xor_b32 s6, s6, s68
	s_add_i32 s9, s8, 1
	s_sub_i32 s10, s7, s66
	s_cmp_ge_u32 s7, s66
	s_cselect_b32 s8, s9, s8
	s_cselect_b32 s7, s10, s7
	s_add_i32 s9, s8, 1
	s_cmp_ge_u32 s7, s66
	s_cselect_b32 s7, s9, s8
	s_xor_b32 s7, s7, s6
	s_sub_i32 s6, s7, s6
	s_abs_i32 s8, s6
	s_mul_i32 s7, s6, s33
	s_mul_hi_u32 s9, s8, s71
	s_sub_i32 s7, s63, s7
	s_mul_i32 s10, s9, s67
	s_lshl_b32 s73, s7, 7
	s_ashr_i32 s7, s6, 31
	s_sub_i32 s8, s8, s10
	s_xor_b32 s7, s7, s70
	s_add_i32 s10, s9, 1
	s_sub_i32 s11, s8, s67
	s_cmp_ge_u32 s8, s67
	s_cselect_b32 s9, s10, s9
	s_cselect_b32 s8, s11, s8
	s_add_i32 s10, s9, 1
	s_cmp_ge_u32 s8, s67
	s_cselect_b32 s8, s10, s9
	s_xor_b32 s8, s8, s7
	s_sub_i32 s7, s8, s7
	s_mul_i32 s8, s7, s64
	s_lshl_b32 s74, s8, 6
	s_cmp_eq_u32 s7, s40
	s_cselect_b32 s76, s65, s64
	s_sub_i32 s75, s73, s36
	s_addk_i32 s75, 0x80
	s_and_saveexec_b64 s[8:9], s[2:3]
	s_xor_b64 s[52:53], exec, s[8:9]
	s_cbranch_execz .LBB331_41
; %bb.8:                                ;   in Loop: Header=BB331_7 Depth=1
	s_mul_i32 s7, s7, s62
	s_sub_i32 s6, s6, s7
	s_lshl_b32 s6, s6, 5
	s_sub_i32 s14, s6, s37
	s_add_i32 s14, s14, 32
	s_max_i32 s7, s14, 0
	s_sub_i32 s54, s6, s7
	s_and_saveexec_b64 s[6:7], s[0:1]
	s_xor_b64 s[56:57], exec, s[6:7]
	s_cbranch_execz .LBB331_31
; %bb.9:                                ;   in Loop: Header=BB331_7 Depth=1
	s_and_saveexec_b64 s[58:59], s[4:5]
	s_cbranch_execz .LBB331_30
; %bb.10:                               ;   in Loop: Header=BB331_7 Depth=1
	s_waitcnt lgkmcnt(0)
	global_load_dword v73, v17, s[50:51]
	v_mov_b32_e32 v15, 0
	v_cmp_gt_i32_e32 vcc, s76, v72
	v_mov_b32_e32 v14, v15
	v_mov_b32_e32 v13, v15
	;; [unrolled: 1-line block ×15, first 2 shown]
	s_and_saveexec_b64 s[6:7], vcc
	s_cbranch_execz .LBB331_20
; %bb.11:                               ;   in Loop: Header=BB331_7 Depth=1
	v_mov_b32_e32 v0, 0
	s_mov_b64 s[8:9], 0
	v_mov_b32_e32 v1, v0
	v_mov_b32_e32 v2, v0
	;; [unrolled: 1-line block ×15, first 2 shown]
	s_branch .LBB331_13
.LBB331_12:                             ;   in Loop: Header=BB331_13 Depth=2
	s_or_b64 exec, exec, s[10:11]
	v_add_u32_e32 v77, v50, v77
	ds_read2_b32 v[78:79], v77 offset1:32
	v_add_u32_e32 v72, s43, v72
	s_waitcnt lgkmcnt(0)
	v_mfma_f32_32x32x16_fp8_fp8 v[0:15], v[44:45], v[78:79], v[0:15]
	ds_read2_b32 v[44:45], v77 offset0:128 offset1:160
	s_waitcnt lgkmcnt(0)
	v_mfma_f32_32x32x16_fp8_fp8 v[0:15], v[42:43], v[44:45], v[0:15]
	v_add_u32_e32 v44, 0x400, v77
	ds_read2_b32 v[42:43], v44 offset1:32
	ds_read2_b32 v[44:45], v44 offset0:128 offset1:160
	ds_write_b32 v75, v76 offset:61444
	s_waitcnt lgkmcnt(2)
	v_mfma_f32_32x32x16_fp8_fp8 v[0:15], v[40:41], v[42:43], v[0:15]
	v_add_u32_e32 v40, s43, v74
	v_add_u32_e32 v41, 2, v47
	v_cmp_lt_i32_e32 vcc, 5, v40
	s_nop 1
	v_cndmask_b32_e32 v47, v47, v41, vcc
	v_cmp_le_i32_e32 vcc, s76, v72
	s_waitcnt lgkmcnt(1)
	v_mfma_f32_32x32x16_fp8_fp8 v[0:15], v[38:39], v[44:45], v[0:15]
	s_or_b64 s[8:9], vcc, s[8:9]
	s_andn2_b64 exec, exec, s[8:9]
	s_cbranch_execz .LBB331_19
.LBB331_13:                             ;   Parent Loop BB331_7 Depth=1
                                        ; =>  This Loop Header: Depth=2
                                        ;       Child Loop BB331_15 Depth 3
                                        ;       Child Loop BB331_18 Depth 3
	v_cmp_gt_i32_e32 vcc, 6, v40
	s_nop 1
	v_cndmask_b32_e64 v38, -6, 0, vcc
	v_add_u32_e32 v74, v38, v40
	v_lshlrev_b32_e32 v75, 3, v74
	ds_read_b32 v38, v75 offset:61440
	s_waitcnt lgkmcnt(0)
	v_cmp_ne_u32_e32 vcc, v38, v47
	s_and_saveexec_b64 s[10:11], vcc
	s_cbranch_execz .LBB331_16
; %bb.14:                               ;   in Loop: Header=BB331_13 Depth=2
	s_mov_b64 s[12:13], 0
.LBB331_15:                             ;   Parent Loop BB331_7 Depth=1
                                        ;     Parent Loop BB331_13 Depth=2
                                        ; =>    This Inner Loop Header: Depth=3
	;;#ASMSTART
	s_sleep 0
	;;#ASMEND
	ds_read_b32 v38, v75 offset:61440
	s_waitcnt lgkmcnt(0)
	v_cmp_eq_u32_e32 vcc, v38, v47
	s_or_b64 s[12:13], vcc, s[12:13]
	s_andn2_b64 exec, exec, s[12:13]
	s_cbranch_execnz .LBB331_15
.LBB331_16:                             ;   in Loop: Header=BB331_13 Depth=2
	s_or_b64 exec, exec, s[10:11]
	v_lshlrev_b32_e32 v77, 11, v74
	v_or_b32_e32 v38, v49, v77
	ds_read2_b32 v[44:45], v38 offset1:32
	ds_read2_b32 v[42:43], v38 offset0:128 offset1:160
	v_add_u32_e32 v38, 0x400, v38
	ds_read2_b32 v[40:41], v38 offset1:32
	ds_read_b32 v78, v75 offset:61444
	ds_read2_b32 v[38:39], v38 offset0:128 offset1:160
	v_add_u32_e32 v76, 1, v47
	ds_write_b32 v75, v76 offset:61440
	s_waitcnt lgkmcnt(2)
	v_cmp_ne_u32_e32 vcc, v78, v47
	s_and_saveexec_b64 s[10:11], vcc
	s_cbranch_execz .LBB331_12
; %bb.17:                               ;   in Loop: Header=BB331_13 Depth=2
	s_mov_b64 s[12:13], 0
.LBB331_18:                             ;   Parent Loop BB331_7 Depth=1
                                        ;     Parent Loop BB331_13 Depth=2
                                        ; =>    This Inner Loop Header: Depth=3
	;;#ASMSTART
	s_sleep 0
	;;#ASMEND
	ds_read_b32 v78, v75 offset:61444
	s_waitcnt lgkmcnt(0)
	v_cmp_eq_u32_e32 vcc, v78, v47
	s_or_b64 s[12:13], vcc, s[12:13]
	s_andn2_b64 exec, exec, s[12:13]
	s_cbranch_execnz .LBB331_18
	s_branch .LBB331_12
.LBB331_19:                             ;   in Loop: Header=BB331_7 Depth=1
	s_or_b64 exec, exec, s[8:9]
.LBB331_20:                             ;   in Loop: Header=BB331_7 Depth=1
	s_or_b64 exec, exec, s[6:7]
	v_cmp_le_i32_e32 vcc, s14, v48
	v_cmp_eq_u32_e64 s[6:7], 3, v51
	v_cmp_eq_u32_e64 s[8:9], 4, v51
	s_waitcnt vmcnt(0)
	v_cndmask_b32_e32 v38, 0, v73, vcc
	s_nop 1
	v_pk_mul_f32 v[0:1], v[38:39], v[0:1] op_sel_hi:[0,1]
	v_cmp_eq_u32_e32 vcc, 1, v51
	v_pk_mul_f32 v[14:15], v[38:39], v[14:15] op_sel_hi:[0,1]
	v_pk_mul_f32 v[12:13], v[38:39], v[12:13] op_sel_hi:[0,1]
	;; [unrolled: 1-line block ×7, first 2 shown]
	v_cndmask_b32_e32 v38, v0, v1, vcc
	v_cmp_eq_u32_e32 vcc, 2, v51
	v_cmp_eq_u32_e64 s[10:11], 5, v51
	v_cmp_eq_u32_e64 s[12:13], 6, v51
	v_cndmask_b32_e32 v38, v38, v2, vcc
	v_cndmask_b32_e64 v38, v38, v3, s[6:7]
	v_cndmask_b32_e64 v38, v38, v4, s[8:9]
	;; [unrolled: 1-line block ×4, first 2 shown]
	v_cmp_eq_u32_e64 s[14:15], 7, v51
	v_cmp_eq_u32_e64 s[16:17], 8, v51
	v_cmp_eq_u32_e64 s[18:19], 9, v51
	v_cndmask_b32_e64 v38, v38, v7, s[14:15]
	v_cndmask_b32_e64 v38, v38, v8, s[16:17]
	v_cndmask_b32_e64 v38, v38, v9, s[18:19]
	v_cmp_eq_u32_e64 s[20:21], 10, v51
	v_cmp_eq_u32_e64 s[22:23], 11, v51
	v_cmp_eq_u32_e64 s[24:25], 12, v51
	v_cndmask_b32_e64 v38, v38, v10, s[20:21]
	v_cndmask_b32_e64 v38, v38, v11, s[22:23]
	v_cndmask_b32_e64 v38, v38, v12, s[24:25]
	;; [unrolled: 6-line block ×3, first 2 shown]
	ds_bpermute_b32 v38, v70, v38
	v_cmp_eq_u32_e64 s[34:35], 15, v52
	s_waitcnt lgkmcnt(0)
	v_cndmask_b32_e32 v2, v2, v38, vcc
	v_cmp_ne_u32_e32 vcc, 0, v51
	v_cndmask_b32_e64 v15, v15, v38, s[30:31]
	v_cndmask_b32_e64 v14, v14, v38, s[28:29]
	v_cndmask_b32_e32 v1, v1, v38, vcc
	v_cmp_eq_u32_e32 vcc, 0, v51
	v_cndmask_b32_e64 v13, v13, v38, s[26:27]
	v_cndmask_b32_e64 v12, v12, v38, s[24:25]
	v_cndmask_b32_e32 v0, v0, v38, vcc
	v_cmp_eq_u32_e32 vcc, 1, v52
	v_cndmask_b32_e64 v11, v11, v38, s[22:23]
	v_cndmask_b32_e64 v10, v10, v38, s[20:21]
	;; [unrolled: 1-line block ×9, first 2 shown]
	v_cndmask_b32_e32 v38, v0, v1, vcc
	v_cmp_eq_u32_e64 s[6:7], 2, v52
	v_cmp_eq_u32_e64 s[8:9], 3, v52
	v_cmp_eq_u32_e64 s[10:11], 4, v52
	v_cndmask_b32_e64 v38, v38, v2, s[6:7]
	v_cndmask_b32_e64 v38, v38, v3, s[8:9]
	v_cndmask_b32_e64 v38, v38, v4, s[10:11]
	v_cmp_eq_u32_e64 s[12:13], 5, v52
	v_cmp_eq_u32_e64 s[14:15], 6, v52
	v_cmp_eq_u32_e64 s[16:17], 7, v52
	v_cndmask_b32_e64 v38, v38, v5, s[12:13]
	v_cndmask_b32_e64 v38, v38, v6, s[14:15]
	v_cndmask_b32_e64 v38, v38, v7, s[16:17]
	;; [unrolled: 6-line block ×4, first 2 shown]
	v_cmp_eq_u32_e64 s[30:31], 14, v52
	s_nop 1
	v_cndmask_b32_e64 v38, v38, v14, s[30:31]
	v_cndmask_b32_e64 v38, v38, v15, s[34:35]
	ds_bpermute_b32 v38, v70, v38
	s_waitcnt lgkmcnt(0)
	v_cndmask_b32_e32 v1, v1, v38, vcc
	v_cmp_eq_u32_e32 vcc, 0, v52
	v_cndmask_b32_e64 v15, v15, v38, s[34:35]
	v_cndmask_b32_e64 v14, v14, v38, s[30:31]
	v_cndmask_b32_e32 v0, v0, v38, vcc
	v_cmp_eq_u32_e32 vcc, 1, v53
	v_cndmask_b32_e64 v13, v13, v38, s[28:29]
	v_cndmask_b32_e64 v12, v12, v38, s[26:27]
	v_cndmask_b32_e64 v11, v11, v38, s[24:25]
	v_cndmask_b32_e64 v10, v10, v38, s[22:23]
	v_cndmask_b32_e64 v9, v9, v38, s[20:21]
	v_cndmask_b32_e64 v8, v8, v38, s[18:19]
	v_cndmask_b32_e64 v7, v7, v38, s[16:17]
	v_cndmask_b32_e64 v6, v6, v38, s[14:15]
	v_cndmask_b32_e64 v5, v5, v38, s[12:13]
	v_cndmask_b32_e64 v4, v4, v38, s[10:11]
	v_cndmask_b32_e64 v3, v3, v38, s[8:9]
	v_cndmask_b32_e64 v2, v2, v38, s[6:7]
	v_cndmask_b32_e32 v38, v0, v1, vcc
	v_cmp_eq_u32_e64 s[6:7], 2, v53
	v_cmp_eq_u32_e64 s[8:9], 3, v53
	v_cmp_eq_u32_e64 s[10:11], 4, v53
	v_cndmask_b32_e64 v38, v38, v2, s[6:7]
	v_cndmask_b32_e64 v38, v38, v3, s[8:9]
	v_cndmask_b32_e64 v38, v38, v4, s[10:11]
	v_cmp_eq_u32_e64 s[12:13], 5, v53
	v_cmp_eq_u32_e64 s[14:15], 6, v53
	v_cmp_eq_u32_e64 s[16:17], 7, v53
	v_cndmask_b32_e64 v38, v38, v5, s[12:13]
	v_cndmask_b32_e64 v38, v38, v6, s[14:15]
	v_cndmask_b32_e64 v38, v38, v7, s[16:17]
	v_cmp_eq_u32_e64 s[18:19], 8, v53
	v_cmp_eq_u32_e64 s[20:21], 9, v53
	v_cmp_eq_u32_e64 s[22:23], 10, v53
	v_cndmask_b32_e64 v38, v38, v8, s[18:19]
	v_cndmask_b32_e64 v38, v38, v9, s[20:21]
	v_cndmask_b32_e64 v38, v38, v10, s[22:23]
	v_cmp_eq_u32_e64 s[24:25], 11, v53
	v_cmp_eq_u32_e64 s[26:27], 12, v53
	v_cmp_eq_u32_e64 s[28:29], 13, v53
	v_cndmask_b32_e64 v38, v38, v11, s[24:25]
	v_cndmask_b32_e64 v38, v38, v12, s[26:27]
	v_cndmask_b32_e64 v38, v38, v13, s[28:29]
	v_cmp_eq_u32_e64 s[30:31], 14, v53
	v_cmp_eq_u32_e64 s[34:35], 15, v53
	s_nop 0
	v_cndmask_b32_e64 v38, v38, v14, s[30:31]
	v_cndmask_b32_e64 v38, v38, v15, s[34:35]
	ds_bpermute_b32 v38, v70, v38
	s_waitcnt lgkmcnt(0)
	v_cndmask_b32_e32 v1, v1, v38, vcc
	v_cmp_eq_u32_e32 vcc, 0, v53
	v_cndmask_b32_e64 v15, v15, v38, s[34:35]
	v_cndmask_b32_e64 v14, v14, v38, s[30:31]
	v_cndmask_b32_e32 v0, v0, v38, vcc
	v_cmp_eq_u32_e32 vcc, 1, v54
	v_cndmask_b32_e64 v13, v13, v38, s[28:29]
	v_cndmask_b32_e64 v12, v12, v38, s[26:27]
	v_cndmask_b32_e64 v11, v11, v38, s[24:25]
	v_cndmask_b32_e64 v10, v10, v38, s[22:23]
	v_cndmask_b32_e64 v9, v9, v38, s[20:21]
	v_cndmask_b32_e64 v8, v8, v38, s[18:19]
	v_cndmask_b32_e64 v7, v7, v38, s[16:17]
	v_cndmask_b32_e64 v6, v6, v38, s[14:15]
	v_cndmask_b32_e64 v5, v5, v38, s[12:13]
	v_cndmask_b32_e64 v4, v4, v38, s[10:11]
	v_cndmask_b32_e64 v3, v3, v38, s[8:9]
	v_cndmask_b32_e64 v2, v2, v38, s[6:7]
	v_cndmask_b32_e32 v38, v0, v1, vcc
	v_cmp_eq_u32_e64 s[6:7], 2, v54
	v_cmp_eq_u32_e64 s[8:9], 3, v54
	v_cmp_eq_u32_e64 s[10:11], 4, v54
	v_cndmask_b32_e64 v38, v38, v2, s[6:7]
	v_cndmask_b32_e64 v38, v38, v3, s[8:9]
	v_cndmask_b32_e64 v38, v38, v4, s[10:11]
	v_cmp_eq_u32_e64 s[12:13], 5, v54
	v_cmp_eq_u32_e64 s[14:15], 6, v54
	v_cmp_eq_u32_e64 s[16:17], 7, v54
	v_cndmask_b32_e64 v38, v38, v5, s[12:13]
	v_cndmask_b32_e64 v38, v38, v6, s[14:15]
	v_cndmask_b32_e64 v38, v38, v7, s[16:17]
	v_cmp_eq_u32_e64 s[18:19], 8, v54
	v_cmp_eq_u32_e64 s[20:21], 9, v54
	v_cmp_eq_u32_e64 s[22:23], 10, v54
	v_cndmask_b32_e64 v38, v38, v8, s[18:19]
	v_cndmask_b32_e64 v38, v38, v9, s[20:21]
	v_cndmask_b32_e64 v38, v38, v10, s[22:23]
	v_cmp_eq_u32_e64 s[24:25], 11, v54
	v_cmp_eq_u32_e64 s[26:27], 12, v54
	v_cmp_eq_u32_e64 s[28:29], 13, v54
	v_cndmask_b32_e64 v38, v38, v11, s[24:25]
	v_cndmask_b32_e64 v38, v38, v12, s[26:27]
	v_cndmask_b32_e64 v38, v38, v13, s[28:29]
	v_cmp_eq_u32_e64 s[30:31], 14, v54
	;; [unrolled: 50-line block ×4, first 2 shown]
	v_cmp_eq_u32_e64 s[34:35], 15, v56
	s_nop 0
	v_cndmask_b32_e64 v38, v38, v14, s[30:31]
	v_cndmask_b32_e64 v38, v38, v15, s[34:35]
	ds_bpermute_b32 v38, v70, v38
	s_waitcnt lgkmcnt(0)
	v_cndmask_b32_e32 v1, v1, v38, vcc
	v_cmp_eq_u32_e32 vcc, 0, v56
	v_cndmask_b32_e64 v15, v15, v38, s[34:35]
	v_cndmask_b32_e64 v14, v14, v38, s[30:31]
	;; [unrolled: 1-line block ×14, first 2 shown]
	v_cndmask_b32_e32 v38, v0, v38, vcc
	v_cmp_eq_u32_e32 vcc, 1, v57
	v_cmp_eq_u32_e64 s[6:7], 2, v57
	v_cmp_eq_u32_e64 s[8:9], 3, v57
	v_cndmask_b32_e32 v0, v38, v1, vcc
	v_cndmask_b32_e64 v0, v0, v74, s[6:7]
	v_cndmask_b32_e64 v0, v0, v73, s[8:9]
	v_cmp_eq_u32_e64 s[10:11], 4, v57
	v_cmp_eq_u32_e64 s[12:13], 5, v57
	v_cmp_eq_u32_e64 s[14:15], 6, v57
	v_cndmask_b32_e64 v0, v0, v45, s[10:11]
	v_cndmask_b32_e64 v0, v0, v44, s[12:13]
	v_cndmask_b32_e64 v0, v0, v43, s[14:15]
	v_cmp_eq_u32_e64 s[16:17], 7, v57
	v_cmp_eq_u32_e64 s[18:19], 8, v57
	v_cmp_eq_u32_e64 s[20:21], 9, v57
	v_cndmask_b32_e64 v0, v0, v42, s[16:17]
	;; [unrolled: 6-line block ×4, first 2 shown]
	v_cndmask_b32_e64 v0, v0, v14, s[30:31]
	v_cndmask_b32_e64 v0, v0, v15, s[34:35]
	ds_bpermute_b32 v75, v70, v0
	s_waitcnt lgkmcnt(0)
	v_cndmask_b32_e32 v0, v1, v75, vcc
	v_cmp_eq_u32_e32 vcc, 0, v57
	v_cndmask_b32_e64 v4, v15, v75, s[34:35]
	v_cndmask_b32_e64 v15, v74, v75, s[6:7]
	v_cndmask_b32_e32 v1, v38, v75, vcc
	v_cmp_eq_u32_e32 vcc, 1, v58
	v_cndmask_b32_e64 v5, v14, v75, s[30:31]
	v_cndmask_b32_e64 v14, v73, v75, s[8:9]
	;; [unrolled: 4-line block ×7, first 2 shown]
	v_cndmask_b32_e32 v38, v38, v13, vcc
	v_cmp_eq_u32_e32 vcc, 7, v58
	s_nop 1
	v_cndmask_b32_e32 v38, v38, v12, vcc
	v_cmp_eq_u32_e32 vcc, 8, v58
	s_nop 1
	;; [unrolled: 3-line block ×9, first 2 shown]
	v_cndmask_b32_e32 v38, v38, v4, vcc
	ds_bpermute_b32 v38, v70, v38
	v_cmp_lt_i32_e32 vcc, s75, v59
	s_and_saveexec_b64 s[60:61], vcc
	s_cbranch_execz .LBB331_29
; %bb.21:                               ;   in Loop: Header=BB331_7 Depth=1
	s_mul_i32 s6, s73, s37
	s_ashr_i32 s7, s6, 31
	s_lshl_b64 s[6:7], s[6:7], 1
	v_cmp_eq_u32_e64 s[30:31], 1, v58
	s_add_u32 s8, s48, s6
	s_addc_u32 s9, s49, s7
	s_waitcnt lgkmcnt(0)
	v_cndmask_b32_e64 v0, v0, v38, s[30:31]
	v_cmp_eq_u32_e64 s[30:31], 0, v58
	s_ashr_i32 s55, s54, 31
	s_lshl_b64 s[6:7], s[54:55], 1
	v_cndmask_b32_e64 v1, v1, v38, s[30:31]
	v_cvt_f16_f32_e32 v39, v1
	v_cvt_f16_f32_sdwa v41, v0 dst_sel:WORD_1 dst_unused:UNUSED_PAD src0_sel:DWORD
	s_add_u32 s34, s8, s6
	s_addc_u32 s35, s9, s7
	v_cmp_eq_u32_e64 s[8:9], 15, v58
	v_cmp_eq_u32_e64 s[10:11], 14, v58
	;; [unrolled: 1-line block ×10, first 2 shown]
	v_cmp_eq_u32_e32 vcc, 5, v58
	v_cmp_eq_u32_e64 s[6:7], 4, v58
	v_cmp_eq_u32_e64 s[28:29], 3, v58
	;; [unrolled: 1-line block ×3, first 2 shown]
	v_lshl_add_u64 v[0:1], s[34:35], 0, v[16:17]
	v_cmp_lt_i32_e64 s[34:35], s75, v60
	v_lshl_add_u64 v[42:43], v[18:19], 1, v[0:1]
	v_or_b32_e32 v39, v41, v39
	;;#ASMSTART
	global_atomic_pk_add_f16 v[42:43], v39, off
	
	;;#ASMEND
	s_and_b64 exec, exec, s[34:35]
	s_cbranch_execz .LBB331_29
; %bb.22:                               ;   in Loop: Header=BB331_7 Depth=1
	v_cndmask_b32_e64 v14, v14, v38, s[28:29]
	v_cndmask_b32_e64 v15, v15, v38, s[30:31]
	v_cvt_f16_f32_e32 v39, v15
	v_cvt_f16_f32_sdwa v41, v14 dst_sel:WORD_1 dst_unused:UNUSED_PAD src0_sel:DWORD
	v_cndmask_b32_e64 v4, v4, v38, s[8:9]
	v_cndmask_b32_e64 v5, v5, v38, s[10:11]
	;; [unrolled: 1-line block ×10, first 2 shown]
	v_cndmask_b32_e32 v2, v2, v38, vcc
	v_cndmask_b32_e64 v3, v3, v38, s[6:7]
	v_cmp_lt_i32_e32 vcc, s75, v61
	v_lshl_add_u64 v[14:15], v[20:21], 1, v[0:1]
	v_or_b32_e32 v38, v41, v39
	;;#ASMSTART
	global_atomic_pk_add_f16 v[14:15], v38, off
	
	;;#ASMEND
	s_and_b64 exec, exec, vcc
	s_cbranch_execz .LBB331_29
; %bb.23:                               ;   in Loop: Header=BB331_7 Depth=1
	v_cvt_f16_f32_e32 v14, v3
	v_cvt_f16_f32_sdwa v15, v2 dst_sel:WORD_1 dst_unused:UNUSED_PAD src0_sel:DWORD
	v_cmp_lt_i32_e32 vcc, s75, v62
	v_lshl_add_u64 v[2:3], v[22:23], 1, v[0:1]
	v_or_b32_e32 v14, v15, v14
	;;#ASMSTART
	global_atomic_pk_add_f16 v[2:3], v14, off
	
	;;#ASMEND
	s_and_b64 exec, exec, vcc
	s_cbranch_execz .LBB331_29
; %bb.24:                               ;   in Loop: Header=BB331_7 Depth=1
	v_cvt_f16_f32_e32 v13, v13
	v_cvt_f16_f32_sdwa v12, v12 dst_sel:WORD_1 dst_unused:UNUSED_PAD src0_sel:DWORD
	;; [unrolled: 12-line block ×6, first 2 shown]
	v_lshl_add_u64 v[0:1], v[32:33], 1, v[0:1]
	v_or_b32_e32 v2, v3, v2
	;;#ASMSTART
	global_atomic_pk_add_f16 v[0:1], v2, off
	
	;;#ASMEND
.LBB331_29:                             ;   in Loop: Header=BB331_7 Depth=1
	s_or_b64 exec, exec, s[60:61]
	v_subrev_u32_e32 v72, s76, v72
.LBB331_30:                             ;   in Loop: Header=BB331_7 Depth=1
	s_or_b64 exec, exec, s[58:59]
.LBB331_31:                             ;   in Loop: Header=BB331_7 Depth=1
	s_andn2_saveexec_b64 s[6:7], s[56:57]
	s_cbranch_execz .LBB331_40
; %bb.32:                               ;   in Loop: Header=BB331_7 Depth=1
	v_cmp_gt_i32_e32 vcc, s76, v72
	s_and_saveexec_b64 s[8:9], vcc
	s_cbranch_execz .LBB331_39
; %bb.33:                               ;   in Loop: Header=BB331_7 Depth=1
	s_mul_i32 s10, s54, s39
	s_ashr_i32 s11, s10, 31
	s_waitcnt lgkmcnt(0)
	s_add_u32 s10, s46, s10
	s_addc_u32 s11, s47, s11
	s_ashr_i32 s12, s74, 31
	s_add_u32 s10, s10, s74
	s_addc_u32 s11, s11, s12
	v_lshl_add_u64 v[0:1], s[10:11], 0, v[36:37]
	v_lshl_add_u64 v[8:9], v[0:1], 0, v[34:35]
	s_mov_b64 s[10:11], 0
	s_branch .LBB331_35
.LBB331_34:                             ;   in Loop: Header=BB331_35 Depth=2
	s_or_b64 exec, exec, s[12:13]
	v_lshl_add_u32 v12, v10, 11, v67
	;;#ASMSTART
	s_waitcnt vmcnt(1)
	;;#ASMEND
	ds_write2_b32 v12, v4, v5 offset1:32
	ds_write2_b32 v12, v6, v7 offset0:64 offset1:96
	v_add_u32_e32 v4, 0x400, v12
	v_add_u32_e32 v72, s42, v72
	;;#ASMSTART
	s_waitcnt vmcnt(0)
	;;#ASMEND
	ds_write2_b32 v4, v0, v1 offset1:32
	ds_write2_b32 v4, v2, v3 offset0:64 offset1:96
	v_add_u32_e32 v0, 1, v47
	v_add_u32_e32 v40, s42, v10
	v_cmp_le_i32_e32 vcc, s76, v72
	ds_write_b32 v11, v0 offset:96
	v_add_u32_e32 v0, 2, v47
	s_or_b64 s[10:11], vcc, s[10:11]
	v_cmp_lt_i32_e32 vcc, 5, v40
	s_nop 1
	v_cndmask_b32_e32 v47, v47, v0, vcc
	s_andn2_b64 exec, exec, s[10:11]
	s_cbranch_execz .LBB331_38
.LBB331_35:                             ;   Parent Loop BB331_7 Depth=1
                                        ; =>  This Loop Header: Depth=2
                                        ;       Child Loop BB331_37 Depth 3
	v_cmp_gt_i32_e32 vcc, 6, v40
	s_nop 1
	v_cndmask_b32_e64 v0, -6, 0, vcc
	v_add_u32_e32 v10, v0, v40
	v_lshlrev_b32_e32 v0, 6, v72
	v_ashrrev_i32_e32 v1, 31, v0
	v_lshl_add_u64 v[0:1], v[8:9], 0, v[0:1]
	v_lshlrev_b32_e32 v11, 2, v10
	;;#ASMSTART
	global_load_dwordx4 v[4:7], v[0:1], off offset:0   sc0 sc1 nt  
	global_load_dwordx4 v[0:3], v[0:1], off offset:32  sc0 sc1 nt  
	
	;;#ASMEND
	ds_read_b32 v12, v11 offset:61536
	v_add_u32_e32 v11, 0xf000, v11
	s_waitcnt lgkmcnt(0)
	v_cmp_ne_u32_e32 vcc, v12, v47
	s_and_saveexec_b64 s[12:13], vcc
	s_cbranch_execz .LBB331_34
; %bb.36:                               ;   in Loop: Header=BB331_35 Depth=2
	s_mov_b64 s[14:15], 0
.LBB331_37:                             ;   Parent Loop BB331_7 Depth=1
                                        ;     Parent Loop BB331_35 Depth=2
                                        ; =>    This Inner Loop Header: Depth=3
	;;#ASMSTART
	s_sleep 0
	;;#ASMEND
	ds_read_b32 v12, v11 offset:96
	s_waitcnt lgkmcnt(0)
	v_cmp_eq_u32_e32 vcc, v12, v47
	s_or_b64 s[14:15], vcc, s[14:15]
	s_andn2_b64 exec, exec, s[14:15]
	s_cbranch_execnz .LBB331_37
	s_branch .LBB331_34
.LBB331_38:                             ;   in Loop: Header=BB331_7 Depth=1
	s_or_b64 exec, exec, s[10:11]
.LBB331_39:                             ;   in Loop: Header=BB331_7 Depth=1
	s_or_b64 exec, exec, s[8:9]
	v_subrev_u32_e32 v72, s76, v72
.LBB331_40:                             ;   in Loop: Header=BB331_7 Depth=1
	s_or_b64 exec, exec, s[6:7]
.LBB331_41:                             ;   in Loop: Header=BB331_7 Depth=1
	s_andn2_saveexec_b64 s[6:7], s[52:53]
	s_cbranch_execz .LBB331_6
; %bb.42:                               ;   in Loop: Header=BB331_7 Depth=1
	s_lshl_b32 s16, s76, 2
	v_cmp_gt_i32_e32 vcc, s16, v72
	s_and_saveexec_b64 s[8:9], vcc
	s_cbranch_execz .LBB331_5
; %bb.43:                               ;   in Loop: Header=BB331_7 Depth=1
	s_mul_i32 s73, s73, s38
	s_max_i32 s12, s75, 0
	s_ashr_i32 s10, s73, 31
	s_waitcnt lgkmcnt(0)
	s_add_u32 s11, s44, s73
	v_add_u32_e32 v2, s12, v48
	s_addc_u32 s13, s45, s10
	s_ashr_i32 s14, s74, 31
	v_cmp_gt_u32_e32 vcc, s72, v2
	s_add_u32 s10, s11, s74
	s_addc_u32 s11, s13, s14
	v_cndmask_b32_e32 v0, 0, v68, vcc
	v_ashrrev_i32_e32 v1, 31, v0
	v_lshl_add_u64 v[0:1], s[10:11], 0, v[0:1]
	v_lshl_add_u64 v[8:9], v[0:1], 0, v[34:35]
	v_sub_u32_e32 v10, 0x7f, v2
	s_mov_b64 s[10:11], 0
	s_branch .LBB331_45
.LBB331_44:                             ;   in Loop: Header=BB331_45 Depth=2
	s_or_b64 exec, exec, s[12:13]
	v_lshl_or_b32 v13, v11, 11, v69
	;;#ASMSTART
	s_waitcnt vmcnt(1)
	;;#ASMEND
	ds_write2_b32 v13, v4, v5 offset1:32
	ds_write2_b32 v13, v6, v7 offset0:64 offset1:96
	v_add_u32_e32 v4, 0x400, v13
	v_add_u32_e32 v72, s41, v72
	;;#ASMSTART
	s_waitcnt vmcnt(0)
	;;#ASMEND
	ds_write2_b32 v4, v0, v1 offset1:32
	ds_write2_b32 v4, v2, v3 offset0:64 offset1:96
	v_add_u32_e32 v0, 1, v47
	v_add_u32_e32 v40, s41, v11
	v_cmp_le_i32_e32 vcc, s16, v72
	ds_write_b32 v12, v0
	v_add_u32_e32 v0, 2, v47
	s_or_b64 s[10:11], vcc, s[10:11]
	v_cmp_lt_i32_e32 vcc, 23, v40
	s_nop 1
	v_cndmask_b32_e32 v47, v47, v0, vcc
	s_andn2_b64 exec, exec, s[10:11]
	s_cbranch_execz .LBB331_4
.LBB331_45:                             ;   Parent Loop BB331_7 Depth=1
                                        ; =>  This Loop Header: Depth=2
                                        ;       Child Loop BB331_47 Depth 3
	v_cmp_gt_i32_e32 vcc, 24, v40
	s_nop 1
	v_cndmask_b32_e64 v0, v71, 0, vcc
	v_add_u32_e32 v11, v0, v40
	v_ashrrev_i32_e32 v0, 31, v72
	v_lshrrev_b32_e32 v0, 30, v0
	v_add_u32_e32 v0, v72, v0
	v_and_b32_e32 v1, 0x7fffffc, v0
	v_sub_u32_e32 v1, v72, v1
	v_lshlrev_b32_e32 v1, 5, v1
	v_cmp_le_i32_e32 vcc, v1, v10
	v_lshlrev_b32_e32 v0, 4, v0
	v_and_b32_e32 v0, 0xffffffc0, v0
	v_cndmask_b32_e32 v2, 0, v1, vcc
	v_ashrrev_i32_e32 v1, 31, v0
	v_mul_lo_u32 v2, v2, s38
	v_lshl_add_u64 v[0:1], v[8:9], 0, v[0:1]
	v_ashrrev_i32_e32 v3, 31, v2
	v_lshl_add_u64 v[0:1], v[0:1], 0, v[2:3]
	v_lshlrev_b32_e32 v12, 2, v11
	;;#ASMSTART
	global_load_dwordx4 v[4:7], v[0:1], off offset:0   
	global_load_dwordx4 v[0:3], v[0:1], off offset:32  
	
	;;#ASMEND
	ds_read_b32 v13, v12 offset:61440
	v_add_u32_e32 v12, 0xf000, v12
	s_waitcnt lgkmcnt(0)
	v_cmp_ne_u32_e32 vcc, v13, v47
	s_and_saveexec_b64 s[12:13], vcc
	s_cbranch_execz .LBB331_44
; %bb.46:                               ;   in Loop: Header=BB331_45 Depth=2
	s_mov_b64 s[14:15], 0
.LBB331_47:                             ;   Parent Loop BB331_7 Depth=1
                                        ;     Parent Loop BB331_45 Depth=2
                                        ; =>    This Inner Loop Header: Depth=3
	;;#ASMSTART
	s_sleep 0
	;;#ASMEND
	ds_read_b32 v13, v12
	s_waitcnt lgkmcnt(0)
	v_cmp_eq_u32_e32 vcc, v13, v47
	s_or_b64 s[14:15], vcc, s[14:15]
	s_andn2_b64 exec, exec, s[14:15]
	s_cbranch_execnz .LBB331_47
	s_branch .LBB331_44
.LBB331_48:
	s_endpgm
	.section	.rodata,"a",@progbits
	.p2align	6, 0x0
	.amdhsa_kernel _Z19_skinny_gemm_kernelILi4ELi1ELi6ELi32ELi4EEvPKhS1_P6__halfPKfiiiiiiii
		.amdhsa_group_segment_fixed_size 61560
		.amdhsa_private_segment_fixed_size 0
		.amdhsa_kernarg_size 64
		.amdhsa_user_sgpr_count 2
		.amdhsa_user_sgpr_dispatch_ptr 0
		.amdhsa_user_sgpr_queue_ptr 0
		.amdhsa_user_sgpr_kernarg_segment_ptr 1
		.amdhsa_user_sgpr_dispatch_id 0
		.amdhsa_user_sgpr_kernarg_preload_length 0
		.amdhsa_user_sgpr_kernarg_preload_offset 0
		.amdhsa_user_sgpr_private_segment_size 0
		.amdhsa_uses_dynamic_stack 0
		.amdhsa_enable_private_segment 0
		.amdhsa_system_sgpr_workgroup_id_x 1
		.amdhsa_system_sgpr_workgroup_id_y 0
		.amdhsa_system_sgpr_workgroup_id_z 0
		.amdhsa_system_sgpr_workgroup_info 0
		.amdhsa_system_vgpr_workitem_id 0
		.amdhsa_next_free_vgpr 80
		.amdhsa_next_free_sgpr 77
		.amdhsa_accum_offset 80
		.amdhsa_reserve_vcc 1
		.amdhsa_float_round_mode_32 0
		.amdhsa_float_round_mode_16_64 0
		.amdhsa_float_denorm_mode_32 3
		.amdhsa_float_denorm_mode_16_64 3
		.amdhsa_dx10_clamp 1
		.amdhsa_ieee_mode 1
		.amdhsa_fp16_overflow 0
		.amdhsa_tg_split 0
		.amdhsa_exception_fp_ieee_invalid_op 0
		.amdhsa_exception_fp_denorm_src 0
		.amdhsa_exception_fp_ieee_div_zero 0
		.amdhsa_exception_fp_ieee_overflow 0
		.amdhsa_exception_fp_ieee_underflow 0
		.amdhsa_exception_fp_ieee_inexact 0
		.amdhsa_exception_int_div_zero 0
	.end_amdhsa_kernel
	.section	.text._Z19_skinny_gemm_kernelILi4ELi1ELi6ELi32ELi4EEvPKhS1_P6__halfPKfiiiiiiii,"axG",@progbits,_Z19_skinny_gemm_kernelILi4ELi1ELi6ELi32ELi4EEvPKhS1_P6__halfPKfiiiiiiii,comdat
.Lfunc_end331:
	.size	_Z19_skinny_gemm_kernelILi4ELi1ELi6ELi32ELi4EEvPKhS1_P6__halfPKfiiiiiiii, .Lfunc_end331-_Z19_skinny_gemm_kernelILi4ELi1ELi6ELi32ELi4EEvPKhS1_P6__halfPKfiiiiiiii
                                        ; -- End function
	.set _Z19_skinny_gemm_kernelILi4ELi1ELi6ELi32ELi4EEvPKhS1_P6__halfPKfiiiiiiii.num_vgpr, 80
	.set _Z19_skinny_gemm_kernelILi4ELi1ELi6ELi32ELi4EEvPKhS1_P6__halfPKfiiiiiiii.num_agpr, 0
	.set _Z19_skinny_gemm_kernelILi4ELi1ELi6ELi32ELi4EEvPKhS1_P6__halfPKfiiiiiiii.numbered_sgpr, 77
	.set _Z19_skinny_gemm_kernelILi4ELi1ELi6ELi32ELi4EEvPKhS1_P6__halfPKfiiiiiiii.num_named_barrier, 0
	.set _Z19_skinny_gemm_kernelILi4ELi1ELi6ELi32ELi4EEvPKhS1_P6__halfPKfiiiiiiii.private_seg_size, 0
	.set _Z19_skinny_gemm_kernelILi4ELi1ELi6ELi32ELi4EEvPKhS1_P6__halfPKfiiiiiiii.uses_vcc, 1
	.set _Z19_skinny_gemm_kernelILi4ELi1ELi6ELi32ELi4EEvPKhS1_P6__halfPKfiiiiiiii.uses_flat_scratch, 0
	.set _Z19_skinny_gemm_kernelILi4ELi1ELi6ELi32ELi4EEvPKhS1_P6__halfPKfiiiiiiii.has_dyn_sized_stack, 0
	.set _Z19_skinny_gemm_kernelILi4ELi1ELi6ELi32ELi4EEvPKhS1_P6__halfPKfiiiiiiii.has_recursion, 0
	.set _Z19_skinny_gemm_kernelILi4ELi1ELi6ELi32ELi4EEvPKhS1_P6__halfPKfiiiiiiii.has_indirect_call, 0
	.section	.AMDGPU.csdata,"",@progbits
; Kernel info:
; codeLenInByte = 6060
; TotalNumSgprs: 83
; NumVgprs: 80
; NumAgprs: 0
; TotalNumVgprs: 80
; ScratchSize: 0
; MemoryBound: 0
; FloatMode: 240
; IeeeMode: 1
; LDSByteSize: 61560 bytes/workgroup (compile time only)
; SGPRBlocks: 10
; VGPRBlocks: 9
; NumSGPRsForWavesPerEU: 83
; NumVGPRsForWavesPerEU: 80
; AccumOffset: 80
; Occupancy: 6
; WaveLimiterHint : 0
; COMPUTE_PGM_RSRC2:SCRATCH_EN: 0
; COMPUTE_PGM_RSRC2:USER_SGPR: 2
; COMPUTE_PGM_RSRC2:TRAP_HANDLER: 0
; COMPUTE_PGM_RSRC2:TGID_X_EN: 1
; COMPUTE_PGM_RSRC2:TGID_Y_EN: 0
; COMPUTE_PGM_RSRC2:TGID_Z_EN: 0
; COMPUTE_PGM_RSRC2:TIDIG_COMP_CNT: 0
; COMPUTE_PGM_RSRC3_GFX90A:ACCUM_OFFSET: 19
; COMPUTE_PGM_RSRC3_GFX90A:TG_SPLIT: 0
	.section	.text._Z19_skinny_gemm_kernelILi4ELi2ELi1ELi16ELi4EEvPKhS1_P6__halfPKfiiiiiiii,"axG",@progbits,_Z19_skinny_gemm_kernelILi4ELi2ELi1ELi16ELi4EEvPKhS1_P6__halfPKfiiiiiiii,comdat
	.protected	_Z19_skinny_gemm_kernelILi4ELi2ELi1ELi16ELi4EEvPKhS1_P6__halfPKfiiiiiiii ; -- Begin function _Z19_skinny_gemm_kernelILi4ELi2ELi1ELi16ELi4EEvPKhS1_P6__halfPKfiiiiiiii
	.globl	_Z19_skinny_gemm_kernelILi4ELi2ELi1ELi16ELi4EEvPKhS1_P6__halfPKfiiiiiiii
	.p2align	8
	.type	_Z19_skinny_gemm_kernelILi4ELi2ELi1ELi16ELi4EEvPKhS1_P6__halfPKfiiiiiiii,@function
_Z19_skinny_gemm_kernelILi4ELi2ELi1ELi16ELi4EEvPKhS1_P6__halfPKfiiiiiiii: ; @_Z19_skinny_gemm_kernelILi4ELi2ELi1ELi16ELi4EEvPKhS1_P6__halfPKfiiiiiiii
; %bb.0:
	v_cmp_gt_u32_e32 vcc, 6, v0
	v_lshlrev_b32_e32 v1, 2, v0
	s_and_saveexec_b64 s[4:5], vcc
; %bb.1:
	v_mov_b32_e32 v2, 0
	ds_write_b32 v1, v2 offset:12288
; %bb.2:
	s_or_b64 exec, exec, s[4:5]
	s_load_dwordx8 s[16:23], s[0:1], 0x20
	s_waitcnt lgkmcnt(0)
	s_barrier
	s_add_i32 s3, s16, 63
	s_ashr_i32 s5, s3, 31
	s_add_i32 s4, s17, 31
	s_lshr_b32 s5, s5, 26
	s_ashr_i32 s6, s4, 31
	s_add_i32 s3, s3, s5
	s_ashr_i32 s33, s3, 6
	s_lshr_b32 s3, s6, 27
	s_add_i32 s4, s4, s3
	s_ashr_i32 s48, s4, 5
	s_mul_i32 s3, s48, s33
	s_mul_i32 s3, s3, s20
	s_add_i32 s4, s3, 0x12f
	s_mul_hi_i32 s4, s4, 0x6bca1af3
	s_lshr_b32 s5, s4, 31
	s_ashr_i32 s4, s4, 7
	s_add_i32 s4, s4, s5
	s_add_i32 s5, s2, 1
	s_mul_i32 s5, s4, s5
	v_cvt_f64_i32_e32 v[2:3], s3
	v_cvt_f64_u32_e32 v[4:5], s5
	v_min_f64 v[2:3], v[2:3], v[4:5]
	v_cvt_i32_f64_e32 v33, v[2:3]
	s_mul_i32 s49, s4, s2
	v_cmp_ge_i32_e32 vcc, s49, v33
	s_cbranch_vccnz .LBB332_60
; %bb.3:
	v_lshrrev_b32_e32 v2, 6, v0
	s_add_i32 s4, s22, s21
	s_load_dwordx8 s[24:31], s[0:1], 0x0
	v_cmp_le_i32_e64 s[0:1], s4, v2
	v_mov_b32_e32 v3, s21
	v_cmp_le_i32_e64 s[2:3], s21, v2
	v_mov_b32_e32 v4, s22
	v_cndmask_b32_e64 v4, 0, v4, s[0:1]
	v_cndmask_b32_e64 v3, 0, v3, s[2:3]
	s_abs_i32 s5, s20
	v_add_u32_e32 v3, v3, v4
	v_cvt_f32_u32_e32 v4, s5
	v_sub_u32_e32 v50, v2, v3
	s_ashr_i32 s6, s18, 31
	s_lshr_b32 s6, s6, 25
	v_rcp_iflag_f32_e32 v3, v4
	s_sub_i32 s9, 0, s5
	s_add_i32 s6, s18, s6
	s_ashr_i32 s6, s6, 7
	v_mul_f32_e32 v3, 0x4f7ffffe, v3
	v_cvt_u32_f32_e32 v3, v3
	s_abs_i32 s8, s6
	s_xor_b32 s7, s6, s20
	s_ashr_i32 s7, s7, 31
	v_readfirstlane_b32 s10, v3
	s_mul_i32 s9, s9, s10
	s_mul_hi_u32 s9, s10, s9
	s_add_i32 s10, s10, s9
	s_mul_hi_u32 s9, s8, s10
	s_mul_i32 s10, s9, s5
	s_sub_i32 s8, s8, s10
	s_add_i32 s10, s9, 1
	s_sub_i32 s11, s8, s5
	s_cmp_ge_u32 s8, s5
	s_cselect_b32 s9, s10, s9
	s_cselect_b32 s8, s11, s8
	s_add_i32 s10, s9, 1
	s_cmp_ge_u32 s8, s5
	s_cselect_b32 s5, s10, s9
	s_xor_b32 s5, s5, s7
	s_sub_i32 s50, s5, s7
	s_add_i32 s20, s20, -1
	s_mul_i32 s5, s50, s20
	s_add_i32 s4, s4, s23
	s_sub_i32 s51, s6, s5
	v_cmp_gt_i32_e64 s[4:5], s4, v2
	v_lshlrev_b32_e32 v2, 1, v0
	v_lshlrev_b32_e32 v3, 4, v0
	v_and_b32_e32 v1, 60, v1
	v_and_b32_e32 v2, 64, v2
	;; [unrolled: 1-line block ×3, first 2 shown]
	v_or3_b32 v85, v1, v2, v4
	v_and_b32_e32 v1, 1, v0
	v_lshrrev_b32_e32 v4, 2, v0
	s_abs_i32 s52, s33
	v_and_or_b32 v90, v4, 12, v1
	v_cvt_f32_u32_e32 v4, s52
	v_lshlrev_b32_e32 v2, 1, v1
	v_and_b32_e32 v32, 14, v0
	v_sub_u32_e32 v2, v0, v2
	v_bitop3_b32 v87, v0, 1, v0 bitop3:0xc
	v_bitop3_b32 v88, v0, 3, 1 bitop3:0x6c
	v_and_b32_e32 v42, 48, v3
	v_bfe_u32 v94, v0, 2, 4
	v_and_b32_e32 v1, 60, v0
	v_lshlrev_b32_e32 v3, 8, v0
	v_lshlrev_b32_e32 v0, 6, v0
	v_and_b32_e32 v3, 0x200, v3
	v_and_b32_e32 v0, 64, v0
	v_or3_b32 v95, v1, v3, v0
	v_rcp_iflag_f32_e32 v0, v4
	s_abs_i32 s54, s48
	v_cvt_f32_u32_e32 v1, s54
	v_mad_u64_u32 v[34:35], s[6:7], s17, v90, v[32:33]
	v_mul_f32_e32 v0, 0x4f7ffffe, v0
	v_cvt_u32_f32_e32 v0, v0
	v_rcp_iflag_f32_e32 v1, v1
	s_lshl_b32 s6, s17, 4
	v_add_u32_e32 v36, s6, v34
	v_readfirstlane_b32 s7, v0
	v_mul_f32_e32 v0, 0x4f7ffffe, v1
	v_add_u32_e32 v38, s6, v36
	v_cvt_u32_f32_e32 v0, v0
	v_add_u32_e32 v40, s6, v38
	s_sub_i32 s6, 0, s52
	s_mul_i32 s6, s6, s7
	s_mul_hi_u32 s6, s7, s6
	v_add_u32_e32 v2, 1, v2
	s_add_i32 s56, s7, s6
	s_sub_i32 s6, 0, s54
	v_readfirstlane_b32 s7, v0
	v_mbcnt_lo_u32_b32 v0, -1, 0
	v_and_b32_e32 v2, 63, v2
	s_mul_i32 s6, s6, s7
	v_mbcnt_hi_u32_b32 v0, -1, v0
	v_mul_lo_u32 v44, s19, v94
	s_mul_hi_u32 s6, s7, s6
	v_and_or_b32 v0, v0, 64, v2
	v_cndmask_b32_e64 v84, 0, 1, s[0:1]
	v_or_b32_e32 v86, 0x2000, v85
	s_ashr_i32 s35, s17, 31
	s_mov_b32 s34, s17
	v_or_b32_e32 v89, 16, v32
	v_ashrrev_i32_e32 v35, 31, v34
	v_or_b32_e32 v91, 16, v90
	v_ashrrev_i32_e32 v37, 31, v36
	;; [unrolled: 2-line block ×4, first 2 shown]
	v_ashrrev_i32_e32 v45, 31, v44
	v_mov_b32_e32 v43, 0
	v_or_b32_e32 v96, 0x2000, v95
	s_lshl_b32 s53, s19, 4
	v_mul_lo_u32 v97, s18, v94
	s_ashr_i32 s55, s33, 31
	s_ashr_i32 s57, s48, 31
	s_add_i32 s58, s7, s6
	v_lshlrev_b32_e32 v98, 2, v0
	v_mov_b32_e32 v99, v50
	s_branch .LBB332_7
.LBB332_4:                              ;   in Loop: Header=BB332_7 Depth=1
	s_or_b64 exec, exec, s[10:11]
.LBB332_5:                              ;   in Loop: Header=BB332_7 Depth=1
	s_or_b64 exec, exec, s[8:9]
	v_subrev_u32_e32 v99, s36, v99
.LBB332_6:                              ;   in Loop: Header=BB332_7 Depth=1
	s_or_b64 exec, exec, s[6:7]
	s_add_i32 s49, s49, 1
	v_cmp_ge_i32_e32 vcc, s49, v33
	s_cbranch_vccnz .LBB332_60
.LBB332_7:                              ; =>This Loop Header: Depth=1
                                        ;     Child Loop BB332_13 Depth 2
                                        ;       Child Loop BB332_15 Depth 3
                                        ;       Child Loop BB332_18 Depth 3
	;; [unrolled: 1-line block ×6, first 2 shown]
                                        ;     Child Loop BB332_47 Depth 2
                                        ;       Child Loop BB332_49 Depth 3
                                        ;     Child Loop BB332_57 Depth 2
                                        ;       Child Loop BB332_59 Depth 3
	s_abs_i32 s7, s49
	s_mul_hi_u32 s8, s7, s56
	s_mul_i32 s9, s8, s52
	s_ashr_i32 s6, s49, 31
	s_sub_i32 s7, s7, s9
	s_xor_b32 s6, s6, s55
	s_add_i32 s9, s8, 1
	s_sub_i32 s10, s7, s52
	s_cmp_ge_u32 s7, s52
	s_cselect_b32 s8, s9, s8
	s_cselect_b32 s7, s10, s7
	s_add_i32 s9, s8, 1
	s_cmp_ge_u32 s7, s52
	s_cselect_b32 s7, s9, s8
	s_xor_b32 s7, s7, s6
	s_sub_i32 s6, s7, s6
	s_abs_i32 s8, s6
	s_mul_i32 s7, s6, s33
	s_mul_hi_u32 s9, s8, s58
	s_sub_i32 s7, s49, s7
	s_mul_i32 s10, s9, s54
	s_lshl_b32 s59, s7, 6
	s_ashr_i32 s7, s6, 31
	s_sub_i32 s8, s8, s10
	s_xor_b32 s7, s7, s57
	s_add_i32 s10, s9, 1
	s_sub_i32 s11, s8, s54
	s_cmp_ge_u32 s8, s54
	s_cselect_b32 s9, s10, s9
	s_cselect_b32 s8, s11, s8
	s_add_i32 s10, s9, 1
	s_cmp_ge_u32 s8, s54
	s_cselect_b32 s8, s10, s9
	s_xor_b32 s8, s8, s7
	s_sub_i32 s7, s8, s7
	s_mul_i32 s8, s7, s50
	s_lshl_b32 s60, s8, 7
	s_cmp_eq_u32 s7, s20
	s_cselect_b32 s62, s51, s50
	s_sub_i32 s8, s59, s16
	s_add_i32 s8, s8, 64
	s_max_i32 s61, s8, 0
	s_and_saveexec_b64 s[8:9], s[2:3]
	s_xor_b64 s[36:37], exec, s[8:9]
	s_cbranch_execz .LBB332_53
; %bb.8:                                ;   in Loop: Header=BB332_7 Depth=1
	s_mul_i32 s7, s7, s48
	s_sub_i32 s6, s6, s7
	s_lshl_b32 s6, s6, 5
	s_sub_i32 s14, s6, s17
	s_add_i32 s14, s14, 32
	s_max_i32 s7, s14, 0
	s_sub_i32 s38, s6, s7
	s_and_saveexec_b64 s[6:7], s[0:1]
	s_xor_b64 s[40:41], exec, s[6:7]
	s_cbranch_execz .LBB332_43
; %bb.9:                                ;   in Loop: Header=BB332_7 Depth=1
	s_and_saveexec_b64 s[42:43], s[4:5]
	s_cbranch_execz .LBB332_42
; %bb.10:                               ;   in Loop: Header=BB332_7 Depth=1
	s_waitcnt lgkmcnt(0)
	global_load_dword v100, v43, s[30:31]
	v_mov_b32_e32 v31, 0
	v_cmp_gt_i32_e32 vcc, s62, v99
	v_mov_b32_e32 v30, v31
	v_mov_b32_e32 v29, v31
	;; [unrolled: 1-line block ×31, first 2 shown]
	s_and_saveexec_b64 s[6:7], vcc
	s_cbranch_execz .LBB332_32
; %bb.11:                               ;   in Loop: Header=BB332_7 Depth=1
	v_mov_b32_e32 v4, 0
	s_mov_b64 s[8:9], 0
	v_mov_b32_e32 v5, v4
	v_mov_b32_e32 v6, v4
	;; [unrolled: 1-line block ×31, first 2 shown]
	s_branch .LBB332_13
.LBB332_12:                             ;   in Loop: Header=BB332_13 Depth=2
	s_or_b64 exec, exec, s[10:11]
	v_add_u32_e32 v52, 0x800, v104
	ds_read2_b32 v[50:51], v52 offset1:32
	v_add_u32_e32 v56, 0xc00, v104
	v_add_u32_e32 v99, s23, v99
	s_waitcnt lgkmcnt(0)
	v_mfma_f32_16x16x32_fp8_fp8 v[24:27], v[46:47], v[50:51], v[24:27]
	ds_read2_b32 v[46:47], v52 offset0:128 offset1:160
	ds_read2_b32 v[52:53], v56 offset1:32
	v_mfma_f32_16x16x32_fp8_fp8 v[16:19], v[62:63], v[50:51], v[16:19]
	v_mfma_f32_16x16x32_fp8_fp8 v[8:11], v[70:71], v[50:51], v[8:11]
	;; [unrolled: 1-line block ×3, first 2 shown]
	v_add_u32_e32 v50, s23, v101
	v_cmp_lt_i32_e32 vcc, 0, v50
	s_waitcnt lgkmcnt(1)
	v_mfma_f32_16x16x32_fp8_fp8 v[24:27], v[54:55], v[46:47], v[24:27]
	ds_read2_b32 v[54:55], v56 offset0:128 offset1:160
	;;#ASMSTART
	s_waitcnt lgkmcnt(0)
	;;#ASMEND
	ds_write_b32 v102, v103 offset:12308
	v_mfma_f32_16x16x32_fp8_fp8 v[16:19], v[64:65], v[46:47], v[16:19]
	v_mfma_f32_16x16x32_fp8_fp8 v[8:11], v[72:73], v[46:47], v[8:11]
	;; [unrolled: 1-line block ×3, first 2 shown]
	v_add_u32_e32 v46, 2, v84
	v_cndmask_b32_e32 v84, v84, v46, vcc
	v_cmp_le_i32_e32 vcc, s62, v99
	s_waitcnt lgkmcnt(2)
	v_mfma_f32_16x16x32_fp8_fp8 v[24:27], v[58:59], v[52:53], v[24:27]
	s_or_b64 s[8:9], vcc, s[8:9]
	v_mfma_f32_16x16x32_fp8_fp8 v[16:19], v[66:67], v[52:53], v[16:19]
	v_mfma_f32_16x16x32_fp8_fp8 v[8:11], v[74:75], v[52:53], v[8:11]
	;; [unrolled: 1-line block ×3, first 2 shown]
	s_waitcnt lgkmcnt(1)
	v_mfma_f32_16x16x32_fp8_fp8 v[24:27], v[60:61], v[54:55], v[24:27]
	v_mfma_f32_16x16x32_fp8_fp8 v[16:19], v[68:69], v[54:55], v[16:19]
	;; [unrolled: 1-line block ×4, first 2 shown]
	s_andn2_b64 exec, exec, s[8:9]
	s_cbranch_execz .LBB332_31
.LBB332_13:                             ;   Parent Loop BB332_7 Depth=1
                                        ; =>  This Loop Header: Depth=2
                                        ;       Child Loop BB332_15 Depth 3
                                        ;       Child Loop BB332_18 Depth 3
	;; [unrolled: 1-line block ×6, first 2 shown]
	v_cmp_lt_i32_e32 vcc, 0, v50
	s_nop 1
	v_subbrev_co_u32_e32 v101, vcc, 0, v50, vcc
	v_lshlrev_b32_e32 v102, 3, v101
	ds_read_b32 v46, v102 offset:12304
	s_waitcnt lgkmcnt(0)
	v_cmp_ne_u32_e32 vcc, v46, v84
	s_and_saveexec_b64 s[10:11], vcc
	s_cbranch_execz .LBB332_16
; %bb.14:                               ;   in Loop: Header=BB332_13 Depth=2
	s_mov_b64 s[12:13], 0
.LBB332_15:                             ;   Parent Loop BB332_7 Depth=1
                                        ;     Parent Loop BB332_13 Depth=2
                                        ; =>    This Inner Loop Header: Depth=3
	;;#ASMSTART
	s_sleep 0
	;;#ASMEND
	ds_read_b32 v46, v102 offset:12304
	s_waitcnt lgkmcnt(0)
	v_cmp_eq_u32_e32 vcc, v46, v84
	s_or_b64 s[12:13], vcc, s[12:13]
	s_andn2_b64 exec, exec, s[12:13]
	s_cbranch_execnz .LBB332_15
.LBB332_16:                             ;   in Loop: Header=BB332_13 Depth=2
	s_or_b64 exec, exec, s[10:11]
	v_lshlrev_b32_e32 v46, 12, v101
	v_add_u32_e32 v104, v86, v46
	v_add_u32_e32 v46, 0x400, v104
	;; [unrolled: 1-line block ×3, first 2 shown]
	ds_read2_b32 v[48:49], v104 offset1:32
	ds_read2_b32 v[50:51], v104 offset0:128 offset1:160
	ds_read2_b32 v[56:57], v46 offset1:32
	ds_read2_b32 v[52:53], v46 offset0:128 offset1:160
	;;#ASMSTART
	s_waitcnt lgkmcnt(0)
	;;#ASMEND
	ds_write_b32 v102, v103 offset:12304
	v_lshlrev_b32_e32 v105, 4, v101
	ds_read_b32 v46, v105 offset:12288
	s_waitcnt lgkmcnt(0)
	v_cmp_ne_u32_e32 vcc, v46, v84
	s_and_saveexec_b64 s[10:11], vcc
	s_cbranch_execz .LBB332_19
; %bb.17:                               ;   in Loop: Header=BB332_13 Depth=2
	s_mov_b64 s[12:13], 0
.LBB332_18:                             ;   Parent Loop BB332_7 Depth=1
                                        ;     Parent Loop BB332_13 Depth=2
                                        ; =>    This Inner Loop Header: Depth=3
	;;#ASMSTART
	s_sleep 0
	;;#ASMEND
	ds_read_b32 v46, v105 offset:12288
	s_waitcnt lgkmcnt(0)
	v_cmp_eq_u32_e32 vcc, v46, v84
	s_or_b64 s[12:13], vcc, s[12:13]
	s_andn2_b64 exec, exec, s[12:13]
	s_cbranch_execnz .LBB332_18
.LBB332_19:                             ;   in Loop: Header=BB332_13 Depth=2
	s_or_b64 exec, exec, s[10:11]
	v_lshlrev_b32_e32 v62, 13, v101
	v_or_b32_e32 v58, v85, v62
	ds_read2_b32 v[46:47], v58 offset1:32
	ds_read2_b32 v[54:55], v58 offset0:128 offset1:160
	v_add_u32_e32 v60, 0x400, v58
	ds_read2_b32 v[58:59], v60 offset1:32
	ds_read2_b32 v[60:61], v60 offset0:128 offset1:160
	ds_read_b32 v63, v105 offset:12292
	ds_write_b32 v105, v103 offset:12288
	s_waitcnt lgkmcnt(5)
	v_mfma_f32_16x16x32_fp8_fp8 v[28:31], v[46:47], v[48:49], v[28:31]
	s_waitcnt lgkmcnt(1)
	v_cmp_ne_u32_e32 vcc, v63, v84
	v_mfma_f32_16x16x32_fp8_fp8 v[28:31], v[54:55], v[50:51], v[28:31]
	v_mfma_f32_16x16x32_fp8_fp8 v[28:31], v[58:59], v[56:57], v[28:31]
	;; [unrolled: 1-line block ×3, first 2 shown]
	s_and_saveexec_b64 s[10:11], vcc
	s_cbranch_execz .LBB332_22
; %bb.20:                               ;   in Loop: Header=BB332_13 Depth=2
	s_mov_b64 s[12:13], 0
.LBB332_21:                             ;   Parent Loop BB332_7 Depth=1
                                        ;     Parent Loop BB332_13 Depth=2
                                        ; =>    This Inner Loop Header: Depth=3
	;;#ASMSTART
	s_sleep 0
	;;#ASMEND
	ds_read_b32 v63, v105 offset:12292
	s_waitcnt lgkmcnt(0)
	v_cmp_eq_u32_e32 vcc, v63, v84
	s_or_b64 s[12:13], vcc, s[12:13]
	s_andn2_b64 exec, exec, s[12:13]
	s_cbranch_execnz .LBB332_21
.LBB332_22:                             ;   in Loop: Header=BB332_13 Depth=2
	s_or_b64 exec, exec, s[10:11]
	v_add_u32_e32 v82, v85, v62
	v_add_u32_e32 v64, 0x800, v82
	ds_read2_b32 v[62:63], v64 offset1:32
	ds_read2_b32 v[64:65], v64 offset0:128 offset1:160
	v_add_u32_e32 v68, 0xc00, v82
	ds_read2_b32 v[66:67], v68 offset1:32
	ds_read2_b32 v[68:69], v68 offset0:128 offset1:160
	ds_read_b32 v70, v105 offset:12296
	ds_write_b32 v105, v103 offset:12292
	s_waitcnt lgkmcnt(5)
	v_mfma_f32_16x16x32_fp8_fp8 v[20:23], v[62:63], v[48:49], v[20:23]
	s_waitcnt lgkmcnt(1)
	v_cmp_ne_u32_e32 vcc, v70, v84
	v_mfma_f32_16x16x32_fp8_fp8 v[20:23], v[64:65], v[50:51], v[20:23]
	v_mfma_f32_16x16x32_fp8_fp8 v[20:23], v[66:67], v[56:57], v[20:23]
	;; [unrolled: 1-line block ×3, first 2 shown]
	s_and_saveexec_b64 s[10:11], vcc
	s_cbranch_execz .LBB332_25
; %bb.23:                               ;   in Loop: Header=BB332_13 Depth=2
	s_mov_b64 s[12:13], 0
.LBB332_24:                             ;   Parent Loop BB332_7 Depth=1
                                        ;     Parent Loop BB332_13 Depth=2
                                        ; =>    This Inner Loop Header: Depth=3
	;;#ASMSTART
	s_sleep 0
	;;#ASMEND
	ds_read_b32 v70, v105 offset:12296
	s_waitcnt lgkmcnt(0)
	v_cmp_eq_u32_e32 vcc, v70, v84
	s_or_b64 s[12:13], vcc, s[12:13]
	s_andn2_b64 exec, exec, s[12:13]
	s_cbranch_execnz .LBB332_24
.LBB332_25:                             ;   in Loop: Header=BB332_13 Depth=2
	s_or_b64 exec, exec, s[10:11]
	v_add_u32_e32 v72, 0x1000, v82
	ds_read2_b32 v[70:71], v72 offset1:32
	ds_read2_b32 v[72:73], v72 offset0:128 offset1:160
	v_add_u32_e32 v76, 0x1400, v82
	ds_read2_b32 v[74:75], v76 offset1:32
	ds_read2_b32 v[76:77], v76 offset0:128 offset1:160
	ds_read_b32 v78, v105 offset:12300
	ds_write_b32 v105, v103 offset:12296
	s_waitcnt lgkmcnt(5)
	v_mfma_f32_16x16x32_fp8_fp8 v[12:15], v[70:71], v[48:49], v[12:15]
	s_waitcnt lgkmcnt(1)
	v_cmp_ne_u32_e32 vcc, v78, v84
	v_mfma_f32_16x16x32_fp8_fp8 v[12:15], v[72:73], v[50:51], v[12:15]
	v_mfma_f32_16x16x32_fp8_fp8 v[12:15], v[74:75], v[56:57], v[12:15]
	;; [unrolled: 1-line block ×3, first 2 shown]
	s_and_saveexec_b64 s[10:11], vcc
	s_cbranch_execz .LBB332_28
; %bb.26:                               ;   in Loop: Header=BB332_13 Depth=2
	s_mov_b64 s[12:13], 0
.LBB332_27:                             ;   Parent Loop BB332_7 Depth=1
                                        ;     Parent Loop BB332_13 Depth=2
                                        ; =>    This Inner Loop Header: Depth=3
	;;#ASMSTART
	s_sleep 0
	;;#ASMEND
	ds_read_b32 v78, v105 offset:12300
	s_waitcnt lgkmcnt(0)
	v_cmp_eq_u32_e32 vcc, v78, v84
	s_or_b64 s[12:13], vcc, s[12:13]
	s_andn2_b64 exec, exec, s[12:13]
	s_cbranch_execnz .LBB332_27
.LBB332_28:                             ;   in Loop: Header=BB332_13 Depth=2
	s_or_b64 exec, exec, s[10:11]
	v_add_u32_e32 v80, 0x1800, v82
	ds_read2_b32 v[78:79], v80 offset1:32
	ds_read2_b32 v[80:81], v80 offset0:128 offset1:160
	v_add_u32_e32 v106, 0x1c00, v82
	ds_read2_b32 v[82:83], v106 offset1:32
	ds_write_b32 v105, v103 offset:12300
	s_waitcnt lgkmcnt(3)
	v_mfma_f32_16x16x32_fp8_fp8 v[0:3], v[78:79], v[48:49], v[0:3]
	ds_read2_b32 v[48:49], v106 offset0:128 offset1:160
	s_waitcnt lgkmcnt(3)
	v_mfma_f32_16x16x32_fp8_fp8 v[0:3], v[80:81], v[50:51], v[0:3]
	ds_read_b32 v50, v102 offset:12308
	s_waitcnt lgkmcnt(0)
	v_cmp_ne_u32_e32 vcc, v50, v84
	v_mfma_f32_16x16x32_fp8_fp8 v[0:3], v[82:83], v[56:57], v[0:3]
	v_mfma_f32_16x16x32_fp8_fp8 v[0:3], v[48:49], v[52:53], v[0:3]
	s_and_saveexec_b64 s[10:11], vcc
	s_cbranch_execz .LBB332_12
; %bb.29:                               ;   in Loop: Header=BB332_13 Depth=2
	s_mov_b64 s[12:13], 0
.LBB332_30:                             ;   Parent Loop BB332_7 Depth=1
                                        ;     Parent Loop BB332_13 Depth=2
                                        ; =>    This Inner Loop Header: Depth=3
	;;#ASMSTART
	s_sleep 0
	;;#ASMEND
	ds_read_b32 v50, v102 offset:12308
	s_waitcnt lgkmcnt(0)
	v_cmp_eq_u32_e32 vcc, v50, v84
	s_or_b64 s[12:13], vcc, s[12:13]
	s_andn2_b64 exec, exec, s[12:13]
	s_cbranch_execnz .LBB332_30
	s_branch .LBB332_12
.LBB332_31:                             ;   in Loop: Header=BB332_7 Depth=1
	s_or_b64 exec, exec, s[8:9]
.LBB332_32:                             ;   in Loop: Header=BB332_7 Depth=1
	s_or_b64 exec, exec, s[6:7]
	v_cmp_le_i32_e32 vcc, s14, v32
	v_cmp_eq_u32_e64 s[6:7], 2, v87
	v_cmp_eq_u32_e64 s[8:9], 3, v87
	s_waitcnt vmcnt(0)
	v_cndmask_b32_e32 v46, 0, v100, vcc
	v_pk_mul_f32 v[28:29], v[46:47], v[28:29] op_sel_hi:[0,1]
	v_cmp_eq_u32_e32 vcc, 1, v87
	v_pk_mul_f32 v[48:49], v[46:47], v[30:31] op_sel_hi:[0,1]
	v_cmp_eq_u32_e64 s[10:11], 0, v87
	v_cndmask_b32_e32 v30, v28, v29, vcc
	v_cndmask_b32_e64 v30, v30, v48, s[6:7]
	v_cndmask_b32_e64 v30, v30, v49, s[8:9]
	ds_bpermute_b32 v47, v98, v30
	v_cmp_le_i32_e64 s[14:15], s14, v89
	v_cmp_eq_u32_e64 s[12:13], 1, v88
	v_add_u32_e32 v51, s61, v90
	s_waitcnt lgkmcnt(0)
	v_cndmask_b32_e64 v30, v49, v47, s[8:9]
	v_cndmask_b32_e64 v31, v48, v47, s[6:7]
	v_cndmask_b32_e32 v29, v29, v47, vcc
	v_cndmask_b32_e64 v47, v28, v47, s[10:11]
	v_cndmask_b32_e64 v28, 0, v100, s[14:15]
	v_pk_mul_f32 v[54:55], v[28:29], v[24:25] op_sel_hi:[0,1]
	v_pk_mul_f32 v[52:53], v[28:29], v[26:27] op_sel_hi:[0,1]
	v_cndmask_b32_e32 v24, v54, v55, vcc
	v_cndmask_b32_e64 v24, v24, v52, s[6:7]
	v_cndmask_b32_e64 v24, v24, v53, s[8:9]
	ds_bpermute_b32 v25, v98, v24
	v_cndmask_b32_e64 v48, v47, v29, s[12:13]
	v_cmp_eq_u32_e32 vcc, 2, v88
	v_cmp_eq_u32_e64 s[14:15], 3, v88
	s_waitcnt lgkmcnt(0)
	v_cndmask_b32_e64 v27, v52, v25, s[6:7]
	v_cndmask_b32_e32 v24, v48, v31, vcc
	v_cndmask_b32_e64 v24, v24, v30, s[14:15]
	v_cmp_ne_u32_e64 s[6:7], 0, v87
	ds_bpermute_b32 v48, v98, v24
	v_cndmask_b32_e64 v26, v53, v25, s[8:9]
	v_cndmask_b32_e64 v24, v55, v25, s[6:7]
	;; [unrolled: 1-line block ×4, first 2 shown]
	v_cndmask_b32_e32 v49, v49, v27, vcc
	v_cndmask_b32_e64 v49, v49, v26, s[14:15]
	ds_bpermute_b32 v49, v98, v49
	v_cmp_gt_u32_e32 vcc, 64, v51
	s_and_saveexec_b64 s[44:45], vcc
	s_cbranch_execz .LBB332_41
; %bb.33:                               ;   in Loop: Header=BB332_7 Depth=1
	v_cmp_eq_u32_e64 s[8:9], 1, v88
	v_cmp_eq_u32_e64 s[10:11], 0, v88
	v_cmp_eq_u32_e32 vcc, 3, v88
	s_waitcnt lgkmcnt(1)
	v_cndmask_b32_e64 v29, v29, v48, s[8:9]
	s_waitcnt lgkmcnt(0)
	v_cndmask_b32_e64 v52, v24, v49, s[8:9]
	s_mul_i32 s8, s59, s17
	s_ashr_i32 s9, s8, 31
	s_lshl_b64 s[8:9], s[8:9], 1
	v_cndmask_b32_e64 v47, v47, v48, s[10:11]
	v_cndmask_b32_e64 v53, v25, v49, s[10:11]
	s_add_u32 s10, s28, s8
	s_addc_u32 s11, s29, s9
	s_ashr_i32 s39, s38, 31
	v_cvt_f16_f32_e32 v47, v47
	v_cvt_f16_f32_sdwa v29, v29 dst_sel:WORD_1 dst_unused:UNUSED_PAD src0_sel:DWORD
	s_lshl_b64 s[8:9], s[38:39], 1
	v_cvt_f16_f32_e32 v54, v53
	v_cvt_f16_f32_sdwa v55, v52 dst_sel:WORD_1 dst_unused:UNUSED_PAD src0_sel:DWORD
	s_add_u32 s46, s10, s8
	s_addc_u32 s47, s11, s9
	v_cmp_eq_u32_e64 s[6:7], 2, v88
	v_lshl_add_u64 v[24:25], v[34:35], 1, s[46:47]
	v_or_b32_e32 v29, v29, v47
	v_cmp_gt_u32_e64 s[8:9], 62, v51
	;;#ASMSTART
	global_atomic_pk_add_f16 v[24:25], v29, off
	
	;;#ASMEND
	v_lshl_add_u64 v[52:53], v[24:25], 0, 32
	v_or_b32_e32 v29, v55, v54
	;;#ASMSTART
	global_atomic_pk_add_f16 v[52:53], v29, off
	
	;;#ASMEND
	s_and_b64 exec, exec, s[8:9]
	s_cbranch_execz .LBB332_41
; %bb.34:                               ;   in Loop: Header=BB332_7 Depth=1
	v_mov_b32_e32 v47, v46
	v_cndmask_b32_e32 v30, v30, v48, vcc
	v_cndmask_b32_e64 v31, v31, v48, s[6:7]
	v_cndmask_b32_e32 v48, v26, v49, vcc
	v_cndmask_b32_e64 v49, v27, v49, s[6:7]
	v_mov_b32_e32 v26, v46
	v_mov_b32_e32 v27, v46
	v_pk_mul_f32 v[22:23], v[26:27], v[22:23]
	v_pk_mul_f32 v[26:27], v[46:47], v[20:21]
	v_cmp_eq_u32_e32 vcc, 1, v87
	v_cmp_eq_u32_e64 s[6:7], 2, v87
	v_cmp_eq_u32_e64 s[8:9], 3, v87
	v_cndmask_b32_e32 v20, v26, v27, vcc
	v_cndmask_b32_e64 v20, v20, v22, s[6:7]
	v_cndmask_b32_e64 v20, v20, v23, s[8:9]
	v_cvt_f16_f32_e32 v31, v31
	v_cvt_f16_f32_sdwa v30, v30 dst_sel:WORD_1 dst_unused:UNUSED_PAD src0_sel:DWORD
	ds_bpermute_b32 v51, v98, v20
	v_mov_b32_e32 v29, v28
	v_lshl_add_u64 v[24:25], s[34:35], 2, v[24:25]
	v_or_b32_e32 v30, v30, v31
	v_cmp_eq_u32_e64 s[10:11], 0, v87
	;;#ASMSTART
	global_atomic_pk_add_f16 v[24:25], v30, off
	
	;;#ASMEND
	v_cvt_f16_f32_e32 v52, v49
	v_cvt_f16_f32_sdwa v53, v48 dst_sel:WORD_1 dst_unused:UNUSED_PAD src0_sel:DWORD
	v_lshl_add_u64 v[30:31], v[24:25], 0, 32
	s_waitcnt lgkmcnt(0)
	v_cndmask_b32_e64 v20, v23, v51, s[8:9]
	v_cndmask_b32_e32 v23, v27, v51, vcc
	v_cndmask_b32_e64 v24, v26, v51, s[10:11]
	v_mov_b32_e32 v26, v28
	v_mov_b32_e32 v27, v28
	v_pk_mul_f32 v[48:49], v[28:29], v[16:17]
	v_pk_mul_f32 v[26:27], v[26:27], v[18:19]
	v_cndmask_b32_e32 v16, v48, v49, vcc
	v_cndmask_b32_e64 v16, v16, v26, s[6:7]
	v_cndmask_b32_e64 v16, v16, v27, s[8:9]
	ds_bpermute_b32 v17, v98, v16
	v_cmp_eq_u32_e64 s[12:13], 1, v88
	v_cndmask_b32_e64 v21, v22, v51, s[6:7]
	v_cmp_eq_u32_e32 vcc, 2, v88
	v_cndmask_b32_e64 v22, v24, v23, s[12:13]
	v_cmp_eq_u32_e64 s[14:15], 3, v88
	v_cndmask_b32_e32 v16, v22, v21, vcc
	s_waitcnt lgkmcnt(0)
	v_cndmask_b32_e64 v19, v26, v17, s[6:7]
	v_cndmask_b32_e64 v16, v16, v20, s[14:15]
	v_cmp_ne_u32_e64 s[6:7], 0, v87
	ds_bpermute_b32 v22, v98, v16
	v_cndmask_b32_e64 v18, v27, v17, s[8:9]
	v_cndmask_b32_e64 v16, v49, v17, s[6:7]
	;; [unrolled: 1-line block ×4, first 2 shown]
	v_cndmask_b32_e32 v25, v25, v19, vcc
	v_cndmask_b32_e64 v25, v25, v18, s[14:15]
	ds_bpermute_b32 v25, v98, v25
	v_or_b32_e32 v26, v53, v52
	;;#ASMSTART
	global_atomic_pk_add_f16 v[30:31], v26, off
	
	;;#ASMEND
	v_add_u32_e32 v26, s61, v91
	v_cmp_gt_u32_e32 vcc, 64, v26
	s_and_b64 exec, exec, vcc
	s_cbranch_execz .LBB332_41
; %bb.35:                               ;   in Loop: Header=BB332_7 Depth=1
	v_cmp_eq_u32_e64 s[8:9], 1, v88
	v_cmp_eq_u32_e64 s[10:11], 0, v88
	v_cmp_eq_u32_e32 vcc, 3, v88
	s_waitcnt lgkmcnt(1)
	v_cndmask_b32_e64 v23, v23, v22, s[8:9]
	v_cndmask_b32_e64 v24, v24, v22, s[10:11]
	s_waitcnt lgkmcnt(0)
	v_cndmask_b32_e64 v27, v16, v25, s[8:9]
	v_cndmask_b32_e64 v30, v17, v25, s[10:11]
	v_cvt_f16_f32_e32 v24, v24
	v_cvt_f16_f32_sdwa v23, v23 dst_sel:WORD_1 dst_unused:UNUSED_PAD src0_sel:DWORD
	v_cvt_f16_f32_e32 v48, v30
	v_cvt_f16_f32_sdwa v27, v27 dst_sel:WORD_1 dst_unused:UNUSED_PAD src0_sel:DWORD
	v_cmp_eq_u32_e64 s[6:7], 2, v88
	v_lshl_add_u64 v[16:17], v[36:37], 1, s[46:47]
	v_or_b32_e32 v23, v23, v24
	v_cmp_gt_u32_e64 s[8:9], 62, v26
	;;#ASMSTART
	global_atomic_pk_add_f16 v[16:17], v23, off
	
	;;#ASMEND
	v_lshl_add_u64 v[30:31], v[16:17], 0, 32
	v_or_b32_e32 v23, v27, v48
	;;#ASMSTART
	global_atomic_pk_add_f16 v[30:31], v23, off
	
	;;#ASMEND
	s_and_b64 exec, exec, s[8:9]
	s_cbranch_execz .LBB332_41
; %bb.36:                               ;   in Loop: Header=BB332_7 Depth=1
	v_cndmask_b32_e32 v20, v20, v22, vcc
	v_cndmask_b32_e64 v21, v21, v22, s[6:7]
	v_cndmask_b32_e32 v22, v18, v25, vcc
	v_cndmask_b32_e64 v23, v19, v25, s[6:7]
	v_mov_b32_e32 v18, v46
	v_mov_b32_e32 v19, v46
	v_pk_mul_f32 v[14:15], v[18:19], v[14:15]
	v_pk_mul_f32 v[18:19], v[46:47], v[12:13]
	v_cmp_eq_u32_e32 vcc, 1, v87
	v_cmp_eq_u32_e64 s[6:7], 2, v87
	v_cmp_eq_u32_e64 s[8:9], 3, v87
	v_cndmask_b32_e32 v12, v18, v19, vcc
	v_cndmask_b32_e64 v12, v12, v14, s[6:7]
	v_cndmask_b32_e64 v12, v12, v15, s[8:9]
	v_cvt_f16_f32_e32 v21, v21
	v_cvt_f16_f32_sdwa v20, v20 dst_sel:WORD_1 dst_unused:UNUSED_PAD src0_sel:DWORD
	ds_bpermute_b32 v24, v98, v12
	v_lshl_add_u64 v[16:17], s[34:35], 2, v[16:17]
	v_cmp_eq_u32_e64 s[10:11], 0, v87
	v_or_b32_e32 v20, v20, v21
	;;#ASMSTART
	global_atomic_pk_add_f16 v[16:17], v20, off
	
	;;#ASMEND
	v_cvt_f16_f32_e32 v25, v23
	v_cvt_f16_f32_sdwa v26, v22 dst_sel:WORD_1 dst_unused:UNUSED_PAD src0_sel:DWORD
	v_lshl_add_u64 v[20:21], v[16:17], 0, 32
	s_waitcnt lgkmcnt(0)
	v_cndmask_b32_e64 v12, v15, v24, s[8:9]
	v_cndmask_b32_e32 v15, v19, v24, vcc
	v_cndmask_b32_e64 v16, v18, v24, s[10:11]
	v_mov_b32_e32 v18, v28
	v_mov_b32_e32 v19, v28
	v_pk_mul_f32 v[22:23], v[28:29], v[8:9]
	v_pk_mul_f32 v[18:19], v[18:19], v[10:11]
	v_cndmask_b32_e32 v8, v22, v23, vcc
	v_cndmask_b32_e64 v8, v8, v18, s[6:7]
	v_cndmask_b32_e64 v8, v8, v19, s[8:9]
	ds_bpermute_b32 v9, v98, v8
	v_cmp_eq_u32_e64 s[12:13], 1, v88
	v_cndmask_b32_e64 v13, v14, v24, s[6:7]
	v_cmp_eq_u32_e32 vcc, 2, v88
	v_cndmask_b32_e64 v14, v16, v15, s[12:13]
	v_cmp_eq_u32_e64 s[14:15], 3, v88
	v_cndmask_b32_e32 v8, v14, v13, vcc
	s_waitcnt lgkmcnt(0)
	v_cndmask_b32_e64 v11, v18, v9, s[6:7]
	v_cndmask_b32_e64 v8, v8, v12, s[14:15]
	v_cmp_ne_u32_e64 s[6:7], 0, v87
	ds_bpermute_b32 v14, v98, v8
	v_cndmask_b32_e64 v10, v19, v9, s[8:9]
	v_cndmask_b32_e64 v8, v23, v9, s[6:7]
	;; [unrolled: 1-line block ×4, first 2 shown]
	v_cndmask_b32_e32 v17, v17, v11, vcc
	v_cndmask_b32_e64 v17, v17, v10, s[14:15]
	ds_bpermute_b32 v17, v98, v17
	v_or_b32_e32 v18, v26, v25
	;;#ASMSTART
	global_atomic_pk_add_f16 v[20:21], v18, off
	
	;;#ASMEND
	v_add_u32_e32 v18, s61, v92
	v_cmp_gt_u32_e32 vcc, 64, v18
	s_and_b64 exec, exec, vcc
	s_cbranch_execz .LBB332_41
; %bb.37:                               ;   in Loop: Header=BB332_7 Depth=1
	v_cmp_eq_u32_e64 s[8:9], 1, v88
	v_cmp_eq_u32_e64 s[10:11], 0, v88
	v_cmp_eq_u32_e32 vcc, 3, v88
	s_waitcnt lgkmcnt(1)
	v_cndmask_b32_e64 v15, v15, v14, s[8:9]
	v_cndmask_b32_e64 v16, v16, v14, s[10:11]
	s_waitcnt lgkmcnt(0)
	v_cndmask_b32_e64 v19, v8, v17, s[8:9]
	v_cndmask_b32_e64 v20, v9, v17, s[10:11]
	v_cvt_f16_f32_e32 v16, v16
	v_cvt_f16_f32_sdwa v15, v15 dst_sel:WORD_1 dst_unused:UNUSED_PAD src0_sel:DWORD
	v_cvt_f16_f32_e32 v22, v20
	v_cvt_f16_f32_sdwa v19, v19 dst_sel:WORD_1 dst_unused:UNUSED_PAD src0_sel:DWORD
	v_cmp_eq_u32_e64 s[6:7], 2, v88
	v_lshl_add_u64 v[8:9], v[38:39], 1, s[46:47]
	v_or_b32_e32 v15, v15, v16
	v_cmp_gt_u32_e64 s[8:9], 62, v18
	;;#ASMSTART
	global_atomic_pk_add_f16 v[8:9], v15, off
	
	;;#ASMEND
	v_lshl_add_u64 v[20:21], v[8:9], 0, 32
	v_or_b32_e32 v15, v19, v22
	;;#ASMSTART
	global_atomic_pk_add_f16 v[20:21], v15, off
	
	;;#ASMEND
	s_and_b64 exec, exec, s[8:9]
	s_cbranch_execz .LBB332_41
; %bb.38:                               ;   in Loop: Header=BB332_7 Depth=1
	v_cndmask_b32_e32 v12, v12, v14, vcc
	v_cndmask_b32_e64 v13, v13, v14, s[6:7]
	v_cvt_f16_f32_e32 v13, v13
	v_cvt_f16_f32_sdwa v12, v12 dst_sel:WORD_1 dst_unused:UNUSED_PAD src0_sel:DWORD
	v_cndmask_b32_e32 v14, v10, v17, vcc
	v_cndmask_b32_e64 v15, v11, v17, s[6:7]
	v_mov_b32_e32 v10, v46
	v_or_b32_e32 v16, v12, v13
	v_mov_b32_e32 v11, v46
	v_pk_mul_f32 v[12:13], v[46:47], v[0:1]
	v_cmp_eq_u32_e32 vcc, 1, v87
	v_pk_mul_f32 v[10:11], v[10:11], v[2:3]
	v_cmp_eq_u32_e64 s[6:7], 2, v87
	v_cndmask_b32_e32 v0, v12, v13, vcc
	v_cmp_eq_u32_e64 s[8:9], 3, v87
	v_cndmask_b32_e64 v0, v0, v10, s[6:7]
	v_lshl_add_u64 v[8:9], s[34:35], 2, v[8:9]
	v_cndmask_b32_e64 v0, v0, v11, s[8:9]
	ds_bpermute_b32 v1, v98, v0
	;;#ASMSTART
	global_atomic_pk_add_f16 v[8:9], v16, off
	
	;;#ASMEND
	v_cvt_f16_f32_e32 v16, v15
	v_cvt_f16_f32_sdwa v17, v14 dst_sel:WORD_1 dst_unused:UNUSED_PAD src0_sel:DWORD
	v_lshl_add_u64 v[14:15], v[8:9], 0, 32
	v_mov_b32_e32 v8, v28
	v_mov_b32_e32 v9, v28
	v_pk_mul_f32 v[6:7], v[8:9], v[6:7]
	v_pk_mul_f32 v[8:9], v[28:29], v[4:5]
	s_waitcnt lgkmcnt(0)
	v_cndmask_b32_e64 v2, v11, v1, s[8:9]
	v_cndmask_b32_e32 v4, v8, v9, vcc
	v_cndmask_b32_e64 v4, v4, v6, s[6:7]
	v_cndmask_b32_e64 v4, v4, v7, s[8:9]
	ds_bpermute_b32 v11, v98, v4
	v_cmp_eq_u32_e64 s[10:11], 0, v87
	v_cndmask_b32_e64 v3, v10, v1, s[6:7]
	v_cndmask_b32_e32 v0, v13, v1, vcc
	v_cndmask_b32_e64 v1, v12, v1, s[10:11]
	v_cmp_eq_u32_e64 s[12:13], 1, v88
	v_cmp_eq_u32_e32 vcc, 2, v88
	s_waitcnt lgkmcnt(0)
	v_cndmask_b32_e64 v6, v6, v11, s[6:7]
	v_cndmask_b32_e64 v10, v1, v0, s[12:13]
	v_cmp_ne_u32_e64 s[6:7], 0, v87
	v_cndmask_b32_e32 v4, v10, v3, vcc
	v_cndmask_b32_e64 v10, v8, v11, s[10:11]
	v_cndmask_b32_e64 v9, v9, v11, s[6:7]
	;; [unrolled: 1-line block ×4, first 2 shown]
	v_cmp_eq_u32_e64 s[14:15], 3, v88
	v_cndmask_b32_e32 v7, v7, v6, vcc
	v_or_b32_e32 v8, v17, v16
	v_cndmask_b32_e64 v4, v4, v2, s[14:15]
	v_cndmask_b32_e64 v7, v7, v5, s[14:15]
	ds_bpermute_b32 v4, v98, v4
	ds_bpermute_b32 v7, v98, v7
	;;#ASMSTART
	global_atomic_pk_add_f16 v[14:15], v8, off
	
	;;#ASMEND
	v_add_u32_e32 v8, s61, v93
	v_cmp_gt_u32_e32 vcc, 64, v8
	s_and_b64 exec, exec, vcc
	s_cbranch_execz .LBB332_41
; %bb.39:                               ;   in Loop: Header=BB332_7 Depth=1
	v_cmp_eq_u32_e64 s[8:9], 1, v88
	v_cmp_eq_u32_e64 s[10:11], 0, v88
	v_cmp_eq_u32_e32 vcc, 3, v88
	s_waitcnt lgkmcnt(1)
	v_cndmask_b32_e64 v0, v0, v4, s[8:9]
	v_cndmask_b32_e64 v1, v1, v4, s[10:11]
	s_waitcnt lgkmcnt(0)
	v_cndmask_b32_e64 v9, v9, v7, s[8:9]
	v_cndmask_b32_e64 v10, v10, v7, s[10:11]
	v_cvt_f16_f32_e32 v11, v1
	v_cvt_f16_f32_sdwa v12, v0 dst_sel:WORD_1 dst_unused:UNUSED_PAD src0_sel:DWORD
	v_cvt_f16_f32_e32 v13, v10
	v_cvt_f16_f32_sdwa v9, v9 dst_sel:WORD_1 dst_unused:UNUSED_PAD src0_sel:DWORD
	v_cmp_eq_u32_e64 s[6:7], 2, v88
	v_lshl_add_u64 v[0:1], v[40:41], 1, s[46:47]
	v_or_b32_e32 v10, v12, v11
	v_cmp_gt_u32_e64 s[8:9], 62, v8
	;;#ASMSTART
	global_atomic_pk_add_f16 v[0:1], v10, off
	
	;;#ASMEND
	v_lshl_add_u64 v[10:11], v[0:1], 0, 32
	v_or_b32_e32 v9, v9, v13
	;;#ASMSTART
	global_atomic_pk_add_f16 v[10:11], v9, off
	
	;;#ASMEND
	s_and_b64 exec, exec, s[8:9]
	s_cbranch_execz .LBB332_41
; %bb.40:                               ;   in Loop: Header=BB332_7 Depth=1
	v_cndmask_b32_e32 v2, v2, v4, vcc
	v_cndmask_b32_e64 v3, v3, v4, s[6:7]
	v_cndmask_b32_e32 v4, v5, v7, vcc
	v_cndmask_b32_e64 v5, v6, v7, s[6:7]
	v_cvt_f16_f32_e32 v3, v3
	v_cvt_f16_f32_sdwa v2, v2 dst_sel:WORD_1 dst_unused:UNUSED_PAD src0_sel:DWORD
	v_cvt_f16_f32_e32 v5, v5
	v_cvt_f16_f32_sdwa v4, v4 dst_sel:WORD_1 dst_unused:UNUSED_PAD src0_sel:DWORD
	v_lshl_add_u64 v[0:1], s[34:35], 2, v[0:1]
	v_or_b32_e32 v2, v2, v3
	;;#ASMSTART
	global_atomic_pk_add_f16 v[0:1], v2, off
	
	;;#ASMEND
	v_lshl_add_u64 v[0:1], v[0:1], 0, 32
	v_or_b32_e32 v2, v4, v5
	;;#ASMSTART
	global_atomic_pk_add_f16 v[0:1], v2, off
	
	;;#ASMEND
.LBB332_41:                             ;   in Loop: Header=BB332_7 Depth=1
	s_or_b64 exec, exec, s[44:45]
	v_subrev_u32_e32 v99, s62, v99
.LBB332_42:                             ;   in Loop: Header=BB332_7 Depth=1
	s_or_b64 exec, exec, s[42:43]
.LBB332_43:                             ;   in Loop: Header=BB332_7 Depth=1
	s_andn2_saveexec_b64 s[6:7], s[40:41]
	s_cbranch_execz .LBB332_52
; %bb.44:                               ;   in Loop: Header=BB332_7 Depth=1
	s_lshl_b32 s39, s62, 1
	v_cmp_gt_i32_e32 vcc, s39, v99
	s_and_saveexec_b64 s[8:9], vcc
	s_cbranch_execz .LBB332_51
; %bb.45:                               ;   in Loop: Header=BB332_7 Depth=1
	s_mul_i32 s10, s38, s19
	s_ashr_i32 s11, s10, 31
	s_waitcnt lgkmcnt(0)
	s_add_u32 s10, s26, s10
	s_addc_u32 s11, s27, s11
	s_ashr_i32 s12, s60, 31
	s_add_u32 s10, s10, s60
	s_addc_u32 s11, s11, s12
	v_lshl_add_u64 v[0:1], s[10:11], 0, v[44:45]
	v_lshl_add_u64 v[8:9], v[0:1], 0, v[42:43]
	s_mov_b64 s[10:11], 0
	s_branch .LBB332_47
.LBB332_46:                             ;   in Loop: Header=BB332_47 Depth=2
	s_or_b64 exec, exec, s[12:13]
	v_lshl_add_u32 v12, v10, 11, v96
	;;#ASMSTART
	s_waitcnt vmcnt(1)
	;;#ASMEND
	ds_write2_b32 v12, v4, v5 offset1:32
	ds_write2_b32 v12, v6, v7 offset0:64 offset1:96
	v_add_u32_e32 v4, 0x400, v12
	v_add_u32_e32 v99, s22, v99
	;;#ASMSTART
	s_waitcnt vmcnt(0)
	;;#ASMEND
	ds_write2_b32 v4, v0, v1 offset1:32
	ds_write2_b32 v4, v2, v3 offset0:64 offset1:96
	v_add_u32_e32 v0, 1, v84
	v_add_u32_e32 v50, s22, v10
	v_cmp_le_i32_e32 vcc, s39, v99
	ds_write_b32 v11, v0 offset:16
	v_add_u32_e32 v0, 2, v84
	s_or_b64 s[10:11], vcc, s[10:11]
	v_cmp_lt_i32_e32 vcc, 1, v50
	s_nop 1
	v_cndmask_b32_e32 v84, v84, v0, vcc
	s_andn2_b64 exec, exec, s[10:11]
	s_cbranch_execz .LBB332_50
.LBB332_47:                             ;   Parent Loop BB332_7 Depth=1
                                        ; =>  This Loop Header: Depth=2
                                        ;       Child Loop BB332_49 Depth 3
	v_cmp_gt_i32_e32 vcc, 2, v50
	s_nop 1
	v_cndmask_b32_e64 v0, -2, 0, vcc
	v_add_u32_e32 v10, v0, v50
	v_lshrrev_b32_e32 v0, 31, v99
	v_add_u32_e32 v0, v99, v0
	v_and_b32_e32 v1, -2, v0
	v_lshlrev_b32_e32 v0, 6, v0
	v_sub_u32_e32 v2, v99, v1
	v_and_b32_e32 v0, 0xffffff80, v0
	v_ashrrev_i32_e32 v1, 31, v0
	v_mul_lo_u32 v2, s53, v2
	v_lshl_add_u64 v[0:1], v[8:9], 0, v[0:1]
	v_ashrrev_i32_e32 v3, 31, v2
	v_lshl_add_u64 v[0:1], v[0:1], 0, v[2:3]
	v_lshlrev_b32_e32 v11, 2, v10
	;;#ASMSTART
	global_load_dwordx4 v[4:7], v[0:1], off offset:0   sc0 sc1 nt  
	global_load_dwordx4 v[0:3], v[0:1], off offset:64  sc0 sc1 nt  
	
	;;#ASMEND
	ds_read_b32 v12, v11 offset:12304
	v_add_u32_e32 v11, 0x3000, v11
	s_waitcnt lgkmcnt(0)
	v_cmp_ne_u32_e32 vcc, v12, v84
	s_and_saveexec_b64 s[12:13], vcc
	s_cbranch_execz .LBB332_46
; %bb.48:                               ;   in Loop: Header=BB332_47 Depth=2
	s_mov_b64 s[14:15], 0
.LBB332_49:                             ;   Parent Loop BB332_7 Depth=1
                                        ;     Parent Loop BB332_47 Depth=2
                                        ; =>    This Inner Loop Header: Depth=3
	;;#ASMSTART
	s_sleep 0
	;;#ASMEND
	ds_read_b32 v12, v11 offset:16
	s_waitcnt lgkmcnt(0)
	v_cmp_eq_u32_e32 vcc, v12, v84
	s_or_b64 s[14:15], vcc, s[14:15]
	s_andn2_b64 exec, exec, s[14:15]
	s_cbranch_execnz .LBB332_49
	s_branch .LBB332_46
.LBB332_50:                             ;   in Loop: Header=BB332_7 Depth=1
	s_or_b64 exec, exec, s[10:11]
.LBB332_51:                             ;   in Loop: Header=BB332_7 Depth=1
	s_or_b64 exec, exec, s[8:9]
	v_subrev_u32_e32 v99, s39, v99
.LBB332_52:                             ;   in Loop: Header=BB332_7 Depth=1
	s_or_b64 exec, exec, s[6:7]
.LBB332_53:                             ;   in Loop: Header=BB332_7 Depth=1
	s_andn2_saveexec_b64 s[6:7], s[36:37]
	s_cbranch_execz .LBB332_6
; %bb.54:                               ;   in Loop: Header=BB332_7 Depth=1
	s_lshl_b32 s36, s62, 2
	v_cmp_gt_i32_e32 vcc, s36, v99
	s_and_saveexec_b64 s[8:9], vcc
	s_cbranch_execz .LBB332_5
; %bb.55:                               ;   in Loop: Header=BB332_7 Depth=1
	s_mul_i32 s59, s59, s18
	s_ashr_i32 s10, s59, 31
	s_waitcnt lgkmcnt(0)
	s_add_u32 s11, s24, s59
	v_add_u32_e32 v2, s61, v94
	s_addc_u32 s12, s25, s10
	s_ashr_i32 s13, s60, 31
	v_cmp_gt_u32_e32 vcc, 64, v2
	s_add_u32 s10, s11, s60
	s_addc_u32 s11, s12, s13
	v_cndmask_b32_e32 v0, 0, v97, vcc
	v_ashrrev_i32_e32 v1, 31, v0
	v_lshl_add_u64 v[0:1], s[10:11], 0, v[0:1]
	v_lshl_add_u64 v[8:9], v[0:1], 0, v[42:43]
	v_sub_u32_e32 v10, 63, v2
	s_mov_b64 s[10:11], 0
	s_branch .LBB332_57
.LBB332_56:                             ;   in Loop: Header=BB332_57 Depth=2
	s_or_b64 exec, exec, s[12:13]
	v_lshl_or_b32 v13, v11, 11, v95
	;;#ASMSTART
	s_waitcnt vmcnt(1)
	;;#ASMEND
	ds_write2_b32 v13, v4, v5 offset1:32
	ds_write2_b32 v13, v6, v7 offset0:64 offset1:96
	v_add_u32_e32 v4, 0x400, v13
	v_add_u32_e32 v99, s21, v99
	;;#ASMSTART
	s_waitcnt vmcnt(0)
	;;#ASMEND
	ds_write2_b32 v4, v0, v1 offset1:32
	ds_write2_b32 v4, v2, v3 offset0:64 offset1:96
	v_add_u32_e32 v0, 1, v84
	v_add_u32_e32 v50, s21, v11
	v_cmp_le_i32_e32 vcc, s36, v99
	ds_write_b32 v12, v0
	v_add_u32_e32 v0, 2, v84
	s_or_b64 s[10:11], vcc, s[10:11]
	v_cmp_lt_i32_e32 vcc, 3, v50
	s_nop 1
	v_cndmask_b32_e32 v84, v84, v0, vcc
	s_andn2_b64 exec, exec, s[10:11]
	s_cbranch_execz .LBB332_4
.LBB332_57:                             ;   Parent Loop BB332_7 Depth=1
                                        ; =>  This Loop Header: Depth=2
                                        ;       Child Loop BB332_59 Depth 3
	v_cmp_gt_i32_e32 vcc, 4, v50
	s_nop 1
	v_cndmask_b32_e64 v0, -4, 0, vcc
	v_add_u32_e32 v11, v0, v50
	v_ashrrev_i32_e32 v0, 31, v99
	v_lshrrev_b32_e32 v0, 30, v0
	v_add_u32_e32 v0, v99, v0
	v_and_b32_e32 v1, 0xffffffc, v0
	v_sub_u32_e32 v1, v99, v1
	v_lshlrev_b32_e32 v1, 4, v1
	v_cmp_le_i32_e32 vcc, v1, v10
	v_lshlrev_b32_e32 v0, 5, v0
	v_and_b32_e32 v0, 0xffffff80, v0
	v_cndmask_b32_e32 v2, 0, v1, vcc
	v_ashrrev_i32_e32 v1, 31, v0
	v_mul_lo_u32 v2, v2, s18
	v_lshl_add_u64 v[0:1], v[8:9], 0, v[0:1]
	v_ashrrev_i32_e32 v3, 31, v2
	v_lshl_add_u64 v[0:1], v[0:1], 0, v[2:3]
	v_lshlrev_b32_e32 v12, 2, v11
	;;#ASMSTART
	global_load_dwordx4 v[4:7], v[0:1], off offset:0   
	global_load_dwordx4 v[0:3], v[0:1], off offset:64  
	
	;;#ASMEND
	ds_read_b32 v13, v12 offset:12288
	v_add_u32_e32 v12, 0x3000, v12
	s_waitcnt lgkmcnt(0)
	v_cmp_ne_u32_e32 vcc, v13, v84
	s_and_saveexec_b64 s[12:13], vcc
	s_cbranch_execz .LBB332_56
; %bb.58:                               ;   in Loop: Header=BB332_57 Depth=2
	s_mov_b64 s[14:15], 0
.LBB332_59:                             ;   Parent Loop BB332_7 Depth=1
                                        ;     Parent Loop BB332_57 Depth=2
                                        ; =>    This Inner Loop Header: Depth=3
	;;#ASMSTART
	s_sleep 0
	;;#ASMEND
	ds_read_b32 v13, v12
	s_waitcnt lgkmcnt(0)
	v_cmp_eq_u32_e32 vcc, v13, v84
	s_or_b64 s[14:15], vcc, s[14:15]
	s_andn2_b64 exec, exec, s[14:15]
	s_cbranch_execnz .LBB332_59
	s_branch .LBB332_56
.LBB332_60:
	s_endpgm
	.section	.rodata,"a",@progbits
	.p2align	6, 0x0
	.amdhsa_kernel _Z19_skinny_gemm_kernelILi4ELi2ELi1ELi16ELi4EEvPKhS1_P6__halfPKfiiiiiiii
		.amdhsa_group_segment_fixed_size 12312
		.amdhsa_private_segment_fixed_size 0
		.amdhsa_kernarg_size 64
		.amdhsa_user_sgpr_count 2
		.amdhsa_user_sgpr_dispatch_ptr 0
		.amdhsa_user_sgpr_queue_ptr 0
		.amdhsa_user_sgpr_kernarg_segment_ptr 1
		.amdhsa_user_sgpr_dispatch_id 0
		.amdhsa_user_sgpr_kernarg_preload_length 0
		.amdhsa_user_sgpr_kernarg_preload_offset 0
		.amdhsa_user_sgpr_private_segment_size 0
		.amdhsa_uses_dynamic_stack 0
		.amdhsa_enable_private_segment 0
		.amdhsa_system_sgpr_workgroup_id_x 1
		.amdhsa_system_sgpr_workgroup_id_y 0
		.amdhsa_system_sgpr_workgroup_id_z 0
		.amdhsa_system_sgpr_workgroup_info 0
		.amdhsa_system_vgpr_workitem_id 0
		.amdhsa_next_free_vgpr 107
		.amdhsa_next_free_sgpr 63
		.amdhsa_accum_offset 108
		.amdhsa_reserve_vcc 1
		.amdhsa_float_round_mode_32 0
		.amdhsa_float_round_mode_16_64 0
		.amdhsa_float_denorm_mode_32 3
		.amdhsa_float_denorm_mode_16_64 3
		.amdhsa_dx10_clamp 1
		.amdhsa_ieee_mode 1
		.amdhsa_fp16_overflow 0
		.amdhsa_tg_split 0
		.amdhsa_exception_fp_ieee_invalid_op 0
		.amdhsa_exception_fp_denorm_src 0
		.amdhsa_exception_fp_ieee_div_zero 0
		.amdhsa_exception_fp_ieee_overflow 0
		.amdhsa_exception_fp_ieee_underflow 0
		.amdhsa_exception_fp_ieee_inexact 0
		.amdhsa_exception_int_div_zero 0
	.end_amdhsa_kernel
	.section	.text._Z19_skinny_gemm_kernelILi4ELi2ELi1ELi16ELi4EEvPKhS1_P6__halfPKfiiiiiiii,"axG",@progbits,_Z19_skinny_gemm_kernelILi4ELi2ELi1ELi16ELi4EEvPKhS1_P6__halfPKfiiiiiiii,comdat
.Lfunc_end332:
	.size	_Z19_skinny_gemm_kernelILi4ELi2ELi1ELi16ELi4EEvPKhS1_P6__halfPKfiiiiiiii, .Lfunc_end332-_Z19_skinny_gemm_kernelILi4ELi2ELi1ELi16ELi4EEvPKhS1_P6__halfPKfiiiiiiii
                                        ; -- End function
	.set _Z19_skinny_gemm_kernelILi4ELi2ELi1ELi16ELi4EEvPKhS1_P6__halfPKfiiiiiiii.num_vgpr, 107
	.set _Z19_skinny_gemm_kernelILi4ELi2ELi1ELi16ELi4EEvPKhS1_P6__halfPKfiiiiiiii.num_agpr, 0
	.set _Z19_skinny_gemm_kernelILi4ELi2ELi1ELi16ELi4EEvPKhS1_P6__halfPKfiiiiiiii.numbered_sgpr, 63
	.set _Z19_skinny_gemm_kernelILi4ELi2ELi1ELi16ELi4EEvPKhS1_P6__halfPKfiiiiiiii.num_named_barrier, 0
	.set _Z19_skinny_gemm_kernelILi4ELi2ELi1ELi16ELi4EEvPKhS1_P6__halfPKfiiiiiiii.private_seg_size, 0
	.set _Z19_skinny_gemm_kernelILi4ELi2ELi1ELi16ELi4EEvPKhS1_P6__halfPKfiiiiiiii.uses_vcc, 1
	.set _Z19_skinny_gemm_kernelILi4ELi2ELi1ELi16ELi4EEvPKhS1_P6__halfPKfiiiiiiii.uses_flat_scratch, 0
	.set _Z19_skinny_gemm_kernelILi4ELi2ELi1ELi16ELi4EEvPKhS1_P6__halfPKfiiiiiiii.has_dyn_sized_stack, 0
	.set _Z19_skinny_gemm_kernelILi4ELi2ELi1ELi16ELi4EEvPKhS1_P6__halfPKfiiiiiiii.has_recursion, 0
	.set _Z19_skinny_gemm_kernelILi4ELi2ELi1ELi16ELi4EEvPKhS1_P6__halfPKfiiiiiiii.has_indirect_call, 0
	.section	.AMDGPU.csdata,"",@progbits
; Kernel info:
; codeLenInByte = 5716
; TotalNumSgprs: 69
; NumVgprs: 107
; NumAgprs: 0
; TotalNumVgprs: 107
; ScratchSize: 0
; MemoryBound: 0
; FloatMode: 240
; IeeeMode: 1
; LDSByteSize: 12312 bytes/workgroup (compile time only)
; SGPRBlocks: 8
; VGPRBlocks: 13
; NumSGPRsForWavesPerEU: 69
; NumVGPRsForWavesPerEU: 107
; AccumOffset: 108
; Occupancy: 4
; WaveLimiterHint : 0
; COMPUTE_PGM_RSRC2:SCRATCH_EN: 0
; COMPUTE_PGM_RSRC2:USER_SGPR: 2
; COMPUTE_PGM_RSRC2:TRAP_HANDLER: 0
; COMPUTE_PGM_RSRC2:TGID_X_EN: 1
; COMPUTE_PGM_RSRC2:TGID_Y_EN: 0
; COMPUTE_PGM_RSRC2:TGID_Z_EN: 0
; COMPUTE_PGM_RSRC2:TIDIG_COMP_CNT: 0
; COMPUTE_PGM_RSRC3_GFX90A:ACCUM_OFFSET: 26
; COMPUTE_PGM_RSRC3_GFX90A:TG_SPLIT: 0
	.section	.text._Z19_skinny_gemm_kernelILi4ELi2ELi1ELi16ELi8EEvPKhS1_P6__halfPKfiiiiiiii,"axG",@progbits,_Z19_skinny_gemm_kernelILi4ELi2ELi1ELi16ELi8EEvPKhS1_P6__halfPKfiiiiiiii,comdat
	.protected	_Z19_skinny_gemm_kernelILi4ELi2ELi1ELi16ELi8EEvPKhS1_P6__halfPKfiiiiiiii ; -- Begin function _Z19_skinny_gemm_kernelILi4ELi2ELi1ELi16ELi8EEvPKhS1_P6__halfPKfiiiiiiii
	.globl	_Z19_skinny_gemm_kernelILi4ELi2ELi1ELi16ELi8EEvPKhS1_P6__halfPKfiiiiiiii
	.p2align	8
	.type	_Z19_skinny_gemm_kernelILi4ELi2ELi1ELi16ELi8EEvPKhS1_P6__halfPKfiiiiiiii,@function
_Z19_skinny_gemm_kernelILi4ELi2ELi1ELi16ELi8EEvPKhS1_P6__halfPKfiiiiiiii: ; @_Z19_skinny_gemm_kernelILi4ELi2ELi1ELi16ELi8EEvPKhS1_P6__halfPKfiiiiiiii
; %bb.0:
	v_cmp_gt_u32_e32 vcc, 6, v0
	v_lshlrev_b32_e32 v1, 2, v0
	s_and_saveexec_b64 s[4:5], vcc
; %bb.1:
	v_mov_b32_e32 v2, 0
	ds_write_b32 v1, v2 offset:24576
; %bb.2:
	s_or_b64 exec, exec, s[4:5]
	s_load_dwordx8 s[16:23], s[0:1], 0x20
	s_waitcnt lgkmcnt(0)
	s_barrier
	s_add_i32 s3, s16, 63
	s_ashr_i32 s5, s3, 31
	s_add_i32 s4, s17, 31
	s_lshr_b32 s5, s5, 26
	s_ashr_i32 s6, s4, 31
	s_add_i32 s3, s3, s5
	s_ashr_i32 s33, s3, 6
	s_lshr_b32 s3, s6, 27
	s_add_i32 s4, s4, s3
	s_ashr_i32 s48, s4, 5
	s_mul_i32 s3, s48, s33
	s_mul_i32 s3, s3, s20
	s_add_i32 s4, s3, 0x12f
	s_mul_hi_i32 s4, s4, 0x6bca1af3
	s_lshr_b32 s5, s4, 31
	s_ashr_i32 s4, s4, 7
	s_add_i32 s4, s4, s5
	s_add_i32 s5, s2, 1
	s_mul_i32 s5, s4, s5
	v_cvt_f64_i32_e32 v[2:3], s3
	v_cvt_f64_u32_e32 v[4:5], s5
	v_min_f64 v[2:3], v[2:3], v[4:5]
	v_cvt_i32_f64_e32 v33, v[2:3]
	s_mul_i32 s49, s4, s2
	v_cmp_ge_i32_e32 vcc, s49, v33
	s_cbranch_vccnz .LBB333_60
; %bb.3:
	v_lshrrev_b32_e32 v2, 6, v0
	s_add_i32 s4, s22, s21
	s_load_dwordx8 s[24:31], s[0:1], 0x0
	v_cmp_le_i32_e64 s[0:1], s4, v2
	v_mov_b32_e32 v3, s21
	v_cmp_le_i32_e64 s[2:3], s21, v2
	v_mov_b32_e32 v4, s22
	v_cndmask_b32_e64 v4, 0, v4, s[0:1]
	v_cndmask_b32_e64 v3, 0, v3, s[2:3]
	s_abs_i32 s5, s20
	v_add_u32_e32 v3, v3, v4
	v_cvt_f32_u32_e32 v4, s5
	v_sub_u32_e32 v52, v2, v3
	s_ashr_i32 s6, s18, 31
	s_lshr_b32 s6, s6, 24
	v_rcp_iflag_f32_e32 v3, v4
	s_sub_i32 s9, 0, s5
	s_add_i32 s6, s18, s6
	s_ashr_i32 s6, s6, 8
	v_mul_f32_e32 v3, 0x4f7ffffe, v3
	v_cvt_u32_f32_e32 v3, v3
	s_abs_i32 s8, s6
	s_xor_b32 s7, s6, s20
	s_ashr_i32 s7, s7, 31
	v_readfirstlane_b32 s10, v3
	s_mul_i32 s9, s9, s10
	s_mul_hi_u32 s9, s10, s9
	s_add_i32 s10, s10, s9
	s_mul_hi_u32 s9, s8, s10
	s_mul_i32 s10, s9, s5
	s_sub_i32 s8, s8, s10
	s_add_i32 s10, s9, 1
	s_sub_i32 s11, s8, s5
	s_cmp_ge_u32 s8, s5
	s_cselect_b32 s9, s10, s9
	s_cselect_b32 s8, s11, s8
	s_add_i32 s10, s9, 1
	s_cmp_ge_u32 s8, s5
	s_cselect_b32 s5, s10, s9
	s_xor_b32 s5, s5, s7
	s_sub_i32 s50, s5, s7
	s_add_i32 s20, s20, -1
	s_mul_i32 s5, s50, s20
	s_add_i32 s4, s4, s23
	s_sub_i32 s51, s6, s5
	v_cmp_gt_i32_e64 s[4:5], s4, v2
	v_lshlrev_b32_e32 v2, 1, v0
	v_lshlrev_b32_e32 v3, 4, v0
	v_and_b32_e32 v1, 60, v1
	v_and_b32_e32 v2, 64, v2
	;; [unrolled: 1-line block ×3, first 2 shown]
	v_or3_b32 v119, v1, v2, v4
	v_and_b32_e32 v1, 1, v0
	v_lshrrev_b32_e32 v4, 2, v0
	v_and_b32_e32 v32, 14, v0
	v_and_or_b32 v122, v4, 12, v1
	v_mad_u64_u32 v[34:35], s[6:7], s17, v122, v[32:33]
	s_lshl_b32 s6, s17, 4
	s_nop 0
	v_add_u32_e32 v4, s6, v34
	v_ashrrev_i32_e32 v5, 31, v4
	scratch_store_dwordx2 off, v[4:5], off  ; 8-byte Folded Spill
	v_add_u32_e32 v4, s6, v4
	s_abs_i32 s52, s33
	v_ashrrev_i32_e32 v5, 31, v4
	v_and_b32_e32 v42, 48, v3
	v_cvt_f32_u32_e32 v3, s52
	scratch_store_dwordx2 off, v[4:5], off offset:8 ; 8-byte Folded Spill
	v_add_u32_e32 v4, s6, v4
	v_lshlrev_b32_e32 v2, 1, v1
	v_ashrrev_i32_e32 v5, 31, v4
	v_sub_u32_e32 v2, v0, v2
	v_bitop3_b32 v120, v0, 1, v0 bitop3:0xc
	v_bitop3_b32 v121, v0, 3, 1 bitop3:0x6c
	scratch_store_dwordx2 off, v[4:5], off offset:16 ; 8-byte Folded Spill
	v_bfe_u32 v123, v0, 2, 4
	v_and_b32_e32 v1, 60, v0
	v_lshlrev_b32_e32 v4, 8, v0
	v_lshlrev_b32_e32 v0, 6, v0
	v_and_b32_e32 v4, 0x200, v4
	v_rcp_iflag_f32_e32 v3, v3
	v_and_b32_e32 v0, 64, v0
	s_abs_i32 s54, s48
	v_or3_b32 v124, v1, v4, v0
	v_cvt_f32_u32_e32 v1, s54
	v_mul_f32_e32 v0, 0x4f7ffffe, v3
	v_cvt_u32_f32_e32 v0, v0
	s_sub_i32 s6, 0, s52
	v_rcp_iflag_f32_e32 v1, v1
	v_add_u32_e32 v2, 1, v2
	v_readfirstlane_b32 s7, v0
	s_mul_i32 s6, s6, s7
	v_mul_f32_e32 v0, 0x4f7ffffe, v1
	v_cvt_u32_f32_e32 v0, v0
	s_mul_hi_u32 s6, s7, s6
	s_add_i32 s56, s7, s6
	s_sub_i32 s6, 0, s54
	v_readfirstlane_b32 s7, v0
	v_mbcnt_lo_u32_b32 v0, -1, 0
	v_and_b32_e32 v2, 63, v2
	s_mul_i32 s6, s6, s7
	v_mbcnt_hi_u32_b32 v0, -1, v0
	v_mul_lo_u32 v44, s19, v123
	s_mul_hi_u32 s6, s7, s6
	v_and_or_b32 v0, v0, 64, v2
	v_cndmask_b32_e64 v118, 0, 1, s[0:1]
	s_ashr_i32 s35, s17, 31
	s_mov_b32 s34, s17
	v_ashrrev_i32_e32 v35, 31, v34
	v_ashrrev_i32_e32 v45, 31, v44
	v_mov_b32_e32 v43, 0
	s_lshl_b32 s53, s19, 4
	s_ashr_i32 s55, s33, 31
	s_ashr_i32 s57, s48, 31
	s_add_i32 s58, s7, s6
	v_lshlrev_b32_e32 v125, 2, v0
	v_mov_b32_e32 v126, v52
	s_branch .LBB333_7
.LBB333_4:                              ;   in Loop: Header=BB333_7 Depth=1
	s_or_b64 exec, exec, s[10:11]
.LBB333_5:                              ;   in Loop: Header=BB333_7 Depth=1
	s_or_b64 exec, exec, s[8:9]
	v_subrev_u32_e32 v126, s36, v126
.LBB333_6:                              ;   in Loop: Header=BB333_7 Depth=1
	s_or_b64 exec, exec, s[6:7]
	s_add_i32 s49, s49, 1
	v_cmp_ge_i32_e32 vcc, s49, v33
	s_cbranch_vccnz .LBB333_60
.LBB333_7:                              ; =>This Loop Header: Depth=1
                                        ;     Child Loop BB333_13 Depth 2
                                        ;       Child Loop BB333_15 Depth 3
                                        ;       Child Loop BB333_18 Depth 3
	;; [unrolled: 1-line block ×6, first 2 shown]
                                        ;     Child Loop BB333_47 Depth 2
                                        ;       Child Loop BB333_49 Depth 3
                                        ;     Child Loop BB333_57 Depth 2
                                        ;       Child Loop BB333_59 Depth 3
	s_abs_i32 s7, s49
	s_mul_hi_u32 s8, s7, s56
	s_mul_i32 s9, s8, s52
	s_ashr_i32 s6, s49, 31
	s_sub_i32 s7, s7, s9
	s_xor_b32 s6, s6, s55
	s_add_i32 s9, s8, 1
	s_sub_i32 s10, s7, s52
	s_cmp_ge_u32 s7, s52
	s_cselect_b32 s8, s9, s8
	s_cselect_b32 s7, s10, s7
	s_add_i32 s9, s8, 1
	s_cmp_ge_u32 s7, s52
	s_cselect_b32 s7, s9, s8
	s_xor_b32 s7, s7, s6
	s_sub_i32 s6, s7, s6
	s_abs_i32 s8, s6
	s_mul_i32 s7, s6, s33
	s_mul_hi_u32 s9, s8, s58
	s_sub_i32 s7, s49, s7
	s_mul_i32 s10, s9, s54
	s_lshl_b32 s59, s7, 6
	s_ashr_i32 s7, s6, 31
	s_sub_i32 s8, s8, s10
	s_xor_b32 s7, s7, s57
	s_add_i32 s10, s9, 1
	s_sub_i32 s11, s8, s54
	s_cmp_ge_u32 s8, s54
	s_cselect_b32 s9, s10, s9
	s_cselect_b32 s8, s11, s8
	s_add_i32 s10, s9, 1
	s_cmp_ge_u32 s8, s54
	s_cselect_b32 s8, s10, s9
	s_xor_b32 s8, s8, s7
	s_sub_i32 s7, s8, s7
	s_mul_i32 s8, s7, s50
	s_lshl_b32 s60, s8, 8
	s_cmp_eq_u32 s7, s20
	s_cselect_b32 s62, s51, s50
	s_sub_i32 s8, s59, s16
	s_add_i32 s8, s8, 64
	s_max_i32 s61, s8, 0
	s_and_saveexec_b64 s[8:9], s[2:3]
	s_xor_b64 s[36:37], exec, s[8:9]
	s_cbranch_execz .LBB333_53
; %bb.8:                                ;   in Loop: Header=BB333_7 Depth=1
	s_mul_i32 s7, s7, s48
	s_sub_i32 s6, s6, s7
	s_lshl_b32 s6, s6, 5
	s_sub_i32 s14, s6, s17
	s_add_i32 s14, s14, 32
	s_max_i32 s7, s14, 0
	s_sub_i32 s38, s6, s7
	s_and_saveexec_b64 s[6:7], s[0:1]
	s_xor_b64 s[40:41], exec, s[6:7]
	s_cbranch_execz .LBB333_43
; %bb.9:                                ;   in Loop: Header=BB333_7 Depth=1
	s_and_saveexec_b64 s[42:43], s[4:5]
	s_cbranch_execz .LBB333_42
; %bb.10:                               ;   in Loop: Header=BB333_7 Depth=1
	s_waitcnt lgkmcnt(0)
	global_load_dword v127, v43, s[30:31]
	v_mov_b32_e32 v31, 0
	v_cmp_gt_i32_e32 vcc, s62, v126
	v_mov_b32_e32 v30, v31
	v_mov_b32_e32 v29, v31
	;; [unrolled: 1-line block ×31, first 2 shown]
	s_and_saveexec_b64 s[6:7], vcc
	s_cbranch_execz .LBB333_32
; %bb.11:                               ;   in Loop: Header=BB333_7 Depth=1
	v_mov_b32_e32 v0, 0
	s_mov_b64 s[8:9], 0
	v_mov_b32_e32 v1, v0
	v_mov_b32_e32 v2, v0
	;; [unrolled: 1-line block ×31, first 2 shown]
	s_branch .LBB333_13
.LBB333_12:                             ;   in Loop: Header=BB333_13 Depth=2
	s_or_b64 exec, exec, s[10:11]
	v_add_u32_e32 v56, 0x1000, v39
	ds_read2_b32 v[36:37], v56 offset1:32
	v_add_u32_e32 v58, 0x1400, v39
	v_add_u32_e32 v62, 0x1800, v39
	ds_read2_b32 v[60:61], v62 offset1:32
	ds_read2_b32 v[62:63], v62 offset0:128 offset1:160
	s_waitcnt lgkmcnt(2)
	v_mfma_f32_16x16x32_fp8_fp8 v[24:27], v[46:47], v[36:37], v[24:27]
	ds_read2_b32 v[46:47], v56 offset0:128 offset1:160
	ds_read2_b32 v[56:57], v58 offset1:32
	ds_read2_b32 v[58:59], v58 offset0:128 offset1:160
	v_mfma_f32_16x16x32_fp8_fp8 v[16:19], v[78:79], v[36:37], v[16:19]
	v_add_u32_e32 v39, 0x1c00, v39
	v_add_u32_e32 v126, s23, v126
	v_mfma_f32_16x16x32_fp8_fp8 v[8:11], v[94:95], v[36:37], v[8:11]
	v_mfma_f32_16x16x32_fp8_fp8 v[0:3], v[110:111], v[36:37], v[0:3]
	v_add_u32_e32 v36, 2, v118
	s_waitcnt lgkmcnt(2)
	v_mfma_f32_16x16x32_fp8_fp8 v[24:27], v[64:65], v[46:47], v[24:27]
	ds_read2_b32 v[64:65], v39 offset1:32
	v_mfma_f32_16x16x32_fp8_fp8 v[16:19], v[80:81], v[46:47], v[16:19]
	v_mfma_f32_16x16x32_fp8_fp8 v[8:11], v[96:97], v[46:47], v[8:11]
	;; [unrolled: 1-line block ×3, first 2 shown]
	s_waitcnt lgkmcnt(2)
	v_mfma_f32_16x16x32_fp8_fp8 v[24:27], v[70:71], v[56:57], v[24:27]
	v_mfma_f32_16x16x32_fp8_fp8 v[16:19], v[82:83], v[56:57], v[16:19]
	v_mfma_f32_16x16x32_fp8_fp8 v[8:11], v[98:99], v[56:57], v[8:11]
	v_mfma_f32_16x16x32_fp8_fp8 v[0:3], v[114:115], v[56:57], v[0:3]
	s_waitcnt lgkmcnt(1)
	v_mfma_f32_16x16x32_fp8_fp8 v[24:27], v[66:67], v[58:59], v[24:27]
	ds_read2_b32 v[66:67], v39 offset0:128 offset1:160
	;;#ASMSTART
	s_waitcnt lgkmcnt(0)
	;;#ASMEND
	ds_write_b32 v41, v38 offset:24596
	v_mfma_f32_16x16x32_fp8_fp8 v[16:19], v[84:85], v[58:59], v[16:19]
	v_mfma_f32_16x16x32_fp8_fp8 v[8:11], v[100:101], v[58:59], v[8:11]
	v_mfma_f32_16x16x32_fp8_fp8 v[0:3], v[116:117], v[58:59], v[0:3]
	v_mfma_f32_16x16x32_fp8_fp8 v[24:27], v[72:73], v[60:61], v[24:27]
	v_mfma_f32_16x16x32_fp8_fp8 v[16:19], v[86:87], v[60:61], v[16:19]
	v_mfma_f32_16x16x32_fp8_fp8 v[8:11], v[102:103], v[60:61], v[8:11]
	v_mfma_f32_16x16x32_fp8_fp8 v[0:3], v[52:53], v[60:61], v[0:3]
	v_add_u32_e32 v52, s23, v40
	v_cmp_lt_i32_e32 vcc, 0, v52
	v_mfma_f32_16x16x32_fp8_fp8 v[24:27], v[68:69], v[62:63], v[24:27]
	s_nop 0
	v_cndmask_b32_e32 v118, v118, v36, vcc
	v_cmp_le_i32_e32 vcc, s62, v126
	s_or_b64 s[8:9], vcc, s[8:9]
	v_mfma_f32_16x16x32_fp8_fp8 v[16:19], v[88:89], v[62:63], v[16:19]
	v_mfma_f32_16x16x32_fp8_fp8 v[8:11], v[104:105], v[62:63], v[8:11]
	;; [unrolled: 1-line block ×3, first 2 shown]
	s_waitcnt lgkmcnt(2)
	v_mfma_f32_16x16x32_fp8_fp8 v[24:27], v[74:75], v[64:65], v[24:27]
	v_mfma_f32_16x16x32_fp8_fp8 v[16:19], v[90:91], v[64:65], v[16:19]
	;; [unrolled: 1-line block ×4, first 2 shown]
	s_waitcnt lgkmcnt(1)
	v_mfma_f32_16x16x32_fp8_fp8 v[24:27], v[76:77], v[66:67], v[24:27]
	v_mfma_f32_16x16x32_fp8_fp8 v[16:19], v[92:93], v[66:67], v[16:19]
	;; [unrolled: 1-line block ×4, first 2 shown]
	s_andn2_b64 exec, exec, s[8:9]
	s_cbranch_execz .LBB333_31
.LBB333_13:                             ;   Parent Loop BB333_7 Depth=1
                                        ; =>  This Loop Header: Depth=2
                                        ;       Child Loop BB333_15 Depth 3
                                        ;       Child Loop BB333_18 Depth 3
	;; [unrolled: 1-line block ×6, first 2 shown]
	v_cmp_lt_i32_e32 vcc, 0, v52
	s_nop 1
	v_subbrev_co_u32_e32 v40, vcc, 0, v52, vcc
	v_lshlrev_b32_e32 v41, 3, v40
	ds_read_b32 v36, v41 offset:24592
	s_waitcnt lgkmcnt(0)
	v_cmp_ne_u32_e32 vcc, v36, v118
	s_and_saveexec_b64 s[10:11], vcc
	s_cbranch_execz .LBB333_16
; %bb.14:                               ;   in Loop: Header=BB333_13 Depth=2
	s_mov_b64 s[12:13], 0
.LBB333_15:                             ;   Parent Loop BB333_7 Depth=1
                                        ;     Parent Loop BB333_13 Depth=2
                                        ; =>    This Inner Loop Header: Depth=3
	;;#ASMSTART
	s_sleep 0
	;;#ASMEND
	ds_read_b32 v36, v41 offset:24592
	s_waitcnt lgkmcnt(0)
	v_cmp_eq_u32_e32 vcc, v36, v118
	s_or_b64 s[12:13], vcc, s[12:13]
	s_andn2_b64 exec, exec, s[12:13]
	s_cbranch_execnz .LBB333_15
.LBB333_16:                             ;   in Loop: Header=BB333_13 Depth=2
	s_or_b64 exec, exec, s[10:11]
	v_lshlrev_b32_e32 v36, 13, v40
	v_or_b32_e32 v37, 0x4000, v119
	v_add_u32_e32 v39, v37, v36
	v_add_u32_e32 v36, 0x400, v39
	ds_read2_b32 v[48:49], v39 offset1:32
	ds_read2_b32 v[50:51], v39 offset0:128 offset1:160
	ds_read2_b32 v[52:53], v36 offset1:32
	ds_read2_b32 v[54:55], v36 offset0:128 offset1:160
	v_add_u32_e32 v36, 0x800, v39
	ds_read2_b32 v[56:57], v36 offset1:32
	ds_read2_b32 v[58:59], v36 offset0:128 offset1:160
	v_add_u32_e32 v36, 0xc00, v39
	v_add_u32_e32 v38, 1, v118
	ds_read2_b32 v[62:63], v36 offset1:32
	ds_read2_b32 v[60:61], v36 offset0:128 offset1:160
	;;#ASMSTART
	s_waitcnt lgkmcnt(0)
	;;#ASMEND
	ds_write_b32 v41, v38 offset:24592
	v_lshlrev_b32_e32 v36, 4, v40
	ds_read_b32 v37, v36 offset:24576
	s_waitcnt lgkmcnt(0)
	v_cmp_ne_u32_e32 vcc, v37, v118
	s_and_saveexec_b64 s[10:11], vcc
	s_cbranch_execz .LBB333_19
; %bb.17:                               ;   in Loop: Header=BB333_13 Depth=2
	s_mov_b64 s[12:13], 0
.LBB333_18:                             ;   Parent Loop BB333_7 Depth=1
                                        ;     Parent Loop BB333_13 Depth=2
                                        ; =>    This Inner Loop Header: Depth=3
	;;#ASMSTART
	s_sleep 0
	;;#ASMEND
	ds_read_b32 v37, v36 offset:24576
	s_waitcnt lgkmcnt(0)
	v_cmp_eq_u32_e32 vcc, v37, v118
	s_or_b64 s[12:13], vcc, s[12:13]
	s_andn2_b64 exec, exec, s[12:13]
	s_cbranch_execnz .LBB333_18
.LBB333_19:                             ;   in Loop: Header=BB333_13 Depth=2
	s_or_b64 exec, exec, s[10:11]
	v_lshl_or_b32 v37, v40, 14, v119
	ds_read2_b32 v[46:47], v37 offset1:32
	ds_read2_b32 v[64:65], v37 offset0:128 offset1:160
	v_add_u32_e32 v66, 0x400, v37
	ds_read2_b32 v[70:71], v66 offset1:32
	ds_read2_b32 v[66:67], v66 offset0:128 offset1:160
	v_add_u32_e32 v68, 0x800, v37
	;; [unrolled: 3-line block ×3, first 2 shown]
	s_waitcnt lgkmcnt(5)
	v_mfma_f32_16x16x32_fp8_fp8 v[28:31], v[46:47], v[48:49], v[28:31]
	ds_read2_b32 v[74:75], v76 offset1:32
	ds_read2_b32 v[76:77], v76 offset0:128 offset1:160
	ds_read_b32 v78, v36 offset:24580
	ds_write_b32 v36, v38 offset:24576
	s_waitcnt lgkmcnt(8)
	v_mfma_f32_16x16x32_fp8_fp8 v[28:31], v[64:65], v[50:51], v[28:31]
	s_waitcnt lgkmcnt(1)
	v_cmp_ne_u32_e32 vcc, v78, v118
	v_mfma_f32_16x16x32_fp8_fp8 v[28:31], v[70:71], v[52:53], v[28:31]
	v_mfma_f32_16x16x32_fp8_fp8 v[28:31], v[66:67], v[54:55], v[28:31]
	;; [unrolled: 1-line block ×6, first 2 shown]
	s_and_saveexec_b64 s[10:11], vcc
	s_cbranch_execz .LBB333_22
; %bb.20:                               ;   in Loop: Header=BB333_13 Depth=2
	s_mov_b64 s[12:13], 0
.LBB333_21:                             ;   Parent Loop BB333_7 Depth=1
                                        ;     Parent Loop BB333_13 Depth=2
                                        ; =>    This Inner Loop Header: Depth=3
	;;#ASMSTART
	s_sleep 0
	;;#ASMEND
	ds_read_b32 v78, v36 offset:24580
	s_waitcnt lgkmcnt(0)
	v_cmp_eq_u32_e32 vcc, v78, v118
	s_or_b64 s[12:13], vcc, s[12:13]
	s_andn2_b64 exec, exec, s[12:13]
	s_cbranch_execnz .LBB333_21
.LBB333_22:                             ;   in Loop: Header=BB333_13 Depth=2
	s_or_b64 exec, exec, s[10:11]
	v_add_u32_e32 v80, 0x1000, v37
	ds_read2_b32 v[78:79], v80 offset1:32
	ds_read2_b32 v[80:81], v80 offset0:128 offset1:160
	v_add_u32_e32 v84, 0x1400, v37
	ds_read2_b32 v[82:83], v84 offset1:32
	ds_read2_b32 v[84:85], v84 offset0:128 offset1:160
	;; [unrolled: 3-line block ×3, first 2 shown]
	v_add_u32_e32 v92, 0x1c00, v37
	s_waitcnt lgkmcnt(5)
	v_mfma_f32_16x16x32_fp8_fp8 v[20:23], v[78:79], v[48:49], v[20:23]
	ds_read2_b32 v[90:91], v92 offset1:32
	ds_read2_b32 v[92:93], v92 offset0:128 offset1:160
	ds_read_b32 v94, v36 offset:24584
	ds_write_b32 v36, v38 offset:24580
	s_waitcnt lgkmcnt(8)
	v_mfma_f32_16x16x32_fp8_fp8 v[20:23], v[80:81], v[50:51], v[20:23]
	s_waitcnt lgkmcnt(1)
	v_cmp_ne_u32_e32 vcc, v94, v118
	v_mfma_f32_16x16x32_fp8_fp8 v[20:23], v[82:83], v[52:53], v[20:23]
	v_mfma_f32_16x16x32_fp8_fp8 v[20:23], v[84:85], v[54:55], v[20:23]
	v_mfma_f32_16x16x32_fp8_fp8 v[20:23], v[86:87], v[56:57], v[20:23]
	v_mfma_f32_16x16x32_fp8_fp8 v[20:23], v[88:89], v[58:59], v[20:23]
	v_mfma_f32_16x16x32_fp8_fp8 v[20:23], v[90:91], v[62:63], v[20:23]
	v_mfma_f32_16x16x32_fp8_fp8 v[20:23], v[92:93], v[60:61], v[20:23]
	s_and_saveexec_b64 s[10:11], vcc
	s_cbranch_execz .LBB333_25
; %bb.23:                               ;   in Loop: Header=BB333_13 Depth=2
	s_mov_b64 s[12:13], 0
.LBB333_24:                             ;   Parent Loop BB333_7 Depth=1
                                        ;     Parent Loop BB333_13 Depth=2
                                        ; =>    This Inner Loop Header: Depth=3
	;;#ASMSTART
	s_sleep 0
	;;#ASMEND
	ds_read_b32 v94, v36 offset:24584
	s_waitcnt lgkmcnt(0)
	v_cmp_eq_u32_e32 vcc, v94, v118
	s_or_b64 s[12:13], vcc, s[12:13]
	s_andn2_b64 exec, exec, s[12:13]
	s_cbranch_execnz .LBB333_24
.LBB333_25:                             ;   in Loop: Header=BB333_13 Depth=2
	s_or_b64 exec, exec, s[10:11]
	v_add_u32_e32 v96, 0x2000, v37
	ds_read2_b32 v[94:95], v96 offset1:32
	ds_read2_b32 v[96:97], v96 offset0:128 offset1:160
	v_add_u32_e32 v100, 0x2400, v37
	ds_read2_b32 v[98:99], v100 offset1:32
	ds_read2_b32 v[100:101], v100 offset0:128 offset1:160
	v_add_u32_e32 v104, 0x2800, v37
	s_waitcnt lgkmcnt(3)
	v_mfma_f32_16x16x32_fp8_fp8 v[12:15], v[94:95], v[48:49], v[12:15]
	ds_read2_b32 v[102:103], v104 offset1:32
	ds_read2_b32 v[104:105], v104 offset0:128 offset1:160
	v_add_u32_e32 v108, 0x2c00, v37
	ds_read2_b32 v[106:107], v108 offset1:32
	ds_read2_b32 v[108:109], v108 offset0:128 offset1:160
	s_waitcnt lgkmcnt(6)
	v_mfma_f32_16x16x32_fp8_fp8 v[12:15], v[96:97], v[50:51], v[12:15]
	ds_read_b32 v110, v36 offset:24588
	ds_write_b32 v36, v38 offset:24584
	s_waitcnt lgkmcnt(1)
	v_cmp_ne_u32_e32 vcc, v110, v118
	v_mfma_f32_16x16x32_fp8_fp8 v[12:15], v[98:99], v[52:53], v[12:15]
	v_mfma_f32_16x16x32_fp8_fp8 v[12:15], v[100:101], v[54:55], v[12:15]
	;; [unrolled: 1-line block ×6, first 2 shown]
	s_and_saveexec_b64 s[10:11], vcc
	s_cbranch_execz .LBB333_28
; %bb.26:                               ;   in Loop: Header=BB333_13 Depth=2
	s_mov_b64 s[12:13], 0
.LBB333_27:                             ;   Parent Loop BB333_7 Depth=1
                                        ;     Parent Loop BB333_13 Depth=2
                                        ; =>    This Inner Loop Header: Depth=3
	;;#ASMSTART
	s_sleep 0
	;;#ASMEND
	ds_read_b32 v110, v36 offset:24588
	s_waitcnt lgkmcnt(0)
	v_cmp_eq_u32_e32 vcc, v110, v118
	s_or_b64 s[12:13], vcc, s[12:13]
	s_andn2_b64 exec, exec, s[12:13]
	s_cbranch_execnz .LBB333_27
.LBB333_28:                             ;   in Loop: Header=BB333_13 Depth=2
	s_or_b64 exec, exec, s[10:11]
	v_add_u32_e32 v112, 0x3000, v37
	ds_read2_b32 v[110:111], v112 offset1:32
	ds_read2_b32 v[112:113], v112 offset0:128 offset1:160
	v_add_u32_e32 v116, 0x3400, v37
	ds_read2_b32 v[114:115], v116 offset1:32
	ds_read2_b32 v[116:117], v116 offset0:128 offset1:160
	s_waitcnt lgkmcnt(3)
	v_mfma_f32_16x16x32_fp8_fp8 v[4:7], v[110:111], v[48:49], v[4:7]
	v_add_u32_e32 v48, 0x3800, v37
	v_add_u32_e32 v37, 0x3c00, v37
	ds_write_b32 v36, v38 offset:24588
	s_waitcnt lgkmcnt(3)
	v_mfma_f32_16x16x32_fp8_fp8 v[4:7], v[112:113], v[50:51], v[4:7]
	ds_read2_b32 v[50:51], v37 offset1:32
	ds_read_b32 v36, v41 offset:24596
	s_waitcnt lgkmcnt(0)
	v_cmp_ne_u32_e32 vcc, v36, v118
	v_mfma_f32_16x16x32_fp8_fp8 v[4:7], v[114:115], v[52:53], v[4:7]
	ds_read2_b32 v[52:53], v48 offset1:32
	v_mfma_f32_16x16x32_fp8_fp8 v[4:7], v[116:117], v[54:55], v[4:7]
	ds_read2_b32 v[54:55], v48 offset0:128 offset1:160
	ds_read2_b32 v[48:49], v37 offset0:128 offset1:160
	s_waitcnt lgkmcnt(2)
	v_mfma_f32_16x16x32_fp8_fp8 v[4:7], v[52:53], v[56:57], v[4:7]
	s_waitcnt lgkmcnt(1)
	v_mfma_f32_16x16x32_fp8_fp8 v[4:7], v[54:55], v[58:59], v[4:7]
	v_mfma_f32_16x16x32_fp8_fp8 v[4:7], v[50:51], v[62:63], v[4:7]
	s_waitcnt lgkmcnt(0)
	v_mfma_f32_16x16x32_fp8_fp8 v[4:7], v[48:49], v[60:61], v[4:7]
	s_and_saveexec_b64 s[10:11], vcc
	s_cbranch_execz .LBB333_12
; %bb.29:                               ;   in Loop: Header=BB333_13 Depth=2
	s_mov_b64 s[12:13], 0
.LBB333_30:                             ;   Parent Loop BB333_7 Depth=1
                                        ;     Parent Loop BB333_13 Depth=2
                                        ; =>    This Inner Loop Header: Depth=3
	;;#ASMSTART
	s_sleep 0
	;;#ASMEND
	ds_read_b32 v36, v41 offset:24596
	s_waitcnt lgkmcnt(0)
	v_cmp_eq_u32_e32 vcc, v36, v118
	s_or_b64 s[12:13], vcc, s[12:13]
	s_andn2_b64 exec, exec, s[12:13]
	s_cbranch_execnz .LBB333_30
	s_branch .LBB333_12
.LBB333_31:                             ;   in Loop: Header=BB333_7 Depth=1
	s_or_b64 exec, exec, s[8:9]
.LBB333_32:                             ;   in Loop: Header=BB333_7 Depth=1
	s_or_b64 exec, exec, s[6:7]
	v_cmp_le_i32_e32 vcc, s14, v32
	v_cmp_eq_u32_e64 s[6:7], 2, v120
	v_cmp_eq_u32_e64 s[8:9], 3, v120
	s_waitcnt vmcnt(0)
	v_cndmask_b32_e32 v46, 0, v127, vcc
	v_pk_mul_f32 v[28:29], v[46:47], v[28:29] op_sel_hi:[0,1]
	v_cmp_eq_u32_e32 vcc, 1, v120
	v_pk_mul_f32 v[36:37], v[46:47], v[30:31] op_sel_hi:[0,1]
	v_cmp_eq_u32_e64 s[10:11], 0, v120
	v_cndmask_b32_e32 v30, v28, v29, vcc
	v_cndmask_b32_e64 v30, v30, v36, s[6:7]
	v_cndmask_b32_e64 v30, v30, v37, s[8:9]
	ds_bpermute_b32 v38, v125, v30
	v_cmp_eq_u32_e64 s[12:13], 1, v121
	v_add_u32_e32 v39, s61, v122
	s_waitcnt lgkmcnt(0)
	v_cndmask_b32_e64 v30, v37, v38, s[8:9]
	v_cndmask_b32_e64 v31, v36, v38, s[6:7]
	v_cndmask_b32_e32 v29, v29, v38, vcc
	v_cndmask_b32_e64 v38, v28, v38, s[10:11]
	v_or_b32_e32 v28, 16, v32
	v_cmp_le_i32_e64 s[14:15], s14, v28
	v_cndmask_b32_e64 v36, v38, v29, s[12:13]
	s_nop 0
	v_cndmask_b32_e64 v28, 0, v127, s[14:15]
	v_pk_mul_f32 v[48:49], v[28:29], v[24:25] op_sel_hi:[0,1]
	v_pk_mul_f32 v[40:41], v[28:29], v[26:27] op_sel_hi:[0,1]
	v_cndmask_b32_e32 v24, v48, v49, vcc
	v_cndmask_b32_e64 v24, v24, v40, s[6:7]
	v_cndmask_b32_e64 v24, v24, v41, s[8:9]
	ds_bpermute_b32 v25, v125, v24
	v_cmp_eq_u32_e32 vcc, 2, v121
	v_cmp_eq_u32_e64 s[14:15], 3, v121
	s_waitcnt lgkmcnt(0)
	v_cndmask_b32_e64 v27, v40, v25, s[6:7]
	v_cndmask_b32_e32 v24, v36, v31, vcc
	v_cndmask_b32_e64 v24, v24, v30, s[14:15]
	v_cmp_ne_u32_e64 s[6:7], 0, v120
	ds_bpermute_b32 v36, v125, v24
	v_cndmask_b32_e64 v26, v41, v25, s[8:9]
	v_cndmask_b32_e64 v24, v49, v25, s[6:7]
	;; [unrolled: 1-line block ×4, first 2 shown]
	v_cndmask_b32_e32 v37, v37, v27, vcc
	v_cndmask_b32_e64 v37, v37, v26, s[14:15]
	ds_bpermute_b32 v37, v125, v37
	v_cmp_gt_u32_e32 vcc, 64, v39
	s_and_saveexec_b64 s[44:45], vcc
	s_cbranch_execz .LBB333_41
; %bb.33:                               ;   in Loop: Header=BB333_7 Depth=1
	v_cmp_eq_u32_e64 s[8:9], 1, v121
	v_cmp_eq_u32_e64 s[10:11], 0, v121
	v_cmp_eq_u32_e32 vcc, 3, v121
	s_waitcnt lgkmcnt(1)
	v_cndmask_b32_e64 v29, v29, v36, s[8:9]
	s_waitcnt lgkmcnt(0)
	v_cndmask_b32_e64 v40, v24, v37, s[8:9]
	s_mul_i32 s8, s59, s17
	s_ashr_i32 s9, s8, 31
	s_lshl_b64 s[8:9], s[8:9], 1
	v_cndmask_b32_e64 v38, v38, v36, s[10:11]
	v_cndmask_b32_e64 v41, v25, v37, s[10:11]
	s_add_u32 s10, s28, s8
	s_addc_u32 s11, s29, s9
	s_ashr_i32 s39, s38, 31
	v_cvt_f16_f32_e32 v38, v38
	v_cvt_f16_f32_sdwa v29, v29 dst_sel:WORD_1 dst_unused:UNUSED_PAD src0_sel:DWORD
	s_lshl_b64 s[8:9], s[38:39], 1
	v_cvt_f16_f32_e32 v47, v41
	v_cvt_f16_f32_sdwa v48, v40 dst_sel:WORD_1 dst_unused:UNUSED_PAD src0_sel:DWORD
	s_add_u32 s46, s10, s8
	s_addc_u32 s47, s11, s9
	v_cmp_eq_u32_e64 s[6:7], 2, v121
	v_lshl_add_u64 v[24:25], v[34:35], 1, s[46:47]
	v_or_b32_e32 v29, v29, v38
	v_cmp_gt_u32_e64 s[8:9], 62, v39
	;;#ASMSTART
	global_atomic_pk_add_f16 v[24:25], v29, off
	
	;;#ASMEND
	v_lshl_add_u64 v[40:41], v[24:25], 0, 32
	v_or_b32_e32 v29, v48, v47
	;;#ASMSTART
	global_atomic_pk_add_f16 v[40:41], v29, off
	
	;;#ASMEND
	s_and_b64 exec, exec, s[8:9]
	s_cbranch_execz .LBB333_41
; %bb.34:                               ;   in Loop: Header=BB333_7 Depth=1
	v_mov_b32_e32 v47, v46
	v_cndmask_b32_e32 v30, v30, v36, vcc
	v_cndmask_b32_e64 v31, v31, v36, s[6:7]
	v_cndmask_b32_e32 v36, v26, v37, vcc
	v_cndmask_b32_e64 v37, v27, v37, s[6:7]
	v_mov_b32_e32 v26, v46
	v_mov_b32_e32 v27, v46
	v_pk_mul_f32 v[22:23], v[26:27], v[22:23]
	v_pk_mul_f32 v[26:27], v[46:47], v[20:21]
	v_cmp_eq_u32_e32 vcc, 1, v120
	v_cmp_eq_u32_e64 s[6:7], 2, v120
	v_cmp_eq_u32_e64 s[8:9], 3, v120
	v_cndmask_b32_e32 v20, v26, v27, vcc
	v_cndmask_b32_e64 v20, v20, v22, s[6:7]
	v_cndmask_b32_e64 v20, v20, v23, s[8:9]
	v_cvt_f16_f32_e32 v31, v31
	v_cvt_f16_f32_sdwa v30, v30 dst_sel:WORD_1 dst_unused:UNUSED_PAD src0_sel:DWORD
	ds_bpermute_b32 v38, v125, v20
	v_mov_b32_e32 v29, v28
	v_lshl_add_u64 v[24:25], s[34:35], 2, v[24:25]
	v_or_b32_e32 v30, v30, v31
	v_cmp_eq_u32_e64 s[10:11], 0, v120
	;;#ASMSTART
	global_atomic_pk_add_f16 v[24:25], v30, off
	
	;;#ASMEND
	v_cvt_f16_f32_e32 v39, v37
	v_cvt_f16_f32_sdwa v40, v36 dst_sel:WORD_1 dst_unused:UNUSED_PAD src0_sel:DWORD
	v_lshl_add_u64 v[30:31], v[24:25], 0, 32
	s_waitcnt lgkmcnt(0)
	v_cndmask_b32_e64 v20, v23, v38, s[8:9]
	v_cndmask_b32_e32 v23, v27, v38, vcc
	v_cndmask_b32_e64 v24, v26, v38, s[10:11]
	v_mov_b32_e32 v26, v28
	v_mov_b32_e32 v27, v28
	v_pk_mul_f32 v[36:37], v[28:29], v[16:17]
	v_pk_mul_f32 v[26:27], v[26:27], v[18:19]
	v_cndmask_b32_e32 v16, v36, v37, vcc
	v_cndmask_b32_e64 v16, v16, v26, s[6:7]
	v_cndmask_b32_e64 v16, v16, v27, s[8:9]
	ds_bpermute_b32 v17, v125, v16
	v_cmp_eq_u32_e64 s[12:13], 1, v121
	v_cndmask_b32_e64 v21, v22, v38, s[6:7]
	v_cmp_eq_u32_e32 vcc, 2, v121
	v_cndmask_b32_e64 v22, v24, v23, s[12:13]
	v_cmp_eq_u32_e64 s[14:15], 3, v121
	v_cndmask_b32_e32 v16, v22, v21, vcc
	s_waitcnt lgkmcnt(0)
	v_cndmask_b32_e64 v19, v26, v17, s[6:7]
	v_cndmask_b32_e64 v16, v16, v20, s[14:15]
	v_cmp_ne_u32_e64 s[6:7], 0, v120
	ds_bpermute_b32 v22, v125, v16
	v_cndmask_b32_e64 v18, v27, v17, s[8:9]
	v_cndmask_b32_e64 v16, v37, v17, s[6:7]
	;; [unrolled: 1-line block ×4, first 2 shown]
	v_cndmask_b32_e32 v25, v25, v19, vcc
	v_cndmask_b32_e64 v25, v25, v18, s[14:15]
	ds_bpermute_b32 v25, v125, v25
	v_or_b32_e32 v26, v40, v39
	;;#ASMSTART
	global_atomic_pk_add_f16 v[30:31], v26, off
	
	;;#ASMEND
	v_or_b32_e32 v26, 16, v122
	v_add_u32_e32 v26, s61, v26
	v_cmp_gt_u32_e32 vcc, 64, v26
	s_and_b64 exec, exec, vcc
	s_cbranch_execz .LBB333_41
; %bb.35:                               ;   in Loop: Header=BB333_7 Depth=1
	v_cmp_eq_u32_e64 s[8:9], 1, v121
	v_cmp_eq_u32_e64 s[10:11], 0, v121
	v_cmp_eq_u32_e32 vcc, 3, v121
	s_waitcnt lgkmcnt(0)
	v_cndmask_b32_e64 v27, v16, v25, s[8:9]
	v_cndmask_b32_e64 v30, v17, v25, s[10:11]
	scratch_load_dwordx2 v[16:17], off, off ; 8-byte Folded Reload
	v_cndmask_b32_e64 v23, v23, v22, s[8:9]
	v_cndmask_b32_e64 v24, v24, v22, s[10:11]
	v_cvt_f16_f32_e32 v24, v24
	v_cvt_f16_f32_sdwa v23, v23 dst_sel:WORD_1 dst_unused:UNUSED_PAD src0_sel:DWORD
	v_cvt_f16_f32_e32 v36, v30
	v_cvt_f16_f32_sdwa v27, v27 dst_sel:WORD_1 dst_unused:UNUSED_PAD src0_sel:DWORD
	v_cmp_eq_u32_e64 s[6:7], 2, v121
	v_or_b32_e32 v23, v23, v24
	v_cmp_gt_u32_e64 s[8:9], 62, v26
	s_waitcnt vmcnt(0)
	v_lshl_add_u64 v[16:17], v[16:17], 1, s[46:47]
	;;#ASMSTART
	global_atomic_pk_add_f16 v[16:17], v23, off
	
	;;#ASMEND
	v_lshl_add_u64 v[30:31], v[16:17], 0, 32
	v_or_b32_e32 v23, v27, v36
	;;#ASMSTART
	global_atomic_pk_add_f16 v[30:31], v23, off
	
	;;#ASMEND
	s_and_b64 exec, exec, s[8:9]
	s_cbranch_execz .LBB333_41
; %bb.36:                               ;   in Loop: Header=BB333_7 Depth=1
	v_cndmask_b32_e32 v20, v20, v22, vcc
	v_cndmask_b32_e64 v21, v21, v22, s[6:7]
	v_cndmask_b32_e32 v22, v18, v25, vcc
	v_cndmask_b32_e64 v23, v19, v25, s[6:7]
	v_mov_b32_e32 v18, v46
	v_mov_b32_e32 v19, v46
	v_pk_mul_f32 v[14:15], v[18:19], v[14:15]
	v_pk_mul_f32 v[18:19], v[46:47], v[12:13]
	v_cmp_eq_u32_e32 vcc, 1, v120
	v_cmp_eq_u32_e64 s[6:7], 2, v120
	v_cmp_eq_u32_e64 s[8:9], 3, v120
	v_cndmask_b32_e32 v12, v18, v19, vcc
	v_cndmask_b32_e64 v12, v12, v14, s[6:7]
	v_cndmask_b32_e64 v12, v12, v15, s[8:9]
	v_cvt_f16_f32_e32 v21, v21
	v_cvt_f16_f32_sdwa v20, v20 dst_sel:WORD_1 dst_unused:UNUSED_PAD src0_sel:DWORD
	ds_bpermute_b32 v24, v125, v12
	v_lshl_add_u64 v[16:17], s[34:35], 2, v[16:17]
	v_cmp_eq_u32_e64 s[10:11], 0, v120
	v_or_b32_e32 v20, v20, v21
	;;#ASMSTART
	global_atomic_pk_add_f16 v[16:17], v20, off
	
	;;#ASMEND
	v_cvt_f16_f32_e32 v25, v23
	v_cvt_f16_f32_sdwa v26, v22 dst_sel:WORD_1 dst_unused:UNUSED_PAD src0_sel:DWORD
	v_lshl_add_u64 v[20:21], v[16:17], 0, 32
	s_waitcnt lgkmcnt(0)
	v_cndmask_b32_e64 v12, v15, v24, s[8:9]
	v_cndmask_b32_e32 v15, v19, v24, vcc
	v_cndmask_b32_e64 v16, v18, v24, s[10:11]
	v_mov_b32_e32 v18, v28
	v_mov_b32_e32 v19, v28
	v_pk_mul_f32 v[22:23], v[28:29], v[8:9]
	v_pk_mul_f32 v[18:19], v[18:19], v[10:11]
	v_cndmask_b32_e32 v8, v22, v23, vcc
	v_cndmask_b32_e64 v8, v8, v18, s[6:7]
	v_cndmask_b32_e64 v8, v8, v19, s[8:9]
	ds_bpermute_b32 v9, v125, v8
	v_cmp_eq_u32_e64 s[12:13], 1, v121
	v_cndmask_b32_e64 v13, v14, v24, s[6:7]
	v_cmp_eq_u32_e32 vcc, 2, v121
	v_cndmask_b32_e64 v14, v16, v15, s[12:13]
	v_cmp_eq_u32_e64 s[14:15], 3, v121
	v_cndmask_b32_e32 v8, v14, v13, vcc
	s_waitcnt lgkmcnt(0)
	v_cndmask_b32_e64 v11, v18, v9, s[6:7]
	v_cndmask_b32_e64 v8, v8, v12, s[14:15]
	v_cmp_ne_u32_e64 s[6:7], 0, v120
	ds_bpermute_b32 v14, v125, v8
	v_cndmask_b32_e64 v10, v19, v9, s[8:9]
	v_cndmask_b32_e64 v8, v23, v9, s[6:7]
	;; [unrolled: 1-line block ×4, first 2 shown]
	v_cndmask_b32_e32 v17, v17, v11, vcc
	v_cndmask_b32_e64 v17, v17, v10, s[14:15]
	ds_bpermute_b32 v17, v125, v17
	v_or_b32_e32 v18, v26, v25
	;;#ASMSTART
	global_atomic_pk_add_f16 v[20:21], v18, off
	
	;;#ASMEND
	v_or_b32_e32 v18, 32, v122
	v_add_u32_e32 v18, s61, v18
	v_cmp_gt_u32_e32 vcc, 64, v18
	s_and_b64 exec, exec, vcc
	s_cbranch_execz .LBB333_41
; %bb.37:                               ;   in Loop: Header=BB333_7 Depth=1
	v_cmp_eq_u32_e64 s[8:9], 1, v121
	v_cmp_eq_u32_e64 s[10:11], 0, v121
	v_cmp_eq_u32_e32 vcc, 3, v121
	s_waitcnt lgkmcnt(0)
	v_cndmask_b32_e64 v19, v8, v17, s[8:9]
	v_cndmask_b32_e64 v20, v9, v17, s[10:11]
	scratch_load_dwordx2 v[8:9], off, off offset:8 ; 8-byte Folded Reload
	v_cndmask_b32_e64 v15, v15, v14, s[8:9]
	v_cndmask_b32_e64 v16, v16, v14, s[10:11]
	v_cvt_f16_f32_e32 v16, v16
	v_cvt_f16_f32_sdwa v15, v15 dst_sel:WORD_1 dst_unused:UNUSED_PAD src0_sel:DWORD
	v_cvt_f16_f32_e32 v22, v20
	v_cvt_f16_f32_sdwa v19, v19 dst_sel:WORD_1 dst_unused:UNUSED_PAD src0_sel:DWORD
	v_cmp_eq_u32_e64 s[6:7], 2, v121
	v_or_b32_e32 v15, v15, v16
	v_cmp_gt_u32_e64 s[8:9], 62, v18
	s_waitcnt vmcnt(0)
	v_lshl_add_u64 v[8:9], v[8:9], 1, s[46:47]
	;;#ASMSTART
	global_atomic_pk_add_f16 v[8:9], v15, off
	
	;;#ASMEND
	v_lshl_add_u64 v[20:21], v[8:9], 0, 32
	v_or_b32_e32 v15, v19, v22
	;;#ASMSTART
	global_atomic_pk_add_f16 v[20:21], v15, off
	
	;;#ASMEND
	s_and_b64 exec, exec, s[8:9]
	s_cbranch_execz .LBB333_41
; %bb.38:                               ;   in Loop: Header=BB333_7 Depth=1
	v_cndmask_b32_e32 v12, v12, v14, vcc
	v_cndmask_b32_e64 v13, v13, v14, s[6:7]
	v_cndmask_b32_e32 v14, v10, v17, vcc
	v_cndmask_b32_e64 v15, v11, v17, s[6:7]
	v_mov_b32_e32 v10, v46
	v_mov_b32_e32 v11, v46
	v_pk_mul_f32 v[6:7], v[10:11], v[6:7]
	v_pk_mul_f32 v[10:11], v[46:47], v[4:5]
	v_cmp_eq_u32_e32 vcc, 1, v120
	v_cmp_eq_u32_e64 s[6:7], 2, v120
	v_cmp_eq_u32_e64 s[8:9], 3, v120
	v_cndmask_b32_e32 v4, v10, v11, vcc
	v_cndmask_b32_e64 v4, v4, v6, s[6:7]
	v_cndmask_b32_e64 v4, v4, v7, s[8:9]
	v_cvt_f16_f32_e32 v13, v13
	v_cvt_f16_f32_sdwa v12, v12 dst_sel:WORD_1 dst_unused:UNUSED_PAD src0_sel:DWORD
	ds_bpermute_b32 v16, v125, v4
	v_lshl_add_u64 v[8:9], s[34:35], 2, v[8:9]
	v_cmp_eq_u32_e64 s[10:11], 0, v120
	v_or_b32_e32 v12, v12, v13
	;;#ASMSTART
	global_atomic_pk_add_f16 v[8:9], v12, off
	
	;;#ASMEND
	v_lshl_add_u64 v[12:13], v[8:9], 0, 32
	s_waitcnt lgkmcnt(0)
	v_cndmask_b32_e64 v4, v7, v16, s[8:9]
	v_cndmask_b32_e64 v5, v6, v16, s[6:7]
	v_cndmask_b32_e32 v6, v11, v16, vcc
	v_cndmask_b32_e64 v7, v10, v16, s[10:11]
	v_mov_b32_e32 v8, v28
	v_mov_b32_e32 v9, v28
	v_pk_mul_f32 v[10:11], v[28:29], v[0:1]
	v_pk_mul_f32 v[8:9], v[8:9], v[2:3]
	v_cndmask_b32_e32 v0, v10, v11, vcc
	v_cndmask_b32_e64 v0, v0, v8, s[6:7]
	v_cndmask_b32_e64 v0, v0, v9, s[8:9]
	ds_bpermute_b32 v1, v125, v0
	v_cmp_eq_u32_e64 s[12:13], 1, v121
	v_cmp_eq_u32_e32 vcc, 2, v121
	v_cmp_eq_u32_e64 s[14:15], 3, v121
	v_cndmask_b32_e64 v16, v7, v6, s[12:13]
	v_cndmask_b32_e32 v0, v16, v5, vcc
	v_cndmask_b32_e64 v0, v0, v4, s[14:15]
	s_waitcnt lgkmcnt(0)
	v_cndmask_b32_e64 v8, v8, v1, s[6:7]
	v_cmp_ne_u32_e64 s[6:7], 0, v120
	ds_bpermute_b32 v2, v125, v0
	v_cndmask_b32_e64 v3, v9, v1, s[8:9]
	v_cndmask_b32_e64 v0, v11, v1, s[6:7]
	;; [unrolled: 1-line block ×3, first 2 shown]
	v_cvt_f16_f32_e32 v15, v15
	v_cvt_f16_f32_sdwa v14, v14 dst_sel:WORD_1 dst_unused:UNUSED_PAD src0_sel:DWORD
	v_cndmask_b32_e64 v9, v1, v0, s[12:13]
	v_cndmask_b32_e32 v9, v9, v8, vcc
	v_cndmask_b32_e64 v9, v9, v3, s[14:15]
	ds_bpermute_b32 v9, v125, v9
	v_or_b32_e32 v10, v14, v15
	;;#ASMSTART
	global_atomic_pk_add_f16 v[12:13], v10, off
	
	;;#ASMEND
	v_or_b32_e32 v10, 48, v122
	v_add_u32_e32 v10, s61, v10
	v_cmp_gt_u32_e32 vcc, 64, v10
	s_and_b64 exec, exec, vcc
	s_cbranch_execz .LBB333_41
; %bb.39:                               ;   in Loop: Header=BB333_7 Depth=1
	v_cmp_eq_u32_e64 s[8:9], 1, v121
	v_cmp_eq_u32_e64 s[10:11], 0, v121
	v_cmp_eq_u32_e32 vcc, 3, v121
	s_waitcnt lgkmcnt(0)
	v_cndmask_b32_e64 v11, v0, v9, s[8:9]
	v_cndmask_b32_e64 v12, v1, v9, s[10:11]
	scratch_load_dwordx2 v[0:1], off, off offset:16 ; 8-byte Folded Reload
	v_cndmask_b32_e64 v6, v6, v2, s[8:9]
	v_cndmask_b32_e64 v7, v7, v2, s[10:11]
	v_cvt_f16_f32_e32 v7, v7
	v_cvt_f16_f32_sdwa v6, v6 dst_sel:WORD_1 dst_unused:UNUSED_PAD src0_sel:DWORD
	v_cvt_f16_f32_e32 v12, v12
	v_cvt_f16_f32_sdwa v11, v11 dst_sel:WORD_1 dst_unused:UNUSED_PAD src0_sel:DWORD
	v_cmp_eq_u32_e64 s[6:7], 2, v121
	v_or_b32_e32 v6, v6, v7
	v_cmp_gt_u32_e64 s[8:9], 62, v10
	v_or_b32_e32 v11, v11, v12
	s_waitcnt vmcnt(0)
	v_lshl_add_u64 v[0:1], v[0:1], 1, s[46:47]
	;;#ASMSTART
	global_atomic_pk_add_f16 v[0:1], v6, off
	
	;;#ASMEND
	v_lshl_add_u64 v[6:7], v[0:1], 0, 32
	;;#ASMSTART
	global_atomic_pk_add_f16 v[6:7], v11, off
	
	;;#ASMEND
	s_and_b64 exec, exec, s[8:9]
	s_cbranch_execz .LBB333_41
; %bb.40:                               ;   in Loop: Header=BB333_7 Depth=1
	v_cndmask_b32_e32 v4, v4, v2, vcc
	v_cndmask_b32_e64 v2, v5, v2, s[6:7]
	v_cndmask_b32_e32 v3, v3, v9, vcc
	v_cndmask_b32_e64 v5, v8, v9, s[6:7]
	v_cvt_f16_f32_e32 v2, v2
	v_cvt_f16_f32_sdwa v4, v4 dst_sel:WORD_1 dst_unused:UNUSED_PAD src0_sel:DWORD
	v_cvt_f16_f32_e32 v5, v5
	v_cvt_f16_f32_sdwa v3, v3 dst_sel:WORD_1 dst_unused:UNUSED_PAD src0_sel:DWORD
	v_lshl_add_u64 v[0:1], s[34:35], 2, v[0:1]
	v_or_b32_e32 v2, v4, v2
	;;#ASMSTART
	global_atomic_pk_add_f16 v[0:1], v2, off
	
	;;#ASMEND
	v_lshl_add_u64 v[0:1], v[0:1], 0, 32
	v_or_b32_e32 v2, v3, v5
	;;#ASMSTART
	global_atomic_pk_add_f16 v[0:1], v2, off
	
	;;#ASMEND
.LBB333_41:                             ;   in Loop: Header=BB333_7 Depth=1
	s_or_b64 exec, exec, s[44:45]
	v_subrev_u32_e32 v126, s62, v126
.LBB333_42:                             ;   in Loop: Header=BB333_7 Depth=1
	s_or_b64 exec, exec, s[42:43]
.LBB333_43:                             ;   in Loop: Header=BB333_7 Depth=1
	s_andn2_saveexec_b64 s[6:7], s[40:41]
	s_cbranch_execz .LBB333_52
; %bb.44:                               ;   in Loop: Header=BB333_7 Depth=1
	s_lshl_b32 s39, s62, 1
	v_cmp_gt_i32_e32 vcc, s39, v126
	s_and_saveexec_b64 s[8:9], vcc
	s_cbranch_execz .LBB333_51
; %bb.45:                               ;   in Loop: Header=BB333_7 Depth=1
	s_mul_i32 s10, s38, s19
	s_ashr_i32 s11, s10, 31
	s_waitcnt lgkmcnt(0)
	s_add_u32 s10, s26, s10
	s_addc_u32 s11, s27, s11
	s_ashr_i32 s12, s60, 31
	s_add_u32 s10, s10, s60
	s_addc_u32 s11, s11, s12
	v_lshl_add_u64 v[0:1], s[10:11], 0, v[44:45]
	v_lshl_add_u64 v[16:17], v[0:1], 0, v[42:43]
	s_mov_b64 s[10:11], 0
	s_branch .LBB333_47
.LBB333_46:                             ;   in Loop: Header=BB333_47 Depth=2
	s_or_b64 exec, exec, s[12:13]
	v_or_b32_e32 v20, 0x4000, v124
	v_lshl_add_u32 v20, v18, 12, v20
	;;#ASMSTART
	s_waitcnt vmcnt(3)
	;;#ASMEND
	ds_write2_b32 v20, v12, v13 offset1:32
	ds_write2_b32 v20, v14, v15 offset0:64 offset1:96
	v_add_u32_e32 v12, 0x400, v20
	;;#ASMSTART
	s_waitcnt vmcnt(2)
	;;#ASMEND
	ds_write2_b32 v12, v8, v9 offset1:32
	ds_write2_b32 v12, v10, v11 offset0:64 offset1:96
	v_add_u32_e32 v8, 0x800, v20
	;; [unrolled: 6-line block ×3, first 2 shown]
	v_add_u32_e32 v126, s22, v126
	;;#ASMSTART
	s_waitcnt vmcnt(0)
	;;#ASMEND
	ds_write2_b32 v4, v0, v1 offset1:32
	ds_write2_b32 v4, v2, v3 offset0:64 offset1:96
	v_add_u32_e32 v0, 1, v118
	v_add_u32_e32 v52, s22, v18
	v_cmp_le_i32_e32 vcc, s39, v126
	ds_write_b32 v19, v0 offset:16
	v_add_u32_e32 v0, 2, v118
	s_or_b64 s[10:11], vcc, s[10:11]
	v_cmp_lt_i32_e32 vcc, 1, v52
	s_nop 1
	v_cndmask_b32_e32 v118, v118, v0, vcc
	s_andn2_b64 exec, exec, s[10:11]
	s_cbranch_execz .LBB333_50
.LBB333_47:                             ;   Parent Loop BB333_7 Depth=1
                                        ; =>  This Loop Header: Depth=2
                                        ;       Child Loop BB333_49 Depth 3
	v_cmp_gt_i32_e32 vcc, 2, v52
	s_nop 1
	v_cndmask_b32_e64 v0, -2, 0, vcc
	v_add_u32_e32 v18, v0, v52
	v_lshrrev_b32_e32 v0, 31, v126
	v_add_u32_e32 v0, v126, v0
	v_and_b32_e32 v1, -2, v0
	v_lshlrev_b32_e32 v0, 7, v0
	v_sub_u32_e32 v2, v126, v1
	v_and_b32_e32 v0, 0xffffff00, v0
	v_ashrrev_i32_e32 v1, 31, v0
	v_mul_lo_u32 v2, s53, v2
	v_lshl_add_u64 v[0:1], v[16:17], 0, v[0:1]
	v_ashrrev_i32_e32 v3, 31, v2
	v_lshl_add_u64 v[0:1], v[0:1], 0, v[2:3]
	v_lshlrev_b32_e32 v19, 2, v18
	;;#ASMSTART
	global_load_dwordx4 v[12:15], v[0:1], off offset:0    sc0 sc1 nt  
	global_load_dwordx4 v[8:11], v[0:1], off offset:64   sc0 sc1 nt  
	global_load_dwordx4 v[4:7], v[0:1], off offset:128  sc0 sc1 nt  
	global_load_dwordx4 v[0:3], v[0:1], off offset:192  sc0 sc1 nt  
	
	;;#ASMEND
	ds_read_b32 v20, v19 offset:24592
	v_add_u32_e32 v19, 0x6000, v19
	s_waitcnt lgkmcnt(0)
	v_cmp_ne_u32_e32 vcc, v20, v118
	s_and_saveexec_b64 s[12:13], vcc
	s_cbranch_execz .LBB333_46
; %bb.48:                               ;   in Loop: Header=BB333_47 Depth=2
	s_mov_b64 s[14:15], 0
.LBB333_49:                             ;   Parent Loop BB333_7 Depth=1
                                        ;     Parent Loop BB333_47 Depth=2
                                        ; =>    This Inner Loop Header: Depth=3
	;;#ASMSTART
	s_sleep 0
	;;#ASMEND
	ds_read_b32 v20, v19 offset:16
	s_waitcnt lgkmcnt(0)
	v_cmp_eq_u32_e32 vcc, v20, v118
	s_or_b64 s[14:15], vcc, s[14:15]
	s_andn2_b64 exec, exec, s[14:15]
	s_cbranch_execnz .LBB333_49
	s_branch .LBB333_46
.LBB333_50:                             ;   in Loop: Header=BB333_7 Depth=1
	s_or_b64 exec, exec, s[10:11]
.LBB333_51:                             ;   in Loop: Header=BB333_7 Depth=1
	s_or_b64 exec, exec, s[8:9]
	v_subrev_u32_e32 v126, s39, v126
.LBB333_52:                             ;   in Loop: Header=BB333_7 Depth=1
	s_or_b64 exec, exec, s[6:7]
.LBB333_53:                             ;   in Loop: Header=BB333_7 Depth=1
	s_andn2_saveexec_b64 s[6:7], s[36:37]
	s_cbranch_execz .LBB333_6
; %bb.54:                               ;   in Loop: Header=BB333_7 Depth=1
	s_lshl_b32 s36, s62, 2
	v_cmp_gt_i32_e32 vcc, s36, v126
	s_and_saveexec_b64 s[8:9], vcc
	s_cbranch_execz .LBB333_5
; %bb.55:                               ;   in Loop: Header=BB333_7 Depth=1
	s_mul_i32 s59, s59, s18
	s_ashr_i32 s10, s59, 31
	s_waitcnt lgkmcnt(0)
	s_add_u32 s11, s24, s59
	v_add_u32_e32 v2, s61, v123
	s_addc_u32 s12, s25, s10
	s_ashr_i32 s13, s60, 31
	v_mul_lo_u32 v0, s18, v123
	v_cmp_gt_u32_e32 vcc, 64, v2
	s_add_u32 s10, s11, s60
	s_addc_u32 s11, s12, s13
	v_cndmask_b32_e32 v0, 0, v0, vcc
	v_ashrrev_i32_e32 v1, 31, v0
	v_lshl_add_u64 v[0:1], s[10:11], 0, v[0:1]
	v_lshl_add_u64 v[16:17], v[0:1], 0, v[42:43]
	v_sub_u32_e32 v18, 63, v2
	s_mov_b64 s[10:11], 0
	s_branch .LBB333_57
.LBB333_56:                             ;   in Loop: Header=BB333_57 Depth=2
	s_or_b64 exec, exec, s[12:13]
	v_lshl_or_b32 v21, v19, 12, v124
	;;#ASMSTART
	s_waitcnt vmcnt(3)
	;;#ASMEND
	ds_write2_b32 v21, v12, v13 offset1:32
	ds_write2_b32 v21, v14, v15 offset0:64 offset1:96
	v_add_u32_e32 v12, 0x400, v21
	;;#ASMSTART
	s_waitcnt vmcnt(2)
	;;#ASMEND
	ds_write2_b32 v12, v8, v9 offset1:32
	ds_write2_b32 v12, v10, v11 offset0:64 offset1:96
	v_add_u32_e32 v8, 0x800, v21
	;;#ASMSTART
	s_waitcnt vmcnt(1)
	;;#ASMEND
	ds_write2_b32 v8, v4, v5 offset1:32
	ds_write2_b32 v8, v6, v7 offset0:64 offset1:96
	v_add_u32_e32 v4, 0xc00, v21
	v_add_u32_e32 v126, s21, v126
	;;#ASMSTART
	s_waitcnt vmcnt(0)
	;;#ASMEND
	ds_write2_b32 v4, v0, v1 offset1:32
	ds_write2_b32 v4, v2, v3 offset0:64 offset1:96
	v_add_u32_e32 v0, 1, v118
	v_add_u32_e32 v52, s21, v19
	v_cmp_le_i32_e32 vcc, s36, v126
	ds_write_b32 v20, v0
	v_add_u32_e32 v0, 2, v118
	s_or_b64 s[10:11], vcc, s[10:11]
	v_cmp_lt_i32_e32 vcc, 3, v52
	s_nop 1
	v_cndmask_b32_e32 v118, v118, v0, vcc
	s_andn2_b64 exec, exec, s[10:11]
	s_cbranch_execz .LBB333_4
.LBB333_57:                             ;   Parent Loop BB333_7 Depth=1
                                        ; =>  This Loop Header: Depth=2
                                        ;       Child Loop BB333_59 Depth 3
	v_cmp_gt_i32_e32 vcc, 4, v52
	s_nop 1
	v_cndmask_b32_e64 v0, -4, 0, vcc
	v_add_u32_e32 v19, v0, v52
	v_ashrrev_i32_e32 v0, 31, v126
	v_lshrrev_b32_e32 v0, 30, v0
	v_add_u32_e32 v0, v126, v0
	v_and_b32_e32 v1, 0xffffffc, v0
	v_sub_u32_e32 v1, v126, v1
	v_lshlrev_b32_e32 v1, 4, v1
	v_cmp_le_i32_e32 vcc, v1, v18
	v_lshlrev_b32_e32 v0, 6, v0
	v_and_b32_e32 v0, 0xffffff00, v0
	v_cndmask_b32_e32 v2, 0, v1, vcc
	v_ashrrev_i32_e32 v1, 31, v0
	v_mul_lo_u32 v2, v2, s18
	v_lshl_add_u64 v[0:1], v[16:17], 0, v[0:1]
	v_ashrrev_i32_e32 v3, 31, v2
	v_lshl_add_u64 v[0:1], v[0:1], 0, v[2:3]
	v_lshlrev_b32_e32 v20, 2, v19
	;;#ASMSTART
	global_load_dwordx4 v[12:15], v[0:1], off offset:0    
	global_load_dwordx4 v[8:11], v[0:1], off offset:64   
	;; [unrolled: 1-line block ×4, first 2 shown]
	
	;;#ASMEND
	ds_read_b32 v21, v20 offset:24576
	v_add_u32_e32 v20, 0x6000, v20
	s_waitcnt lgkmcnt(0)
	v_cmp_ne_u32_e32 vcc, v21, v118
	s_and_saveexec_b64 s[12:13], vcc
	s_cbranch_execz .LBB333_56
; %bb.58:                               ;   in Loop: Header=BB333_57 Depth=2
	s_mov_b64 s[14:15], 0
.LBB333_59:                             ;   Parent Loop BB333_7 Depth=1
                                        ;     Parent Loop BB333_57 Depth=2
                                        ; =>    This Inner Loop Header: Depth=3
	;;#ASMSTART
	s_sleep 0
	;;#ASMEND
	ds_read_b32 v21, v20
	s_waitcnt lgkmcnt(0)
	v_cmp_eq_u32_e32 vcc, v21, v118
	s_or_b64 s[14:15], vcc, s[14:15]
	s_andn2_b64 exec, exec, s[14:15]
	s_cbranch_execnz .LBB333_59
	s_branch .LBB333_56
.LBB333_60:
	s_endpgm
	.section	.rodata,"a",@progbits
	.p2align	6, 0x0
	.amdhsa_kernel _Z19_skinny_gemm_kernelILi4ELi2ELi1ELi16ELi8EEvPKhS1_P6__halfPKfiiiiiiii
		.amdhsa_group_segment_fixed_size 24600
		.amdhsa_private_segment_fixed_size 28
		.amdhsa_kernarg_size 64
		.amdhsa_user_sgpr_count 2
		.amdhsa_user_sgpr_dispatch_ptr 0
		.amdhsa_user_sgpr_queue_ptr 0
		.amdhsa_user_sgpr_kernarg_segment_ptr 1
		.amdhsa_user_sgpr_dispatch_id 0
		.amdhsa_user_sgpr_kernarg_preload_length 0
		.amdhsa_user_sgpr_kernarg_preload_offset 0
		.amdhsa_user_sgpr_private_segment_size 0
		.amdhsa_uses_dynamic_stack 0
		.amdhsa_enable_private_segment 1
		.amdhsa_system_sgpr_workgroup_id_x 1
		.amdhsa_system_sgpr_workgroup_id_y 0
		.amdhsa_system_sgpr_workgroup_id_z 0
		.amdhsa_system_sgpr_workgroup_info 0
		.amdhsa_system_vgpr_workitem_id 0
		.amdhsa_next_free_vgpr 128
		.amdhsa_next_free_sgpr 63
		.amdhsa_accum_offset 128
		.amdhsa_reserve_vcc 1
		.amdhsa_float_round_mode_32 0
		.amdhsa_float_round_mode_16_64 0
		.amdhsa_float_denorm_mode_32 3
		.amdhsa_float_denorm_mode_16_64 3
		.amdhsa_dx10_clamp 1
		.amdhsa_ieee_mode 1
		.amdhsa_fp16_overflow 0
		.amdhsa_tg_split 0
		.amdhsa_exception_fp_ieee_invalid_op 0
		.amdhsa_exception_fp_denorm_src 0
		.amdhsa_exception_fp_ieee_div_zero 0
		.amdhsa_exception_fp_ieee_overflow 0
		.amdhsa_exception_fp_ieee_underflow 0
		.amdhsa_exception_fp_ieee_inexact 0
		.amdhsa_exception_int_div_zero 0
	.end_amdhsa_kernel
	.section	.text._Z19_skinny_gemm_kernelILi4ELi2ELi1ELi16ELi8EEvPKhS1_P6__halfPKfiiiiiiii,"axG",@progbits,_Z19_skinny_gemm_kernelILi4ELi2ELi1ELi16ELi8EEvPKhS1_P6__halfPKfiiiiiiii,comdat
.Lfunc_end333:
	.size	_Z19_skinny_gemm_kernelILi4ELi2ELi1ELi16ELi8EEvPKhS1_P6__halfPKfiiiiiiii, .Lfunc_end333-_Z19_skinny_gemm_kernelILi4ELi2ELi1ELi16ELi8EEvPKhS1_P6__halfPKfiiiiiiii
                                        ; -- End function
	.set _Z19_skinny_gemm_kernelILi4ELi2ELi1ELi16ELi8EEvPKhS1_P6__halfPKfiiiiiiii.num_vgpr, 128
	.set _Z19_skinny_gemm_kernelILi4ELi2ELi1ELi16ELi8EEvPKhS1_P6__halfPKfiiiiiiii.num_agpr, 0
	.set _Z19_skinny_gemm_kernelILi4ELi2ELi1ELi16ELi8EEvPKhS1_P6__halfPKfiiiiiiii.numbered_sgpr, 63
	.set _Z19_skinny_gemm_kernelILi4ELi2ELi1ELi16ELi8EEvPKhS1_P6__halfPKfiiiiiiii.num_named_barrier, 0
	.set _Z19_skinny_gemm_kernelILi4ELi2ELi1ELi16ELi8EEvPKhS1_P6__halfPKfiiiiiiii.private_seg_size, 28
	.set _Z19_skinny_gemm_kernelILi4ELi2ELi1ELi16ELi8EEvPKhS1_P6__halfPKfiiiiiiii.uses_vcc, 1
	.set _Z19_skinny_gemm_kernelILi4ELi2ELi1ELi16ELi8EEvPKhS1_P6__halfPKfiiiiiiii.uses_flat_scratch, 0
	.set _Z19_skinny_gemm_kernelILi4ELi2ELi1ELi16ELi8EEvPKhS1_P6__halfPKfiiiiiiii.has_dyn_sized_stack, 0
	.set _Z19_skinny_gemm_kernelILi4ELi2ELi1ELi16ELi8EEvPKhS1_P6__halfPKfiiiiiiii.has_recursion, 0
	.set _Z19_skinny_gemm_kernelILi4ELi2ELi1ELi16ELi8EEvPKhS1_P6__halfPKfiiiiiiii.has_indirect_call, 0
	.section	.AMDGPU.csdata,"",@progbits
; Kernel info:
; codeLenInByte = 6572
; TotalNumSgprs: 69
; NumVgprs: 128
; NumAgprs: 0
; TotalNumVgprs: 128
; ScratchSize: 28
; MemoryBound: 0
; FloatMode: 240
; IeeeMode: 1
; LDSByteSize: 24600 bytes/workgroup (compile time only)
; SGPRBlocks: 8
; VGPRBlocks: 15
; NumSGPRsForWavesPerEU: 69
; NumVGPRsForWavesPerEU: 128
; AccumOffset: 128
; Occupancy: 4
; WaveLimiterHint : 0
; COMPUTE_PGM_RSRC2:SCRATCH_EN: 1
; COMPUTE_PGM_RSRC2:USER_SGPR: 2
; COMPUTE_PGM_RSRC2:TRAP_HANDLER: 0
; COMPUTE_PGM_RSRC2:TGID_X_EN: 1
; COMPUTE_PGM_RSRC2:TGID_Y_EN: 0
; COMPUTE_PGM_RSRC2:TGID_Z_EN: 0
; COMPUTE_PGM_RSRC2:TIDIG_COMP_CNT: 0
; COMPUTE_PGM_RSRC3_GFX90A:ACCUM_OFFSET: 31
; COMPUTE_PGM_RSRC3_GFX90A:TG_SPLIT: 0
	.section	.text._Z19_skinny_gemm_kernelILi4ELi2ELi1ELi32ELi4EEvPKhS1_P6__halfPKfiiiiiiii,"axG",@progbits,_Z19_skinny_gemm_kernelILi4ELi2ELi1ELi32ELi4EEvPKhS1_P6__halfPKfiiiiiiii,comdat
	.protected	_Z19_skinny_gemm_kernelILi4ELi2ELi1ELi32ELi4EEvPKhS1_P6__halfPKfiiiiiiii ; -- Begin function _Z19_skinny_gemm_kernelILi4ELi2ELi1ELi32ELi4EEvPKhS1_P6__halfPKfiiiiiiii
	.globl	_Z19_skinny_gemm_kernelILi4ELi2ELi1ELi32ELi4EEvPKhS1_P6__halfPKfiiiiiiii
	.p2align	8
	.type	_Z19_skinny_gemm_kernelILi4ELi2ELi1ELi32ELi4EEvPKhS1_P6__halfPKfiiiiiiii,@function
_Z19_skinny_gemm_kernelILi4ELi2ELi1ELi32ELi4EEvPKhS1_P6__halfPKfiiiiiiii: ; @_Z19_skinny_gemm_kernelILi4ELi2ELi1ELi32ELi4EEvPKhS1_P6__halfPKfiiiiiiii
; %bb.0:
	v_cmp_gt_u32_e32 vcc, 6, v0
	s_and_saveexec_b64 s[4:5], vcc
; %bb.1:
	v_lshlrev_b32_e32 v1, 2, v0
	v_mov_b32_e32 v2, 0
	ds_write_b32 v1, v2 offset:12288
; %bb.2:
	s_or_b64 exec, exec, s[4:5]
	s_load_dwordx8 s[16:23], s[0:1], 0x20
	s_waitcnt lgkmcnt(0)
	s_barrier
	s_add_i32 s3, s16, 0x7f
	s_ashr_i32 s5, s3, 31
	s_add_i32 s4, s17, 63
	s_lshr_b32 s5, s5, 25
	s_ashr_i32 s6, s4, 31
	s_add_i32 s3, s3, s5
	s_ashr_i32 s38, s3, 7
	s_lshr_b32 s3, s6, 26
	s_add_i32 s4, s4, s3
	s_ashr_i32 s11, s4, 6
	s_mul_i32 s3, s11, s38
	s_mul_i32 s3, s3, s20
	s_add_i32 s4, s3, 0x12f
	s_mul_hi_i32 s4, s4, 0x6bca1af3
	s_lshr_b32 s5, s4, 31
	s_ashr_i32 s4, s4, 7
	s_add_i32 s4, s4, s5
	s_add_i32 s5, s2, 1
	s_mul_i32 s5, s4, s5
	v_cvt_f64_i32_e32 v[2:3], s3
	v_cvt_f64_u32_e32 v[4:5], s5
	v_min_f64 v[2:3], v[2:3], v[4:5]
	v_cvt_i32_f64_e32 v62, v[2:3]
	s_mul_i32 s33, s4, s2
	v_cmp_ge_i32_e32 vcc, s33, v62
	s_cbranch_vccnz .LBB334_51
; %bb.3:
	s_load_dwordx8 s[44:51], s[0:1], 0x0
	v_lshrrev_b32_e32 v1, 6, v0
	s_add_i32 s0, s22, s21
	v_cmp_le_i32_e64 s[12:13], s0, v1
	v_mov_b32_e32 v2, s21
	v_cmp_le_i32_e64 s[14:15], s21, v1
	v_mov_b32_e32 v3, s22
	v_cndmask_b32_e64 v3, 0, v3, s[12:13]
	v_cndmask_b32_e64 v2, 0, v2, s[14:15]
	s_abs_i32 s1, s20
	v_add_u32_e32 v2, v2, v3
	v_cvt_f32_u32_e32 v3, s1
	v_sub_u32_e32 v56, v1, v2
	s_ashr_i32 s2, s18, 31
	s_lshr_b32 s2, s2, 26
	v_rcp_iflag_f32_e32 v2, v3
	s_sub_i32 s5, 0, s1
	s_add_i32 s2, s18, s2
	s_ashr_i32 s2, s2, 6
	v_mul_f32_e32 v2, 0x4f7ffffe, v2
	v_cvt_u32_f32_e32 v2, v2
	s_abs_i32 s4, s2
	s_xor_b32 s3, s2, s20
	s_ashr_i32 s3, s3, 31
	v_readfirstlane_b32 s6, v2
	s_mul_i32 s5, s5, s6
	s_mul_hi_u32 s5, s6, s5
	s_add_i32 s6, s6, s5
	s_mul_hi_u32 s5, s4, s6
	s_mul_i32 s6, s5, s1
	s_sub_i32 s4, s4, s6
	s_add_i32 s6, s5, 1
	s_sub_i32 s7, s4, s1
	s_cmp_ge_u32 s4, s1
	s_cselect_b32 s5, s6, s5
	s_cselect_b32 s4, s7, s4
	s_add_i32 s6, s5, 1
	s_cmp_ge_u32 s4, s1
	s_cselect_b32 s1, s6, s5
	s_add_i32 s0, s0, s23
	v_and_b32_e32 v64, 31, v0
	v_lshrrev_b32_e32 v2, 3, v0
	v_cmp_gt_i32_e64 s[28:29], s0, v1
	v_lshlrev_b32_e32 v1, 2, v64
	v_and_b32_e32 v3, 4, v2
	v_and_b32_e32 v5, 1, v0
	v_lshlrev_b32_e32 v2, 6, v3
	v_or_b32_e32 v4, 0x2000, v1
	v_or_b32_e32 v3, v3, v5
	;; [unrolled: 1-line block ×4, first 2 shown]
	v_lshlrev_b32_e32 v2, 1, v5
	v_or_b32_e32 v5, 2, v3
	v_sub_u32_e32 v77, 32, v5
	v_or_b32_e32 v5, 8, v3
	v_sub_u32_e32 v78, 32, v5
	;; [unrolled: 2-line block ×5, first 2 shown]
	v_mul_lo_u32 v34, s17, v3
	v_sub_u32_e32 v81, 32, v5
	v_or_b32_e32 v5, 24, v3
	v_or_b32_e32 v3, 26, v3
	v_sub_u32_e32 v83, 32, v3
	v_lshrrev_b32_e32 v3, 1, v0
	s_abs_i32 s39, s38
	v_and_b32_e32 v50, 16, v3
	v_cvt_f32_u32_e32 v3, s39
                                        ; implicit-def: $vgpr99 : SGPR spill to VGPR lane
	v_sub_u32_e32 v2, v0, v2
	v_writelane_b32 v99, s11, 0
	v_add_u32_e32 v2, 1, v2
	s_waitcnt lgkmcnt(0)
	v_writelane_b32 v99, s44, 1
	v_and_b32_e32 v6, 63, v2
	v_bitop3_b32 v67, v0, 1, v0 bitop3:0xc
	v_bitop3_b32 v68, v0, 3, 1 bitop3:0x6c
	;; [unrolled: 1-line block ×8, first 2 shown]
	v_and_b32_e32 v2, 30, v0
	v_lshlrev_b32_e32 v0, 4, v0
	v_writelane_b32 v99, s45, 2
	s_add_i32 s25, s20, -1
	v_and_b32_e32 v0, 0x200, v0
	v_rcp_iflag_f32_e32 v3, v3
	s_abs_i32 s20, s11
	v_writelane_b32 v99, s46, 3
	s_xor_b32 s1, s1, s3
	v_or_b32_e32 v86, v1, v0
	v_cvt_f32_u32_e32 v1, s20
	v_writelane_b32 v99, s47, 4
	s_sub_i32 s24, s1, s3
	v_writelane_b32 v99, s48, 5
	s_mul_i32 s1, s24, s25
	s_lshl_b32 s0, s17, 1
	v_writelane_b32 v99, s49, 6
	s_sub_i32 s26, s2, s1
	v_add_u32_e32 v36, s0, v34
	s_mul_i32 s1, s17, 6
	v_or_b32_e32 v84, v4, v0
	v_mul_f32_e32 v0, 0x4f7ffffe, v3
	v_writelane_b32 v99, s50, 7
	v_add_u32_e32 v38, s1, v36
	v_cvt_u32_f32_e32 v0, v0
	v_rcp_iflag_f32_e32 v1, v1
	v_writelane_b32 v99, s51, 8
	v_cndmask_b32_e64 v63, 0, 1, s[12:13]
	v_add_u32_e32 v40, s0, v38
	v_writelane_b32 v99, s12, 9
	v_add_u32_e32 v42, s1, v40
	v_add_u32_e32 v44, s0, v42
	v_writelane_b32 v99, s13, 10
	v_writelane_b32 v99, s14, 11
	v_add_u32_e32 v46, s1, v44
	v_readfirstlane_b32 s1, v0
	v_mul_f32_e32 v0, 0x4f7ffffe, v1
	v_writelane_b32 v99, s15, 12
	v_cvt_u32_f32_e32 v0, v0
	v_writelane_b32 v99, s24, 13
	v_add_u32_e32 v48, s0, v46
	s_sub_i32 s0, 0, s39
	v_writelane_b32 v99, s25, 14
	s_mul_i32 s0, s0, s1
	v_writelane_b32 v99, s26, 15
	s_mul_hi_u32 s0, s1, s0
	v_writelane_b32 v99, s28, 16
	s_ashr_i32 s27, s38, 31
	s_add_i32 s30, s1, s0
	s_sub_i32 s0, 0, s20
	v_readfirstlane_b32 s1, v0
	v_writelane_b32 v99, s29, 17
	s_mul_i32 s0, s0, s1
	v_writelane_b32 v99, s27, 18
	s_ashr_i32 s31, s11, 31
	s_mul_hi_u32 s0, s1, s0
	v_mbcnt_lo_u32_b32 v0, -1, 0
	v_writelane_b32 v99, s30, 19
	s_add_i32 s34, s1, s0
	v_mbcnt_hi_u32_b32 v0, -1, v0
	v_writelane_b32 v99, s31, 20
	v_mov_b32_e32 v33, 0
	v_mul_lo_u32 v52, s19, v64
	v_and_or_b32 v0, v0, 64, v6
	v_writelane_b32 v99, s34, 21
	v_or_b32_e32 v75, 32, v64
	v_ashrrev_i32_e32 v35, 31, v34
	v_ashrrev_i32_e32 v37, 31, v36
	;; [unrolled: 1-line block ×6, first 2 shown]
	v_sub_u32_e32 v82, 32, v5
	v_ashrrev_i32_e32 v47, 31, v46
	v_ashrrev_i32_e32 v49, 31, v48
	;; [unrolled: 1-line block ×3, first 2 shown]
	v_mov_b32_e32 v51, v33
	s_lshl_b32 s97, s19, 5
	v_mul_lo_u32 v85, s18, v64
	v_lshlrev_b32_e32 v32, 1, v2
	v_lshlrev_b32_e32 v87, 2, v0
	v_mov_b32_e32 v88, v56
	v_writelane_b32 v99, s38, 22
	v_writelane_b32 v99, s39, 23
	s_branch .LBB334_7
.LBB334_4:                              ;   in Loop: Header=BB334_7 Depth=1
	s_or_b64 exec, exec, s[4:5]
.LBB334_5:                              ;   in Loop: Header=BB334_7 Depth=1
	s_or_b64 exec, exec, s[2:3]
	v_subrev_u32_e32 v88, s10, v88
.LBB334_6:                              ;   in Loop: Header=BB334_7 Depth=1
	s_or_b64 exec, exec, s[0:1]
	s_add_i32 s33, s33, 1
	v_cmp_ge_i32_e32 vcc, s33, v62
	s_cbranch_vccnz .LBB334_51
.LBB334_7:                              ; =>This Loop Header: Depth=1
                                        ;     Child Loop BB334_13 Depth 2
                                        ;       Child Loop BB334_15 Depth 3
                                        ;       Child Loop BB334_18 Depth 3
	;; [unrolled: 1-line block ×3, first 2 shown]
                                        ;     Child Loop BB334_38 Depth 2
                                        ;       Child Loop BB334_40 Depth 3
                                        ;     Child Loop BB334_48 Depth 2
                                        ;       Child Loop BB334_50 Depth 3
	s_abs_i32 s1, s33
	s_mul_hi_u32 s2, s1, s30
	s_mul_i32 s3, s2, s39
	s_ashr_i32 s0, s33, 31
	s_sub_i32 s1, s1, s3
	s_xor_b32 s0, s0, s27
	s_add_i32 s3, s2, 1
	s_sub_i32 s4, s1, s39
	s_cmp_ge_u32 s1, s39
	s_cselect_b32 s2, s3, s2
	s_cselect_b32 s1, s4, s1
	s_add_i32 s3, s2, 1
	s_cmp_ge_u32 s1, s39
	s_cselect_b32 s1, s3, s2
	s_xor_b32 s1, s1, s0
	s_sub_i32 s0, s1, s0
	s_abs_i32 s2, s0
	s_mul_i32 s1, s0, s38
	s_mul_hi_u32 s3, s2, s34
	s_sub_i32 s1, s33, s1
	s_mul_i32 s4, s3, s20
	s_lshl_b32 s52, s1, 7
	s_ashr_i32 s1, s0, 31
	s_sub_i32 s2, s2, s4
	s_xor_b32 s1, s1, s31
	s_add_i32 s4, s3, 1
	s_sub_i32 s5, s2, s20
	s_cmp_ge_u32 s2, s20
	s_cselect_b32 s3, s4, s3
	s_cselect_b32 s2, s5, s2
	s_add_i32 s4, s3, 1
	s_cmp_ge_u32 s2, s20
	s_cselect_b32 s2, s4, s3
	s_xor_b32 s2, s2, s1
	s_sub_i32 s1, s2, s1
	s_mul_i32 s2, s1, s24
	s_lshl_b32 s35, s2, 6
	s_cmp_eq_u32 s1, s25
	s_cselect_b32 s96, s26, s24
	s_sub_i32 s2, s52, s16
	s_add_i32 s53, s2, 0x80
	s_and_saveexec_b64 s[2:3], s[14:15]
	s_xor_b64 s[36:37], exec, s[2:3]
	s_cbranch_execz .LBB334_44
; %bb.8:                                ;   in Loop: Header=BB334_7 Depth=1
	s_mul_i32 s1, s1, s11
	s_sub_i32 s0, s0, s1
	s_lshl_b32 s0, s0, 6
	s_sub_i32 s90, s0, s17
	s_add_i32 s90, s90, 64
	s_max_i32 s1, s90, 0
	s_sub_i32 s54, s0, s1
	s_and_saveexec_b64 s[0:1], s[12:13]
	s_xor_b64 s[4:5], exec, s[0:1]
	s_cbranch_execz .LBB334_34
; %bb.9:                                ;   in Loop: Header=BB334_7 Depth=1
	s_and_saveexec_b64 s[2:3], s[28:29]
	s_cbranch_execz .LBB334_33
; %bb.10:                               ;   in Loop: Header=BB334_7 Depth=1
	global_load_dword v89, v33, s[50:51]
	v_writelane_b32 v99, s2, 24
	v_mov_b32_e32 v31, 0
	v_cmp_gt_i32_e32 vcc, s96, v88
	v_writelane_b32 v99, s3, 25
	v_writelane_b32 v99, s4, 26
	v_mov_b32_e32 v30, v31
	v_mov_b32_e32 v29, v31
	;; [unrolled: 1-line block ×12, first 2 shown]
	s_waitcnt lgkmcnt(1)
	v_mov_b32_e32 v18, v31
	v_mov_b32_e32 v17, v31
	;; [unrolled: 1-line block ×19, first 2 shown]
	v_writelane_b32 v99, s5, 27
	s_and_saveexec_b64 s[0:1], vcc
	s_cbranch_execz .LBB334_23
; %bb.11:                               ;   in Loop: Header=BB334_7 Depth=1
	v_mov_b32_e32 v0, 0
	s_mov_b64 s[2:3], 0
	v_mov_b32_e32 v1, v0
	v_mov_b32_e32 v2, v0
	;; [unrolled: 1-line block ×31, first 2 shown]
	s_branch .LBB334_13
.LBB334_12:                             ;   in Loop: Header=BB334_13 Depth=2
	s_or_b64 exec, exec, s[4:5]
	v_add_u32_e32 v96, 0x800, v93
	ds_read2_b32 v[94:95], v96 offset1:32
	v_add_u32_e32 v88, s23, v88
	s_waitcnt lgkmcnt(0)
	v_mfma_f32_32x32x16_fp8_fp8 v[0:15], v[60:61], v[94:95], v[0:15]
	ds_read2_b32 v[60:61], v96 offset0:128 offset1:160
	s_waitcnt lgkmcnt(0)
	v_mfma_f32_32x32x16_fp8_fp8 v[0:15], v[58:59], v[60:61], v[0:15]
	v_add_u32_e32 v60, 0xc00, v93
	ds_read2_b32 v[58:59], v60 offset1:32
	ds_read2_b32 v[60:61], v60 offset0:128 offset1:160
	ds_write_b32 v91, v92 offset:12300
	s_waitcnt lgkmcnt(2)
	v_mfma_f32_32x32x16_fp8_fp8 v[0:15], v[56:57], v[58:59], v[0:15]
	v_add_u32_e32 v56, s23, v90
	v_add_u32_e32 v57, 2, v63
	v_cmp_lt_i32_e32 vcc, 0, v56
	s_nop 1
	v_cndmask_b32_e32 v63, v63, v57, vcc
	v_cmp_le_i32_e32 vcc, s96, v88
	s_waitcnt lgkmcnt(1)
	v_mfma_f32_32x32x16_fp8_fp8 v[0:15], v[54:55], v[60:61], v[0:15]
	s_or_b64 s[2:3], vcc, s[2:3]
	s_andn2_b64 exec, exec, s[2:3]
	s_cbranch_execz .LBB334_22
.LBB334_13:                             ;   Parent Loop BB334_7 Depth=1
                                        ; =>  This Loop Header: Depth=2
                                        ;       Child Loop BB334_15 Depth 3
                                        ;       Child Loop BB334_18 Depth 3
	;; [unrolled: 1-line block ×3, first 2 shown]
	v_cmp_lt_i32_e32 vcc, 0, v56
	s_nop 1
	v_subbrev_co_u32_e32 v90, vcc, 0, v56, vcc
	v_lshlrev_b32_e32 v91, 4, v90
	ds_read_b32 v54, v91 offset:12288
	s_waitcnt lgkmcnt(0)
	v_cmp_ne_u32_e32 vcc, v54, v63
	s_and_saveexec_b64 s[4:5], vcc
	s_cbranch_execz .LBB334_16
; %bb.14:                               ;   in Loop: Header=BB334_13 Depth=2
	s_mov_b64 s[6:7], 0
.LBB334_15:                             ;   Parent Loop BB334_7 Depth=1
                                        ;     Parent Loop BB334_13 Depth=2
                                        ; =>    This Inner Loop Header: Depth=3
	;;#ASMSTART
	s_sleep 0
	;;#ASMEND
	ds_read_b32 v54, v91 offset:12288
	s_waitcnt lgkmcnt(0)
	v_cmp_eq_u32_e32 vcc, v54, v63
	s_or_b64 s[6:7], vcc, s[6:7]
	s_andn2_b64 exec, exec, s[6:7]
	s_cbranch_execnz .LBB334_15
.LBB334_16:                             ;   in Loop: Header=BB334_13 Depth=2
	s_or_b64 exec, exec, s[4:5]
	v_lshl_or_b32 v54, v90, 11, v65
	ds_read2_b32 v[60:61], v54 offset1:32
	ds_read2_b32 v[58:59], v54 offset0:128 offset1:160
	v_add_u32_e32 v54, 0x400, v54
	ds_read2_b32 v[56:57], v54 offset1:32
	ds_read_b32 v93, v91 offset:12292
	ds_read2_b32 v[54:55], v54 offset0:128 offset1:160
	v_add_u32_e32 v92, 1, v63
	ds_write_b32 v91, v92 offset:12288
	s_waitcnt lgkmcnt(2)
	v_cmp_ne_u32_e32 vcc, v93, v63
	s_and_saveexec_b64 s[4:5], vcc
	s_cbranch_execz .LBB334_19
; %bb.17:                               ;   in Loop: Header=BB334_13 Depth=2
	s_mov_b64 s[6:7], 0
.LBB334_18:                             ;   Parent Loop BB334_7 Depth=1
                                        ;     Parent Loop BB334_13 Depth=2
                                        ; =>    This Inner Loop Header: Depth=3
	;;#ASMSTART
	s_sleep 0
	;;#ASMEND
	ds_read_b32 v93, v91 offset:12292
	s_waitcnt lgkmcnt(0)
	v_cmp_eq_u32_e32 vcc, v93, v63
	s_or_b64 s[6:7], vcc, s[6:7]
	s_andn2_b64 exec, exec, s[6:7]
	s_cbranch_execnz .LBB334_18
.LBB334_19:                             ;   in Loop: Header=BB334_13 Depth=2
	s_or_b64 exec, exec, s[4:5]
	v_lshlrev_b32_e32 v93, 12, v90
	v_add_u32_e32 v93, v66, v93
	ds_read2_b32 v[94:95], v93 offset1:32
	v_add_u32_e32 v96, 0x400, v93
	ds_write_b32 v91, v92 offset:12292
	s_waitcnt lgkmcnt(1)
	v_mfma_f32_32x32x16_fp8_fp8 v[16:31], v[60:61], v[94:95], v[16:31]
	ds_read2_b32 v[94:95], v93 offset0:128 offset1:160
	s_waitcnt lgkmcnt(0)
	v_mfma_f32_32x32x16_fp8_fp8 v[16:31], v[58:59], v[94:95], v[16:31]
	ds_read2_b32 v[94:95], v96 offset1:32
	s_waitcnt lgkmcnt(0)
	v_mfma_f32_32x32x16_fp8_fp8 v[16:31], v[56:57], v[94:95], v[16:31]
	ds_read2_b32 v[94:95], v96 offset0:128 offset1:160
	ds_read_b32 v96, v91 offset:12300
	s_waitcnt lgkmcnt(0)
	v_cmp_ne_u32_e32 vcc, v96, v63
	v_mfma_f32_32x32x16_fp8_fp8 v[16:31], v[54:55], v[94:95], v[16:31]
	s_and_saveexec_b64 s[4:5], vcc
	s_cbranch_execz .LBB334_12
; %bb.20:                               ;   in Loop: Header=BB334_13 Depth=2
	s_mov_b64 s[6:7], 0
.LBB334_21:                             ;   Parent Loop BB334_7 Depth=1
                                        ;     Parent Loop BB334_13 Depth=2
                                        ; =>    This Inner Loop Header: Depth=3
	;;#ASMSTART
	s_sleep 0
	;;#ASMEND
	ds_read_b32 v94, v91 offset:12300
	s_waitcnt lgkmcnt(0)
	v_cmp_eq_u32_e32 vcc, v94, v63
	s_or_b64 s[6:7], vcc, s[6:7]
	s_andn2_b64 exec, exec, s[6:7]
	s_cbranch_execnz .LBB334_21
	s_branch .LBB334_12
.LBB334_22:                             ;   in Loop: Header=BB334_7 Depth=1
	s_or_b64 exec, exec, s[2:3]
.LBB334_23:                             ;   in Loop: Header=BB334_7 Depth=1
	v_writelane_b32 v99, s54, 28
	s_nop 1
	v_writelane_b32 v99, s55, 29
	v_writelane_b32 v99, s36, 30
	s_nop 1
	v_writelane_b32 v99, s37, 31
	v_writelane_b32 v99, s53, 32
	v_writelane_b32 v99, s35, 33
	v_writelane_b32 v99, s52, 34
	s_or_b64 exec, exec, s[0:1]
	v_cmp_le_i32_e32 vcc, s90, v64
	v_cmp_eq_u32_e64 s[86:87], 1, v67
	v_cmp_eq_u32_e64 s[50:51], 2, v67
	s_waitcnt vmcnt(0)
	v_cndmask_b32_e32 v54, 0, v89, vcc
	v_pk_mul_f32 v[16:17], v[54:55], v[16:17] op_sel_hi:[0,1]
	v_pk_mul_f32 v[30:31], v[54:55], v[30:31] op_sel_hi:[0,1]
	;; [unrolled: 1-line block ×8, first 2 shown]
	v_cndmask_b32_e64 v54, v16, v17, s[86:87]
	v_cndmask_b32_e64 v54, v54, v18, s[50:51]
	v_cmp_eq_u32_e64 s[54:55], 3, v67
	v_cmp_eq_u32_e64 s[56:57], 4, v67
	v_cmp_eq_u32_e64 s[60:61], 5, v67
	v_cndmask_b32_e64 v54, v54, v19, s[54:55]
	v_cndmask_b32_e64 v54, v54, v20, s[56:57]
	v_cndmask_b32_e64 v54, v54, v21, s[60:61]
	v_cmp_eq_u32_e64 s[64:65], 6, v67
	v_cmp_eq_u32_e64 s[68:69], 7, v67
	v_cmp_eq_u32_e64 s[72:73], 8, v67
	v_cndmask_b32_e64 v54, v54, v22, s[64:65]
	;; [unrolled: 6-line block ×5, first 2 shown]
	ds_bpermute_b32 v54, v87, v54
	v_cmp_eq_u32_e64 s[26:27], 2, v68
	v_cmp_eq_u32_e64 s[28:29], 3, v68
	;; [unrolled: 1-line block ×4, first 2 shown]
	s_waitcnt lgkmcnt(0)
	v_cndmask_b32_e64 v17, v17, v54, s[86:87]
	v_cndmask_b32_e64 v16, v16, v54, s[70:71]
	;; [unrolled: 1-line block ×12, first 2 shown]
	v_cmp_eq_u32_e64 s[36:37], 6, v68
	v_cndmask_b32_e64 v57, v23, v54, s[68:69]
	v_cmp_eq_u32_e64 s[38:39], 7, v68
	v_cndmask_b32_e64 v19, v19, v58, s[36:37]
	v_cndmask_b32_e64 v55, v24, v54, s[72:73]
	v_cndmask_b32_e64 v19, v19, v57, s[38:39]
	v_cmp_eq_u32_e64 s[42:43], 8, v68
	v_cndmask_b32_e64 v25, v25, v54, s[76:77]
	v_cmp_eq_u32_e64 s[44:45], 9, v68
	v_cndmask_b32_e64 v19, v19, v55, s[42:43]
	v_cndmask_b32_e64 v26, v26, v54, s[78:79]
	v_cndmask_b32_e64 v19, v19, v25, s[44:45]
	;; [unrolled: 6-line block ×4, first 2 shown]
	v_cmp_eq_u32_e64 s[62:63], 14, v68
	v_cndmask_b32_e64 v31, v31, v54, s[88:89]
	v_cmp_eq_u32_e64 s[66:67], 15, v68
	v_cndmask_b32_e64 v19, v19, v30, s[62:63]
	v_cmp_le_i32_e64 s[90:91], s90, v75
	v_cndmask_b32_e64 v19, v19, v31, s[66:67]
	ds_bpermute_b32 v54, v87, v19
	v_cmp_eq_u32_e64 s[40:41], 0, v68
	v_cmp_eq_u32_e64 s[2:3], 1, v69
	v_cmp_eq_u32_e64 s[0:1], 2, v69
	v_cmp_eq_u32_e64 s[98:99], 3, v69
	s_waitcnt lgkmcnt(0)
	v_cndmask_b32_e64 v22, v28, v54, s[52:53]
	v_cndmask_b32_e64 v28, v58, v54, s[36:37]
	;; [unrolled: 1-line block ×3, first 2 shown]
	v_pk_mul_f32 v[0:1], v[58:59], v[0:1] op_sel_hi:[0,1]
	v_cndmask_b32_e64 v24, v26, v54, s[46:47]
	v_cndmask_b32_e64 v26, v55, v54, s[42:43]
	v_pk_mul_f32 v[2:3], v[58:59], v[2:3] op_sel_hi:[0,1]
	v_cndmask_b32_e64 v55, v0, v1, s[86:87]
	v_cndmask_b32_e64 v55, v55, v2, s[50:51]
	;; [unrolled: 3-line block ×6, first 2 shown]
	v_cndmask_b32_e64 v17, v17, v54, s[24:25]
	v_cndmask_b32_e64 v16, v16, v54, s[40:41]
	v_pk_mul_f32 v[12:13], v[58:59], v[12:13] op_sel_hi:[0,1]
	v_cndmask_b32_e64 v55, v55, v11, s[74:75]
	v_cndmask_b32_e64 v19, v31, v54, s[66:67]
	;; [unrolled: 1-line block ×14, first 2 shown]
	v_pk_mul_f32 v[14:15], v[58:59], v[14:15] op_sel_hi:[0,1]
	v_cndmask_b32_e64 v55, v55, v13, s[82:83]
	v_cndmask_b32_e64 v54, v54, v31, s[98:99]
	v_cmp_eq_u32_e64 s[10:11], 4, v69
	v_cndmask_b32_e64 v55, v55, v14, s[84:85]
	v_cmp_eq_u32_e64 s[12:13], 5, v69
	v_cndmask_b32_e64 v54, v54, v30, s[10:11]
	v_cndmask_b32_e64 v55, v55, v15, s[88:89]
	;; [unrolled: 1-line block ×3, first 2 shown]
	v_cmp_eq_u32_e64 s[14:15], 6, v69
	ds_bpermute_b32 v55, v87, v55
	v_cmp_eq_u32_e64 s[8:9], 7, v69
	v_cndmask_b32_e64 v54, v54, v28, s[14:15]
	v_cmp_eq_u32_e64 s[6:7], 8, v69
	v_cndmask_b32_e64 v54, v54, v27, s[8:9]
	;; [unrolled: 2-line block ×3, first 2 shown]
	v_cmp_eq_u32_e32 vcc, 10, v69
	v_cndmask_b32_e64 v54, v54, v25, s[4:5]
	v_cmp_eq_u32_e64 s[86:87], 11, v69
	v_cndmask_b32_e32 v54, v54, v24, vcc
	s_waitcnt lgkmcnt(0)
	v_cndmask_b32_e64 v2, v2, v55, s[50:51]
	v_cmp_ne_u32_e64 s[50:51], 0, v67
	v_cndmask_b32_e64 v54, v54, v23, s[86:87]
	v_cmp_eq_u32_e64 s[90:91], 12, v69
	v_cndmask_b32_e64 v1, v1, v55, s[50:51]
	v_cndmask_b32_e64 v0, v0, v55, s[70:71]
	;; [unrolled: 1-line block ×4, first 2 shown]
	v_cmp_eq_u32_e64 s[88:89], 13, v69
	v_cndmask_b32_e64 v14, v14, v55, s[84:85]
	v_cndmask_b32_e64 v13, v13, v55, s[82:83]
	;; [unrolled: 1-line block ×14, first 2 shown]
	v_cmp_eq_u32_e64 s[84:85], 14, v69
	v_cndmask_b32_e64 v55, v55, v2, s[26:27]
	v_cmp_eq_u32_e64 s[82:83], 15, v69
	v_cndmask_b32_e64 v54, v54, v20, s[84:85]
	v_cndmask_b32_e64 v55, v55, v3, s[28:29]
	;; [unrolled: 1-line block ×4, first 2 shown]
	ds_bpermute_b32 v54, v87, v54
	v_cndmask_b32_e64 v55, v55, v5, s[34:35]
	v_cndmask_b32_e64 v55, v55, v6, s[36:37]
	;; [unrolled: 1-line block ×4, first 2 shown]
	v_cmp_eq_u32_e64 s[80:81], 0, v69
	v_cndmask_b32_e64 v55, v55, v9, s[44:45]
	s_waitcnt lgkmcnt(0)
	v_cndmask_b32_e64 v17, v17, v54, s[2:3]
	v_cndmask_b32_e64 v16, v16, v54, s[80:81]
	v_cmp_eq_u32_e64 s[74:75], 1, v70
	v_cndmask_b32_e64 v55, v55, v10, s[46:47]
	v_cndmask_b32_e64 v19, v19, v54, s[82:83]
	;; [unrolled: 1-line block ×6, first 2 shown]
	v_cndmask_b32_e32 v24, v24, v54, vcc
	v_cndmask_b32_e64 v25, v25, v54, s[4:5]
	v_cndmask_b32_e64 v26, v26, v54, s[6:7]
	;; [unrolled: 1-line block ×9, first 2 shown]
	v_cmp_eq_u32_e64 s[78:79], 2, v70
	v_cndmask_b32_e64 v55, v55, v11, s[48:49]
	v_cmp_eq_u32_e64 s[76:77], 3, v70
	v_cndmask_b32_e64 v54, v54, v18, s[78:79]
	v_cndmask_b32_e64 v55, v55, v12, s[52:53]
	;; [unrolled: 1-line block ×3, first 2 shown]
	v_cmp_eq_u32_e64 s[72:73], 4, v70
	v_cndmask_b32_e64 v55, v55, v13, s[58:59]
	v_cmp_eq_u32_e64 s[68:69], 5, v70
	v_cndmask_b32_e64 v54, v54, v30, s[72:73]
	v_cndmask_b32_e64 v55, v55, v14, s[62:63]
	;; [unrolled: 1-line block ×3, first 2 shown]
	v_cmp_eq_u32_e64 s[64:65], 6, v70
	v_cndmask_b32_e64 v55, v55, v15, s[66:67]
	v_cmp_eq_u32_e64 s[60:61], 7, v70
	v_cndmask_b32_e64 v54, v54, v28, s[64:65]
	ds_bpermute_b32 v55, v87, v55
	v_cndmask_b32_e64 v54, v54, v27, s[60:61]
	v_cmp_eq_u32_e64 s[56:57], 8, v70
	v_cmp_eq_u32_e64 s[54:55], 9, v70
	;; [unrolled: 1-line block ×3, first 2 shown]
	v_cndmask_b32_e64 v54, v54, v26, s[56:57]
	v_cndmask_b32_e64 v54, v54, v25, s[54:55]
	;; [unrolled: 1-line block ×3, first 2 shown]
	v_cmp_eq_u32_e64 s[70:71], 11, v70
	s_waitcnt lgkmcnt(0)
	v_cndmask_b32_e64 v15, v15, v55, s[66:67]
	v_cmp_eq_u32_e64 s[66:67], 12, v70
	v_cndmask_b32_e64 v54, v54, v23, s[70:71]
	v_cndmask_b32_e64 v14, v14, v55, s[62:63]
	;; [unrolled: 1-line block ×3, first 2 shown]
	v_cmp_eq_u32_e64 s[62:63], 13, v70
	v_cndmask_b32_e64 v1, v1, v55, s[24:25]
	v_cndmask_b32_e64 v0, v0, v55, s[40:41]
	;; [unrolled: 1-line block ×4, first 2 shown]
	v_cmp_eq_u32_e64 s[92:93], 14, v70
	v_cndmask_b32_e64 v12, v12, v55, s[52:53]
	v_cndmask_b32_e64 v11, v11, v55, s[48:49]
	;; [unrolled: 1-line block ×13, first 2 shown]
	v_cmp_eq_u32_e64 s[94:95], 15, v70
	v_cndmask_b32_e64 v55, v55, v2, s[0:1]
	v_cndmask_b32_e64 v55, v55, v3, s[98:99]
	;; [unrolled: 1-line block ×3, first 2 shown]
	ds_bpermute_b32 v54, v87, v54
	v_cndmask_b32_e64 v55, v55, v4, s[10:11]
	v_cndmask_b32_e64 v55, v55, v5, s[12:13]
	;; [unrolled: 1-line block ×3, first 2 shown]
	v_cmp_eq_u32_e64 s[48:49], 0, v70
	v_cndmask_b32_e64 v55, v55, v7, s[8:9]
	v_cndmask_b32_e64 v55, v55, v8, s[6:7]
	v_writelane_b32 v99, s48, 35
	s_waitcnt lgkmcnt(0)
	v_cndmask_b32_e64 v17, v17, v54, s[74:75]
	v_cndmask_b32_e64 v55, v55, v9, s[4:5]
	v_writelane_b32 v99, s49, 36
	v_cndmask_b32_e64 v16, v16, v54, s[48:49]
	v_cmp_eq_u32_e64 s[48:49], 1, v71
	v_cndmask_b32_e64 v19, v19, v54, s[94:95]
	v_cndmask_b32_e64 v20, v20, v54, s[92:93]
	;; [unrolled: 1-line block ×15, first 2 shown]
	v_cmp_eq_u32_e64 s[44:45], 2, v71
	v_cndmask_b32_e32 v55, v55, v10, vcc
	v_cmp_eq_u32_e64 s[46:47], 3, v71
	v_cndmask_b32_e64 v54, v54, v18, s[44:45]
	v_cndmask_b32_e64 v55, v55, v11, s[86:87]
	s_mov_b64 s[52:53], s[44:45]
	v_cndmask_b32_e64 v54, v54, v31, s[46:47]
	v_cmp_eq_u32_e64 s[44:45], 4, v71
	v_cndmask_b32_e64 v55, v55, v12, s[90:91]
	v_cmp_eq_u32_e64 s[42:43], 5, v71
	v_cndmask_b32_e64 v54, v54, v30, s[44:45]
	v_cndmask_b32_e64 v55, v55, v13, s[88:89]
	;; [unrolled: 1-line block ×3, first 2 shown]
	v_cmp_eq_u32_e64 s[38:39], 6, v71
	v_cndmask_b32_e64 v55, v55, v14, s[84:85]
	v_cmp_eq_u32_e64 s[36:37], 7, v71
	v_cndmask_b32_e64 v54, v54, v28, s[38:39]
	v_cndmask_b32_e64 v55, v55, v15, s[82:83]
	;; [unrolled: 1-line block ×3, first 2 shown]
	v_cmp_eq_u32_e64 s[34:35], 8, v71
	ds_bpermute_b32 v55, v87, v55
	v_cmp_eq_u32_e64 s[30:31], 9, v71
	v_cndmask_b32_e64 v54, v54, v26, s[34:35]
	v_cmp_eq_u32_e64 s[26:27], 10, v71
	v_cndmask_b32_e64 v54, v54, v25, s[30:31]
	;; [unrolled: 2-line block ×4, first 2 shown]
	s_waitcnt lgkmcnt(0)
	v_cndmask_b32_e64 v15, v15, v55, s[82:83]
	v_cndmask_b32_e64 v54, v54, v22, s[58:59]
	v_cmp_eq_u32_e64 s[82:83], 13, v71
	v_cndmask_b32_e64 v14, v14, v55, s[84:85]
	v_cmp_eq_u32_e64 s[84:85], 14, v71
	v_cndmask_b32_e64 v54, v54, v21, s[82:83]
	v_cndmask_b32_e64 v12, v12, v55, s[90:91]
	;; [unrolled: 1-line block ×3, first 2 shown]
	v_cmp_eq_u32_e64 s[90:91], 15, v71
	v_cndmask_b32_e64 v1, v1, v55, s[2:3]
	v_cndmask_b32_e64 v0, v0, v55, s[80:81]
	;; [unrolled: 1-line block ×5, first 2 shown]
	v_cndmask_b32_e32 v10, v10, v55, vcc
	v_cndmask_b32_e64 v9, v9, v55, s[4:5]
	v_cndmask_b32_e64 v8, v8, v55, s[6:7]
	v_cndmask_b32_e64 v7, v7, v55, s[8:9]
	v_cndmask_b32_e64 v6, v6, v55, s[14:15]
	v_cndmask_b32_e64 v5, v5, v55, s[12:13]
	v_cndmask_b32_e64 v4, v4, v55, s[10:11]
	v_cndmask_b32_e64 v3, v3, v55, s[98:99]
	v_cndmask_b32_e64 v2, v2, v55, s[0:1]
	v_cndmask_b32_e64 v55, v0, v1, s[74:75]
	ds_bpermute_b32 v54, v87, v54
	v_cndmask_b32_e64 v55, v55, v2, s[78:79]
	v_cndmask_b32_e64 v55, v55, v3, s[76:77]
	;; [unrolled: 1-line block ×4, first 2 shown]
	v_writelane_b32 v99, s52, 37
	v_cndmask_b32_e64 v55, v55, v6, s[64:65]
	v_cndmask_b32_e64 v55, v55, v7, s[60:61]
	v_writelane_b32 v99, s53, 38
	s_waitcnt lgkmcnt(0)
	v_cndmask_b32_e64 v18, v18, v54, s[52:53]
	v_cmp_eq_u32_e64 s[52:53], 0, v71
	v_cndmask_b32_e64 v17, v17, v54, s[48:49]
	v_cmp_eq_u32_e64 s[28:29], 1, v72
	v_writelane_b32 v99, s52, 39
	v_cndmask_b32_e64 v55, v55, v8, s[56:57]
	v_cndmask_b32_e64 v19, v19, v54, s[90:91]
	v_cndmask_b32_e64 v16, v16, v54, s[52:53]
	v_cndmask_b32_e64 v20, v20, v54, s[84:85]
	v_cndmask_b32_e64 v21, v21, v54, s[82:83]
	v_cndmask_b32_e64 v22, v22, v54, s[58:59]
	v_cndmask_b32_e64 v23, v23, v54, s[40:41]
	v_cndmask_b32_e64 v24, v24, v54, s[26:27]
	v_cndmask_b32_e64 v25, v25, v54, s[30:31]
	v_cndmask_b32_e64 v26, v26, v54, s[34:35]
	v_cndmask_b32_e64 v27, v27, v54, s[36:37]
	v_cndmask_b32_e64 v28, v28, v54, s[38:39]
	v_cndmask_b32_e64 v29, v29, v54, s[42:43]
	v_cndmask_b32_e64 v30, v30, v54, s[44:45]
	v_cndmask_b32_e64 v31, v31, v54, s[46:47]
	v_cndmask_b32_e64 v54, v16, v17, s[28:29]
	v_cmp_eq_u32_e64 s[24:25], 2, v72
	v_cndmask_b32_e64 v55, v55, v9, s[54:55]
	v_writelane_b32 v99, s53, 40
	v_cndmask_b32_e64 v54, v54, v18, s[24:25]
	v_cmp_eq_u32_e64 s[52:53], 3, v72
	v_cndmask_b32_e64 v55, v55, v10, s[50:51]
	v_cmp_eq_u32_e64 s[4:5], 4, v72
	v_cndmask_b32_e64 v54, v54, v31, s[52:53]
	v_cndmask_b32_e64 v55, v55, v11, s[70:71]
	v_cndmask_b32_e64 v54, v54, v30, s[4:5]
	v_cmp_eq_u32_e64 s[14:15], 5, v72
	v_cndmask_b32_e64 v55, v55, v12, s[66:67]
	v_cmp_eq_u32_e64 s[12:13], 6, v72
	v_cndmask_b32_e64 v54, v54, v29, s[14:15]
	v_cndmask_b32_e64 v55, v55, v13, s[62:63]
	;; [unrolled: 6-line block ×3, first 2 shown]
	v_cndmask_b32_e64 v54, v54, v26, s[8:9]
	v_cmp_eq_u32_e64 s[6:7], 9, v72
	ds_bpermute_b32 v55, v87, v55
	v_cmp_eq_u32_e32 vcc, 10, v72
	v_cndmask_b32_e64 v54, v54, v25, s[6:7]
	v_cmp_eq_u32_e64 s[80:81], 11, v72
	v_cndmask_b32_e32 v54, v54, v24, vcc
	v_cmp_eq_u32_e64 s[86:87], 12, v72
	v_cndmask_b32_e64 v54, v54, v23, s[80:81]
	v_cmp_eq_u32_e64 s[88:89], 13, v72
	v_cndmask_b32_e64 v54, v54, v22, s[86:87]
	s_waitcnt lgkmcnt(0)
	v_cndmask_b32_e64 v13, v13, v55, s[62:63]
	v_cndmask_b32_e64 v54, v54, v21, s[88:89]
	v_cmp_eq_u32_e64 s[62:63], 14, v72
	v_cndmask_b32_e64 v12, v12, v55, s[66:67]
	v_cmp_eq_u32_e64 s[66:67], 15, v72
	v_cndmask_b32_e64 v54, v54, v20, s[62:63]
	v_readlane_b32 s0, v99, 35
	v_cndmask_b32_e64 v54, v54, v19, s[66:67]
	ds_bpermute_b32 v54, v87, v54
	v_cndmask_b32_e64 v14, v14, v55, s[92:93]
	s_mov_b64 s[92:93], s[24:25]
	s_mov_b64 s[2:3], s[28:29]
	v_cndmask_b32_e64 v57, v11, v55, s[70:71]
	v_cmp_eq_u32_e64 s[70:71], 0, v72
	v_readlane_b32 s1, v99, 36
	v_cndmask_b32_e64 v15, v15, v55, s[94:95]
	s_waitcnt lgkmcnt(0)
	v_cndmask_b32_e64 v19, v19, v54, s[66:67]
	v_cndmask_b32_e64 v20, v20, v54, s[62:63]
	;; [unrolled: 1-line block ×5, first 2 shown]
	v_cndmask_b32_e32 v24, v24, v54, vcc
	v_cndmask_b32_e64 v25, v25, v54, s[6:7]
	v_cndmask_b32_e64 v26, v26, v54, s[8:9]
	;; [unrolled: 1-line block ×21, first 2 shown]
	s_mov_b64 s[0:1], s[48:49]
	v_readlane_b32 s94, v99, 37
	v_cndmask_b32_e64 v0, v55, v93, s[0:1]
	v_readlane_b32 s95, v99, 38
	v_cmp_eq_u32_e64 s[50:51], 1, v73
	v_cmp_eq_u32_e64 s[54:55], 2, v73
	v_cndmask_b32_e64 v0, v0, v92, s[94:95]
	v_cndmask_b32_e64 v0, v0, v91, s[46:47]
	;; [unrolled: 1-line block ×12, first 2 shown]
	v_cmp_eq_u32_e64 s[56:57], 3, v73
	v_cndmask_b32_e64 v0, v0, v12, s[58:59]
	v_cmp_eq_u32_e64 s[60:61], 4, v73
	v_cndmask_b32_e64 v8, v9, v31, s[56:57]
	v_cndmask_b32_e64 v0, v0, v13, s[82:83]
	;; [unrolled: 1-line block ×3, first 2 shown]
	v_cmp_eq_u32_e64 s[64:65], 5, v73
	v_cndmask_b32_e64 v0, v0, v14, s[84:85]
	v_cmp_eq_u32_e64 s[68:69], 6, v73
	v_cndmask_b32_e64 v6, v7, v29, s[64:65]
	v_cndmask_b32_e64 v0, v0, v15, s[90:91]
	;; [unrolled: 1-line block ×3, first 2 shown]
	v_cmp_eq_u32_e64 s[72:73], 7, v73
	ds_bpermute_b32 v94, v87, v0
	v_cmp_eq_u32_e64 s[76:77], 8, v73
	v_cndmask_b32_e64 v4, v5, v27, s[72:73]
	v_cmp_eq_u32_e64 s[78:79], 9, v73
	v_cndmask_b32_e64 v3, v4, v26, s[76:77]
	;; [unrolled: 2-line block ×4, first 2 shown]
	s_waitcnt lgkmcnt(0)
	v_cndmask_b32_e64 v95, v15, v94, s[90:91]
	v_cndmask_b32_e64 v0, v0, v23, s[74:75]
	v_cmp_eq_u32_e64 s[90:91], 12, v73
	v_cndmask_b32_e64 v96, v14, v94, s[84:85]
	v_cmp_eq_u32_e64 s[84:85], 13, v73
	v_cndmask_b32_e64 v0, v0, v22, s[90:91]
	v_cndmask_b32_e64 v97, v13, v94, s[82:83]
	;; [unrolled: 1-line block ×3, first 2 shown]
	v_cmp_eq_u32_e64 s[82:83], 14, v73
	v_cndmask_b32_e64 v98, v12, v94, s[58:59]
	v_cmp_eq_u32_e64 s[58:59], 15, v73
	v_cndmask_b32_e64 v0, v0, v20, s[82:83]
	;; [unrolled: 2-line block ×3, first 2 shown]
	ds_bpermute_b32 v1, v87, v0
	v_cmp_eq_u32_e64 s[28:29], 3, v74
	s_waitcnt lgkmcnt(0)
	v_cndmask_b32_e64 v10, v27, v1, s[72:73]
	v_cndmask_b32_e64 v27, v93, v94, s[0:1]
	v_readlane_b32 s0, v99, 39
	v_readlane_b32 s1, v99, 40
	v_cndmask_b32_e64 v11, v28, v1, s[68:69]
	v_cndmask_b32_e64 v9, v26, v1, s[76:77]
	v_cndmask_b32_e64 v28, v55, v94, s[0:1]
	s_mov_b64 s[0:1], s[2:3]
	v_cndmask_b32_e64 v12, v29, v1, s[64:65]
	v_cndmask_b32_e64 v26, v92, v94, s[94:95]
	v_cndmask_b32_e64 v29, v28, v27, s[0:1]
	s_mov_b64 s[2:3], s[92:93]
	;; [unrolled: 4-line block ×3, first 2 shown]
	v_cndmask_b32_e64 v7, v24, v1, s[48:49]
	v_cndmask_b32_e64 v24, v90, v94, s[44:45]
	;; [unrolled: 1-line block ×18, first 2 shown]
	v_cmp_eq_u32_e64 s[40:41], 0, v73
	v_cndmask_b32_e64 v19, v58, v94, s[30:31]
	v_cndmask_b32_e64 v29, v29, v20, s[8:9]
	;; [unrolled: 1-line block ×8, first 2 shown]
	v_cndmask_b32_e32 v29, v29, v16, vcc
	v_cndmask_b32_e64 v29, v29, v17, s[80:81]
	v_cndmask_b32_e64 v29, v29, v98, s[86:87]
	;; [unrolled: 1-line block ×5, first 2 shown]
	ds_bpermute_b32 v29, v87, v29
	v_cndmask_b32_e64 v18, v1, v0, s[24:25]
	v_cmp_eq_u32_e64 s[26:27], 2, v74
	v_cmp_eq_u32_e64 s[30:31], 4, v74
	v_cmp_eq_u32_e64 s[34:35], 5, v74
	s_waitcnt lgkmcnt(0)
	v_cndmask_b32_e64 v92, v27, v29, s[0:1]
	v_cndmask_b32_e64 v93, v28, v29, s[70:71]
	;; [unrolled: 1-line block ×18, first 2 shown]
	v_cndmask_b32_e32 v16, v16, v29, vcc
	v_cndmask_b32_e64 v19, v19, v57, s[78:79]
	v_cndmask_b32_e64 v17, v17, v29, s[80:81]
	v_cndmask_b32_e64 v19, v19, v16, s[48:49]
	v_cndmask_b32_e64 v55, v98, v29, s[86:87]
	v_cndmask_b32_e64 v19, v19, v17, s[74:75]
	v_cndmask_b32_e64 v54, v97, v29, s[88:89]
	v_cndmask_b32_e64 v19, v19, v55, s[90:91]
	v_cndmask_b32_e64 v31, v96, v29, s[62:63]
	v_cndmask_b32_e64 v19, v19, v54, s[84:85]
	v_cndmask_b32_e64 v30, v95, v29, s[66:67]
	v_cndmask_b32_e64 v19, v19, v31, s[82:83]
	v_cndmask_b32_e64 v19, v19, v30, s[58:59]
	ds_bpermute_b32 v94, v87, v19
	v_cndmask_b32_e64 v18, v18, v15, s[26:27]
	v_cndmask_b32_e64 v18, v18, v14, s[28:29]
	;; [unrolled: 1-line block ×4, first 2 shown]
	s_waitcnt lgkmcnt(0)
	v_cndmask_b32_e64 v23, v17, v94, s[74:75]
	v_cndmask_b32_e64 v24, v16, v94, s[48:49]
	;; [unrolled: 1-line block ×16, first 2 shown]
	v_cmp_eq_u32_e64 s[36:37], 6, v74
	v_cndmask_b32_e64 v28, v60, v94, s[68:69]
	v_cndmask_b32_e64 v55, v55, v29, s[34:35]
	v_cndmask_b32_e64 v18, v18, v11, s[36:37]
	v_cmp_eq_u32_e64 s[38:39], 7, v74
	v_cndmask_b32_e64 v27, v59, v94, s[72:73]
	v_cndmask_b32_e64 v55, v55, v28, s[36:37]
	v_cndmask_b32_e64 v18, v18, v10, s[38:39]
	;; [unrolled: 4-line block ×4, first 2 shown]
	v_cmp_eq_u32_e64 s[46:47], 10, v74
	v_cndmask_b32_e64 v55, v55, v25, s[44:45]
	v_cmp_eq_u32_e64 s[52:53], 11, v74
	v_cndmask_b32_e64 v18, v18, v7, s[46:47]
	v_cndmask_b32_e64 v55, v55, v24, s[46:47]
	;; [unrolled: 1-line block ×3, first 2 shown]
	v_cmp_eq_u32_e64 s[66:67], 12, v74
	v_cndmask_b32_e64 v55, v55, v23, s[52:53]
	v_cmp_eq_u32_e64 s[62:63], 13, v74
	v_cndmask_b32_e64 v18, v18, v5, s[66:67]
	v_cndmask_b32_e64 v55, v55, v22, s[66:67]
	;; [unrolled: 1-line block ×3, first 2 shown]
	v_cmp_eq_u32_e32 vcc, 14, v74
	v_cndmask_b32_e64 v55, v55, v21, s[62:63]
	v_cmp_eq_u32_e64 s[6:7], 15, v74
	v_cndmask_b32_e32 v18, v18, v3, vcc
	v_cndmask_b32_e32 v55, v55, v20, vcc
	v_cndmask_b32_e64 v18, v18, v2, s[6:7]
	v_cndmask_b32_e64 v55, v55, v19, s[6:7]
	ds_bpermute_b32 v18, v87, v18
	ds_bpermute_b32 v58, v87, v55
	v_readlane_b32 s53, v99, 32
	s_nop 1
	v_cmp_lt_i32_e32 vcc, s53, v76
	s_and_saveexec_b64 s[40:41], vcc
	v_readlane_b32 s44, v99, 1
	v_readlane_b32 s45, v99, 2
	;; [unrolled: 1-line block ×11, first 2 shown]
	s_cbranch_execz .LBB334_32
; %bb.24:                               ;   in Loop: Header=BB334_7 Depth=1
	s_mul_i32 s0, s52, s17
	s_ashr_i32 s1, s0, 31
	s_lshl_b64 s[0:1], s[0:1], 1
	s_add_u32 s2, s48, s0
	v_cmp_eq_u32_e64 s[34:35], 1, v74
	v_cmp_eq_u32_e64 s[36:37], 0, v74
	s_addc_u32 s3, s49, s1
	s_ashr_i32 s55, s54, 31
	s_waitcnt lgkmcnt(1)
	v_cndmask_b32_e64 v55, v0, v18, s[34:35]
	v_cndmask_b32_e64 v57, v1, v18, s[36:37]
	s_lshl_b64 s[0:1], s[54:55], 1
	s_waitcnt lgkmcnt(0)
	v_cndmask_b32_e64 v59, v16, v58, s[34:35]
	v_cndmask_b32_e64 v60, v17, v58, s[36:37]
	v_cvt_f16_f32_e32 v57, v57
	v_cvt_f16_f32_sdwa v55, v55 dst_sel:WORD_1 dst_unused:UNUSED_PAD src0_sel:DWORD
	s_add_u32 s42, s2, s0
	v_cvt_f16_f32_e32 v60, v60
	v_cvt_f16_f32_sdwa v59, v59 dst_sel:WORD_1 dst_unused:UNUSED_PAD src0_sel:DWORD
	s_addc_u32 s43, s3, s1
	v_lshl_add_u64 v[0:1], s[42:43], 0, v[32:33]
	v_cmp_eq_u32_e32 vcc, 15, v74
	v_cmp_eq_u32_e64 s[6:7], 14, v74
	v_cmp_eq_u32_e64 s[8:9], 13, v74
	;; [unrolled: 1-line block ×13, first 2 shown]
	v_lshl_add_u64 v[16:17], v[34:35], 1, v[0:1]
	v_or_b32_e32 v55, v55, v57
	v_cmp_lt_i32_e64 s[34:35], s53, v77
	;;#ASMSTART
	global_atomic_pk_add_f16 v[16:17], v55, off
	
	;;#ASMEND
	v_lshl_add_u64 v[16:17], v[16:17], 0, 64
	v_or_b32_e32 v55, v59, v60
	;;#ASMSTART
	global_atomic_pk_add_f16 v[16:17], v55, off
	
	;;#ASMEND
	s_and_b64 exec, exec, s[34:35]
	s_cbranch_execz .LBB334_32
; %bb.25:                               ;   in Loop: Header=BB334_7 Depth=1
	v_cndmask_b32_e32 v2, v2, v18, vcc
	v_cndmask_b32_e64 v3, v3, v18, s[6:7]
	v_cndmask_b32_e64 v16, v4, v18, s[8:9]
	;; [unrolled: 1-line block ×19, first 2 shown]
	v_cvt_f16_f32_e32 v22, v18
	v_cvt_f16_f32_sdwa v23, v92 dst_sel:WORD_1 dst_unused:UNUSED_PAD src0_sel:DWORD
	v_cvt_f16_f32_e32 v21, v21
	v_cvt_f16_f32_sdwa v20, v20 dst_sel:WORD_1 dst_unused:UNUSED_PAD src0_sel:DWORD
	v_cndmask_b32_e32 v4, v19, v58, vcc
	v_cndmask_b32_e64 v9, v24, v58, s[14:15]
	v_cndmask_b32_e64 v10, v25, v58, s[0:1]
	;; [unrolled: 1-line block ×7, first 2 shown]
	v_lshl_add_u64 v[18:19], v[36:37], 1, v[0:1]
	v_cmp_lt_i32_e32 vcc, s53, v78
	v_or_b32_e32 v22, v23, v22
	;;#ASMSTART
	global_atomic_pk_add_f16 v[18:19], v22, off
	
	;;#ASMEND
	v_lshl_add_u64 v[18:19], v[18:19], 0, 64
	v_or_b32_e32 v20, v20, v21
	;;#ASMSTART
	global_atomic_pk_add_f16 v[18:19], v20, off
	
	;;#ASMEND
	s_and_b64 exec, exec, vcc
	s_cbranch_execz .LBB334_32
; %bb.26:                               ;   in Loop: Header=BB334_7 Depth=1
	v_cvt_f16_f32_e32 v20, v91
	v_cvt_f16_f32_sdwa v21, v90 dst_sel:WORD_1 dst_unused:UNUSED_PAD src0_sel:DWORD
	v_cvt_f16_f32_e32 v22, v15
	v_cvt_f16_f32_sdwa v23, v14 dst_sel:WORD_1 dst_unused:UNUSED_PAD src0_sel:DWORD
	v_lshl_add_u64 v[18:19], v[38:39], 1, v[0:1]
	v_or_b32_e32 v14, v21, v20
	v_cmp_lt_i32_e32 vcc, s53, v79
	;;#ASMSTART
	global_atomic_pk_add_f16 v[18:19], v14, off
	
	;;#ASMEND
	v_lshl_add_u64 v[14:15], v[18:19], 0, 64
	v_or_b32_e32 v18, v23, v22
	;;#ASMSTART
	global_atomic_pk_add_f16 v[14:15], v18, off
	
	;;#ASMEND
	s_and_b64 exec, exec, vcc
	s_cbranch_execz .LBB334_32
; %bb.27:                               ;   in Loop: Header=BB334_7 Depth=1
	v_cvt_f16_f32_e32 v18, v89
	v_cvt_f16_f32_sdwa v19, v61 dst_sel:WORD_1 dst_unused:UNUSED_PAD src0_sel:DWORD
	v_cvt_f16_f32_e32 v20, v13
	v_cvt_f16_f32_sdwa v21, v12 dst_sel:WORD_1 dst_unused:UNUSED_PAD src0_sel:DWORD
	v_lshl_add_u64 v[14:15], v[40:41], 1, v[0:1]
	v_or_b32_e32 v12, v19, v18
	v_cmp_lt_i32_e32 vcc, s53, v80
	;; [unrolled: 20-line block ×5, first 2 shown]
	;;#ASMSTART
	global_atomic_pk_add_f16 v[8:9], v6, off
	
	;;#ASMEND
	v_lshl_add_u64 v[6:7], v[8:9], 0, 64
	v_or_b32_e32 v8, v13, v12
	;;#ASMSTART
	global_atomic_pk_add_f16 v[6:7], v8, off
	
	;;#ASMEND
	s_and_b64 exec, exec, vcc
	s_cbranch_execz .LBB334_32
; %bb.31:                               ;   in Loop: Header=BB334_7 Depth=1
	v_cvt_f16_f32_e32 v3, v3
	v_cvt_f16_f32_sdwa v2, v2 dst_sel:WORD_1 dst_unused:UNUSED_PAD src0_sel:DWORD
	v_cvt_f16_f32_e32 v5, v5
	v_cvt_f16_f32_sdwa v4, v4 dst_sel:WORD_1 dst_unused:UNUSED_PAD src0_sel:DWORD
	v_lshl_add_u64 v[0:1], v[48:49], 1, v[0:1]
	v_or_b32_e32 v2, v2, v3
	;;#ASMSTART
	global_atomic_pk_add_f16 v[0:1], v2, off
	
	;;#ASMEND
	v_lshl_add_u64 v[0:1], v[0:1], 0, 64
	v_or_b32_e32 v2, v4, v5
	;;#ASMSTART
	global_atomic_pk_add_f16 v[0:1], v2, off
	
	;;#ASMEND
.LBB334_32:                             ;   in Loop: Header=BB334_7 Depth=1
	s_or_b64 exec, exec, s[40:41]
	v_readlane_b32 s12, v99, 9
	v_readlane_b32 s14, v99, 11
	;; [unrolled: 1-line block ×6, first 2 shown]
	v_subrev_u32_e32 v88, s96, v88
	v_readlane_b32 s11, v99, 0
	v_readlane_b32 s13, v99, 10
	;; [unrolled: 1-line block ×17, first 2 shown]
.LBB334_33:                             ;   in Loop: Header=BB334_7 Depth=1
	s_or_b64 exec, exec, s[2:3]
.LBB334_34:                             ;   in Loop: Header=BB334_7 Depth=1
	s_andn2_saveexec_b64 s[0:1], s[4:5]
	s_cbranch_execz .LBB334_43
; %bb.35:                               ;   in Loop: Header=BB334_7 Depth=1
	s_lshl_b32 s10, s96, 1
	v_cmp_gt_i32_e32 vcc, s10, v88
	s_and_saveexec_b64 s[2:3], vcc
	s_cbranch_execz .LBB334_42
; %bb.36:                               ;   in Loop: Header=BB334_7 Depth=1
	s_mul_i32 s4, s54, s19
	s_ashr_i32 s5, s4, 31
	s_add_u32 s4, s46, s4
	s_addc_u32 s5, s47, s5
	s_ashr_i32 s6, s35, 31
	s_add_u32 s4, s4, s35
	s_addc_u32 s5, s5, s6
	v_lshl_add_u64 v[0:1], s[4:5], 0, v[52:53]
	v_lshl_add_u64 v[8:9], v[0:1], 0, v[50:51]
	s_mov_b64 s[4:5], 0
	s_branch .LBB334_38
.LBB334_37:                             ;   in Loop: Header=BB334_38 Depth=2
	s_or_b64 exec, exec, s[6:7]
	v_lshl_add_u32 v12, v10, 11, v84
	;;#ASMSTART
	s_waitcnt vmcnt(1)
	;;#ASMEND
	ds_write2_b32 v12, v4, v5 offset1:32
	ds_write2_b32 v12, v6, v7 offset0:64 offset1:96
	v_add_u32_e32 v4, 0x400, v12
	v_add_u32_e32 v88, s22, v88
	;;#ASMSTART
	s_waitcnt vmcnt(0)
	;;#ASMEND
	ds_write2_b32 v4, v0, v1 offset1:32
	ds_write2_b32 v4, v2, v3 offset0:64 offset1:96
	v_add_u32_e32 v0, 1, v63
	v_add_u32_e32 v56, s22, v10
	v_cmp_le_i32_e32 vcc, s10, v88
	ds_write_b32 v11, v0 offset:16
	v_add_u32_e32 v0, 2, v63
	s_or_b64 s[4:5], vcc, s[4:5]
	v_cmp_lt_i32_e32 vcc, 1, v56
	s_nop 1
	v_cndmask_b32_e32 v63, v63, v0, vcc
	s_andn2_b64 exec, exec, s[4:5]
	s_cbranch_execz .LBB334_41
.LBB334_38:                             ;   Parent Loop BB334_7 Depth=1
                                        ; =>  This Loop Header: Depth=2
                                        ;       Child Loop BB334_40 Depth 3
	v_cmp_gt_i32_e32 vcc, 2, v56
	s_nop 1
	v_cndmask_b32_e64 v0, -2, 0, vcc
	v_add_u32_e32 v10, v0, v56
	v_lshrrev_b32_e32 v0, 31, v88
	v_add_u32_e32 v0, v88, v0
	v_and_b32_e32 v1, -2, v0
	v_lshlrev_b32_e32 v0, 5, v0
	v_sub_u32_e32 v2, v88, v1
	v_and_b32_e32 v0, 0xffffffc0, v0
	v_ashrrev_i32_e32 v1, 31, v0
	v_mul_lo_u32 v2, s97, v2
	v_lshl_add_u64 v[0:1], v[8:9], 0, v[0:1]
	v_ashrrev_i32_e32 v3, 31, v2
	v_lshl_add_u64 v[0:1], v[0:1], 0, v[2:3]
	v_lshlrev_b32_e32 v11, 2, v10
	;;#ASMSTART
	global_load_dwordx4 v[4:7], v[0:1], off offset:0   sc0 sc1 nt  
	global_load_dwordx4 v[0:3], v[0:1], off offset:32  sc0 sc1 nt  
	
	;;#ASMEND
	ds_read_b32 v12, v11 offset:12304
	v_add_u32_e32 v11, 0x3000, v11
	s_waitcnt lgkmcnt(0)
	v_cmp_ne_u32_e32 vcc, v12, v63
	s_and_saveexec_b64 s[6:7], vcc
	s_cbranch_execz .LBB334_37
; %bb.39:                               ;   in Loop: Header=BB334_38 Depth=2
	s_mov_b64 s[8:9], 0
.LBB334_40:                             ;   Parent Loop BB334_7 Depth=1
                                        ;     Parent Loop BB334_38 Depth=2
                                        ; =>    This Inner Loop Header: Depth=3
	;;#ASMSTART
	s_sleep 0
	;;#ASMEND
	ds_read_b32 v12, v11 offset:16
	s_waitcnt lgkmcnt(0)
	v_cmp_eq_u32_e32 vcc, v12, v63
	s_or_b64 s[8:9], vcc, s[8:9]
	s_andn2_b64 exec, exec, s[8:9]
	s_cbranch_execnz .LBB334_40
	s_branch .LBB334_37
.LBB334_41:                             ;   in Loop: Header=BB334_7 Depth=1
	s_or_b64 exec, exec, s[4:5]
.LBB334_42:                             ;   in Loop: Header=BB334_7 Depth=1
	s_or_b64 exec, exec, s[2:3]
	v_subrev_u32_e32 v88, s10, v88
.LBB334_43:                             ;   in Loop: Header=BB334_7 Depth=1
	s_or_b64 exec, exec, s[0:1]
.LBB334_44:                             ;   in Loop: Header=BB334_7 Depth=1
	s_andn2_saveexec_b64 s[0:1], s[36:37]
	s_cbranch_execz .LBB334_6
; %bb.45:                               ;   in Loop: Header=BB334_7 Depth=1
	s_lshl_b32 s10, s96, 2
	v_cmp_gt_i32_e32 vcc, s10, v88
	s_and_saveexec_b64 s[2:3], vcc
	s_cbranch_execz .LBB334_5
; %bb.46:                               ;   in Loop: Header=BB334_7 Depth=1
	s_mul_i32 s4, s52, s18
	s_max_i32 s6, s53, 0
	s_ashr_i32 s5, s4, 31
	s_add_u32 s4, s44, s4
	v_add_u32_e32 v2, s6, v64
	s_movk_i32 s6, 0x80
	s_addc_u32 s5, s45, s5
	s_ashr_i32 s7, s35, 31
	v_cmp_gt_u32_e32 vcc, s6, v2
	s_add_u32 s4, s4, s35
	s_addc_u32 s5, s5, s7
	v_cndmask_b32_e32 v0, 0, v85, vcc
	v_ashrrev_i32_e32 v1, 31, v0
	v_lshl_add_u64 v[0:1], s[4:5], 0, v[0:1]
	v_lshl_add_u64 v[8:9], v[0:1], 0, v[50:51]
	v_sub_u32_e32 v10, 0x7f, v2
	s_mov_b64 s[4:5], 0
	s_branch .LBB334_48
.LBB334_47:                             ;   in Loop: Header=BB334_48 Depth=2
	s_or_b64 exec, exec, s[6:7]
	v_lshl_or_b32 v13, v11, 11, v86
	;;#ASMSTART
	s_waitcnt vmcnt(1)
	;;#ASMEND
	ds_write2_b32 v13, v4, v5 offset1:32
	ds_write2_b32 v13, v6, v7 offset0:64 offset1:96
	v_add_u32_e32 v4, 0x400, v13
	v_add_u32_e32 v88, s21, v88
	;;#ASMSTART
	s_waitcnt vmcnt(0)
	;;#ASMEND
	ds_write2_b32 v4, v0, v1 offset1:32
	ds_write2_b32 v4, v2, v3 offset0:64 offset1:96
	v_add_u32_e32 v0, 1, v63
	v_add_u32_e32 v56, s21, v11
	v_cmp_le_i32_e32 vcc, s10, v88
	ds_write_b32 v12, v0
	v_add_u32_e32 v0, 2, v63
	s_or_b64 s[4:5], vcc, s[4:5]
	v_cmp_lt_i32_e32 vcc, 3, v56
	s_nop 1
	v_cndmask_b32_e32 v63, v63, v0, vcc
	s_andn2_b64 exec, exec, s[4:5]
	s_cbranch_execz .LBB334_4
.LBB334_48:                             ;   Parent Loop BB334_7 Depth=1
                                        ; =>  This Loop Header: Depth=2
                                        ;       Child Loop BB334_50 Depth 3
	v_cmp_gt_i32_e32 vcc, 4, v56
	s_nop 1
	v_cndmask_b32_e64 v0, -4, 0, vcc
	v_add_u32_e32 v11, v0, v56
	v_ashrrev_i32_e32 v0, 31, v88
	v_lshrrev_b32_e32 v0, 30, v0
	v_add_u32_e32 v0, v88, v0
	v_and_b32_e32 v1, 0x7fffffc, v0
	v_sub_u32_e32 v1, v88, v1
	v_lshlrev_b32_e32 v1, 5, v1
	v_cmp_le_i32_e32 vcc, v1, v10
	v_lshlrev_b32_e32 v0, 4, v0
	v_and_b32_e32 v0, 0xffffffc0, v0
	v_cndmask_b32_e32 v2, 0, v1, vcc
	v_ashrrev_i32_e32 v1, 31, v0
	v_mul_lo_u32 v2, v2, s18
	v_lshl_add_u64 v[0:1], v[8:9], 0, v[0:1]
	v_ashrrev_i32_e32 v3, 31, v2
	v_lshl_add_u64 v[0:1], v[0:1], 0, v[2:3]
	v_lshlrev_b32_e32 v12, 2, v11
	;;#ASMSTART
	global_load_dwordx4 v[4:7], v[0:1], off offset:0   
	global_load_dwordx4 v[0:3], v[0:1], off offset:32  
	
	;;#ASMEND
	ds_read_b32 v13, v12 offset:12288
	v_add_u32_e32 v12, 0x3000, v12
	s_waitcnt lgkmcnt(0)
	v_cmp_ne_u32_e32 vcc, v13, v63
	s_and_saveexec_b64 s[6:7], vcc
	s_cbranch_execz .LBB334_47
; %bb.49:                               ;   in Loop: Header=BB334_48 Depth=2
	s_mov_b64 s[8:9], 0
.LBB334_50:                             ;   Parent Loop BB334_7 Depth=1
                                        ;     Parent Loop BB334_48 Depth=2
                                        ; =>    This Inner Loop Header: Depth=3
	;;#ASMSTART
	s_sleep 0
	;;#ASMEND
	ds_read_b32 v13, v12
	s_waitcnt lgkmcnt(0)
	v_cmp_eq_u32_e32 vcc, v13, v63
	s_or_b64 s[8:9], vcc, s[8:9]
	s_andn2_b64 exec, exec, s[8:9]
	s_cbranch_execnz .LBB334_50
	s_branch .LBB334_47
.LBB334_51:
	s_endpgm
	.section	.rodata,"a",@progbits
	.p2align	6, 0x0
	.amdhsa_kernel _Z19_skinny_gemm_kernelILi4ELi2ELi1ELi32ELi4EEvPKhS1_P6__halfPKfiiiiiiii
		.amdhsa_group_segment_fixed_size 12312
		.amdhsa_private_segment_fixed_size 0
		.amdhsa_kernarg_size 64
		.amdhsa_user_sgpr_count 2
		.amdhsa_user_sgpr_dispatch_ptr 0
		.amdhsa_user_sgpr_queue_ptr 0
		.amdhsa_user_sgpr_kernarg_segment_ptr 1
		.amdhsa_user_sgpr_dispatch_id 0
		.amdhsa_user_sgpr_kernarg_preload_length 0
		.amdhsa_user_sgpr_kernarg_preload_offset 0
		.amdhsa_user_sgpr_private_segment_size 0
		.amdhsa_uses_dynamic_stack 0
		.amdhsa_enable_private_segment 0
		.amdhsa_system_sgpr_workgroup_id_x 1
		.amdhsa_system_sgpr_workgroup_id_y 0
		.amdhsa_system_sgpr_workgroup_id_z 0
		.amdhsa_system_sgpr_workgroup_info 0
		.amdhsa_system_vgpr_workitem_id 0
		.amdhsa_next_free_vgpr 100
		.amdhsa_next_free_sgpr 100
		.amdhsa_accum_offset 100
		.amdhsa_reserve_vcc 1
		.amdhsa_float_round_mode_32 0
		.amdhsa_float_round_mode_16_64 0
		.amdhsa_float_denorm_mode_32 3
		.amdhsa_float_denorm_mode_16_64 3
		.amdhsa_dx10_clamp 1
		.amdhsa_ieee_mode 1
		.amdhsa_fp16_overflow 0
		.amdhsa_tg_split 0
		.amdhsa_exception_fp_ieee_invalid_op 0
		.amdhsa_exception_fp_denorm_src 0
		.amdhsa_exception_fp_ieee_div_zero 0
		.amdhsa_exception_fp_ieee_overflow 0
		.amdhsa_exception_fp_ieee_underflow 0
		.amdhsa_exception_fp_ieee_inexact 0
		.amdhsa_exception_int_div_zero 0
	.end_amdhsa_kernel
	.section	.text._Z19_skinny_gemm_kernelILi4ELi2ELi1ELi32ELi4EEvPKhS1_P6__halfPKfiiiiiiii,"axG",@progbits,_Z19_skinny_gemm_kernelILi4ELi2ELi1ELi32ELi4EEvPKhS1_P6__halfPKfiiiiiiii,comdat
.Lfunc_end334:
	.size	_Z19_skinny_gemm_kernelILi4ELi2ELi1ELi32ELi4EEvPKhS1_P6__halfPKfiiiiiiii, .Lfunc_end334-_Z19_skinny_gemm_kernelILi4ELi2ELi1ELi32ELi4EEvPKhS1_P6__halfPKfiiiiiiii
                                        ; -- End function
	.set _Z19_skinny_gemm_kernelILi4ELi2ELi1ELi32ELi4EEvPKhS1_P6__halfPKfiiiiiiii.num_vgpr, 100
	.set _Z19_skinny_gemm_kernelILi4ELi2ELi1ELi32ELi4EEvPKhS1_P6__halfPKfiiiiiiii.num_agpr, 0
	.set _Z19_skinny_gemm_kernelILi4ELi2ELi1ELi32ELi4EEvPKhS1_P6__halfPKfiiiiiiii.numbered_sgpr, 100
	.set _Z19_skinny_gemm_kernelILi4ELi2ELi1ELi32ELi4EEvPKhS1_P6__halfPKfiiiiiiii.num_named_barrier, 0
	.set _Z19_skinny_gemm_kernelILi4ELi2ELi1ELi32ELi4EEvPKhS1_P6__halfPKfiiiiiiii.private_seg_size, 0
	.set _Z19_skinny_gemm_kernelILi4ELi2ELi1ELi32ELi4EEvPKhS1_P6__halfPKfiiiiiiii.uses_vcc, 1
	.set _Z19_skinny_gemm_kernelILi4ELi2ELi1ELi32ELi4EEvPKhS1_P6__halfPKfiiiiiiii.uses_flat_scratch, 0
	.set _Z19_skinny_gemm_kernelILi4ELi2ELi1ELi32ELi4EEvPKhS1_P6__halfPKfiiiiiiii.has_dyn_sized_stack, 0
	.set _Z19_skinny_gemm_kernelILi4ELi2ELi1ELi32ELi4EEvPKhS1_P6__halfPKfiiiiiiii.has_recursion, 0
	.set _Z19_skinny_gemm_kernelILi4ELi2ELi1ELi32ELi4EEvPKhS1_P6__halfPKfiiiiiiii.has_indirect_call, 0
	.section	.AMDGPU.csdata,"",@progbits
; Kernel info:
; codeLenInByte = 9748
; TotalNumSgprs: 106
; NumVgprs: 100
; NumAgprs: 0
; TotalNumVgprs: 100
; ScratchSize: 0
; MemoryBound: 0
; FloatMode: 240
; IeeeMode: 1
; LDSByteSize: 12312 bytes/workgroup (compile time only)
; SGPRBlocks: 13
; VGPRBlocks: 12
; NumSGPRsForWavesPerEU: 106
; NumVGPRsForWavesPerEU: 100
; AccumOffset: 100
; Occupancy: 4
; WaveLimiterHint : 0
; COMPUTE_PGM_RSRC2:SCRATCH_EN: 0
; COMPUTE_PGM_RSRC2:USER_SGPR: 2
; COMPUTE_PGM_RSRC2:TRAP_HANDLER: 0
; COMPUTE_PGM_RSRC2:TGID_X_EN: 1
; COMPUTE_PGM_RSRC2:TGID_Y_EN: 0
; COMPUTE_PGM_RSRC2:TGID_Z_EN: 0
; COMPUTE_PGM_RSRC2:TIDIG_COMP_CNT: 0
; COMPUTE_PGM_RSRC3_GFX90A:ACCUM_OFFSET: 24
; COMPUTE_PGM_RSRC3_GFX90A:TG_SPLIT: 0
	.section	.text._Z19_skinny_gemm_kernelILi4ELi2ELi1ELi32ELi8EEvPKhS1_P6__halfPKfiiiiiiii,"axG",@progbits,_Z19_skinny_gemm_kernelILi4ELi2ELi1ELi32ELi8EEvPKhS1_P6__halfPKfiiiiiiii,comdat
	.protected	_Z19_skinny_gemm_kernelILi4ELi2ELi1ELi32ELi8EEvPKhS1_P6__halfPKfiiiiiiii ; -- Begin function _Z19_skinny_gemm_kernelILi4ELi2ELi1ELi32ELi8EEvPKhS1_P6__halfPKfiiiiiiii
	.globl	_Z19_skinny_gemm_kernelILi4ELi2ELi1ELi32ELi8EEvPKhS1_P6__halfPKfiiiiiiii
	.p2align	8
	.type	_Z19_skinny_gemm_kernelILi4ELi2ELi1ELi32ELi8EEvPKhS1_P6__halfPKfiiiiiiii,@function
_Z19_skinny_gemm_kernelILi4ELi2ELi1ELi32ELi8EEvPKhS1_P6__halfPKfiiiiiiii: ; @_Z19_skinny_gemm_kernelILi4ELi2ELi1ELi32ELi8EEvPKhS1_P6__halfPKfiiiiiiii
; %bb.0:
	v_cmp_gt_u32_e32 vcc, 6, v0
	s_and_saveexec_b64 s[4:5], vcc
; %bb.1:
	v_lshlrev_b32_e32 v1, 2, v0
	v_mov_b32_e32 v2, 0
	ds_write_b32 v1, v2 offset:24576
; %bb.2:
	s_or_b64 exec, exec, s[4:5]
	s_load_dwordx8 s[16:23], s[0:1], 0x20
	s_waitcnt lgkmcnt(0)
	s_barrier
	s_add_i32 s3, s16, 0x7f
	s_ashr_i32 s5, s3, 31
	s_add_i32 s4, s17, 63
	s_lshr_b32 s5, s5, 25
	s_ashr_i32 s6, s4, 31
	s_add_i32 s3, s3, s5
	s_ashr_i32 s11, s3, 7
	s_lshr_b32 s3, s6, 26
	s_add_i32 s4, s4, s3
	s_ashr_i32 s12, s4, 6
	s_mul_i32 s3, s12, s11
	s_mul_i32 s3, s3, s20
	s_add_i32 s4, s3, 0x12f
	s_mul_hi_i32 s4, s4, 0x6bca1af3
	s_lshr_b32 s5, s4, 31
	s_ashr_i32 s4, s4, 7
	s_add_i32 s4, s4, s5
	s_add_i32 s5, s2, 1
	s_mul_i32 s5, s4, s5
	v_cvt_f64_i32_e32 v[2:3], s3
	v_cvt_f64_u32_e32 v[4:5], s5
	v_min_f64 v[2:3], v[2:3], v[4:5]
	v_cvt_i32_f64_e32 v70, v[2:3]
	s_mul_i32 s33, s4, s2
	v_cmp_ge_i32_e32 vcc, s33, v70
	s_cbranch_vccnz .LBB335_51
; %bb.3:
	s_load_dwordx8 s[44:51], s[0:1], 0x0
	v_lshrrev_b32_e32 v1, 6, v0
	s_add_i32 s0, s22, s21
	v_cmp_le_i32_e64 s[14:15], s0, v1
	v_mov_b32_e32 v2, s21
	v_cmp_le_i32_e64 s[24:25], s21, v1
	v_mov_b32_e32 v3, s22
	v_cndmask_b32_e64 v3, 0, v3, s[14:15]
	v_cndmask_b32_e64 v2, 0, v2, s[24:25]
	s_abs_i32 s1, s20
	v_add_u32_e32 v2, v2, v3
	v_cvt_f32_u32_e32 v3, s1
	v_sub_u32_e32 v56, v1, v2
	s_ashr_i32 s2, s18, 31
	s_lshr_b32 s2, s2, 25
	v_rcp_iflag_f32_e32 v2, v3
	s_sub_i32 s5, 0, s1
	s_add_i32 s2, s18, s2
	s_ashr_i32 s2, s2, 7
	v_mul_f32_e32 v2, 0x4f7ffffe, v2
	v_cvt_u32_f32_e32 v2, v2
	s_abs_i32 s4, s2
	s_xor_b32 s3, s2, s20
	s_ashr_i32 s3, s3, 31
	v_readfirstlane_b32 s6, v2
	s_mul_i32 s5, s5, s6
	s_mul_hi_u32 s5, s6, s5
	s_add_i32 s6, s6, s5
	s_mul_hi_u32 s5, s4, s6
	s_mul_i32 s6, s5, s1
	s_sub_i32 s4, s4, s6
	s_add_i32 s6, s5, 1
	s_sub_i32 s7, s4, s1
	s_cmp_ge_u32 s4, s1
	s_cselect_b32 s5, s6, s5
	s_cselect_b32 s4, s7, s4
	s_add_i32 s6, s5, 1
	s_cmp_ge_u32 s4, s1
	s_cselect_b32 s1, s6, s5
	s_add_i32 s0, s0, s23
	v_and_b32_e32 v72, 31, v0
	v_lshrrev_b32_e32 v2, 3, v0
	v_cmp_gt_i32_e64 s[28:29], s0, v1
	v_lshlrev_b32_e32 v1, 2, v72
	v_and_b32_e32 v3, 4, v2
	v_and_b32_e32 v5, 1, v0
	v_lshlrev_b32_e32 v2, 6, v3
	v_or_b32_e32 v4, 0x4000, v1
	v_or_b32_e32 v3, v3, v5
	;; [unrolled: 1-line block ×4, first 2 shown]
	v_lshlrev_b32_e32 v2, 1, v5
	v_or_b32_e32 v5, 2, v3
	v_sub_u32_e32 v85, 32, v5
	v_or_b32_e32 v5, 8, v3
	v_sub_u32_e32 v86, 32, v5
	;; [unrolled: 2-line block ×3, first 2 shown]
	v_or_b32_e32 v5, 16, v3
                                        ; implicit-def: $vgpr105 : SGPR spill to VGPR lane
	v_sub_u32_e32 v88, 32, v5
	v_or_b32_e32 v5, 18, v3
	v_writelane_b32 v105, s11, 0
	v_sub_u32_e32 v84, 32, v3
	v_mul_lo_u32 v34, s17, v3
	v_sub_u32_e32 v89, 32, v5
	v_or_b32_e32 v5, 24, v3
	v_or_b32_e32 v3, 26, v3
	v_writelane_b32 v105, s12, 1
	v_sub_u32_e32 v91, 32, v3
	v_lshrrev_b32_e32 v3, 1, v0
	s_abs_i32 s30, s11
	s_waitcnt lgkmcnt(0)
	v_writelane_b32 v105, s44, 2
	v_and_b32_e32 v50, 16, v3
	v_cvt_f32_u32_e32 v3, s30
	v_writelane_b32 v105, s45, 3
	v_sub_u32_e32 v2, v0, v2
	v_writelane_b32 v105, s46, 4
	v_add_u32_e32 v2, 1, v2
	v_writelane_b32 v105, s47, 5
	v_and_b32_e32 v6, 63, v2
	v_bitop3_b32 v75, v0, 1, v0 bitop3:0xc
	v_bitop3_b32 v76, v0, 3, 1 bitop3:0x6c
	;; [unrolled: 1-line block ×8, first 2 shown]
	v_and_b32_e32 v2, 30, v0
	v_lshlrev_b32_e32 v0, 4, v0
	v_writelane_b32 v105, s48, 6
	v_and_b32_e32 v0, 0x200, v0
	v_rcp_iflag_f32_e32 v3, v3
	s_abs_i32 s34, s12
	v_writelane_b32 v105, s49, 7
	s_xor_b32 s1, s1, s3
	v_or_b32_e32 v94, v1, v0
	v_cvt_f32_u32_e32 v1, s34
	v_writelane_b32 v105, s50, 8
	s_sub_i32 s13, s1, s3
	s_add_i32 s26, s20, -1
	v_writelane_b32 v105, s51, 9
	v_cndmask_b32_e64 v71, 0, 1, s[14:15]
	s_mul_i32 s1, s13, s26
	s_lshl_b32 s0, s17, 1
	v_writelane_b32 v105, s14, 10
	s_sub_i32 s27, s2, s1
	v_add_u32_e32 v36, s0, v34
	s_mul_i32 s1, s17, 6
	v_or_b32_e32 v92, v4, v0
	v_mul_f32_e32 v0, 0x4f7ffffe, v3
	v_writelane_b32 v105, s15, 11
	v_add_u32_e32 v38, s1, v36
	v_cvt_u32_f32_e32 v0, v0
	v_rcp_iflag_f32_e32 v1, v1
	v_writelane_b32 v105, s24, 12
	v_add_u32_e32 v40, s0, v38
	v_add_u32_e32 v42, s1, v40
	v_writelane_b32 v105, s25, 13
	v_writelane_b32 v105, s13, 14
	v_add_u32_e32 v44, s0, v42
	v_writelane_b32 v105, s26, 15
	v_add_u32_e32 v46, s1, v44
	v_readfirstlane_b32 s1, v0
	v_mul_f32_e32 v0, 0x4f7ffffe, v1
	v_writelane_b32 v105, s27, 16
	v_cvt_u32_f32_e32 v0, v0
	v_writelane_b32 v105, s28, 17
	v_add_u32_e32 v48, s0, v46
	s_sub_i32 s0, 0, s30
	v_writelane_b32 v105, s29, 18
	s_lshl_b32 s31, s19, 5
	s_mul_i32 s0, s0, s1
	v_writelane_b32 v105, s30, 19
	s_mul_hi_u32 s0, s1, s0
	v_writelane_b32 v105, s31, 20
	s_ashr_i32 s35, s11, 31
	s_add_i32 s36, s1, s0
	s_sub_i32 s0, 0, s34
	v_readfirstlane_b32 s1, v0
	v_mbcnt_lo_u32_b32 v0, -1, 0
	v_writelane_b32 v105, s34, 21
	s_mul_i32 s0, s0, s1
	v_mbcnt_hi_u32_b32 v0, -1, v0
	v_writelane_b32 v105, s35, 22
	v_mov_b32_e32 v33, 0
	v_mul_lo_u32 v52, s19, v72
	s_ashr_i32 s37, s12, 31
	s_mul_hi_u32 s0, s1, s0
	v_and_or_b32 v0, v0, 64, v6
	v_writelane_b32 v105, s36, 23
	v_or_b32_e32 v83, 32, v72
	v_ashrrev_i32_e32 v35, 31, v34
	v_ashrrev_i32_e32 v37, 31, v36
	;; [unrolled: 1-line block ×6, first 2 shown]
	v_sub_u32_e32 v90, 32, v5
	v_ashrrev_i32_e32 v47, 31, v46
	v_ashrrev_i32_e32 v49, 31, v48
	;; [unrolled: 1-line block ×3, first 2 shown]
	v_mov_b32_e32 v51, v33
	v_mul_lo_u32 v93, s18, v72
	s_add_i32 s38, s1, s0
	v_lshlrev_b32_e32 v32, 1, v2
	v_lshlrev_b32_e32 v95, 2, v0
	v_mov_b32_e32 v96, v56
	v_writelane_b32 v105, s37, 24
	v_writelane_b32 v105, s38, 25
	s_branch .LBB335_7
.LBB335_4:                              ;   in Loop: Header=BB335_7 Depth=1
	s_or_b64 exec, exec, s[4:5]
.LBB335_5:                              ;   in Loop: Header=BB335_7 Depth=1
	s_or_b64 exec, exec, s[2:3]
	v_subrev_u32_e32 v96, s10, v96
.LBB335_6:                              ;   in Loop: Header=BB335_7 Depth=1
	s_or_b64 exec, exec, s[0:1]
	s_add_i32 s33, s33, 1
	v_cmp_ge_i32_e32 vcc, s33, v70
	s_cbranch_vccnz .LBB335_51
.LBB335_7:                              ; =>This Loop Header: Depth=1
                                        ;     Child Loop BB335_13 Depth 2
                                        ;       Child Loop BB335_15 Depth 3
                                        ;       Child Loop BB335_18 Depth 3
                                        ;       Child Loop BB335_21 Depth 3
                                        ;     Child Loop BB335_38 Depth 2
                                        ;       Child Loop BB335_40 Depth 3
                                        ;     Child Loop BB335_48 Depth 2
                                        ;       Child Loop BB335_50 Depth 3
	s_abs_i32 s1, s33
	s_mul_hi_u32 s2, s1, s36
	s_mul_i32 s3, s2, s30
	s_ashr_i32 s0, s33, 31
	s_sub_i32 s1, s1, s3
	s_xor_b32 s0, s0, s35
	s_add_i32 s3, s2, 1
	s_sub_i32 s4, s1, s30
	s_cmp_ge_u32 s1, s30
	s_cselect_b32 s2, s3, s2
	s_cselect_b32 s1, s4, s1
	s_add_i32 s3, s2, 1
	s_cmp_ge_u32 s1, s30
	s_cselect_b32 s1, s3, s2
	s_xor_b32 s1, s1, s0
	s_sub_i32 s0, s1, s0
	s_abs_i32 s2, s0
	s_mul_i32 s1, s0, s11
	s_mul_hi_u32 s3, s2, s38
	s_sub_i32 s1, s33, s1
	s_mul_i32 s4, s3, s34
	s_lshl_b32 s52, s1, 7
	s_ashr_i32 s1, s0, 31
	s_sub_i32 s2, s2, s4
	s_xor_b32 s1, s1, s37
	s_add_i32 s4, s3, 1
	s_sub_i32 s5, s2, s34
	s_cmp_ge_u32 s2, s34
	s_cselect_b32 s3, s4, s3
	s_cselect_b32 s2, s5, s2
	s_add_i32 s4, s3, 1
	s_cmp_ge_u32 s2, s34
	s_cselect_b32 s2, s4, s3
	s_xor_b32 s2, s2, s1
	s_sub_i32 s1, s2, s1
	s_mul_i32 s2, s1, s13
	s_lshl_b32 s39, s2, 7
	s_cmp_eq_u32 s1, s26
	s_cselect_b32 s20, s27, s13
	s_sub_i32 s2, s52, s16
	s_add_i32 s53, s2, 0x80
	s_and_saveexec_b64 s[2:3], s[24:25]
	s_xor_b64 s[40:41], exec, s[2:3]
	s_cbranch_execz .LBB335_44
; %bb.8:                                ;   in Loop: Header=BB335_7 Depth=1
	s_mul_i32 s1, s1, s12
	s_sub_i32 s0, s0, s1
	s_lshl_b32 s0, s0, 6
	s_sub_i32 s90, s0, s17
	s_add_i32 s90, s90, 64
	s_max_i32 s1, s90, 0
	s_sub_i32 s54, s0, s1
	s_and_saveexec_b64 s[0:1], s[14:15]
	s_xor_b64 s[4:5], exec, s[0:1]
	s_cbranch_execz .LBB335_34
; %bb.9:                                ;   in Loop: Header=BB335_7 Depth=1
	s_and_saveexec_b64 s[2:3], s[28:29]
	s_cbranch_execz .LBB335_33
; %bb.10:                               ;   in Loop: Header=BB335_7 Depth=1
	global_load_dword v97, v33, s[50:51]
	v_writelane_b32 v105, s2, 26
	v_mov_b32_e32 v31, 0
	v_cmp_gt_i32_e32 vcc, s20, v96
	v_writelane_b32 v105, s3, 27
	v_writelane_b32 v105, s4, 28
	v_mov_b32_e32 v30, v31
	v_mov_b32_e32 v29, v31
	;; [unrolled: 1-line block ×12, first 2 shown]
	s_waitcnt lgkmcnt(1)
	v_mov_b32_e32 v18, v31
	v_mov_b32_e32 v17, v31
	;; [unrolled: 1-line block ×19, first 2 shown]
	v_writelane_b32 v105, s5, 29
	s_and_saveexec_b64 s[0:1], vcc
	s_cbranch_execz .LBB335_23
; %bb.11:                               ;   in Loop: Header=BB335_7 Depth=1
	v_mov_b32_e32 v0, 0
	s_mov_b64 s[2:3], 0
	v_mov_b32_e32 v1, v0
	v_mov_b32_e32 v2, v0
	;; [unrolled: 1-line block ×31, first 2 shown]
	s_branch .LBB335_13
.LBB335_12:                             ;   in Loop: Header=BB335_13 Depth=2
	s_or_b64 exec, exec, s[4:5]
	v_add_u32_e32 v104, 0x1000, v101
	ds_read2_b32 v[102:103], v104 offset1:32
	v_add_u32_e32 v96, s23, v96
	s_waitcnt lgkmcnt(0)
	v_mfma_f32_32x32x16_fp8_fp8 v[0:15], v[68:69], v[102:103], v[0:15]
	ds_read2_b32 v[68:69], v104 offset0:128 offset1:160
	s_waitcnt lgkmcnt(0)
	v_mfma_f32_32x32x16_fp8_fp8 v[0:15], v[66:67], v[68:69], v[0:15]
	v_add_u32_e32 v68, 0x1400, v101
	ds_read2_b32 v[66:67], v68 offset1:32
	s_waitcnt lgkmcnt(0)
	v_mfma_f32_32x32x16_fp8_fp8 v[0:15], v[64:65], v[66:67], v[0:15]
	ds_read2_b32 v[64:65], v68 offset0:128 offset1:160
	s_waitcnt lgkmcnt(0)
	v_mfma_f32_32x32x16_fp8_fp8 v[0:15], v[62:63], v[64:65], v[0:15]
	v_add_u32_e32 v64, 0x1800, v101
	ds_read2_b32 v[62:63], v64 offset1:32
	;; [unrolled: 7-line block ×3, first 2 shown]
	ds_read2_b32 v[60:61], v60 offset0:128 offset1:160
	ds_write_b32 v99, v100 offset:24588
	s_waitcnt lgkmcnt(2)
	v_mfma_f32_32x32x16_fp8_fp8 v[0:15], v[56:57], v[58:59], v[0:15]
	v_add_u32_e32 v56, s23, v98
	v_add_u32_e32 v57, 2, v71
	v_cmp_lt_i32_e32 vcc, 0, v56
	s_nop 1
	v_cndmask_b32_e32 v71, v71, v57, vcc
	v_cmp_le_i32_e32 vcc, s20, v96
	s_waitcnt lgkmcnt(1)
	v_mfma_f32_32x32x16_fp8_fp8 v[0:15], v[54:55], v[60:61], v[0:15]
	s_or_b64 s[2:3], vcc, s[2:3]
	s_andn2_b64 exec, exec, s[2:3]
	s_cbranch_execz .LBB335_22
.LBB335_13:                             ;   Parent Loop BB335_7 Depth=1
                                        ; =>  This Loop Header: Depth=2
                                        ;       Child Loop BB335_15 Depth 3
                                        ;       Child Loop BB335_18 Depth 3
	;; [unrolled: 1-line block ×3, first 2 shown]
	v_cmp_lt_i32_e32 vcc, 0, v56
	s_nop 1
	v_subbrev_co_u32_e32 v98, vcc, 0, v56, vcc
	v_lshlrev_b32_e32 v99, 4, v98
	ds_read_b32 v54, v99 offset:24576
	s_waitcnt lgkmcnt(0)
	v_cmp_ne_u32_e32 vcc, v54, v71
	s_and_saveexec_b64 s[4:5], vcc
	s_cbranch_execz .LBB335_16
; %bb.14:                               ;   in Loop: Header=BB335_13 Depth=2
	s_mov_b64 s[6:7], 0
.LBB335_15:                             ;   Parent Loop BB335_7 Depth=1
                                        ;     Parent Loop BB335_13 Depth=2
                                        ; =>    This Inner Loop Header: Depth=3
	;;#ASMSTART
	s_sleep 0
	;;#ASMEND
	ds_read_b32 v54, v99 offset:24576
	s_waitcnt lgkmcnt(0)
	v_cmp_eq_u32_e32 vcc, v54, v71
	s_or_b64 s[6:7], vcc, s[6:7]
	s_andn2_b64 exec, exec, s[6:7]
	s_cbranch_execnz .LBB335_15
.LBB335_16:                             ;   in Loop: Header=BB335_13 Depth=2
	s_or_b64 exec, exec, s[4:5]
	v_lshl_or_b32 v54, v98, 12, v73
	v_add_u32_e32 v55, 0x400, v54
	ds_read2_b32 v[68:69], v54 offset1:32
	ds_read2_b32 v[66:67], v54 offset0:128 offset1:160
	ds_read2_b32 v[64:65], v55 offset1:32
	ds_read2_b32 v[62:63], v55 offset0:128 offset1:160
	v_add_u32_e32 v55, 0x800, v54
	v_add_u32_e32 v54, 0xc00, v54
	ds_read2_b32 v[60:61], v55 offset1:32
	ds_read2_b32 v[58:59], v55 offset0:128 offset1:160
	ds_read2_b32 v[56:57], v54 offset1:32
	ds_read_b32 v101, v99 offset:24580
	ds_read2_b32 v[54:55], v54 offset0:128 offset1:160
	v_add_u32_e32 v100, 1, v71
	ds_write_b32 v99, v100 offset:24576
	s_waitcnt lgkmcnt(2)
	v_cmp_ne_u32_e32 vcc, v101, v71
	s_and_saveexec_b64 s[4:5], vcc
	s_cbranch_execz .LBB335_19
; %bb.17:                               ;   in Loop: Header=BB335_13 Depth=2
	s_mov_b64 s[6:7], 0
.LBB335_18:                             ;   Parent Loop BB335_7 Depth=1
                                        ;     Parent Loop BB335_13 Depth=2
                                        ; =>    This Inner Loop Header: Depth=3
	;;#ASMSTART
	s_sleep 0
	;;#ASMEND
	ds_read_b32 v101, v99 offset:24580
	s_waitcnt lgkmcnt(0)
	v_cmp_eq_u32_e32 vcc, v101, v71
	s_or_b64 s[6:7], vcc, s[6:7]
	s_andn2_b64 exec, exec, s[6:7]
	s_cbranch_execnz .LBB335_18
.LBB335_19:                             ;   in Loop: Header=BB335_13 Depth=2
	s_or_b64 exec, exec, s[4:5]
	v_lshlrev_b32_e32 v101, 13, v98
	v_add_u32_e32 v101, v74, v101
	ds_read2_b32 v[102:103], v101 offset1:32
	v_add_u32_e32 v104, 0x400, v101
	ds_write_b32 v99, v100 offset:24580
	s_waitcnt lgkmcnt(1)
	v_mfma_f32_32x32x16_fp8_fp8 v[16:31], v[68:69], v[102:103], v[16:31]
	ds_read2_b32 v[102:103], v101 offset0:128 offset1:160
	s_waitcnt lgkmcnt(0)
	v_mfma_f32_32x32x16_fp8_fp8 v[16:31], v[66:67], v[102:103], v[16:31]
	ds_read2_b32 v[102:103], v104 offset1:32
	s_waitcnt lgkmcnt(0)
	v_mfma_f32_32x32x16_fp8_fp8 v[16:31], v[64:65], v[102:103], v[16:31]
	ds_read2_b32 v[102:103], v104 offset0:128 offset1:160
	v_add_u32_e32 v104, 0x800, v101
	s_waitcnt lgkmcnt(0)
	v_mfma_f32_32x32x16_fp8_fp8 v[16:31], v[62:63], v[102:103], v[16:31]
	ds_read2_b32 v[102:103], v104 offset1:32
	s_waitcnt lgkmcnt(0)
	v_mfma_f32_32x32x16_fp8_fp8 v[16:31], v[60:61], v[102:103], v[16:31]
	ds_read2_b32 v[102:103], v104 offset0:128 offset1:160
	v_add_u32_e32 v104, 0xc00, v101
	s_waitcnt lgkmcnt(0)
	v_mfma_f32_32x32x16_fp8_fp8 v[16:31], v[58:59], v[102:103], v[16:31]
	ds_read2_b32 v[102:103], v104 offset1:32
	s_waitcnt lgkmcnt(0)
	v_mfma_f32_32x32x16_fp8_fp8 v[16:31], v[56:57], v[102:103], v[16:31]
	ds_read2_b32 v[102:103], v104 offset0:128 offset1:160
	ds_read_b32 v104, v99 offset:24588
	s_waitcnt lgkmcnt(0)
	v_cmp_ne_u32_e32 vcc, v104, v71
	v_mfma_f32_32x32x16_fp8_fp8 v[16:31], v[54:55], v[102:103], v[16:31]
	s_and_saveexec_b64 s[4:5], vcc
	s_cbranch_execz .LBB335_12
; %bb.20:                               ;   in Loop: Header=BB335_13 Depth=2
	s_mov_b64 s[6:7], 0
.LBB335_21:                             ;   Parent Loop BB335_7 Depth=1
                                        ;     Parent Loop BB335_13 Depth=2
                                        ; =>    This Inner Loop Header: Depth=3
	;;#ASMSTART
	s_sleep 0
	;;#ASMEND
	ds_read_b32 v102, v99 offset:24588
	s_waitcnt lgkmcnt(0)
	v_cmp_eq_u32_e32 vcc, v102, v71
	s_or_b64 s[6:7], vcc, s[6:7]
	s_andn2_b64 exec, exec, s[6:7]
	s_cbranch_execnz .LBB335_21
	s_branch .LBB335_12
.LBB335_22:                             ;   in Loop: Header=BB335_7 Depth=1
	s_or_b64 exec, exec, s[2:3]
.LBB335_23:                             ;   in Loop: Header=BB335_7 Depth=1
	v_writelane_b32 v105, s54, 30
	s_nop 1
	v_writelane_b32 v105, s55, 31
	v_writelane_b32 v105, s40, 32
	s_nop 1
	v_writelane_b32 v105, s41, 33
	v_writelane_b32 v105, s53, 34
	;; [unrolled: 1-line block ×4, first 2 shown]
	s_or_b64 exec, exec, s[0:1]
	v_cmp_le_i32_e32 vcc, s90, v72
	v_cmp_eq_u32_e64 s[86:87], 1, v75
	v_cmp_eq_u32_e64 s[50:51], 2, v75
	s_waitcnt vmcnt(0)
	v_cndmask_b32_e32 v54, 0, v97, vcc
	v_pk_mul_f32 v[16:17], v[54:55], v[16:17] op_sel_hi:[0,1]
	v_pk_mul_f32 v[30:31], v[54:55], v[30:31] op_sel_hi:[0,1]
	;; [unrolled: 1-line block ×8, first 2 shown]
	v_cndmask_b32_e64 v54, v16, v17, s[86:87]
	v_cndmask_b32_e64 v54, v54, v18, s[50:51]
	v_cmp_eq_u32_e64 s[54:55], 3, v75
	v_cmp_eq_u32_e64 s[56:57], 4, v75
	v_cmp_eq_u32_e64 s[60:61], 5, v75
	v_cndmask_b32_e64 v54, v54, v19, s[54:55]
	v_cndmask_b32_e64 v54, v54, v20, s[56:57]
	v_cndmask_b32_e64 v54, v54, v21, s[60:61]
	v_cmp_eq_u32_e64 s[64:65], 6, v75
	v_cmp_eq_u32_e64 s[68:69], 7, v75
	v_cmp_eq_u32_e64 s[72:73], 8, v75
	v_cndmask_b32_e64 v54, v54, v22, s[64:65]
	;; [unrolled: 6-line block ×5, first 2 shown]
	ds_bpermute_b32 v54, v95, v54
	v_cmp_eq_u32_e64 s[26:27], 2, v76
	v_cmp_eq_u32_e64 s[28:29], 3, v76
	;; [unrolled: 1-line block ×4, first 2 shown]
	s_waitcnt lgkmcnt(0)
	v_cndmask_b32_e64 v62, v17, v54, s[86:87]
	v_cndmask_b32_e64 v16, v16, v54, s[70:71]
	;; [unrolled: 1-line block ×12, first 2 shown]
	v_cmp_eq_u32_e64 s[36:37], 6, v76
	v_cndmask_b32_e64 v55, v23, v54, s[68:69]
	v_cmp_eq_u32_e64 s[38:39], 7, v76
	v_cndmask_b32_e64 v17, v17, v57, s[36:37]
	v_cndmask_b32_e64 v24, v24, v54, s[72:73]
	v_cndmask_b32_e64 v17, v17, v55, s[38:39]
	v_cmp_eq_u32_e64 s[42:43], 8, v76
	v_cndmask_b32_e64 v25, v25, v54, s[76:77]
	v_cmp_eq_u32_e64 s[44:45], 9, v76
	v_cndmask_b32_e64 v17, v17, v24, s[42:43]
	v_cndmask_b32_e64 v26, v26, v54, s[78:79]
	v_cndmask_b32_e64 v17, v17, v25, s[44:45]
	;; [unrolled: 6-line block ×4, first 2 shown]
	v_cmp_eq_u32_e64 s[62:63], 14, v76
	v_cndmask_b32_e64 v31, v31, v54, s[88:89]
	v_cmp_eq_u32_e64 s[66:67], 15, v76
	v_cndmask_b32_e64 v17, v17, v30, s[62:63]
	v_cmp_le_i32_e64 s[90:91], s90, v83
	v_cndmask_b32_e64 v17, v17, v31, s[66:67]
	ds_bpermute_b32 v54, v95, v17
	v_cmp_eq_u32_e64 s[40:41], 0, v76
	v_cmp_eq_u32_e64 s[4:5], 1, v77
	;; [unrolled: 1-line block ×4, first 2 shown]
	s_waitcnt lgkmcnt(0)
	v_cndmask_b32_e64 v21, v27, v54, s[48:49]
	v_cndmask_b32_e64 v27, v58, v54, s[34:35]
	;; [unrolled: 1-line block ×3, first 2 shown]
	v_pk_mul_f32 v[0:1], v[58:59], v[0:1] op_sel_hi:[0,1]
	v_cndmask_b32_e64 v23, v25, v54, s[44:45]
	v_cndmask_b32_e64 v25, v55, v54, s[38:39]
	v_pk_mul_f32 v[2:3], v[58:59], v[2:3] op_sel_hi:[0,1]
	v_cndmask_b32_e64 v55, v0, v1, s[86:87]
	v_cndmask_b32_e64 v55, v55, v2, s[50:51]
	;; [unrolled: 3-line block ×6, first 2 shown]
	v_cndmask_b32_e64 v17, v31, v54, s[66:67]
	v_cndmask_b32_e64 v31, v62, v54, s[24:25]
	;; [unrolled: 1-line block ×3, first 2 shown]
	v_pk_mul_f32 v[12:13], v[58:59], v[12:13] op_sel_hi:[0,1]
	v_cndmask_b32_e64 v55, v55, v11, s[74:75]
	v_cndmask_b32_e64 v18, v30, v54, s[62:63]
	;; [unrolled: 1-line block ×13, first 2 shown]
	v_pk_mul_f32 v[14:15], v[58:59], v[14:15] op_sel_hi:[0,1]
	v_cndmask_b32_e64 v55, v55, v13, s[82:83]
	v_cndmask_b32_e64 v54, v54, v29, s[8:9]
	v_cmp_eq_u32_e64 s[10:11], 4, v77
	v_cndmask_b32_e64 v55, v55, v14, s[84:85]
	v_cmp_eq_u32_e64 s[12:13], 5, v77
	v_cndmask_b32_e64 v54, v54, v28, s[10:11]
	v_cndmask_b32_e64 v55, v55, v15, s[88:89]
	;; [unrolled: 1-line block ×3, first 2 shown]
	v_cmp_eq_u32_e64 s[14:15], 6, v77
	ds_bpermute_b32 v55, v95, v55
	v_cmp_eq_u32_e64 s[96:97], 7, v77
	v_cndmask_b32_e64 v54, v54, v26, s[14:15]
	v_cmp_eq_u32_e64 s[98:99], 8, v77
	v_cndmask_b32_e64 v54, v54, v25, s[96:97]
	v_cmp_eq_u32_e32 vcc, 9, v77
	v_cndmask_b32_e64 v54, v54, v24, s[98:99]
	v_cmp_eq_u32_e64 s[0:1], 10, v77
	v_cndmask_b32_e32 v54, v54, v23, vcc
	v_cmp_eq_u32_e64 s[86:87], 11, v77
	v_cndmask_b32_e64 v54, v54, v22, s[0:1]
	s_waitcnt lgkmcnt(0)
	v_cndmask_b32_e64 v2, v2, v55, s[50:51]
	v_cmp_ne_u32_e64 s[50:51], 0, v75
	v_cndmask_b32_e64 v54, v54, v21, s[86:87]
	v_cmp_eq_u32_e64 s[90:91], 12, v77
	v_cndmask_b32_e64 v1, v1, v55, s[50:51]
	v_cndmask_b32_e64 v0, v0, v55, s[70:71]
	;; [unrolled: 1-line block ×4, first 2 shown]
	v_cmp_eq_u32_e64 s[88:89], 13, v77
	v_cndmask_b32_e64 v14, v14, v55, s[84:85]
	v_cndmask_b32_e64 v13, v13, v55, s[82:83]
	;; [unrolled: 1-line block ×14, first 2 shown]
	v_cmp_eq_u32_e64 s[84:85], 14, v77
	v_cndmask_b32_e64 v55, v55, v2, s[26:27]
	v_cmp_eq_u32_e64 s[82:83], 15, v77
	v_cndmask_b32_e64 v54, v54, v18, s[84:85]
	v_cndmask_b32_e64 v55, v55, v3, s[28:29]
	;; [unrolled: 1-line block ×4, first 2 shown]
	ds_bpermute_b32 v54, v95, v54
	v_cndmask_b32_e64 v55, v55, v5, s[34:35]
	v_cndmask_b32_e64 v55, v55, v6, s[36:37]
	;; [unrolled: 1-line block ×4, first 2 shown]
	v_cmp_eq_u32_e64 s[80:81], 0, v77
	v_cndmask_b32_e64 v55, v55, v9, s[44:45]
	s_waitcnt lgkmcnt(0)
	v_cndmask_b32_e64 v31, v31, v54, s[4:5]
	v_cndmask_b32_e64 v16, v16, v54, s[80:81]
	v_cmp_eq_u32_e64 s[74:75], 1, v78
	v_cndmask_b32_e64 v55, v55, v10, s[46:47]
	v_cndmask_b32_e64 v17, v17, v54, s[82:83]
	;; [unrolled: 1-line block ×7, first 2 shown]
	v_cndmask_b32_e32 v23, v23, v54, vcc
	v_cndmask_b32_e64 v24, v24, v54, s[98:99]
	v_cndmask_b32_e64 v25, v25, v54, s[96:97]
	;; [unrolled: 1-line block ×8, first 2 shown]
	v_cmp_eq_u32_e64 s[78:79], 2, v78
	v_cndmask_b32_e64 v55, v55, v11, s[48:49]
	v_cmp_eq_u32_e64 s[76:77], 3, v78
	v_cndmask_b32_e64 v54, v54, v30, s[78:79]
	v_cndmask_b32_e64 v55, v55, v12, s[52:53]
	;; [unrolled: 1-line block ×3, first 2 shown]
	v_cmp_eq_u32_e64 s[72:73], 4, v78
	v_cndmask_b32_e64 v55, v55, v13, s[58:59]
	v_cmp_eq_u32_e64 s[68:69], 5, v78
	v_cndmask_b32_e64 v54, v54, v28, s[72:73]
	v_cndmask_b32_e64 v55, v55, v14, s[62:63]
	;; [unrolled: 1-line block ×3, first 2 shown]
	v_cmp_eq_u32_e64 s[64:65], 6, v78
	v_cndmask_b32_e64 v55, v55, v15, s[66:67]
	v_cmp_eq_u32_e64 s[60:61], 7, v78
	v_cndmask_b32_e64 v54, v54, v26, s[64:65]
	ds_bpermute_b32 v55, v95, v55
	v_cndmask_b32_e64 v54, v54, v25, s[60:61]
	v_cmp_eq_u32_e64 s[56:57], 8, v78
	v_cmp_eq_u32_e64 s[54:55], 9, v78
	;; [unrolled: 1-line block ×3, first 2 shown]
	v_cndmask_b32_e64 v54, v54, v24, s[56:57]
	v_cndmask_b32_e64 v54, v54, v23, s[54:55]
	;; [unrolled: 1-line block ×3, first 2 shown]
	v_cmp_eq_u32_e64 s[70:71], 11, v78
	s_waitcnt lgkmcnt(0)
	v_cndmask_b32_e64 v15, v15, v55, s[66:67]
	v_cmp_eq_u32_e64 s[66:67], 12, v78
	v_cndmask_b32_e64 v54, v54, v21, s[70:71]
	v_cndmask_b32_e64 v14, v14, v55, s[62:63]
	;; [unrolled: 1-line block ×3, first 2 shown]
	v_cmp_eq_u32_e64 s[62:63], 13, v78
	v_cndmask_b32_e64 v1, v1, v55, s[24:25]
	v_cndmask_b32_e64 v0, v0, v55, s[40:41]
	;; [unrolled: 1-line block ×4, first 2 shown]
	v_cmp_eq_u32_e64 s[92:93], 14, v78
	v_cndmask_b32_e64 v12, v12, v55, s[52:53]
	v_cndmask_b32_e64 v11, v11, v55, s[48:49]
	;; [unrolled: 1-line block ×13, first 2 shown]
	v_cmp_eq_u32_e64 s[94:95], 15, v78
	v_cndmask_b32_e64 v55, v55, v2, s[6:7]
	v_cndmask_b32_e64 v55, v55, v3, s[8:9]
	;; [unrolled: 1-line block ×3, first 2 shown]
	ds_bpermute_b32 v54, v95, v54
	v_cndmask_b32_e64 v55, v55, v4, s[10:11]
	v_cndmask_b32_e64 v55, v55, v5, s[12:13]
	;; [unrolled: 1-line block ×4, first 2 shown]
	v_cmp_eq_u32_e64 s[48:49], 0, v78
	v_cndmask_b32_e64 v55, v55, v8, s[98:99]
	s_waitcnt lgkmcnt(0)
	v_cndmask_b32_e64 v31, v31, v54, s[74:75]
	v_cndmask_b32_e64 v16, v16, v54, s[48:49]
	v_cmp_eq_u32_e64 s[46:47], 1, v79
	v_cndmask_b32_e32 v55, v55, v9, vcc
	v_cndmask_b32_e64 v17, v17, v54, s[94:95]
	v_cndmask_b32_e64 v18, v18, v54, s[92:93]
	;; [unrolled: 1-line block ×15, first 2 shown]
	v_cmp_eq_u32_e64 s[44:45], 2, v79
	v_cndmask_b32_e64 v55, v55, v10, s[0:1]
	v_cmp_eq_u32_e64 s[42:43], 3, v79
	v_cndmask_b32_e64 v54, v54, v30, s[44:45]
	v_cndmask_b32_e64 v55, v55, v11, s[86:87]
	v_cndmask_b32_e64 v54, v54, v29, s[42:43]
	v_cmp_eq_u32_e64 s[38:39], 4, v79
	v_cndmask_b32_e64 v55, v55, v12, s[90:91]
	v_cmp_eq_u32_e64 s[36:37], 5, v79
	v_cndmask_b32_e64 v54, v54, v28, s[38:39]
	v_cndmask_b32_e64 v55, v55, v13, s[88:89]
	v_cndmask_b32_e64 v54, v54, v27, s[36:37]
	v_cmp_eq_u32_e64 s[34:35], 6, v79
	v_cndmask_b32_e64 v55, v55, v14, s[84:85]
	v_cmp_eq_u32_e64 s[30:31], 7, v79
	v_cndmask_b32_e64 v54, v54, v26, s[34:35]
	v_cndmask_b32_e64 v55, v55, v15, s[82:83]
	v_cndmask_b32_e64 v54, v54, v25, s[30:31]
	v_cmp_eq_u32_e64 s[28:29], 8, v79
	ds_bpermute_b32 v55, v95, v55
	v_cmp_eq_u32_e64 s[26:27], 9, v79
	v_cndmask_b32_e64 v54, v54, v24, s[28:29]
	v_cmp_eq_u32_e64 s[24:25], 10, v79
	v_cndmask_b32_e64 v54, v54, v23, s[26:27]
	;; [unrolled: 2-line block ×4, first 2 shown]
	s_waitcnt lgkmcnt(0)
	v_cndmask_b32_e64 v15, v15, v55, s[82:83]
	v_cndmask_b32_e64 v54, v54, v20, s[58:59]
	v_cmp_eq_u32_e64 s[82:83], 13, v79
	v_cndmask_b32_e64 v14, v14, v55, s[84:85]
	v_cmp_eq_u32_e64 s[84:85], 14, v79
	v_cndmask_b32_e64 v54, v54, v19, s[82:83]
	v_cndmask_b32_e64 v1, v1, v55, s[4:5]
	;; [unrolled: 1-line block ×6, first 2 shown]
	v_cmp_eq_u32_e64 s[90:91], 15, v79
	v_cndmask_b32_e64 v11, v11, v55, s[86:87]
	v_cndmask_b32_e64 v10, v10, v55, s[0:1]
	v_cndmask_b32_e32 v9, v9, v55, vcc
	v_cndmask_b32_e64 v8, v8, v55, s[98:99]
	v_cndmask_b32_e64 v7, v7, v55, s[96:97]
	;; [unrolled: 1-line block ×10, first 2 shown]
	ds_bpermute_b32 v54, v95, v54
	v_cndmask_b32_e64 v55, v55, v3, s[76:77]
	v_cndmask_b32_e64 v55, v55, v4, s[72:73]
	;; [unrolled: 1-line block ×4, first 2 shown]
	v_cmp_eq_u32_e64 s[52:53], 0, v79
	v_cndmask_b32_e64 v55, v55, v7, s[60:61]
	s_waitcnt lgkmcnt(0)
	v_cndmask_b32_e64 v31, v31, v54, s[46:47]
	v_cndmask_b32_e64 v16, v16, v54, s[52:53]
	v_cmp_eq_u32_e64 s[0:1], 1, v80
	v_cndmask_b32_e64 v55, v55, v8, s[56:57]
	v_cndmask_b32_e64 v17, v17, v54, s[90:91]
	;; [unrolled: 1-line block ×16, first 2 shown]
	v_cmp_eq_u32_e64 s[2:3], 2, v80
	v_cndmask_b32_e64 v55, v55, v9, s[54:55]
	v_cmp_eq_u32_e64 s[98:99], 3, v80
	v_cndmask_b32_e64 v54, v54, v30, s[2:3]
	v_cndmask_b32_e64 v55, v55, v10, s[50:51]
	v_cndmask_b32_e64 v54, v54, v29, s[98:99]
	v_cmp_eq_u32_e64 s[96:97], 4, v80
	v_cndmask_b32_e64 v55, v55, v11, s[70:71]
	v_cmp_eq_u32_e64 s[14:15], 5, v80
	v_cndmask_b32_e64 v54, v54, v28, s[96:97]
	v_cndmask_b32_e64 v55, v55, v12, s[66:67]
	v_cndmask_b32_e64 v54, v54, v27, s[14:15]
	;; [unrolled: 6-line block ×3, first 2 shown]
	v_cmp_eq_u32_e64 s[8:9], 8, v80
	v_cndmask_b32_e64 v55, v55, v15, s[94:95]
	v_cmp_eq_u32_e64 s[6:7], 9, v80
	v_cndmask_b32_e64 v54, v54, v24, s[8:9]
	ds_bpermute_b32 v55, v95, v55
	v_cndmask_b32_e64 v54, v54, v23, s[6:7]
	v_cmp_eq_u32_e32 vcc, 10, v80
	v_cmp_eq_u32_e64 s[80:81], 11, v80
	v_cmp_eq_u32_e64 s[86:87], 12, v80
	v_cndmask_b32_e32 v54, v54, v22, vcc
	v_cndmask_b32_e64 v54, v54, v21, s[80:81]
	v_cndmask_b32_e64 v54, v54, v20, s[86:87]
	v_cmp_eq_u32_e64 s[88:89], 13, v80
	s_waitcnt lgkmcnt(0)
	v_cndmask_b32_e64 v13, v13, v55, s[62:63]
	v_cmp_eq_u32_e64 s[62:63], 14, v80
	v_cndmask_b32_e64 v54, v54, v19, s[88:89]
	v_cndmask_b32_e64 v12, v12, v55, s[66:67]
	;; [unrolled: 1-line block ×3, first 2 shown]
	v_cmp_eq_u32_e64 s[66:67], 15, v80
	v_cndmask_b32_e64 v57, v11, v55, s[70:71]
	v_cmp_eq_u32_e64 s[70:71], 0, v80
	v_cndmask_b32_e64 v54, v54, v17, s[66:67]
	ds_bpermute_b32 v54, v95, v54
	v_cndmask_b32_e64 v15, v15, v55, s[94:95]
	v_cndmask_b32_e64 v14, v14, v55, s[92:93]
	;; [unrolled: 1-line block ×4, first 2 shown]
	s_waitcnt lgkmcnt(0)
	v_cndmask_b32_e64 v17, v17, v54, s[66:67]
	v_cndmask_b32_e64 v18, v18, v54, s[62:63]
	;; [unrolled: 1-line block ×5, first 2 shown]
	v_cndmask_b32_e32 v22, v22, v54, vcc
	v_cndmask_b32_e64 v23, v23, v54, s[6:7]
	v_cndmask_b32_e64 v24, v24, v54, s[8:9]
	;; [unrolled: 1-line block ×28, first 2 shown]
	v_cmp_eq_u32_e64 s[50:51], 1, v81
	v_cndmask_b32_e64 v0, v0, v54, s[24:25]
	v_cmp_eq_u32_e64 s[54:55], 2, v81
	v_cndmask_b32_e64 v10, v16, v31, s[50:51]
	v_cndmask_b32_e64 v0, v0, v57, s[40:41]
	v_cndmask_b32_e64 v9, v10, v30, s[54:55]
	v_cmp_eq_u32_e64 s[56:57], 3, v81
	v_cndmask_b32_e64 v0, v0, v12, s[58:59]
	v_cmp_eq_u32_e64 s[60:61], 4, v81
	v_cndmask_b32_e64 v8, v9, v29, s[56:57]
	v_cndmask_b32_e64 v0, v0, v13, s[82:83]
	v_cndmask_b32_e64 v7, v8, v28, s[60:61]
	;; [unrolled: 6-line block ×3, first 2 shown]
	v_cmp_eq_u32_e64 s[72:73], 7, v81
	ds_bpermute_b32 v67, v95, v0
	v_cmp_eq_u32_e64 s[76:77], 8, v81
	v_cndmask_b32_e64 v4, v5, v25, s[72:73]
	v_cmp_eq_u32_e64 s[78:79], 9, v81
	v_cndmask_b32_e64 v3, v4, v24, s[76:77]
	;; [unrolled: 2-line block ×4, first 2 shown]
	s_waitcnt lgkmcnt(0)
	v_cndmask_b32_e64 v68, v15, v67, s[90:91]
	v_cndmask_b32_e64 v0, v0, v21, s[74:75]
	v_cmp_eq_u32_e64 s[90:91], 12, v81
	v_cndmask_b32_e64 v69, v14, v67, s[84:85]
	v_cmp_eq_u32_e64 s[84:85], 13, v81
	v_cndmask_b32_e64 v0, v0, v20, s[90:91]
	v_cndmask_b32_e64 v97, v13, v67, s[82:83]
	v_cndmask_b32_e64 v0, v0, v19, s[84:85]
	v_cmp_eq_u32_e64 s[82:83], 14, v81
	v_cndmask_b32_e64 v98, v12, v67, s[58:59]
	v_cmp_eq_u32_e64 s[58:59], 15, v81
	v_cndmask_b32_e64 v0, v0, v18, s[82:83]
	s_nop 0
	v_cndmask_b32_e64 v0, v0, v17, s[58:59]
	ds_bpermute_b32 v1, v95, v0
	s_waitcnt lgkmcnt(0)
	v_cndmask_b32_e64 v12, v27, v1, s[64:65]
	v_cndmask_b32_e64 v13, v28, v1, s[60:61]
	;; [unrolled: 1-line block ×29, first 2 shown]
	v_cmp_eq_u32_e64 s[40:41], 0, v81
	v_cndmask_b32_e64 v19, v58, v67, s[26:27]
	v_cndmask_b32_e64 v29, v29, v20, s[8:9]
	;; [unrolled: 1-line block ×8, first 2 shown]
	v_cndmask_b32_e32 v29, v29, v16, vcc
	v_cndmask_b32_e64 v29, v29, v17, s[80:81]
	v_cndmask_b32_e64 v29, v29, v98, s[86:87]
	;; [unrolled: 1-line block ×5, first 2 shown]
	ds_bpermute_b32 v29, v95, v29
	v_cmp_eq_u32_e64 s[24:25], 1, v82
	v_cmp_eq_u32_e64 s[26:27], 2, v82
	;; [unrolled: 1-line block ×3, first 2 shown]
	v_cndmask_b32_e64 v18, v1, v0, s[24:25]
	s_waitcnt lgkmcnt(0)
	v_cndmask_b32_e64 v65, v27, v29, s[0:1]
	v_cndmask_b32_e64 v66, v28, v29, s[70:71]
	;; [unrolled: 1-line block ×18, first 2 shown]
	v_cndmask_b32_e32 v16, v16, v29, vcc
	v_cndmask_b32_e64 v19, v19, v57, s[78:79]
	v_cndmask_b32_e64 v17, v17, v29, s[80:81]
	;; [unrolled: 1-line block ×12, first 2 shown]
	ds_bpermute_b32 v67, v95, v19
	v_cndmask_b32_e64 v18, v18, v15, s[26:27]
	v_cndmask_b32_e64 v18, v18, v14, s[28:29]
	v_cmp_eq_u32_e64 s[30:31], 4, v82
	v_cmp_eq_u32_e64 s[34:35], 5, v82
	s_waitcnt lgkmcnt(0)
	v_cndmask_b32_e64 v23, v17, v67, s[74:75]
	v_cndmask_b32_e64 v24, v16, v67, s[48:49]
	;; [unrolled: 1-line block ×18, first 2 shown]
	v_cmp_eq_u32_e64 s[36:37], 6, v82
	v_cndmask_b32_e64 v28, v60, v67, s[68:69]
	v_cndmask_b32_e64 v55, v55, v29, s[34:35]
	v_cndmask_b32_e64 v18, v18, v11, s[36:37]
	v_cmp_eq_u32_e64 s[38:39], 7, v82
	v_cndmask_b32_e64 v27, v59, v67, s[72:73]
	v_cndmask_b32_e64 v55, v55, v28, s[36:37]
	v_cndmask_b32_e64 v18, v18, v10, s[38:39]
	;; [unrolled: 4-line block ×4, first 2 shown]
	v_cmp_eq_u32_e64 s[46:47], 10, v82
	v_cndmask_b32_e64 v55, v55, v25, s[44:45]
	v_cmp_eq_u32_e64 s[52:53], 11, v82
	v_cndmask_b32_e64 v18, v18, v7, s[46:47]
	v_cndmask_b32_e64 v55, v55, v24, s[46:47]
	;; [unrolled: 1-line block ×3, first 2 shown]
	v_cmp_eq_u32_e64 s[66:67], 12, v82
	v_cndmask_b32_e64 v55, v55, v23, s[52:53]
	v_cmp_eq_u32_e64 s[62:63], 13, v82
	v_cndmask_b32_e64 v18, v18, v5, s[66:67]
	v_cndmask_b32_e64 v55, v55, v22, s[66:67]
	;; [unrolled: 1-line block ×3, first 2 shown]
	v_cmp_eq_u32_e32 vcc, 14, v82
	v_cndmask_b32_e64 v55, v55, v21, s[62:63]
	v_cmp_eq_u32_e64 s[6:7], 15, v82
	v_cndmask_b32_e32 v18, v18, v3, vcc
	v_cndmask_b32_e32 v55, v55, v20, vcc
	v_cndmask_b32_e64 v18, v18, v2, s[6:7]
	v_cndmask_b32_e64 v55, v55, v19, s[6:7]
	ds_bpermute_b32 v18, v95, v18
	ds_bpermute_b32 v58, v95, v55
	v_readlane_b32 s53, v105, 34
	s_nop 1
	v_cmp_lt_i32_e32 vcc, s53, v84
	s_and_saveexec_b64 s[40:41], vcc
	v_readlane_b32 s44, v105, 2
	v_readlane_b32 s45, v105, 3
	v_readlane_b32 s46, v105, 4
	v_readlane_b32 s47, v105, 5
	v_readlane_b32 s48, v105, 6
	v_readlane_b32 s49, v105, 7
	v_readlane_b32 s50, v105, 8
	v_readlane_b32 s51, v105, 9
	v_readlane_b32 s52, v105, 36
	v_readlane_b32 s54, v105, 30
	v_readlane_b32 s55, v105, 31
	s_cbranch_execz .LBB335_32
; %bb.24:                               ;   in Loop: Header=BB335_7 Depth=1
	s_mul_i32 s0, s52, s17
	s_ashr_i32 s1, s0, 31
	s_lshl_b64 s[0:1], s[0:1], 1
	s_add_u32 s2, s48, s0
	v_cmp_eq_u32_e64 s[34:35], 1, v82
	v_cmp_eq_u32_e64 s[36:37], 0, v82
	s_addc_u32 s3, s49, s1
	s_ashr_i32 s55, s54, 31
	s_waitcnt lgkmcnt(1)
	v_cndmask_b32_e64 v55, v0, v18, s[34:35]
	v_cndmask_b32_e64 v57, v1, v18, s[36:37]
	s_lshl_b64 s[0:1], s[54:55], 1
	s_waitcnt lgkmcnt(0)
	v_cndmask_b32_e64 v59, v16, v58, s[34:35]
	v_cndmask_b32_e64 v60, v17, v58, s[36:37]
	v_cvt_f16_f32_e32 v57, v57
	v_cvt_f16_f32_sdwa v55, v55 dst_sel:WORD_1 dst_unused:UNUSED_PAD src0_sel:DWORD
	s_add_u32 s42, s2, s0
	v_cvt_f16_f32_e32 v60, v60
	v_cvt_f16_f32_sdwa v59, v59 dst_sel:WORD_1 dst_unused:UNUSED_PAD src0_sel:DWORD
	s_addc_u32 s43, s3, s1
	v_lshl_add_u64 v[0:1], s[42:43], 0, v[32:33]
	v_cmp_eq_u32_e32 vcc, 15, v82
	v_cmp_eq_u32_e64 s[6:7], 14, v82
	v_cmp_eq_u32_e64 s[8:9], 13, v82
	;; [unrolled: 1-line block ×13, first 2 shown]
	v_lshl_add_u64 v[16:17], v[34:35], 1, v[0:1]
	v_or_b32_e32 v55, v55, v57
	v_cmp_lt_i32_e64 s[34:35], s53, v85
	;;#ASMSTART
	global_atomic_pk_add_f16 v[16:17], v55, off
	
	;;#ASMEND
	v_lshl_add_u64 v[16:17], v[16:17], 0, 64
	v_or_b32_e32 v55, v59, v60
	;;#ASMSTART
	global_atomic_pk_add_f16 v[16:17], v55, off
	
	;;#ASMEND
	s_and_b64 exec, exec, s[34:35]
	s_cbranch_execz .LBB335_32
; %bb.25:                               ;   in Loop: Header=BB335_7 Depth=1
	v_cndmask_b32_e32 v2, v2, v18, vcc
	v_cndmask_b32_e64 v3, v3, v18, s[6:7]
	v_cndmask_b32_e64 v16, v4, v18, s[8:9]
	;; [unrolled: 1-line block ×19, first 2 shown]
	v_cvt_f16_f32_e32 v22, v18
	v_cvt_f16_f32_sdwa v23, v65 dst_sel:WORD_1 dst_unused:UNUSED_PAD src0_sel:DWORD
	v_cvt_f16_f32_e32 v21, v21
	v_cvt_f16_f32_sdwa v20, v20 dst_sel:WORD_1 dst_unused:UNUSED_PAD src0_sel:DWORD
	v_cndmask_b32_e32 v4, v19, v58, vcc
	v_cndmask_b32_e64 v9, v24, v58, s[14:15]
	v_cndmask_b32_e64 v10, v25, v58, s[0:1]
	;; [unrolled: 1-line block ×7, first 2 shown]
	v_lshl_add_u64 v[18:19], v[36:37], 1, v[0:1]
	v_cmp_lt_i32_e32 vcc, s53, v86
	v_or_b32_e32 v22, v23, v22
	;;#ASMSTART
	global_atomic_pk_add_f16 v[18:19], v22, off
	
	;;#ASMEND
	v_lshl_add_u64 v[18:19], v[18:19], 0, 64
	v_or_b32_e32 v20, v20, v21
	;;#ASMSTART
	global_atomic_pk_add_f16 v[18:19], v20, off
	
	;;#ASMEND
	s_and_b64 exec, exec, vcc
	s_cbranch_execz .LBB335_32
; %bb.26:                               ;   in Loop: Header=BB335_7 Depth=1
	v_cvt_f16_f32_e32 v20, v64
	v_cvt_f16_f32_sdwa v21, v63 dst_sel:WORD_1 dst_unused:UNUSED_PAD src0_sel:DWORD
	v_cvt_f16_f32_e32 v22, v15
	v_cvt_f16_f32_sdwa v23, v14 dst_sel:WORD_1 dst_unused:UNUSED_PAD src0_sel:DWORD
	v_lshl_add_u64 v[18:19], v[38:39], 1, v[0:1]
	v_or_b32_e32 v14, v21, v20
	v_cmp_lt_i32_e32 vcc, s53, v87
	;;#ASMSTART
	global_atomic_pk_add_f16 v[18:19], v14, off
	
	;;#ASMEND
	v_lshl_add_u64 v[14:15], v[18:19], 0, 64
	v_or_b32_e32 v18, v23, v22
	;;#ASMSTART
	global_atomic_pk_add_f16 v[14:15], v18, off
	
	;;#ASMEND
	s_and_b64 exec, exec, vcc
	s_cbranch_execz .LBB335_32
; %bb.27:                               ;   in Loop: Header=BB335_7 Depth=1
	v_cvt_f16_f32_e32 v18, v62
	v_cvt_f16_f32_sdwa v19, v61 dst_sel:WORD_1 dst_unused:UNUSED_PAD src0_sel:DWORD
	v_cvt_f16_f32_e32 v20, v13
	v_cvt_f16_f32_sdwa v21, v12 dst_sel:WORD_1 dst_unused:UNUSED_PAD src0_sel:DWORD
	v_lshl_add_u64 v[14:15], v[40:41], 1, v[0:1]
	v_or_b32_e32 v12, v19, v18
	v_cmp_lt_i32_e32 vcc, s53, v88
	;; [unrolled: 20-line block ×5, first 2 shown]
	;;#ASMSTART
	global_atomic_pk_add_f16 v[8:9], v6, off
	
	;;#ASMEND
	v_lshl_add_u64 v[6:7], v[8:9], 0, 64
	v_or_b32_e32 v8, v13, v12
	;;#ASMSTART
	global_atomic_pk_add_f16 v[6:7], v8, off
	
	;;#ASMEND
	s_and_b64 exec, exec, vcc
	s_cbranch_execz .LBB335_32
; %bb.31:                               ;   in Loop: Header=BB335_7 Depth=1
	v_cvt_f16_f32_e32 v3, v3
	v_cvt_f16_f32_sdwa v2, v2 dst_sel:WORD_1 dst_unused:UNUSED_PAD src0_sel:DWORD
	v_cvt_f16_f32_e32 v5, v5
	v_cvt_f16_f32_sdwa v4, v4 dst_sel:WORD_1 dst_unused:UNUSED_PAD src0_sel:DWORD
	v_lshl_add_u64 v[0:1], v[48:49], 1, v[0:1]
	v_or_b32_e32 v2, v2, v3
	;;#ASMSTART
	global_atomic_pk_add_f16 v[0:1], v2, off
	
	;;#ASMEND
	v_lshl_add_u64 v[0:1], v[0:1], 0, 64
	v_or_b32_e32 v2, v4, v5
	;;#ASMSTART
	global_atomic_pk_add_f16 v[0:1], v2, off
	
	;;#ASMEND
.LBB335_32:                             ;   in Loop: Header=BB335_7 Depth=1
	s_or_b64 exec, exec, s[40:41]
	v_readlane_b32 s14, v105, 10
	v_readlane_b32 s24, v105, 12
	;; [unrolled: 1-line block ×6, first 2 shown]
	v_subrev_u32_e32 v96, s20, v96
	v_readlane_b32 s11, v105, 0
	v_readlane_b32 s12, v105, 1
	;; [unrolled: 1-line block ×19, first 2 shown]
.LBB335_33:                             ;   in Loop: Header=BB335_7 Depth=1
	s_or_b64 exec, exec, s[2:3]
.LBB335_34:                             ;   in Loop: Header=BB335_7 Depth=1
	s_andn2_saveexec_b64 s[0:1], s[4:5]
	s_cbranch_execz .LBB335_43
; %bb.35:                               ;   in Loop: Header=BB335_7 Depth=1
	s_lshl_b32 s10, s20, 1
	v_cmp_gt_i32_e32 vcc, s10, v96
	s_and_saveexec_b64 s[2:3], vcc
	s_cbranch_execz .LBB335_42
; %bb.36:                               ;   in Loop: Header=BB335_7 Depth=1
	s_mul_i32 s4, s54, s19
	s_ashr_i32 s5, s4, 31
	s_add_u32 s4, s46, s4
	s_addc_u32 s5, s47, s5
	s_ashr_i32 s6, s39, 31
	s_add_u32 s4, s4, s39
	s_addc_u32 s5, s5, s6
	v_lshl_add_u64 v[0:1], s[4:5], 0, v[52:53]
	v_lshl_add_u64 v[16:17], v[0:1], 0, v[50:51]
	s_mov_b64 s[4:5], 0
	s_branch .LBB335_38
.LBB335_37:                             ;   in Loop: Header=BB335_38 Depth=2
	s_or_b64 exec, exec, s[6:7]
	v_lshl_add_u32 v20, v18, 12, v92
	;;#ASMSTART
	s_waitcnt vmcnt(3)
	;;#ASMEND
	ds_write2_b32 v20, v12, v13 offset1:32
	ds_write2_b32 v20, v14, v15 offset0:64 offset1:96
	v_add_u32_e32 v12, 0x400, v20
	;;#ASMSTART
	s_waitcnt vmcnt(2)
	;;#ASMEND
	ds_write2_b32 v12, v8, v9 offset1:32
	ds_write2_b32 v12, v10, v11 offset0:64 offset1:96
	v_add_u32_e32 v8, 0x800, v20
	;; [unrolled: 6-line block ×3, first 2 shown]
	v_add_u32_e32 v96, s22, v96
	;;#ASMSTART
	s_waitcnt vmcnt(0)
	;;#ASMEND
	ds_write2_b32 v4, v0, v1 offset1:32
	ds_write2_b32 v4, v2, v3 offset0:64 offset1:96
	v_add_u32_e32 v0, 1, v71
	v_add_u32_e32 v56, s22, v18
	v_cmp_le_i32_e32 vcc, s10, v96
	ds_write_b32 v19, v0 offset:16
	v_add_u32_e32 v0, 2, v71
	s_or_b64 s[4:5], vcc, s[4:5]
	v_cmp_lt_i32_e32 vcc, 1, v56
	s_nop 1
	v_cndmask_b32_e32 v71, v71, v0, vcc
	s_andn2_b64 exec, exec, s[4:5]
	s_cbranch_execz .LBB335_41
.LBB335_38:                             ;   Parent Loop BB335_7 Depth=1
                                        ; =>  This Loop Header: Depth=2
                                        ;       Child Loop BB335_40 Depth 3
	v_cmp_gt_i32_e32 vcc, 2, v56
	s_nop 1
	v_cndmask_b32_e64 v0, -2, 0, vcc
	s_waitcnt lgkmcnt(1)
	v_add_u32_e32 v18, v0, v56
	v_lshrrev_b32_e32 v0, 31, v96
	v_add_u32_e32 v0, v96, v0
	v_and_b32_e32 v1, -2, v0
	v_lshlrev_b32_e32 v0, 6, v0
	v_sub_u32_e32 v2, v96, v1
	v_and_b32_e32 v0, 0xffffff80, v0
	v_ashrrev_i32_e32 v1, 31, v0
	v_mul_lo_u32 v2, s31, v2
	v_lshl_add_u64 v[0:1], v[16:17], 0, v[0:1]
	v_ashrrev_i32_e32 v3, 31, v2
	v_lshl_add_u64 v[0:1], v[0:1], 0, v[2:3]
	v_lshlrev_b32_e32 v19, 2, v18
	;;#ASMSTART
	global_load_dwordx4 v[12:15], v[0:1], off offset:0   sc0 sc1 nt  
	global_load_dwordx4 v[8:11], v[0:1], off offset:32  sc0 sc1 nt  
	global_load_dwordx4 v[4:7], v[0:1], off offset:64  sc0 sc1 nt  
	;; [unrolled: 1-line block ×3, first 2 shown]
	
	;;#ASMEND
	ds_read_b32 v20, v19 offset:24592
	v_add_u32_e32 v19, 0x6000, v19
	s_waitcnt lgkmcnt(0)
	v_cmp_ne_u32_e32 vcc, v20, v71
	s_and_saveexec_b64 s[6:7], vcc
	s_cbranch_execz .LBB335_37
; %bb.39:                               ;   in Loop: Header=BB335_38 Depth=2
	s_mov_b64 s[8:9], 0
.LBB335_40:                             ;   Parent Loop BB335_7 Depth=1
                                        ;     Parent Loop BB335_38 Depth=2
                                        ; =>    This Inner Loop Header: Depth=3
	;;#ASMSTART
	s_sleep 0
	;;#ASMEND
	ds_read_b32 v20, v19 offset:16
	s_waitcnt lgkmcnt(0)
	v_cmp_eq_u32_e32 vcc, v20, v71
	s_or_b64 s[8:9], vcc, s[8:9]
	s_andn2_b64 exec, exec, s[8:9]
	s_cbranch_execnz .LBB335_40
	s_branch .LBB335_37
.LBB335_41:                             ;   in Loop: Header=BB335_7 Depth=1
	s_or_b64 exec, exec, s[4:5]
.LBB335_42:                             ;   in Loop: Header=BB335_7 Depth=1
	s_or_b64 exec, exec, s[2:3]
	v_subrev_u32_e32 v96, s10, v96
.LBB335_43:                             ;   in Loop: Header=BB335_7 Depth=1
	s_or_b64 exec, exec, s[0:1]
.LBB335_44:                             ;   in Loop: Header=BB335_7 Depth=1
	s_andn2_saveexec_b64 s[0:1], s[40:41]
	s_cbranch_execz .LBB335_6
; %bb.45:                               ;   in Loop: Header=BB335_7 Depth=1
	s_lshl_b32 s10, s20, 2
	v_cmp_gt_i32_e32 vcc, s10, v96
	s_and_saveexec_b64 s[2:3], vcc
	s_cbranch_execz .LBB335_5
; %bb.46:                               ;   in Loop: Header=BB335_7 Depth=1
	s_mul_i32 s4, s52, s18
	s_max_i32 s6, s53, 0
	s_ashr_i32 s5, s4, 31
	s_add_u32 s4, s44, s4
	v_add_u32_e32 v2, s6, v72
	s_movk_i32 s6, 0x80
	s_addc_u32 s5, s45, s5
	s_ashr_i32 s7, s39, 31
	v_cmp_gt_u32_e32 vcc, s6, v2
	s_add_u32 s4, s4, s39
	s_addc_u32 s5, s5, s7
	v_cndmask_b32_e32 v0, 0, v93, vcc
	v_ashrrev_i32_e32 v1, 31, v0
	v_lshl_add_u64 v[0:1], s[4:5], 0, v[0:1]
	v_lshl_add_u64 v[16:17], v[0:1], 0, v[50:51]
	s_waitcnt lgkmcnt(1)
	v_sub_u32_e32 v18, 0x7f, v2
	s_mov_b64 s[4:5], 0
	s_branch .LBB335_48
.LBB335_47:                             ;   in Loop: Header=BB335_48 Depth=2
	s_or_b64 exec, exec, s[6:7]
	v_lshl_or_b32 v21, v19, 12, v94
	;;#ASMSTART
	s_waitcnt vmcnt(3)
	;;#ASMEND
	ds_write2_b32 v21, v12, v13 offset1:32
	ds_write2_b32 v21, v14, v15 offset0:64 offset1:96
	v_add_u32_e32 v12, 0x400, v21
	;;#ASMSTART
	s_waitcnt vmcnt(2)
	;;#ASMEND
	ds_write2_b32 v12, v8, v9 offset1:32
	ds_write2_b32 v12, v10, v11 offset0:64 offset1:96
	v_add_u32_e32 v8, 0x800, v21
	;; [unrolled: 6-line block ×3, first 2 shown]
	v_add_u32_e32 v96, s21, v96
	;;#ASMSTART
	s_waitcnt vmcnt(0)
	;;#ASMEND
	ds_write2_b32 v4, v0, v1 offset1:32
	ds_write2_b32 v4, v2, v3 offset0:64 offset1:96
	v_add_u32_e32 v0, 1, v71
	v_add_u32_e32 v56, s21, v19
	v_cmp_le_i32_e32 vcc, s10, v96
	ds_write_b32 v20, v0
	v_add_u32_e32 v0, 2, v71
	s_or_b64 s[4:5], vcc, s[4:5]
	v_cmp_lt_i32_e32 vcc, 3, v56
	s_nop 1
	v_cndmask_b32_e32 v71, v71, v0, vcc
	s_andn2_b64 exec, exec, s[4:5]
	s_cbranch_execz .LBB335_4
.LBB335_48:                             ;   Parent Loop BB335_7 Depth=1
                                        ; =>  This Loop Header: Depth=2
                                        ;       Child Loop BB335_50 Depth 3
	v_cmp_gt_i32_e32 vcc, 4, v56
	s_nop 1
	v_cndmask_b32_e64 v0, -4, 0, vcc
	v_add_u32_e32 v19, v0, v56
	v_ashrrev_i32_e32 v0, 31, v96
	v_lshrrev_b32_e32 v0, 30, v0
	v_add_u32_e32 v0, v96, v0
	v_and_b32_e32 v1, 0x7fffffc, v0
	v_sub_u32_e32 v1, v96, v1
	v_lshlrev_b32_e32 v1, 5, v1
	v_cmp_le_i32_e32 vcc, v1, v18
	v_lshlrev_b32_e32 v0, 5, v0
	v_and_b32_e32 v0, 0xffffff80, v0
	v_cndmask_b32_e32 v2, 0, v1, vcc
	v_ashrrev_i32_e32 v1, 31, v0
	v_mul_lo_u32 v2, v2, s18
	v_lshl_add_u64 v[0:1], v[16:17], 0, v[0:1]
	v_ashrrev_i32_e32 v3, 31, v2
	v_lshl_add_u64 v[0:1], v[0:1], 0, v[2:3]
	v_lshlrev_b32_e32 v20, 2, v19
	;;#ASMSTART
	global_load_dwordx4 v[12:15], v[0:1], off offset:0   
	global_load_dwordx4 v[8:11], v[0:1], off offset:32  
	;; [unrolled: 1-line block ×4, first 2 shown]
	
	;;#ASMEND
	ds_read_b32 v21, v20 offset:24576
	v_add_u32_e32 v20, 0x6000, v20
	s_waitcnt lgkmcnt(0)
	v_cmp_ne_u32_e32 vcc, v21, v71
	s_and_saveexec_b64 s[6:7], vcc
	s_cbranch_execz .LBB335_47
; %bb.49:                               ;   in Loop: Header=BB335_48 Depth=2
	s_mov_b64 s[8:9], 0
.LBB335_50:                             ;   Parent Loop BB335_7 Depth=1
                                        ;     Parent Loop BB335_48 Depth=2
                                        ; =>    This Inner Loop Header: Depth=3
	;;#ASMSTART
	s_sleep 0
	;;#ASMEND
	ds_read_b32 v21, v20
	s_waitcnt lgkmcnt(0)
	v_cmp_eq_u32_e32 vcc, v21, v71
	s_or_b64 s[8:9], vcc, s[8:9]
	s_andn2_b64 exec, exec, s[8:9]
	s_cbranch_execnz .LBB335_50
	s_branch .LBB335_47
.LBB335_51:
	s_endpgm
	.section	.rodata,"a",@progbits
	.p2align	6, 0x0
	.amdhsa_kernel _Z19_skinny_gemm_kernelILi4ELi2ELi1ELi32ELi8EEvPKhS1_P6__halfPKfiiiiiiii
		.amdhsa_group_segment_fixed_size 24600
		.amdhsa_private_segment_fixed_size 0
		.amdhsa_kernarg_size 64
		.amdhsa_user_sgpr_count 2
		.amdhsa_user_sgpr_dispatch_ptr 0
		.amdhsa_user_sgpr_queue_ptr 0
		.amdhsa_user_sgpr_kernarg_segment_ptr 1
		.amdhsa_user_sgpr_dispatch_id 0
		.amdhsa_user_sgpr_kernarg_preload_length 0
		.amdhsa_user_sgpr_kernarg_preload_offset 0
		.amdhsa_user_sgpr_private_segment_size 0
		.amdhsa_uses_dynamic_stack 0
		.amdhsa_enable_private_segment 0
		.amdhsa_system_sgpr_workgroup_id_x 1
		.amdhsa_system_sgpr_workgroup_id_y 0
		.amdhsa_system_sgpr_workgroup_id_z 0
		.amdhsa_system_sgpr_workgroup_info 0
		.amdhsa_system_vgpr_workitem_id 0
		.amdhsa_next_free_vgpr 106
		.amdhsa_next_free_sgpr 100
		.amdhsa_accum_offset 108
		.amdhsa_reserve_vcc 1
		.amdhsa_float_round_mode_32 0
		.amdhsa_float_round_mode_16_64 0
		.amdhsa_float_denorm_mode_32 3
		.amdhsa_float_denorm_mode_16_64 3
		.amdhsa_dx10_clamp 1
		.amdhsa_ieee_mode 1
		.amdhsa_fp16_overflow 0
		.amdhsa_tg_split 0
		.amdhsa_exception_fp_ieee_invalid_op 0
		.amdhsa_exception_fp_denorm_src 0
		.amdhsa_exception_fp_ieee_div_zero 0
		.amdhsa_exception_fp_ieee_overflow 0
		.amdhsa_exception_fp_ieee_underflow 0
		.amdhsa_exception_fp_ieee_inexact 0
		.amdhsa_exception_int_div_zero 0
	.end_amdhsa_kernel
	.section	.text._Z19_skinny_gemm_kernelILi4ELi2ELi1ELi32ELi8EEvPKhS1_P6__halfPKfiiiiiiii,"axG",@progbits,_Z19_skinny_gemm_kernelILi4ELi2ELi1ELi32ELi8EEvPKhS1_P6__halfPKfiiiiiiii,comdat
.Lfunc_end335:
	.size	_Z19_skinny_gemm_kernelILi4ELi2ELi1ELi32ELi8EEvPKhS1_P6__halfPKfiiiiiiii, .Lfunc_end335-_Z19_skinny_gemm_kernelILi4ELi2ELi1ELi32ELi8EEvPKhS1_P6__halfPKfiiiiiiii
                                        ; -- End function
	.set _Z19_skinny_gemm_kernelILi4ELi2ELi1ELi32ELi8EEvPKhS1_P6__halfPKfiiiiiiii.num_vgpr, 106
	.set _Z19_skinny_gemm_kernelILi4ELi2ELi1ELi32ELi8EEvPKhS1_P6__halfPKfiiiiiiii.num_agpr, 0
	.set _Z19_skinny_gemm_kernelILi4ELi2ELi1ELi32ELi8EEvPKhS1_P6__halfPKfiiiiiiii.numbered_sgpr, 100
	.set _Z19_skinny_gemm_kernelILi4ELi2ELi1ELi32ELi8EEvPKhS1_P6__halfPKfiiiiiiii.num_named_barrier, 0
	.set _Z19_skinny_gemm_kernelILi4ELi2ELi1ELi32ELi8EEvPKhS1_P6__halfPKfiiiiiiii.private_seg_size, 0
	.set _Z19_skinny_gemm_kernelILi4ELi2ELi1ELi32ELi8EEvPKhS1_P6__halfPKfiiiiiiii.uses_vcc, 1
	.set _Z19_skinny_gemm_kernelILi4ELi2ELi1ELi32ELi8EEvPKhS1_P6__halfPKfiiiiiiii.uses_flat_scratch, 0
	.set _Z19_skinny_gemm_kernelILi4ELi2ELi1ELi32ELi8EEvPKhS1_P6__halfPKfiiiiiiii.has_dyn_sized_stack, 0
	.set _Z19_skinny_gemm_kernelILi4ELi2ELi1ELi32ELi8EEvPKhS1_P6__halfPKfiiiiiiii.has_recursion, 0
	.set _Z19_skinny_gemm_kernelILi4ELi2ELi1ELi32ELi8EEvPKhS1_P6__halfPKfiiiiiiii.has_indirect_call, 0
	.section	.AMDGPU.csdata,"",@progbits
; Kernel info:
; codeLenInByte = 10132
; TotalNumSgprs: 106
; NumVgprs: 106
; NumAgprs: 0
; TotalNumVgprs: 106
; ScratchSize: 0
; MemoryBound: 0
; FloatMode: 240
; IeeeMode: 1
; LDSByteSize: 24600 bytes/workgroup (compile time only)
; SGPRBlocks: 13
; VGPRBlocks: 13
; NumSGPRsForWavesPerEU: 106
; NumVGPRsForWavesPerEU: 106
; AccumOffset: 108
; Occupancy: 4
; WaveLimiterHint : 0
; COMPUTE_PGM_RSRC2:SCRATCH_EN: 0
; COMPUTE_PGM_RSRC2:USER_SGPR: 2
; COMPUTE_PGM_RSRC2:TRAP_HANDLER: 0
; COMPUTE_PGM_RSRC2:TGID_X_EN: 1
; COMPUTE_PGM_RSRC2:TGID_Y_EN: 0
; COMPUTE_PGM_RSRC2:TGID_Z_EN: 0
; COMPUTE_PGM_RSRC2:TIDIG_COMP_CNT: 0
; COMPUTE_PGM_RSRC3_GFX90A:ACCUM_OFFSET: 26
; COMPUTE_PGM_RSRC3_GFX90A:TG_SPLIT: 0
	.section	.text._Z19_skinny_gemm_kernelILi4ELi2ELi2ELi16ELi4EEvPKhS1_P6__halfPKfiiiiiiii,"axG",@progbits,_Z19_skinny_gemm_kernelILi4ELi2ELi2ELi16ELi4EEvPKhS1_P6__halfPKfiiiiiiii,comdat
	.protected	_Z19_skinny_gemm_kernelILi4ELi2ELi2ELi16ELi4EEvPKhS1_P6__halfPKfiiiiiiii ; -- Begin function _Z19_skinny_gemm_kernelILi4ELi2ELi2ELi16ELi4EEvPKhS1_P6__halfPKfiiiiiiii
	.globl	_Z19_skinny_gemm_kernelILi4ELi2ELi2ELi16ELi4EEvPKhS1_P6__halfPKfiiiiiiii
	.p2align	8
	.type	_Z19_skinny_gemm_kernelILi4ELi2ELi2ELi16ELi4EEvPKhS1_P6__halfPKfiiiiiiii,@function
_Z19_skinny_gemm_kernelILi4ELi2ELi2ELi16ELi4EEvPKhS1_P6__halfPKfiiiiiiii: ; @_Z19_skinny_gemm_kernelILi4ELi2ELi2ELi16ELi4EEvPKhS1_P6__halfPKfiiiiiiii
; %bb.0:
	v_cmp_gt_u32_e32 vcc, 12, v0
	v_lshlrev_b32_e32 v1, 2, v0
	s_and_saveexec_b64 s[4:5], vcc
; %bb.1:
	v_mov_b32_e32 v2, 0
	ds_write_b32 v1, v2 offset:24576
; %bb.2:
	s_or_b64 exec, exec, s[4:5]
	s_load_dwordx8 s[16:23], s[0:1], 0x20
	s_waitcnt lgkmcnt(0)
	s_barrier
	s_add_i32 s3, s16, 63
	s_ashr_i32 s5, s3, 31
	s_add_i32 s4, s17, 31
	s_lshr_b32 s5, s5, 26
	s_ashr_i32 s6, s4, 31
	s_add_i32 s3, s3, s5
	s_ashr_i32 s33, s3, 6
	s_lshr_b32 s3, s6, 27
	s_add_i32 s4, s4, s3
	s_ashr_i32 s48, s4, 5
	s_mul_i32 s3, s48, s33
	s_mul_i32 s3, s3, s20
	s_add_i32 s4, s3, 0x12f
	s_mul_hi_i32 s4, s4, 0x6bca1af3
	s_lshr_b32 s5, s4, 31
	s_ashr_i32 s4, s4, 7
	s_add_i32 s4, s4, s5
	s_add_i32 s5, s2, 1
	s_mul_i32 s5, s4, s5
	v_cvt_f64_i32_e32 v[2:3], s3
	v_cvt_f64_u32_e32 v[4:5], s5
	v_min_f64 v[2:3], v[2:3], v[4:5]
	v_cvt_i32_f64_e32 v33, v[2:3]
	s_mul_i32 s49, s4, s2
	v_cmp_ge_i32_e32 vcc, s49, v33
	s_cbranch_vccnz .LBB336_60
; %bb.3:
	v_lshrrev_b32_e32 v2, 6, v0
	s_add_i32 s4, s22, s21
	s_load_dwordx8 s[24:31], s[0:1], 0x0
	v_cmp_le_i32_e64 s[0:1], s4, v2
	v_mov_b32_e32 v3, s21
	v_cmp_le_i32_e64 s[2:3], s21, v2
	v_mov_b32_e32 v4, s22
	v_cndmask_b32_e64 v4, 0, v4, s[0:1]
	v_cndmask_b32_e64 v3, 0, v3, s[2:3]
	s_abs_i32 s5, s20
	v_add_u32_e32 v3, v3, v4
	v_cvt_f32_u32_e32 v4, s5
	v_sub_u32_e32 v50, v2, v3
	s_ashr_i32 s6, s18, 31
	s_lshr_b32 s6, s6, 25
	v_rcp_iflag_f32_e32 v3, v4
	s_sub_i32 s9, 0, s5
	s_add_i32 s6, s18, s6
	s_ashr_i32 s6, s6, 7
	v_mul_f32_e32 v3, 0x4f7ffffe, v3
	v_cvt_u32_f32_e32 v3, v3
	s_abs_i32 s8, s6
	s_xor_b32 s7, s6, s20
	s_ashr_i32 s7, s7, 31
	v_readfirstlane_b32 s10, v3
	s_mul_i32 s9, s9, s10
	s_mul_hi_u32 s9, s10, s9
	s_add_i32 s10, s10, s9
	s_mul_hi_u32 s9, s8, s10
	s_mul_i32 s10, s9, s5
	s_sub_i32 s8, s8, s10
	s_add_i32 s10, s9, 1
	s_sub_i32 s11, s8, s5
	s_cmp_ge_u32 s8, s5
	s_cselect_b32 s9, s10, s9
	s_cselect_b32 s8, s11, s8
	s_add_i32 s10, s9, 1
	s_cmp_ge_u32 s8, s5
	s_cselect_b32 s5, s10, s9
	s_xor_b32 s5, s5, s7
	s_sub_i32 s50, s5, s7
	s_add_i32 s20, s20, -1
	s_mul_i32 s5, s50, s20
	s_add_i32 s4, s4, s23
	s_sub_i32 s51, s6, s5
	v_cmp_gt_i32_e64 s[4:5], s4, v2
	v_lshlrev_b32_e32 v2, 1, v0
	v_lshlrev_b32_e32 v3, 4, v0
	v_and_b32_e32 v1, 60, v1
	v_and_b32_e32 v2, 64, v2
	;; [unrolled: 1-line block ×3, first 2 shown]
	v_or3_b32 v85, v1, v2, v4
	v_and_b32_e32 v1, 1, v0
	v_lshrrev_b32_e32 v4, 2, v0
	s_abs_i32 s52, s33
	v_and_or_b32 v90, v4, 12, v1
	v_cvt_f32_u32_e32 v4, s52
	v_lshlrev_b32_e32 v2, 1, v1
	v_and_b32_e32 v32, 14, v0
	v_sub_u32_e32 v2, v0, v2
	v_bitop3_b32 v87, v0, 1, v0 bitop3:0xc
	v_bitop3_b32 v88, v0, 3, 1 bitop3:0x6c
	v_and_b32_e32 v42, 48, v3
	v_bfe_u32 v94, v0, 2, 4
	v_and_b32_e32 v1, 60, v0
	v_lshlrev_b32_e32 v3, 8, v0
	v_lshlrev_b32_e32 v0, 6, v0
	v_and_b32_e32 v3, 0x200, v3
	v_and_b32_e32 v0, 64, v0
	v_or3_b32 v95, v1, v3, v0
	v_rcp_iflag_f32_e32 v0, v4
	s_abs_i32 s54, s48
	v_cvt_f32_u32_e32 v1, s54
	v_mad_u64_u32 v[34:35], s[6:7], s17, v90, v[32:33]
	v_mul_f32_e32 v0, 0x4f7ffffe, v0
	v_cvt_u32_f32_e32 v0, v0
	v_rcp_iflag_f32_e32 v1, v1
	s_lshl_b32 s6, s17, 4
	v_add_u32_e32 v36, s6, v34
	v_readfirstlane_b32 s7, v0
	v_mul_f32_e32 v0, 0x4f7ffffe, v1
	v_add_u32_e32 v38, s6, v36
	v_cvt_u32_f32_e32 v0, v0
	v_add_u32_e32 v40, s6, v38
	s_sub_i32 s6, 0, s52
	s_mul_i32 s6, s6, s7
	s_mul_hi_u32 s6, s7, s6
	v_add_u32_e32 v2, 1, v2
	s_add_i32 s56, s7, s6
	s_sub_i32 s6, 0, s54
	v_readfirstlane_b32 s7, v0
	v_mbcnt_lo_u32_b32 v0, -1, 0
	v_and_b32_e32 v2, 63, v2
	s_mul_i32 s6, s6, s7
	v_mbcnt_hi_u32_b32 v0, -1, v0
	v_mul_lo_u32 v44, s19, v94
	s_mul_hi_u32 s6, s7, s6
	v_and_or_b32 v0, v0, 64, v2
	v_cndmask_b32_e64 v84, 0, 1, s[0:1]
	v_or_b32_e32 v86, 0x4000, v85
	s_ashr_i32 s35, s17, 31
	s_mov_b32 s34, s17
	v_or_b32_e32 v89, 16, v32
	v_ashrrev_i32_e32 v35, 31, v34
	v_or_b32_e32 v91, 16, v90
	v_ashrrev_i32_e32 v37, 31, v36
	;; [unrolled: 2-line block ×4, first 2 shown]
	v_ashrrev_i32_e32 v45, 31, v44
	v_mov_b32_e32 v43, 0
	v_or_b32_e32 v96, 0x4000, v95
	s_lshl_b32 s53, s19, 4
	v_mul_lo_u32 v97, s18, v94
	s_ashr_i32 s55, s33, 31
	s_ashr_i32 s57, s48, 31
	s_add_i32 s58, s7, s6
	v_lshlrev_b32_e32 v98, 2, v0
	v_mov_b32_e32 v99, v50
	s_branch .LBB336_7
.LBB336_4:                              ;   in Loop: Header=BB336_7 Depth=1
	s_or_b64 exec, exec, s[10:11]
.LBB336_5:                              ;   in Loop: Header=BB336_7 Depth=1
	s_or_b64 exec, exec, s[8:9]
	v_subrev_u32_e32 v99, s36, v99
.LBB336_6:                              ;   in Loop: Header=BB336_7 Depth=1
	s_or_b64 exec, exec, s[6:7]
	s_add_i32 s49, s49, 1
	v_cmp_ge_i32_e32 vcc, s49, v33
	s_cbranch_vccnz .LBB336_60
.LBB336_7:                              ; =>This Loop Header: Depth=1
                                        ;     Child Loop BB336_13 Depth 2
                                        ;       Child Loop BB336_15 Depth 3
                                        ;       Child Loop BB336_18 Depth 3
	;; [unrolled: 1-line block ×6, first 2 shown]
                                        ;     Child Loop BB336_47 Depth 2
                                        ;       Child Loop BB336_49 Depth 3
                                        ;     Child Loop BB336_57 Depth 2
                                        ;       Child Loop BB336_59 Depth 3
	s_abs_i32 s7, s49
	s_mul_hi_u32 s8, s7, s56
	s_mul_i32 s9, s8, s52
	s_ashr_i32 s6, s49, 31
	s_sub_i32 s7, s7, s9
	s_xor_b32 s6, s6, s55
	s_add_i32 s9, s8, 1
	s_sub_i32 s10, s7, s52
	s_cmp_ge_u32 s7, s52
	s_cselect_b32 s8, s9, s8
	s_cselect_b32 s7, s10, s7
	s_add_i32 s9, s8, 1
	s_cmp_ge_u32 s7, s52
	s_cselect_b32 s7, s9, s8
	s_xor_b32 s7, s7, s6
	s_sub_i32 s6, s7, s6
	s_abs_i32 s8, s6
	s_mul_i32 s7, s6, s33
	s_mul_hi_u32 s9, s8, s58
	s_sub_i32 s7, s49, s7
	s_mul_i32 s10, s9, s54
	s_lshl_b32 s59, s7, 6
	s_ashr_i32 s7, s6, 31
	s_sub_i32 s8, s8, s10
	s_xor_b32 s7, s7, s57
	s_add_i32 s10, s9, 1
	s_sub_i32 s11, s8, s54
	s_cmp_ge_u32 s8, s54
	s_cselect_b32 s9, s10, s9
	s_cselect_b32 s8, s11, s8
	s_add_i32 s10, s9, 1
	s_cmp_ge_u32 s8, s54
	s_cselect_b32 s8, s10, s9
	s_xor_b32 s8, s8, s7
	s_sub_i32 s7, s8, s7
	s_mul_i32 s8, s7, s50
	s_lshl_b32 s60, s8, 7
	s_cmp_eq_u32 s7, s20
	s_cselect_b32 s62, s51, s50
	s_sub_i32 s8, s59, s16
	s_add_i32 s8, s8, 64
	s_max_i32 s61, s8, 0
	s_and_saveexec_b64 s[8:9], s[2:3]
	s_xor_b64 s[36:37], exec, s[8:9]
	s_cbranch_execz .LBB336_53
; %bb.8:                                ;   in Loop: Header=BB336_7 Depth=1
	s_mul_i32 s7, s7, s48
	s_sub_i32 s6, s6, s7
	s_lshl_b32 s6, s6, 5
	s_sub_i32 s14, s6, s17
	s_add_i32 s14, s14, 32
	s_max_i32 s7, s14, 0
	s_sub_i32 s38, s6, s7
	s_and_saveexec_b64 s[6:7], s[0:1]
	s_xor_b64 s[40:41], exec, s[6:7]
	s_cbranch_execz .LBB336_43
; %bb.9:                                ;   in Loop: Header=BB336_7 Depth=1
	s_and_saveexec_b64 s[42:43], s[4:5]
	s_cbranch_execz .LBB336_42
; %bb.10:                               ;   in Loop: Header=BB336_7 Depth=1
	s_waitcnt lgkmcnt(0)
	global_load_dword v100, v43, s[30:31]
	v_mov_b32_e32 v31, 0
	v_cmp_gt_i32_e32 vcc, s62, v99
	v_mov_b32_e32 v30, v31
	v_mov_b32_e32 v29, v31
	;; [unrolled: 1-line block ×31, first 2 shown]
	s_and_saveexec_b64 s[6:7], vcc
	s_cbranch_execz .LBB336_32
; %bb.11:                               ;   in Loop: Header=BB336_7 Depth=1
	v_mov_b32_e32 v4, 0
	s_mov_b64 s[8:9], 0
	v_mov_b32_e32 v5, v4
	v_mov_b32_e32 v6, v4
	;; [unrolled: 1-line block ×31, first 2 shown]
	s_branch .LBB336_13
.LBB336_12:                             ;   in Loop: Header=BB336_13 Depth=2
	s_or_b64 exec, exec, s[10:11]
	v_add_u32_e32 v52, 0x800, v104
	ds_read2_b32 v[50:51], v52 offset1:32
	v_add_u32_e32 v56, 0xc00, v104
	v_add_u32_e32 v99, s23, v99
	s_waitcnt lgkmcnt(0)
	v_mfma_f32_16x16x32_fp8_fp8 v[24:27], v[46:47], v[50:51], v[24:27]
	ds_read2_b32 v[46:47], v52 offset0:128 offset1:160
	ds_read2_b32 v[52:53], v56 offset1:32
	v_mfma_f32_16x16x32_fp8_fp8 v[16:19], v[62:63], v[50:51], v[16:19]
	v_mfma_f32_16x16x32_fp8_fp8 v[8:11], v[70:71], v[50:51], v[8:11]
	;; [unrolled: 1-line block ×3, first 2 shown]
	v_add_u32_e32 v50, s23, v101
	v_cmp_lt_i32_e32 vcc, 1, v50
	s_waitcnt lgkmcnt(1)
	v_mfma_f32_16x16x32_fp8_fp8 v[24:27], v[54:55], v[46:47], v[24:27]
	ds_read2_b32 v[54:55], v56 offset0:128 offset1:160
	;;#ASMSTART
	s_waitcnt lgkmcnt(0)
	;;#ASMEND
	ds_write_b32 v102, v103 offset:24612
	v_mfma_f32_16x16x32_fp8_fp8 v[16:19], v[64:65], v[46:47], v[16:19]
	v_mfma_f32_16x16x32_fp8_fp8 v[8:11], v[72:73], v[46:47], v[8:11]
	;; [unrolled: 1-line block ×3, first 2 shown]
	v_add_u32_e32 v46, 2, v84
	v_cndmask_b32_e32 v84, v84, v46, vcc
	v_cmp_le_i32_e32 vcc, s62, v99
	s_waitcnt lgkmcnt(2)
	v_mfma_f32_16x16x32_fp8_fp8 v[24:27], v[58:59], v[52:53], v[24:27]
	s_or_b64 s[8:9], vcc, s[8:9]
	v_mfma_f32_16x16x32_fp8_fp8 v[16:19], v[66:67], v[52:53], v[16:19]
	v_mfma_f32_16x16x32_fp8_fp8 v[8:11], v[74:75], v[52:53], v[8:11]
	;; [unrolled: 1-line block ×3, first 2 shown]
	s_waitcnt lgkmcnt(1)
	v_mfma_f32_16x16x32_fp8_fp8 v[24:27], v[60:61], v[54:55], v[24:27]
	v_mfma_f32_16x16x32_fp8_fp8 v[16:19], v[68:69], v[54:55], v[16:19]
	;; [unrolled: 1-line block ×4, first 2 shown]
	s_andn2_b64 exec, exec, s[8:9]
	s_cbranch_execz .LBB336_31
.LBB336_13:                             ;   Parent Loop BB336_7 Depth=1
                                        ; =>  This Loop Header: Depth=2
                                        ;       Child Loop BB336_15 Depth 3
                                        ;       Child Loop BB336_18 Depth 3
	;; [unrolled: 1-line block ×6, first 2 shown]
	v_cmp_gt_i32_e32 vcc, 2, v50
	s_nop 1
	v_cndmask_b32_e64 v46, -2, 0, vcc
	v_add_u32_e32 v101, v46, v50
	v_lshlrev_b32_e32 v102, 3, v101
	ds_read_b32 v46, v102 offset:24608
	s_waitcnt lgkmcnt(0)
	v_cmp_ne_u32_e32 vcc, v46, v84
	s_and_saveexec_b64 s[10:11], vcc
	s_cbranch_execz .LBB336_16
; %bb.14:                               ;   in Loop: Header=BB336_13 Depth=2
	s_mov_b64 s[12:13], 0
.LBB336_15:                             ;   Parent Loop BB336_7 Depth=1
                                        ;     Parent Loop BB336_13 Depth=2
                                        ; =>    This Inner Loop Header: Depth=3
	;;#ASMSTART
	s_sleep 0
	;;#ASMEND
	ds_read_b32 v46, v102 offset:24608
	s_waitcnt lgkmcnt(0)
	v_cmp_eq_u32_e32 vcc, v46, v84
	s_or_b64 s[12:13], vcc, s[12:13]
	s_andn2_b64 exec, exec, s[12:13]
	s_cbranch_execnz .LBB336_15
.LBB336_16:                             ;   in Loop: Header=BB336_13 Depth=2
	s_or_b64 exec, exec, s[10:11]
	v_lshlrev_b32_e32 v46, 12, v101
	v_add_u32_e32 v104, v86, v46
	v_add_u32_e32 v46, 0x400, v104
	;; [unrolled: 1-line block ×3, first 2 shown]
	ds_read2_b32 v[48:49], v104 offset1:32
	ds_read2_b32 v[50:51], v104 offset0:128 offset1:160
	ds_read2_b32 v[56:57], v46 offset1:32
	ds_read2_b32 v[52:53], v46 offset0:128 offset1:160
	;;#ASMSTART
	s_waitcnt lgkmcnt(0)
	;;#ASMEND
	ds_write_b32 v102, v103 offset:24608
	v_lshlrev_b32_e32 v105, 4, v101
	ds_read_b32 v46, v105 offset:24576
	s_waitcnt lgkmcnt(0)
	v_cmp_ne_u32_e32 vcc, v46, v84
	s_and_saveexec_b64 s[10:11], vcc
	s_cbranch_execz .LBB336_19
; %bb.17:                               ;   in Loop: Header=BB336_13 Depth=2
	s_mov_b64 s[12:13], 0
.LBB336_18:                             ;   Parent Loop BB336_7 Depth=1
                                        ;     Parent Loop BB336_13 Depth=2
                                        ; =>    This Inner Loop Header: Depth=3
	;;#ASMSTART
	s_sleep 0
	;;#ASMEND
	ds_read_b32 v46, v105 offset:24576
	s_waitcnt lgkmcnt(0)
	v_cmp_eq_u32_e32 vcc, v46, v84
	s_or_b64 s[12:13], vcc, s[12:13]
	s_andn2_b64 exec, exec, s[12:13]
	s_cbranch_execnz .LBB336_18
.LBB336_19:                             ;   in Loop: Header=BB336_13 Depth=2
	s_or_b64 exec, exec, s[10:11]
	v_lshlrev_b32_e32 v62, 13, v101
	v_or_b32_e32 v58, v85, v62
	ds_read2_b32 v[46:47], v58 offset1:32
	ds_read2_b32 v[54:55], v58 offset0:128 offset1:160
	v_add_u32_e32 v60, 0x400, v58
	ds_read2_b32 v[58:59], v60 offset1:32
	ds_read2_b32 v[60:61], v60 offset0:128 offset1:160
	ds_read_b32 v63, v105 offset:24580
	ds_write_b32 v105, v103 offset:24576
	s_waitcnt lgkmcnt(5)
	v_mfma_f32_16x16x32_fp8_fp8 v[28:31], v[46:47], v[48:49], v[28:31]
	s_waitcnt lgkmcnt(1)
	v_cmp_ne_u32_e32 vcc, v63, v84
	v_mfma_f32_16x16x32_fp8_fp8 v[28:31], v[54:55], v[50:51], v[28:31]
	v_mfma_f32_16x16x32_fp8_fp8 v[28:31], v[58:59], v[56:57], v[28:31]
	;; [unrolled: 1-line block ×3, first 2 shown]
	s_and_saveexec_b64 s[10:11], vcc
	s_cbranch_execz .LBB336_22
; %bb.20:                               ;   in Loop: Header=BB336_13 Depth=2
	s_mov_b64 s[12:13], 0
.LBB336_21:                             ;   Parent Loop BB336_7 Depth=1
                                        ;     Parent Loop BB336_13 Depth=2
                                        ; =>    This Inner Loop Header: Depth=3
	;;#ASMSTART
	s_sleep 0
	;;#ASMEND
	ds_read_b32 v63, v105 offset:24580
	s_waitcnt lgkmcnt(0)
	v_cmp_eq_u32_e32 vcc, v63, v84
	s_or_b64 s[12:13], vcc, s[12:13]
	s_andn2_b64 exec, exec, s[12:13]
	s_cbranch_execnz .LBB336_21
.LBB336_22:                             ;   in Loop: Header=BB336_13 Depth=2
	s_or_b64 exec, exec, s[10:11]
	v_add_u32_e32 v82, v85, v62
	v_add_u32_e32 v64, 0x800, v82
	ds_read2_b32 v[62:63], v64 offset1:32
	ds_read2_b32 v[64:65], v64 offset0:128 offset1:160
	v_add_u32_e32 v68, 0xc00, v82
	ds_read2_b32 v[66:67], v68 offset1:32
	ds_read2_b32 v[68:69], v68 offset0:128 offset1:160
	ds_read_b32 v70, v105 offset:24584
	ds_write_b32 v105, v103 offset:24580
	s_waitcnt lgkmcnt(5)
	v_mfma_f32_16x16x32_fp8_fp8 v[20:23], v[62:63], v[48:49], v[20:23]
	s_waitcnt lgkmcnt(1)
	v_cmp_ne_u32_e32 vcc, v70, v84
	v_mfma_f32_16x16x32_fp8_fp8 v[20:23], v[64:65], v[50:51], v[20:23]
	v_mfma_f32_16x16x32_fp8_fp8 v[20:23], v[66:67], v[56:57], v[20:23]
	;; [unrolled: 1-line block ×3, first 2 shown]
	s_and_saveexec_b64 s[10:11], vcc
	s_cbranch_execz .LBB336_25
; %bb.23:                               ;   in Loop: Header=BB336_13 Depth=2
	s_mov_b64 s[12:13], 0
.LBB336_24:                             ;   Parent Loop BB336_7 Depth=1
                                        ;     Parent Loop BB336_13 Depth=2
                                        ; =>    This Inner Loop Header: Depth=3
	;;#ASMSTART
	s_sleep 0
	;;#ASMEND
	ds_read_b32 v70, v105 offset:24584
	s_waitcnt lgkmcnt(0)
	v_cmp_eq_u32_e32 vcc, v70, v84
	s_or_b64 s[12:13], vcc, s[12:13]
	s_andn2_b64 exec, exec, s[12:13]
	s_cbranch_execnz .LBB336_24
.LBB336_25:                             ;   in Loop: Header=BB336_13 Depth=2
	s_or_b64 exec, exec, s[10:11]
	v_add_u32_e32 v72, 0x1000, v82
	ds_read2_b32 v[70:71], v72 offset1:32
	ds_read2_b32 v[72:73], v72 offset0:128 offset1:160
	v_add_u32_e32 v76, 0x1400, v82
	ds_read2_b32 v[74:75], v76 offset1:32
	ds_read2_b32 v[76:77], v76 offset0:128 offset1:160
	ds_read_b32 v78, v105 offset:24588
	ds_write_b32 v105, v103 offset:24584
	s_waitcnt lgkmcnt(5)
	v_mfma_f32_16x16x32_fp8_fp8 v[12:15], v[70:71], v[48:49], v[12:15]
	s_waitcnt lgkmcnt(1)
	v_cmp_ne_u32_e32 vcc, v78, v84
	v_mfma_f32_16x16x32_fp8_fp8 v[12:15], v[72:73], v[50:51], v[12:15]
	v_mfma_f32_16x16x32_fp8_fp8 v[12:15], v[74:75], v[56:57], v[12:15]
	;; [unrolled: 1-line block ×3, first 2 shown]
	s_and_saveexec_b64 s[10:11], vcc
	s_cbranch_execz .LBB336_28
; %bb.26:                               ;   in Loop: Header=BB336_13 Depth=2
	s_mov_b64 s[12:13], 0
.LBB336_27:                             ;   Parent Loop BB336_7 Depth=1
                                        ;     Parent Loop BB336_13 Depth=2
                                        ; =>    This Inner Loop Header: Depth=3
	;;#ASMSTART
	s_sleep 0
	;;#ASMEND
	ds_read_b32 v78, v105 offset:24588
	s_waitcnt lgkmcnt(0)
	v_cmp_eq_u32_e32 vcc, v78, v84
	s_or_b64 s[12:13], vcc, s[12:13]
	s_andn2_b64 exec, exec, s[12:13]
	s_cbranch_execnz .LBB336_27
.LBB336_28:                             ;   in Loop: Header=BB336_13 Depth=2
	s_or_b64 exec, exec, s[10:11]
	v_add_u32_e32 v80, 0x1800, v82
	ds_read2_b32 v[78:79], v80 offset1:32
	ds_read2_b32 v[80:81], v80 offset0:128 offset1:160
	v_add_u32_e32 v106, 0x1c00, v82
	ds_read2_b32 v[82:83], v106 offset1:32
	ds_write_b32 v105, v103 offset:24588
	s_waitcnt lgkmcnt(3)
	v_mfma_f32_16x16x32_fp8_fp8 v[0:3], v[78:79], v[48:49], v[0:3]
	ds_read2_b32 v[48:49], v106 offset0:128 offset1:160
	s_waitcnt lgkmcnt(3)
	v_mfma_f32_16x16x32_fp8_fp8 v[0:3], v[80:81], v[50:51], v[0:3]
	ds_read_b32 v50, v102 offset:24612
	s_waitcnt lgkmcnt(0)
	v_cmp_ne_u32_e32 vcc, v50, v84
	v_mfma_f32_16x16x32_fp8_fp8 v[0:3], v[82:83], v[56:57], v[0:3]
	v_mfma_f32_16x16x32_fp8_fp8 v[0:3], v[48:49], v[52:53], v[0:3]
	s_and_saveexec_b64 s[10:11], vcc
	s_cbranch_execz .LBB336_12
; %bb.29:                               ;   in Loop: Header=BB336_13 Depth=2
	s_mov_b64 s[12:13], 0
.LBB336_30:                             ;   Parent Loop BB336_7 Depth=1
                                        ;     Parent Loop BB336_13 Depth=2
                                        ; =>    This Inner Loop Header: Depth=3
	;;#ASMSTART
	s_sleep 0
	;;#ASMEND
	ds_read_b32 v50, v102 offset:24612
	s_waitcnt lgkmcnt(0)
	v_cmp_eq_u32_e32 vcc, v50, v84
	s_or_b64 s[12:13], vcc, s[12:13]
	s_andn2_b64 exec, exec, s[12:13]
	s_cbranch_execnz .LBB336_30
	s_branch .LBB336_12
.LBB336_31:                             ;   in Loop: Header=BB336_7 Depth=1
	s_or_b64 exec, exec, s[8:9]
.LBB336_32:                             ;   in Loop: Header=BB336_7 Depth=1
	s_or_b64 exec, exec, s[6:7]
	v_cmp_le_i32_e32 vcc, s14, v32
	v_cmp_eq_u32_e64 s[6:7], 2, v87
	v_cmp_eq_u32_e64 s[8:9], 3, v87
	s_waitcnt vmcnt(0)
	v_cndmask_b32_e32 v46, 0, v100, vcc
	v_pk_mul_f32 v[28:29], v[46:47], v[28:29] op_sel_hi:[0,1]
	v_cmp_eq_u32_e32 vcc, 1, v87
	v_pk_mul_f32 v[48:49], v[46:47], v[30:31] op_sel_hi:[0,1]
	v_cmp_eq_u32_e64 s[10:11], 0, v87
	v_cndmask_b32_e32 v30, v28, v29, vcc
	v_cndmask_b32_e64 v30, v30, v48, s[6:7]
	v_cndmask_b32_e64 v30, v30, v49, s[8:9]
	ds_bpermute_b32 v47, v98, v30
	v_cmp_le_i32_e64 s[14:15], s14, v89
	v_cmp_eq_u32_e64 s[12:13], 1, v88
	v_add_u32_e32 v51, s61, v90
	s_waitcnt lgkmcnt(0)
	v_cndmask_b32_e64 v30, v49, v47, s[8:9]
	v_cndmask_b32_e64 v31, v48, v47, s[6:7]
	v_cndmask_b32_e32 v29, v29, v47, vcc
	v_cndmask_b32_e64 v47, v28, v47, s[10:11]
	v_cndmask_b32_e64 v28, 0, v100, s[14:15]
	v_pk_mul_f32 v[54:55], v[28:29], v[24:25] op_sel_hi:[0,1]
	v_pk_mul_f32 v[52:53], v[28:29], v[26:27] op_sel_hi:[0,1]
	v_cndmask_b32_e32 v24, v54, v55, vcc
	v_cndmask_b32_e64 v24, v24, v52, s[6:7]
	v_cndmask_b32_e64 v24, v24, v53, s[8:9]
	ds_bpermute_b32 v25, v98, v24
	v_cndmask_b32_e64 v48, v47, v29, s[12:13]
	v_cmp_eq_u32_e32 vcc, 2, v88
	v_cmp_eq_u32_e64 s[14:15], 3, v88
	s_waitcnt lgkmcnt(0)
	v_cndmask_b32_e64 v27, v52, v25, s[6:7]
	v_cndmask_b32_e32 v24, v48, v31, vcc
	v_cndmask_b32_e64 v24, v24, v30, s[14:15]
	v_cmp_ne_u32_e64 s[6:7], 0, v87
	ds_bpermute_b32 v48, v98, v24
	v_cndmask_b32_e64 v26, v53, v25, s[8:9]
	v_cndmask_b32_e64 v24, v55, v25, s[6:7]
	v_cndmask_b32_e64 v25, v54, v25, s[10:11]
	v_cndmask_b32_e64 v49, v25, v24, s[12:13]
	v_cndmask_b32_e32 v49, v49, v27, vcc
	v_cndmask_b32_e64 v49, v49, v26, s[14:15]
	ds_bpermute_b32 v49, v98, v49
	v_cmp_gt_u32_e32 vcc, 64, v51
	s_and_saveexec_b64 s[44:45], vcc
	s_cbranch_execz .LBB336_41
; %bb.33:                               ;   in Loop: Header=BB336_7 Depth=1
	v_cmp_eq_u32_e64 s[8:9], 1, v88
	v_cmp_eq_u32_e64 s[10:11], 0, v88
	v_cmp_eq_u32_e32 vcc, 3, v88
	s_waitcnt lgkmcnt(1)
	v_cndmask_b32_e64 v29, v29, v48, s[8:9]
	s_waitcnt lgkmcnt(0)
	v_cndmask_b32_e64 v52, v24, v49, s[8:9]
	s_mul_i32 s8, s59, s17
	s_ashr_i32 s9, s8, 31
	s_lshl_b64 s[8:9], s[8:9], 1
	v_cndmask_b32_e64 v47, v47, v48, s[10:11]
	v_cndmask_b32_e64 v53, v25, v49, s[10:11]
	s_add_u32 s10, s28, s8
	s_addc_u32 s11, s29, s9
	s_ashr_i32 s39, s38, 31
	v_cvt_f16_f32_e32 v47, v47
	v_cvt_f16_f32_sdwa v29, v29 dst_sel:WORD_1 dst_unused:UNUSED_PAD src0_sel:DWORD
	s_lshl_b64 s[8:9], s[38:39], 1
	v_cvt_f16_f32_e32 v54, v53
	v_cvt_f16_f32_sdwa v55, v52 dst_sel:WORD_1 dst_unused:UNUSED_PAD src0_sel:DWORD
	s_add_u32 s46, s10, s8
	s_addc_u32 s47, s11, s9
	v_cmp_eq_u32_e64 s[6:7], 2, v88
	v_lshl_add_u64 v[24:25], v[34:35], 1, s[46:47]
	v_or_b32_e32 v29, v29, v47
	v_cmp_gt_u32_e64 s[8:9], 62, v51
	;;#ASMSTART
	global_atomic_pk_add_f16 v[24:25], v29, off
	
	;;#ASMEND
	v_lshl_add_u64 v[52:53], v[24:25], 0, 32
	v_or_b32_e32 v29, v55, v54
	;;#ASMSTART
	global_atomic_pk_add_f16 v[52:53], v29, off
	
	;;#ASMEND
	s_and_b64 exec, exec, s[8:9]
	s_cbranch_execz .LBB336_41
; %bb.34:                               ;   in Loop: Header=BB336_7 Depth=1
	v_mov_b32_e32 v47, v46
	v_cndmask_b32_e32 v30, v30, v48, vcc
	v_cndmask_b32_e64 v31, v31, v48, s[6:7]
	v_cndmask_b32_e32 v48, v26, v49, vcc
	v_cndmask_b32_e64 v49, v27, v49, s[6:7]
	v_mov_b32_e32 v26, v46
	v_mov_b32_e32 v27, v46
	v_pk_mul_f32 v[22:23], v[26:27], v[22:23]
	v_pk_mul_f32 v[26:27], v[46:47], v[20:21]
	v_cmp_eq_u32_e32 vcc, 1, v87
	v_cmp_eq_u32_e64 s[6:7], 2, v87
	v_cmp_eq_u32_e64 s[8:9], 3, v87
	v_cndmask_b32_e32 v20, v26, v27, vcc
	v_cndmask_b32_e64 v20, v20, v22, s[6:7]
	v_cndmask_b32_e64 v20, v20, v23, s[8:9]
	v_cvt_f16_f32_e32 v31, v31
	v_cvt_f16_f32_sdwa v30, v30 dst_sel:WORD_1 dst_unused:UNUSED_PAD src0_sel:DWORD
	ds_bpermute_b32 v51, v98, v20
	v_mov_b32_e32 v29, v28
	v_lshl_add_u64 v[24:25], s[34:35], 2, v[24:25]
	v_or_b32_e32 v30, v30, v31
	v_cmp_eq_u32_e64 s[10:11], 0, v87
	;;#ASMSTART
	global_atomic_pk_add_f16 v[24:25], v30, off
	
	;;#ASMEND
	v_cvt_f16_f32_e32 v52, v49
	v_cvt_f16_f32_sdwa v53, v48 dst_sel:WORD_1 dst_unused:UNUSED_PAD src0_sel:DWORD
	v_lshl_add_u64 v[30:31], v[24:25], 0, 32
	s_waitcnt lgkmcnt(0)
	v_cndmask_b32_e64 v20, v23, v51, s[8:9]
	v_cndmask_b32_e32 v23, v27, v51, vcc
	v_cndmask_b32_e64 v24, v26, v51, s[10:11]
	v_mov_b32_e32 v26, v28
	v_mov_b32_e32 v27, v28
	v_pk_mul_f32 v[48:49], v[28:29], v[16:17]
	v_pk_mul_f32 v[26:27], v[26:27], v[18:19]
	v_cndmask_b32_e32 v16, v48, v49, vcc
	v_cndmask_b32_e64 v16, v16, v26, s[6:7]
	v_cndmask_b32_e64 v16, v16, v27, s[8:9]
	ds_bpermute_b32 v17, v98, v16
	v_cmp_eq_u32_e64 s[12:13], 1, v88
	v_cndmask_b32_e64 v21, v22, v51, s[6:7]
	v_cmp_eq_u32_e32 vcc, 2, v88
	v_cndmask_b32_e64 v22, v24, v23, s[12:13]
	v_cmp_eq_u32_e64 s[14:15], 3, v88
	v_cndmask_b32_e32 v16, v22, v21, vcc
	s_waitcnt lgkmcnt(0)
	v_cndmask_b32_e64 v19, v26, v17, s[6:7]
	v_cndmask_b32_e64 v16, v16, v20, s[14:15]
	v_cmp_ne_u32_e64 s[6:7], 0, v87
	ds_bpermute_b32 v22, v98, v16
	v_cndmask_b32_e64 v18, v27, v17, s[8:9]
	v_cndmask_b32_e64 v16, v49, v17, s[6:7]
	;; [unrolled: 1-line block ×4, first 2 shown]
	v_cndmask_b32_e32 v25, v25, v19, vcc
	v_cndmask_b32_e64 v25, v25, v18, s[14:15]
	ds_bpermute_b32 v25, v98, v25
	v_or_b32_e32 v26, v53, v52
	;;#ASMSTART
	global_atomic_pk_add_f16 v[30:31], v26, off
	
	;;#ASMEND
	v_add_u32_e32 v26, s61, v91
	v_cmp_gt_u32_e32 vcc, 64, v26
	s_and_b64 exec, exec, vcc
	s_cbranch_execz .LBB336_41
; %bb.35:                               ;   in Loop: Header=BB336_7 Depth=1
	v_cmp_eq_u32_e64 s[8:9], 1, v88
	v_cmp_eq_u32_e64 s[10:11], 0, v88
	v_cmp_eq_u32_e32 vcc, 3, v88
	s_waitcnt lgkmcnt(1)
	v_cndmask_b32_e64 v23, v23, v22, s[8:9]
	v_cndmask_b32_e64 v24, v24, v22, s[10:11]
	s_waitcnt lgkmcnt(0)
	v_cndmask_b32_e64 v27, v16, v25, s[8:9]
	v_cndmask_b32_e64 v30, v17, v25, s[10:11]
	v_cvt_f16_f32_e32 v24, v24
	v_cvt_f16_f32_sdwa v23, v23 dst_sel:WORD_1 dst_unused:UNUSED_PAD src0_sel:DWORD
	v_cvt_f16_f32_e32 v48, v30
	v_cvt_f16_f32_sdwa v27, v27 dst_sel:WORD_1 dst_unused:UNUSED_PAD src0_sel:DWORD
	v_cmp_eq_u32_e64 s[6:7], 2, v88
	v_lshl_add_u64 v[16:17], v[36:37], 1, s[46:47]
	v_or_b32_e32 v23, v23, v24
	v_cmp_gt_u32_e64 s[8:9], 62, v26
	;;#ASMSTART
	global_atomic_pk_add_f16 v[16:17], v23, off
	
	;;#ASMEND
	v_lshl_add_u64 v[30:31], v[16:17], 0, 32
	v_or_b32_e32 v23, v27, v48
	;;#ASMSTART
	global_atomic_pk_add_f16 v[30:31], v23, off
	
	;;#ASMEND
	s_and_b64 exec, exec, s[8:9]
	s_cbranch_execz .LBB336_41
; %bb.36:                               ;   in Loop: Header=BB336_7 Depth=1
	v_cndmask_b32_e32 v20, v20, v22, vcc
	v_cndmask_b32_e64 v21, v21, v22, s[6:7]
	v_cndmask_b32_e32 v22, v18, v25, vcc
	v_cndmask_b32_e64 v23, v19, v25, s[6:7]
	v_mov_b32_e32 v18, v46
	v_mov_b32_e32 v19, v46
	v_pk_mul_f32 v[14:15], v[18:19], v[14:15]
	v_pk_mul_f32 v[18:19], v[46:47], v[12:13]
	v_cmp_eq_u32_e32 vcc, 1, v87
	v_cmp_eq_u32_e64 s[6:7], 2, v87
	v_cmp_eq_u32_e64 s[8:9], 3, v87
	v_cndmask_b32_e32 v12, v18, v19, vcc
	v_cndmask_b32_e64 v12, v12, v14, s[6:7]
	v_cndmask_b32_e64 v12, v12, v15, s[8:9]
	v_cvt_f16_f32_e32 v21, v21
	v_cvt_f16_f32_sdwa v20, v20 dst_sel:WORD_1 dst_unused:UNUSED_PAD src0_sel:DWORD
	ds_bpermute_b32 v24, v98, v12
	v_lshl_add_u64 v[16:17], s[34:35], 2, v[16:17]
	v_cmp_eq_u32_e64 s[10:11], 0, v87
	v_or_b32_e32 v20, v20, v21
	;;#ASMSTART
	global_atomic_pk_add_f16 v[16:17], v20, off
	
	;;#ASMEND
	v_cvt_f16_f32_e32 v25, v23
	v_cvt_f16_f32_sdwa v26, v22 dst_sel:WORD_1 dst_unused:UNUSED_PAD src0_sel:DWORD
	v_lshl_add_u64 v[20:21], v[16:17], 0, 32
	s_waitcnt lgkmcnt(0)
	v_cndmask_b32_e64 v12, v15, v24, s[8:9]
	v_cndmask_b32_e32 v15, v19, v24, vcc
	v_cndmask_b32_e64 v16, v18, v24, s[10:11]
	v_mov_b32_e32 v18, v28
	v_mov_b32_e32 v19, v28
	v_pk_mul_f32 v[22:23], v[28:29], v[8:9]
	v_pk_mul_f32 v[18:19], v[18:19], v[10:11]
	v_cndmask_b32_e32 v8, v22, v23, vcc
	v_cndmask_b32_e64 v8, v8, v18, s[6:7]
	v_cndmask_b32_e64 v8, v8, v19, s[8:9]
	ds_bpermute_b32 v9, v98, v8
	v_cmp_eq_u32_e64 s[12:13], 1, v88
	v_cndmask_b32_e64 v13, v14, v24, s[6:7]
	v_cmp_eq_u32_e32 vcc, 2, v88
	v_cndmask_b32_e64 v14, v16, v15, s[12:13]
	v_cmp_eq_u32_e64 s[14:15], 3, v88
	v_cndmask_b32_e32 v8, v14, v13, vcc
	s_waitcnt lgkmcnt(0)
	v_cndmask_b32_e64 v11, v18, v9, s[6:7]
	v_cndmask_b32_e64 v8, v8, v12, s[14:15]
	v_cmp_ne_u32_e64 s[6:7], 0, v87
	ds_bpermute_b32 v14, v98, v8
	v_cndmask_b32_e64 v10, v19, v9, s[8:9]
	v_cndmask_b32_e64 v8, v23, v9, s[6:7]
	;; [unrolled: 1-line block ×4, first 2 shown]
	v_cndmask_b32_e32 v17, v17, v11, vcc
	v_cndmask_b32_e64 v17, v17, v10, s[14:15]
	ds_bpermute_b32 v17, v98, v17
	v_or_b32_e32 v18, v26, v25
	;;#ASMSTART
	global_atomic_pk_add_f16 v[20:21], v18, off
	
	;;#ASMEND
	v_add_u32_e32 v18, s61, v92
	v_cmp_gt_u32_e32 vcc, 64, v18
	s_and_b64 exec, exec, vcc
	s_cbranch_execz .LBB336_41
; %bb.37:                               ;   in Loop: Header=BB336_7 Depth=1
	v_cmp_eq_u32_e64 s[8:9], 1, v88
	v_cmp_eq_u32_e64 s[10:11], 0, v88
	v_cmp_eq_u32_e32 vcc, 3, v88
	s_waitcnt lgkmcnt(1)
	v_cndmask_b32_e64 v15, v15, v14, s[8:9]
	v_cndmask_b32_e64 v16, v16, v14, s[10:11]
	s_waitcnt lgkmcnt(0)
	v_cndmask_b32_e64 v19, v8, v17, s[8:9]
	v_cndmask_b32_e64 v20, v9, v17, s[10:11]
	v_cvt_f16_f32_e32 v16, v16
	v_cvt_f16_f32_sdwa v15, v15 dst_sel:WORD_1 dst_unused:UNUSED_PAD src0_sel:DWORD
	v_cvt_f16_f32_e32 v22, v20
	v_cvt_f16_f32_sdwa v19, v19 dst_sel:WORD_1 dst_unused:UNUSED_PAD src0_sel:DWORD
	v_cmp_eq_u32_e64 s[6:7], 2, v88
	v_lshl_add_u64 v[8:9], v[38:39], 1, s[46:47]
	v_or_b32_e32 v15, v15, v16
	v_cmp_gt_u32_e64 s[8:9], 62, v18
	;;#ASMSTART
	global_atomic_pk_add_f16 v[8:9], v15, off
	
	;;#ASMEND
	v_lshl_add_u64 v[20:21], v[8:9], 0, 32
	v_or_b32_e32 v15, v19, v22
	;;#ASMSTART
	global_atomic_pk_add_f16 v[20:21], v15, off
	
	;;#ASMEND
	s_and_b64 exec, exec, s[8:9]
	s_cbranch_execz .LBB336_41
; %bb.38:                               ;   in Loop: Header=BB336_7 Depth=1
	v_cndmask_b32_e32 v12, v12, v14, vcc
	v_cndmask_b32_e64 v13, v13, v14, s[6:7]
	v_cvt_f16_f32_e32 v13, v13
	v_cvt_f16_f32_sdwa v12, v12 dst_sel:WORD_1 dst_unused:UNUSED_PAD src0_sel:DWORD
	v_cndmask_b32_e32 v14, v10, v17, vcc
	v_cndmask_b32_e64 v15, v11, v17, s[6:7]
	v_mov_b32_e32 v10, v46
	v_or_b32_e32 v16, v12, v13
	v_mov_b32_e32 v11, v46
	v_pk_mul_f32 v[12:13], v[46:47], v[0:1]
	v_cmp_eq_u32_e32 vcc, 1, v87
	v_pk_mul_f32 v[10:11], v[10:11], v[2:3]
	v_cmp_eq_u32_e64 s[6:7], 2, v87
	v_cndmask_b32_e32 v0, v12, v13, vcc
	v_cmp_eq_u32_e64 s[8:9], 3, v87
	v_cndmask_b32_e64 v0, v0, v10, s[6:7]
	v_lshl_add_u64 v[8:9], s[34:35], 2, v[8:9]
	v_cndmask_b32_e64 v0, v0, v11, s[8:9]
	ds_bpermute_b32 v1, v98, v0
	;;#ASMSTART
	global_atomic_pk_add_f16 v[8:9], v16, off
	
	;;#ASMEND
	v_cvt_f16_f32_e32 v16, v15
	v_cvt_f16_f32_sdwa v17, v14 dst_sel:WORD_1 dst_unused:UNUSED_PAD src0_sel:DWORD
	v_lshl_add_u64 v[14:15], v[8:9], 0, 32
	v_mov_b32_e32 v8, v28
	v_mov_b32_e32 v9, v28
	v_pk_mul_f32 v[6:7], v[8:9], v[6:7]
	v_pk_mul_f32 v[8:9], v[28:29], v[4:5]
	s_waitcnt lgkmcnt(0)
	v_cndmask_b32_e64 v2, v11, v1, s[8:9]
	v_cndmask_b32_e32 v4, v8, v9, vcc
	v_cndmask_b32_e64 v4, v4, v6, s[6:7]
	v_cndmask_b32_e64 v4, v4, v7, s[8:9]
	ds_bpermute_b32 v11, v98, v4
	v_cmp_eq_u32_e64 s[10:11], 0, v87
	v_cndmask_b32_e64 v3, v10, v1, s[6:7]
	v_cndmask_b32_e32 v0, v13, v1, vcc
	v_cndmask_b32_e64 v1, v12, v1, s[10:11]
	v_cmp_eq_u32_e64 s[12:13], 1, v88
	v_cmp_eq_u32_e32 vcc, 2, v88
	s_waitcnt lgkmcnt(0)
	v_cndmask_b32_e64 v6, v6, v11, s[6:7]
	v_cndmask_b32_e64 v10, v1, v0, s[12:13]
	v_cmp_ne_u32_e64 s[6:7], 0, v87
	v_cndmask_b32_e32 v4, v10, v3, vcc
	v_cndmask_b32_e64 v10, v8, v11, s[10:11]
	v_cndmask_b32_e64 v9, v9, v11, s[6:7]
	;; [unrolled: 1-line block ×4, first 2 shown]
	v_cmp_eq_u32_e64 s[14:15], 3, v88
	v_cndmask_b32_e32 v7, v7, v6, vcc
	v_or_b32_e32 v8, v17, v16
	v_cndmask_b32_e64 v4, v4, v2, s[14:15]
	v_cndmask_b32_e64 v7, v7, v5, s[14:15]
	ds_bpermute_b32 v4, v98, v4
	ds_bpermute_b32 v7, v98, v7
	;;#ASMSTART
	global_atomic_pk_add_f16 v[14:15], v8, off
	
	;;#ASMEND
	v_add_u32_e32 v8, s61, v93
	v_cmp_gt_u32_e32 vcc, 64, v8
	s_and_b64 exec, exec, vcc
	s_cbranch_execz .LBB336_41
; %bb.39:                               ;   in Loop: Header=BB336_7 Depth=1
	v_cmp_eq_u32_e64 s[8:9], 1, v88
	v_cmp_eq_u32_e64 s[10:11], 0, v88
	v_cmp_eq_u32_e32 vcc, 3, v88
	s_waitcnt lgkmcnt(1)
	v_cndmask_b32_e64 v0, v0, v4, s[8:9]
	v_cndmask_b32_e64 v1, v1, v4, s[10:11]
	s_waitcnt lgkmcnt(0)
	v_cndmask_b32_e64 v9, v9, v7, s[8:9]
	v_cndmask_b32_e64 v10, v10, v7, s[10:11]
	v_cvt_f16_f32_e32 v11, v1
	v_cvt_f16_f32_sdwa v12, v0 dst_sel:WORD_1 dst_unused:UNUSED_PAD src0_sel:DWORD
	v_cvt_f16_f32_e32 v13, v10
	v_cvt_f16_f32_sdwa v9, v9 dst_sel:WORD_1 dst_unused:UNUSED_PAD src0_sel:DWORD
	v_cmp_eq_u32_e64 s[6:7], 2, v88
	v_lshl_add_u64 v[0:1], v[40:41], 1, s[46:47]
	v_or_b32_e32 v10, v12, v11
	v_cmp_gt_u32_e64 s[8:9], 62, v8
	;;#ASMSTART
	global_atomic_pk_add_f16 v[0:1], v10, off
	
	;;#ASMEND
	v_lshl_add_u64 v[10:11], v[0:1], 0, 32
	v_or_b32_e32 v9, v9, v13
	;;#ASMSTART
	global_atomic_pk_add_f16 v[10:11], v9, off
	
	;;#ASMEND
	s_and_b64 exec, exec, s[8:9]
	s_cbranch_execz .LBB336_41
; %bb.40:                               ;   in Loop: Header=BB336_7 Depth=1
	v_cndmask_b32_e32 v2, v2, v4, vcc
	v_cndmask_b32_e64 v3, v3, v4, s[6:7]
	v_cndmask_b32_e32 v4, v5, v7, vcc
	v_cndmask_b32_e64 v5, v6, v7, s[6:7]
	v_cvt_f16_f32_e32 v3, v3
	v_cvt_f16_f32_sdwa v2, v2 dst_sel:WORD_1 dst_unused:UNUSED_PAD src0_sel:DWORD
	v_cvt_f16_f32_e32 v5, v5
	v_cvt_f16_f32_sdwa v4, v4 dst_sel:WORD_1 dst_unused:UNUSED_PAD src0_sel:DWORD
	v_lshl_add_u64 v[0:1], s[34:35], 2, v[0:1]
	v_or_b32_e32 v2, v2, v3
	;;#ASMSTART
	global_atomic_pk_add_f16 v[0:1], v2, off
	
	;;#ASMEND
	v_lshl_add_u64 v[0:1], v[0:1], 0, 32
	v_or_b32_e32 v2, v4, v5
	;;#ASMSTART
	global_atomic_pk_add_f16 v[0:1], v2, off
	
	;;#ASMEND
.LBB336_41:                             ;   in Loop: Header=BB336_7 Depth=1
	s_or_b64 exec, exec, s[44:45]
	v_subrev_u32_e32 v99, s62, v99
.LBB336_42:                             ;   in Loop: Header=BB336_7 Depth=1
	s_or_b64 exec, exec, s[42:43]
.LBB336_43:                             ;   in Loop: Header=BB336_7 Depth=1
	s_andn2_saveexec_b64 s[6:7], s[40:41]
	s_cbranch_execz .LBB336_52
; %bb.44:                               ;   in Loop: Header=BB336_7 Depth=1
	s_lshl_b32 s39, s62, 1
	v_cmp_gt_i32_e32 vcc, s39, v99
	s_and_saveexec_b64 s[8:9], vcc
	s_cbranch_execz .LBB336_51
; %bb.45:                               ;   in Loop: Header=BB336_7 Depth=1
	s_mul_i32 s10, s38, s19
	s_ashr_i32 s11, s10, 31
	s_waitcnt lgkmcnt(0)
	s_add_u32 s10, s26, s10
	s_addc_u32 s11, s27, s11
	s_ashr_i32 s12, s60, 31
	s_add_u32 s10, s10, s60
	s_addc_u32 s11, s11, s12
	v_lshl_add_u64 v[0:1], s[10:11], 0, v[44:45]
	v_lshl_add_u64 v[8:9], v[0:1], 0, v[42:43]
	s_mov_b64 s[10:11], 0
	s_branch .LBB336_47
.LBB336_46:                             ;   in Loop: Header=BB336_47 Depth=2
	s_or_b64 exec, exec, s[12:13]
	v_lshl_add_u32 v12, v10, 11, v96
	;;#ASMSTART
	s_waitcnt vmcnt(1)
	;;#ASMEND
	ds_write2_b32 v12, v4, v5 offset1:32
	ds_write2_b32 v12, v6, v7 offset0:64 offset1:96
	v_add_u32_e32 v4, 0x400, v12
	v_add_u32_e32 v99, s22, v99
	;;#ASMSTART
	s_waitcnt vmcnt(0)
	;;#ASMEND
	ds_write2_b32 v4, v0, v1 offset1:32
	ds_write2_b32 v4, v2, v3 offset0:64 offset1:96
	v_add_u32_e32 v0, 1, v84
	v_add_u32_e32 v50, s22, v10
	v_cmp_le_i32_e32 vcc, s39, v99
	ds_write_b32 v11, v0 offset:32
	v_add_u32_e32 v0, 2, v84
	s_or_b64 s[10:11], vcc, s[10:11]
	v_cmp_lt_i32_e32 vcc, 3, v50
	s_nop 1
	v_cndmask_b32_e32 v84, v84, v0, vcc
	s_andn2_b64 exec, exec, s[10:11]
	s_cbranch_execz .LBB336_50
.LBB336_47:                             ;   Parent Loop BB336_7 Depth=1
                                        ; =>  This Loop Header: Depth=2
                                        ;       Child Loop BB336_49 Depth 3
	v_cmp_gt_i32_e32 vcc, 4, v50
	s_nop 1
	v_cndmask_b32_e64 v0, -4, 0, vcc
	v_add_u32_e32 v10, v0, v50
	v_lshrrev_b32_e32 v0, 31, v99
	v_add_u32_e32 v0, v99, v0
	v_and_b32_e32 v1, -2, v0
	v_lshlrev_b32_e32 v0, 6, v0
	v_sub_u32_e32 v2, v99, v1
	v_and_b32_e32 v0, 0xffffff80, v0
	v_ashrrev_i32_e32 v1, 31, v0
	v_mul_lo_u32 v2, s53, v2
	v_lshl_add_u64 v[0:1], v[8:9], 0, v[0:1]
	v_ashrrev_i32_e32 v3, 31, v2
	v_lshl_add_u64 v[0:1], v[0:1], 0, v[2:3]
	v_lshlrev_b32_e32 v11, 2, v10
	;;#ASMSTART
	global_load_dwordx4 v[4:7], v[0:1], off offset:0   sc0 sc1 nt  
	global_load_dwordx4 v[0:3], v[0:1], off offset:64  sc0 sc1 nt  
	
	;;#ASMEND
	ds_read_b32 v12, v11 offset:24608
	v_add_u32_e32 v11, 0x6000, v11
	s_waitcnt lgkmcnt(0)
	v_cmp_ne_u32_e32 vcc, v12, v84
	s_and_saveexec_b64 s[12:13], vcc
	s_cbranch_execz .LBB336_46
; %bb.48:                               ;   in Loop: Header=BB336_47 Depth=2
	s_mov_b64 s[14:15], 0
.LBB336_49:                             ;   Parent Loop BB336_7 Depth=1
                                        ;     Parent Loop BB336_47 Depth=2
                                        ; =>    This Inner Loop Header: Depth=3
	;;#ASMSTART
	s_sleep 0
	;;#ASMEND
	ds_read_b32 v12, v11 offset:32
	s_waitcnt lgkmcnt(0)
	v_cmp_eq_u32_e32 vcc, v12, v84
	s_or_b64 s[14:15], vcc, s[14:15]
	s_andn2_b64 exec, exec, s[14:15]
	s_cbranch_execnz .LBB336_49
	s_branch .LBB336_46
.LBB336_50:                             ;   in Loop: Header=BB336_7 Depth=1
	s_or_b64 exec, exec, s[10:11]
.LBB336_51:                             ;   in Loop: Header=BB336_7 Depth=1
	s_or_b64 exec, exec, s[8:9]
	v_subrev_u32_e32 v99, s39, v99
.LBB336_52:                             ;   in Loop: Header=BB336_7 Depth=1
	s_or_b64 exec, exec, s[6:7]
.LBB336_53:                             ;   in Loop: Header=BB336_7 Depth=1
	s_andn2_saveexec_b64 s[6:7], s[36:37]
	s_cbranch_execz .LBB336_6
; %bb.54:                               ;   in Loop: Header=BB336_7 Depth=1
	s_lshl_b32 s36, s62, 2
	v_cmp_gt_i32_e32 vcc, s36, v99
	s_and_saveexec_b64 s[8:9], vcc
	s_cbranch_execz .LBB336_5
; %bb.55:                               ;   in Loop: Header=BB336_7 Depth=1
	s_mul_i32 s59, s59, s18
	s_ashr_i32 s10, s59, 31
	s_waitcnt lgkmcnt(0)
	s_add_u32 s11, s24, s59
	v_add_u32_e32 v2, s61, v94
	s_addc_u32 s12, s25, s10
	s_ashr_i32 s13, s60, 31
	v_cmp_gt_u32_e32 vcc, 64, v2
	s_add_u32 s10, s11, s60
	s_addc_u32 s11, s12, s13
	v_cndmask_b32_e32 v0, 0, v97, vcc
	v_ashrrev_i32_e32 v1, 31, v0
	v_lshl_add_u64 v[0:1], s[10:11], 0, v[0:1]
	v_lshl_add_u64 v[8:9], v[0:1], 0, v[42:43]
	v_sub_u32_e32 v10, 63, v2
	s_mov_b64 s[10:11], 0
	s_branch .LBB336_57
.LBB336_56:                             ;   in Loop: Header=BB336_57 Depth=2
	s_or_b64 exec, exec, s[12:13]
	v_lshl_or_b32 v13, v11, 11, v95
	;;#ASMSTART
	s_waitcnt vmcnt(1)
	;;#ASMEND
	ds_write2_b32 v13, v4, v5 offset1:32
	ds_write2_b32 v13, v6, v7 offset0:64 offset1:96
	v_add_u32_e32 v4, 0x400, v13
	v_add_u32_e32 v99, s21, v99
	;;#ASMSTART
	s_waitcnt vmcnt(0)
	;;#ASMEND
	ds_write2_b32 v4, v0, v1 offset1:32
	ds_write2_b32 v4, v2, v3 offset0:64 offset1:96
	v_add_u32_e32 v0, 1, v84
	v_add_u32_e32 v50, s21, v11
	v_cmp_le_i32_e32 vcc, s36, v99
	ds_write_b32 v12, v0
	v_add_u32_e32 v0, 2, v84
	s_or_b64 s[10:11], vcc, s[10:11]
	v_cmp_lt_i32_e32 vcc, 7, v50
	s_nop 1
	v_cndmask_b32_e32 v84, v84, v0, vcc
	s_andn2_b64 exec, exec, s[10:11]
	s_cbranch_execz .LBB336_4
.LBB336_57:                             ;   Parent Loop BB336_7 Depth=1
                                        ; =>  This Loop Header: Depth=2
                                        ;       Child Loop BB336_59 Depth 3
	v_cmp_gt_i32_e32 vcc, 8, v50
	s_nop 1
	v_cndmask_b32_e64 v0, -8, 0, vcc
	v_add_u32_e32 v11, v0, v50
	v_ashrrev_i32_e32 v0, 31, v99
	v_lshrrev_b32_e32 v0, 30, v0
	v_add_u32_e32 v0, v99, v0
	v_and_b32_e32 v1, 0xffffffc, v0
	v_sub_u32_e32 v1, v99, v1
	v_lshlrev_b32_e32 v1, 4, v1
	v_cmp_le_i32_e32 vcc, v1, v10
	v_lshlrev_b32_e32 v0, 5, v0
	v_and_b32_e32 v0, 0xffffff80, v0
	v_cndmask_b32_e32 v2, 0, v1, vcc
	v_ashrrev_i32_e32 v1, 31, v0
	v_mul_lo_u32 v2, v2, s18
	v_lshl_add_u64 v[0:1], v[8:9], 0, v[0:1]
	v_ashrrev_i32_e32 v3, 31, v2
	v_lshl_add_u64 v[0:1], v[0:1], 0, v[2:3]
	v_lshlrev_b32_e32 v12, 2, v11
	;;#ASMSTART
	global_load_dwordx4 v[4:7], v[0:1], off offset:0   
	global_load_dwordx4 v[0:3], v[0:1], off offset:64  
	
	;;#ASMEND
	ds_read_b32 v13, v12 offset:24576
	v_add_u32_e32 v12, 0x6000, v12
	s_waitcnt lgkmcnt(0)
	v_cmp_ne_u32_e32 vcc, v13, v84
	s_and_saveexec_b64 s[12:13], vcc
	s_cbranch_execz .LBB336_56
; %bb.58:                               ;   in Loop: Header=BB336_57 Depth=2
	s_mov_b64 s[14:15], 0
.LBB336_59:                             ;   Parent Loop BB336_7 Depth=1
                                        ;     Parent Loop BB336_57 Depth=2
                                        ; =>    This Inner Loop Header: Depth=3
	;;#ASMSTART
	s_sleep 0
	;;#ASMEND
	ds_read_b32 v13, v12
	s_waitcnt lgkmcnt(0)
	v_cmp_eq_u32_e32 vcc, v13, v84
	s_or_b64 s[14:15], vcc, s[14:15]
	s_andn2_b64 exec, exec, s[14:15]
	s_cbranch_execnz .LBB336_59
	s_branch .LBB336_56
.LBB336_60:
	s_endpgm
	.section	.rodata,"a",@progbits
	.p2align	6, 0x0
	.amdhsa_kernel _Z19_skinny_gemm_kernelILi4ELi2ELi2ELi16ELi4EEvPKhS1_P6__halfPKfiiiiiiii
		.amdhsa_group_segment_fixed_size 24624
		.amdhsa_private_segment_fixed_size 0
		.amdhsa_kernarg_size 64
		.amdhsa_user_sgpr_count 2
		.amdhsa_user_sgpr_dispatch_ptr 0
		.amdhsa_user_sgpr_queue_ptr 0
		.amdhsa_user_sgpr_kernarg_segment_ptr 1
		.amdhsa_user_sgpr_dispatch_id 0
		.amdhsa_user_sgpr_kernarg_preload_length 0
		.amdhsa_user_sgpr_kernarg_preload_offset 0
		.amdhsa_user_sgpr_private_segment_size 0
		.amdhsa_uses_dynamic_stack 0
		.amdhsa_enable_private_segment 0
		.amdhsa_system_sgpr_workgroup_id_x 1
		.amdhsa_system_sgpr_workgroup_id_y 0
		.amdhsa_system_sgpr_workgroup_id_z 0
		.amdhsa_system_sgpr_workgroup_info 0
		.amdhsa_system_vgpr_workitem_id 0
		.amdhsa_next_free_vgpr 107
		.amdhsa_next_free_sgpr 63
		.amdhsa_accum_offset 108
		.amdhsa_reserve_vcc 1
		.amdhsa_float_round_mode_32 0
		.amdhsa_float_round_mode_16_64 0
		.amdhsa_float_denorm_mode_32 3
		.amdhsa_float_denorm_mode_16_64 3
		.amdhsa_dx10_clamp 1
		.amdhsa_ieee_mode 1
		.amdhsa_fp16_overflow 0
		.amdhsa_tg_split 0
		.amdhsa_exception_fp_ieee_invalid_op 0
		.amdhsa_exception_fp_denorm_src 0
		.amdhsa_exception_fp_ieee_div_zero 0
		.amdhsa_exception_fp_ieee_overflow 0
		.amdhsa_exception_fp_ieee_underflow 0
		.amdhsa_exception_fp_ieee_inexact 0
		.amdhsa_exception_int_div_zero 0
	.end_amdhsa_kernel
	.section	.text._Z19_skinny_gemm_kernelILi4ELi2ELi2ELi16ELi4EEvPKhS1_P6__halfPKfiiiiiiii,"axG",@progbits,_Z19_skinny_gemm_kernelILi4ELi2ELi2ELi16ELi4EEvPKhS1_P6__halfPKfiiiiiiii,comdat
.Lfunc_end336:
	.size	_Z19_skinny_gemm_kernelILi4ELi2ELi2ELi16ELi4EEvPKhS1_P6__halfPKfiiiiiiii, .Lfunc_end336-_Z19_skinny_gemm_kernelILi4ELi2ELi2ELi16ELi4EEvPKhS1_P6__halfPKfiiiiiiii
                                        ; -- End function
	.set _Z19_skinny_gemm_kernelILi4ELi2ELi2ELi16ELi4EEvPKhS1_P6__halfPKfiiiiiiii.num_vgpr, 107
	.set _Z19_skinny_gemm_kernelILi4ELi2ELi2ELi16ELi4EEvPKhS1_P6__halfPKfiiiiiiii.num_agpr, 0
	.set _Z19_skinny_gemm_kernelILi4ELi2ELi2ELi16ELi4EEvPKhS1_P6__halfPKfiiiiiiii.numbered_sgpr, 63
	.set _Z19_skinny_gemm_kernelILi4ELi2ELi2ELi16ELi4EEvPKhS1_P6__halfPKfiiiiiiii.num_named_barrier, 0
	.set _Z19_skinny_gemm_kernelILi4ELi2ELi2ELi16ELi4EEvPKhS1_P6__halfPKfiiiiiiii.private_seg_size, 0
	.set _Z19_skinny_gemm_kernelILi4ELi2ELi2ELi16ELi4EEvPKhS1_P6__halfPKfiiiiiiii.uses_vcc, 1
	.set _Z19_skinny_gemm_kernelILi4ELi2ELi2ELi16ELi4EEvPKhS1_P6__halfPKfiiiiiiii.uses_flat_scratch, 0
	.set _Z19_skinny_gemm_kernelILi4ELi2ELi2ELi16ELi4EEvPKhS1_P6__halfPKfiiiiiiii.has_dyn_sized_stack, 0
	.set _Z19_skinny_gemm_kernelILi4ELi2ELi2ELi16ELi4EEvPKhS1_P6__halfPKfiiiiiiii.has_recursion, 0
	.set _Z19_skinny_gemm_kernelILi4ELi2ELi2ELi16ELi4EEvPKhS1_P6__halfPKfiiiiiiii.has_indirect_call, 0
	.section	.AMDGPU.csdata,"",@progbits
; Kernel info:
; codeLenInByte = 5724
; TotalNumSgprs: 69
; NumVgprs: 107
; NumAgprs: 0
; TotalNumVgprs: 107
; ScratchSize: 0
; MemoryBound: 0
; FloatMode: 240
; IeeeMode: 1
; LDSByteSize: 24624 bytes/workgroup (compile time only)
; SGPRBlocks: 8
; VGPRBlocks: 13
; NumSGPRsForWavesPerEU: 69
; NumVGPRsForWavesPerEU: 107
; AccumOffset: 108
; Occupancy: 4
; WaveLimiterHint : 0
; COMPUTE_PGM_RSRC2:SCRATCH_EN: 0
; COMPUTE_PGM_RSRC2:USER_SGPR: 2
; COMPUTE_PGM_RSRC2:TRAP_HANDLER: 0
; COMPUTE_PGM_RSRC2:TGID_X_EN: 1
; COMPUTE_PGM_RSRC2:TGID_Y_EN: 0
; COMPUTE_PGM_RSRC2:TGID_Z_EN: 0
; COMPUTE_PGM_RSRC2:TIDIG_COMP_CNT: 0
; COMPUTE_PGM_RSRC3_GFX90A:ACCUM_OFFSET: 26
; COMPUTE_PGM_RSRC3_GFX90A:TG_SPLIT: 0
	.section	.text._Z19_skinny_gemm_kernelILi4ELi2ELi2ELi16ELi8EEvPKhS1_P6__halfPKfiiiiiiii,"axG",@progbits,_Z19_skinny_gemm_kernelILi4ELi2ELi2ELi16ELi8EEvPKhS1_P6__halfPKfiiiiiiii,comdat
	.protected	_Z19_skinny_gemm_kernelILi4ELi2ELi2ELi16ELi8EEvPKhS1_P6__halfPKfiiiiiiii ; -- Begin function _Z19_skinny_gemm_kernelILi4ELi2ELi2ELi16ELi8EEvPKhS1_P6__halfPKfiiiiiiii
	.globl	_Z19_skinny_gemm_kernelILi4ELi2ELi2ELi16ELi8EEvPKhS1_P6__halfPKfiiiiiiii
	.p2align	8
	.type	_Z19_skinny_gemm_kernelILi4ELi2ELi2ELi16ELi8EEvPKhS1_P6__halfPKfiiiiiiii,@function
_Z19_skinny_gemm_kernelILi4ELi2ELi2ELi16ELi8EEvPKhS1_P6__halfPKfiiiiiiii: ; @_Z19_skinny_gemm_kernelILi4ELi2ELi2ELi16ELi8EEvPKhS1_P6__halfPKfiiiiiiii
; %bb.0:
	v_cmp_gt_u32_e32 vcc, 12, v0
	v_lshlrev_b32_e32 v1, 2, v0
	s_and_saveexec_b64 s[4:5], vcc
; %bb.1:
	v_mov_b32_e32 v2, 0
	ds_write_b32 v1, v2 offset:49152
; %bb.2:
	s_or_b64 exec, exec, s[4:5]
	s_load_dwordx8 s[16:23], s[0:1], 0x20
	s_waitcnt lgkmcnt(0)
	s_barrier
	s_add_i32 s3, s16, 63
	s_ashr_i32 s5, s3, 31
	s_add_i32 s4, s17, 31
	s_lshr_b32 s5, s5, 26
	s_ashr_i32 s6, s4, 31
	s_add_i32 s3, s3, s5
	s_ashr_i32 s33, s3, 6
	s_lshr_b32 s3, s6, 27
	s_add_i32 s4, s4, s3
	s_ashr_i32 s48, s4, 5
	s_mul_i32 s3, s48, s33
	s_mul_i32 s3, s3, s20
	s_add_i32 s4, s3, 0x12f
	s_mul_hi_i32 s4, s4, 0x6bca1af3
	s_lshr_b32 s5, s4, 31
	s_ashr_i32 s4, s4, 7
	s_add_i32 s4, s4, s5
	s_add_i32 s5, s2, 1
	s_mul_i32 s5, s4, s5
	v_cvt_f64_i32_e32 v[2:3], s3
	v_cvt_f64_u32_e32 v[4:5], s5
	v_min_f64 v[2:3], v[2:3], v[4:5]
	v_cvt_i32_f64_e32 v33, v[2:3]
	s_mul_i32 s49, s4, s2
	v_cmp_ge_i32_e32 vcc, s49, v33
	s_cbranch_vccnz .LBB337_60
; %bb.3:
	v_lshrrev_b32_e32 v2, 6, v0
	s_add_i32 s4, s22, s21
	s_load_dwordx8 s[24:31], s[0:1], 0x0
	v_cmp_le_i32_e64 s[0:1], s4, v2
	v_mov_b32_e32 v3, s21
	v_cmp_le_i32_e64 s[2:3], s21, v2
	v_mov_b32_e32 v4, s22
	v_cndmask_b32_e64 v4, 0, v4, s[0:1]
	v_cndmask_b32_e64 v3, 0, v3, s[2:3]
	s_abs_i32 s5, s20
	v_add_u32_e32 v3, v3, v4
	v_cvt_f32_u32_e32 v4, s5
	v_sub_u32_e32 v52, v2, v3
	s_ashr_i32 s6, s18, 31
	s_lshr_b32 s6, s6, 24
	v_rcp_iflag_f32_e32 v3, v4
	s_sub_i32 s9, 0, s5
	s_add_i32 s6, s18, s6
	s_ashr_i32 s6, s6, 8
	v_mul_f32_e32 v3, 0x4f7ffffe, v3
	v_cvt_u32_f32_e32 v3, v3
	s_abs_i32 s8, s6
	s_xor_b32 s7, s6, s20
	s_ashr_i32 s7, s7, 31
	v_readfirstlane_b32 s10, v3
	s_mul_i32 s9, s9, s10
	s_mul_hi_u32 s9, s10, s9
	s_add_i32 s10, s10, s9
	s_mul_hi_u32 s9, s8, s10
	s_mul_i32 s10, s9, s5
	s_sub_i32 s8, s8, s10
	s_add_i32 s10, s9, 1
	s_sub_i32 s11, s8, s5
	s_cmp_ge_u32 s8, s5
	s_cselect_b32 s9, s10, s9
	s_cselect_b32 s8, s11, s8
	s_add_i32 s10, s9, 1
	s_cmp_ge_u32 s8, s5
	s_cselect_b32 s5, s10, s9
	s_xor_b32 s5, s5, s7
	s_sub_i32 s50, s5, s7
	s_add_i32 s20, s20, -1
	s_mul_i32 s5, s50, s20
	s_add_i32 s4, s4, s23
	s_sub_i32 s51, s6, s5
	v_cmp_gt_i32_e64 s[4:5], s4, v2
	v_lshlrev_b32_e32 v2, 1, v0
	v_lshlrev_b32_e32 v3, 4, v0
	v_and_b32_e32 v1, 60, v1
	v_and_b32_e32 v2, 64, v2
	;; [unrolled: 1-line block ×3, first 2 shown]
	v_or3_b32 v119, v1, v2, v4
	v_and_b32_e32 v1, 1, v0
	v_lshrrev_b32_e32 v4, 2, v0
	v_and_b32_e32 v32, 14, v0
	v_and_or_b32 v122, v4, 12, v1
	v_mad_u64_u32 v[34:35], s[6:7], s17, v122, v[32:33]
	s_lshl_b32 s6, s17, 4
	s_nop 0
	v_add_u32_e32 v4, s6, v34
	v_ashrrev_i32_e32 v5, 31, v4
	scratch_store_dwordx2 off, v[4:5], off  ; 8-byte Folded Spill
	v_add_u32_e32 v4, s6, v4
	s_abs_i32 s52, s33
	v_ashrrev_i32_e32 v5, 31, v4
	v_and_b32_e32 v42, 48, v3
	v_cvt_f32_u32_e32 v3, s52
	scratch_store_dwordx2 off, v[4:5], off offset:8 ; 8-byte Folded Spill
	v_add_u32_e32 v4, s6, v4
	v_lshlrev_b32_e32 v2, 1, v1
	v_ashrrev_i32_e32 v5, 31, v4
	v_sub_u32_e32 v2, v0, v2
	v_bitop3_b32 v120, v0, 1, v0 bitop3:0xc
	v_bitop3_b32 v121, v0, 3, 1 bitop3:0x6c
	scratch_store_dwordx2 off, v[4:5], off offset:16 ; 8-byte Folded Spill
	v_bfe_u32 v123, v0, 2, 4
	v_and_b32_e32 v1, 60, v0
	v_lshlrev_b32_e32 v4, 8, v0
	v_lshlrev_b32_e32 v0, 6, v0
	v_and_b32_e32 v4, 0x200, v4
	v_rcp_iflag_f32_e32 v3, v3
	v_and_b32_e32 v0, 64, v0
	s_abs_i32 s54, s48
	v_or3_b32 v124, v1, v4, v0
	v_cvt_f32_u32_e32 v1, s54
	v_mul_f32_e32 v0, 0x4f7ffffe, v3
	v_cvt_u32_f32_e32 v0, v0
	s_sub_i32 s6, 0, s52
	v_rcp_iflag_f32_e32 v1, v1
	v_add_u32_e32 v2, 1, v2
	v_readfirstlane_b32 s7, v0
	s_mul_i32 s6, s6, s7
	v_mul_f32_e32 v0, 0x4f7ffffe, v1
	v_cvt_u32_f32_e32 v0, v0
	s_mul_hi_u32 s6, s7, s6
	s_add_i32 s56, s7, s6
	s_sub_i32 s6, 0, s54
	v_readfirstlane_b32 s7, v0
	v_mbcnt_lo_u32_b32 v0, -1, 0
	v_and_b32_e32 v2, 63, v2
	s_mul_i32 s6, s6, s7
	v_mbcnt_hi_u32_b32 v0, -1, v0
	v_mul_lo_u32 v44, s19, v123
	s_mul_hi_u32 s6, s7, s6
	v_and_or_b32 v0, v0, 64, v2
	v_cndmask_b32_e64 v118, 0, 1, s[0:1]
	s_ashr_i32 s35, s17, 31
	s_mov_b32 s34, s17
	v_ashrrev_i32_e32 v35, 31, v34
	v_ashrrev_i32_e32 v45, 31, v44
	v_mov_b32_e32 v43, 0
	s_lshl_b32 s53, s19, 4
	s_ashr_i32 s55, s33, 31
	s_ashr_i32 s57, s48, 31
	s_add_i32 s58, s7, s6
	v_lshlrev_b32_e32 v125, 2, v0
	v_mov_b32_e32 v126, v52
	s_branch .LBB337_7
.LBB337_4:                              ;   in Loop: Header=BB337_7 Depth=1
	s_or_b64 exec, exec, s[10:11]
.LBB337_5:                              ;   in Loop: Header=BB337_7 Depth=1
	s_or_b64 exec, exec, s[8:9]
	v_subrev_u32_e32 v126, s36, v126
.LBB337_6:                              ;   in Loop: Header=BB337_7 Depth=1
	s_or_b64 exec, exec, s[6:7]
	s_add_i32 s49, s49, 1
	v_cmp_ge_i32_e32 vcc, s49, v33
	s_cbranch_vccnz .LBB337_60
.LBB337_7:                              ; =>This Loop Header: Depth=1
                                        ;     Child Loop BB337_13 Depth 2
                                        ;       Child Loop BB337_15 Depth 3
                                        ;       Child Loop BB337_18 Depth 3
	;; [unrolled: 1-line block ×6, first 2 shown]
                                        ;     Child Loop BB337_47 Depth 2
                                        ;       Child Loop BB337_49 Depth 3
                                        ;     Child Loop BB337_57 Depth 2
                                        ;       Child Loop BB337_59 Depth 3
	s_abs_i32 s7, s49
	s_mul_hi_u32 s8, s7, s56
	s_mul_i32 s9, s8, s52
	s_ashr_i32 s6, s49, 31
	s_sub_i32 s7, s7, s9
	s_xor_b32 s6, s6, s55
	s_add_i32 s9, s8, 1
	s_sub_i32 s10, s7, s52
	s_cmp_ge_u32 s7, s52
	s_cselect_b32 s8, s9, s8
	s_cselect_b32 s7, s10, s7
	s_add_i32 s9, s8, 1
	s_cmp_ge_u32 s7, s52
	s_cselect_b32 s7, s9, s8
	s_xor_b32 s7, s7, s6
	s_sub_i32 s6, s7, s6
	s_abs_i32 s8, s6
	s_mul_i32 s7, s6, s33
	s_mul_hi_u32 s9, s8, s58
	s_sub_i32 s7, s49, s7
	s_mul_i32 s10, s9, s54
	s_lshl_b32 s59, s7, 6
	s_ashr_i32 s7, s6, 31
	s_sub_i32 s8, s8, s10
	s_xor_b32 s7, s7, s57
	s_add_i32 s10, s9, 1
	s_sub_i32 s11, s8, s54
	s_cmp_ge_u32 s8, s54
	s_cselect_b32 s9, s10, s9
	s_cselect_b32 s8, s11, s8
	s_add_i32 s10, s9, 1
	s_cmp_ge_u32 s8, s54
	s_cselect_b32 s8, s10, s9
	s_xor_b32 s8, s8, s7
	s_sub_i32 s7, s8, s7
	s_mul_i32 s8, s7, s50
	s_lshl_b32 s60, s8, 8
	s_cmp_eq_u32 s7, s20
	s_cselect_b32 s62, s51, s50
	s_sub_i32 s8, s59, s16
	s_add_i32 s8, s8, 64
	s_max_i32 s61, s8, 0
	s_and_saveexec_b64 s[8:9], s[2:3]
	s_xor_b64 s[36:37], exec, s[8:9]
	s_cbranch_execz .LBB337_53
; %bb.8:                                ;   in Loop: Header=BB337_7 Depth=1
	s_mul_i32 s7, s7, s48
	s_sub_i32 s6, s6, s7
	s_lshl_b32 s6, s6, 5
	s_sub_i32 s14, s6, s17
	s_add_i32 s14, s14, 32
	s_max_i32 s7, s14, 0
	s_sub_i32 s38, s6, s7
	s_and_saveexec_b64 s[6:7], s[0:1]
	s_xor_b64 s[40:41], exec, s[6:7]
	s_cbranch_execz .LBB337_43
; %bb.9:                                ;   in Loop: Header=BB337_7 Depth=1
	s_and_saveexec_b64 s[42:43], s[4:5]
	s_cbranch_execz .LBB337_42
; %bb.10:                               ;   in Loop: Header=BB337_7 Depth=1
	s_waitcnt lgkmcnt(0)
	global_load_dword v127, v43, s[30:31]
	v_mov_b32_e32 v31, 0
	v_cmp_gt_i32_e32 vcc, s62, v126
	v_mov_b32_e32 v30, v31
	v_mov_b32_e32 v29, v31
	;; [unrolled: 1-line block ×31, first 2 shown]
	s_and_saveexec_b64 s[6:7], vcc
	s_cbranch_execz .LBB337_32
; %bb.11:                               ;   in Loop: Header=BB337_7 Depth=1
	v_mov_b32_e32 v0, 0
	s_mov_b64 s[8:9], 0
	v_mov_b32_e32 v1, v0
	v_mov_b32_e32 v2, v0
	;; [unrolled: 1-line block ×31, first 2 shown]
	s_branch .LBB337_13
.LBB337_12:                             ;   in Loop: Header=BB337_13 Depth=2
	s_or_b64 exec, exec, s[10:11]
	v_add_u32_e32 v56, 0x1000, v39
	ds_read2_b32 v[36:37], v56 offset1:32
	v_add_u32_e32 v58, 0x1400, v39
	v_add_u32_e32 v62, 0x1800, v39
	ds_read2_b32 v[60:61], v62 offset1:32
	ds_read2_b32 v[62:63], v62 offset0:128 offset1:160
	s_waitcnt lgkmcnt(2)
	v_mfma_f32_16x16x32_fp8_fp8 v[24:27], v[46:47], v[36:37], v[24:27]
	ds_read2_b32 v[46:47], v56 offset0:128 offset1:160
	ds_read2_b32 v[56:57], v58 offset1:32
	ds_read2_b32 v[58:59], v58 offset0:128 offset1:160
	v_mfma_f32_16x16x32_fp8_fp8 v[16:19], v[78:79], v[36:37], v[16:19]
	v_add_u32_e32 v39, 0x1c00, v39
	v_add_u32_e32 v126, s23, v126
	v_mfma_f32_16x16x32_fp8_fp8 v[8:11], v[94:95], v[36:37], v[8:11]
	v_mfma_f32_16x16x32_fp8_fp8 v[0:3], v[110:111], v[36:37], v[0:3]
	v_add_u32_e32 v36, 2, v118
	s_waitcnt lgkmcnt(2)
	v_mfma_f32_16x16x32_fp8_fp8 v[24:27], v[64:65], v[46:47], v[24:27]
	ds_read2_b32 v[64:65], v39 offset1:32
	v_mfma_f32_16x16x32_fp8_fp8 v[16:19], v[80:81], v[46:47], v[16:19]
	v_mfma_f32_16x16x32_fp8_fp8 v[8:11], v[96:97], v[46:47], v[8:11]
	;; [unrolled: 1-line block ×3, first 2 shown]
	s_waitcnt lgkmcnt(2)
	v_mfma_f32_16x16x32_fp8_fp8 v[24:27], v[70:71], v[56:57], v[24:27]
	v_mfma_f32_16x16x32_fp8_fp8 v[16:19], v[82:83], v[56:57], v[16:19]
	;; [unrolled: 1-line block ×4, first 2 shown]
	s_waitcnt lgkmcnt(1)
	v_mfma_f32_16x16x32_fp8_fp8 v[24:27], v[66:67], v[58:59], v[24:27]
	ds_read2_b32 v[66:67], v39 offset0:128 offset1:160
	;;#ASMSTART
	s_waitcnt lgkmcnt(0)
	;;#ASMEND
	ds_write_b32 v41, v38 offset:49188
	v_mfma_f32_16x16x32_fp8_fp8 v[16:19], v[84:85], v[58:59], v[16:19]
	v_mfma_f32_16x16x32_fp8_fp8 v[8:11], v[100:101], v[58:59], v[8:11]
	;; [unrolled: 1-line block ×7, first 2 shown]
	v_add_u32_e32 v52, s23, v40
	v_cmp_lt_i32_e32 vcc, 1, v52
	v_mfma_f32_16x16x32_fp8_fp8 v[24:27], v[68:69], v[62:63], v[24:27]
	s_nop 0
	v_cndmask_b32_e32 v118, v118, v36, vcc
	v_cmp_le_i32_e32 vcc, s62, v126
	s_or_b64 s[8:9], vcc, s[8:9]
	v_mfma_f32_16x16x32_fp8_fp8 v[16:19], v[88:89], v[62:63], v[16:19]
	v_mfma_f32_16x16x32_fp8_fp8 v[8:11], v[104:105], v[62:63], v[8:11]
	;; [unrolled: 1-line block ×3, first 2 shown]
	s_waitcnt lgkmcnt(2)
	v_mfma_f32_16x16x32_fp8_fp8 v[24:27], v[74:75], v[64:65], v[24:27]
	v_mfma_f32_16x16x32_fp8_fp8 v[16:19], v[90:91], v[64:65], v[16:19]
	;; [unrolled: 1-line block ×4, first 2 shown]
	s_waitcnt lgkmcnt(1)
	v_mfma_f32_16x16x32_fp8_fp8 v[24:27], v[76:77], v[66:67], v[24:27]
	v_mfma_f32_16x16x32_fp8_fp8 v[16:19], v[92:93], v[66:67], v[16:19]
	;; [unrolled: 1-line block ×4, first 2 shown]
	s_andn2_b64 exec, exec, s[8:9]
	s_cbranch_execz .LBB337_31
.LBB337_13:                             ;   Parent Loop BB337_7 Depth=1
                                        ; =>  This Loop Header: Depth=2
                                        ;       Child Loop BB337_15 Depth 3
                                        ;       Child Loop BB337_18 Depth 3
	;; [unrolled: 1-line block ×6, first 2 shown]
	v_cmp_gt_i32_e32 vcc, 2, v52
	s_nop 1
	v_cndmask_b32_e64 v36, -2, 0, vcc
	v_add_u32_e32 v40, v36, v52
	v_lshlrev_b32_e32 v41, 3, v40
	ds_read_b32 v36, v41 offset:49184
	s_waitcnt lgkmcnt(0)
	v_cmp_ne_u32_e32 vcc, v36, v118
	s_and_saveexec_b64 s[10:11], vcc
	s_cbranch_execz .LBB337_16
; %bb.14:                               ;   in Loop: Header=BB337_13 Depth=2
	s_mov_b64 s[12:13], 0
.LBB337_15:                             ;   Parent Loop BB337_7 Depth=1
                                        ;     Parent Loop BB337_13 Depth=2
                                        ; =>    This Inner Loop Header: Depth=3
	;;#ASMSTART
	s_sleep 0
	;;#ASMEND
	ds_read_b32 v36, v41 offset:49184
	s_waitcnt lgkmcnt(0)
	v_cmp_eq_u32_e32 vcc, v36, v118
	s_or_b64 s[12:13], vcc, s[12:13]
	s_andn2_b64 exec, exec, s[12:13]
	s_cbranch_execnz .LBB337_15
.LBB337_16:                             ;   in Loop: Header=BB337_13 Depth=2
	s_or_b64 exec, exec, s[10:11]
	v_lshlrev_b32_e32 v36, 13, v40
	v_or_b32_e32 v37, 0x8000, v119
	v_add_u32_e32 v39, v37, v36
	v_add_u32_e32 v36, 0x400, v39
	ds_read2_b32 v[48:49], v39 offset1:32
	ds_read2_b32 v[50:51], v39 offset0:128 offset1:160
	ds_read2_b32 v[52:53], v36 offset1:32
	ds_read2_b32 v[54:55], v36 offset0:128 offset1:160
	v_add_u32_e32 v36, 0x800, v39
	ds_read2_b32 v[56:57], v36 offset1:32
	ds_read2_b32 v[58:59], v36 offset0:128 offset1:160
	v_add_u32_e32 v36, 0xc00, v39
	v_add_u32_e32 v38, 1, v118
	ds_read2_b32 v[62:63], v36 offset1:32
	ds_read2_b32 v[60:61], v36 offset0:128 offset1:160
	;;#ASMSTART
	s_waitcnt lgkmcnt(0)
	;;#ASMEND
	ds_write_b32 v41, v38 offset:49184
	v_lshlrev_b32_e32 v36, 4, v40
	ds_read_b32 v37, v36 offset:49152
	s_waitcnt lgkmcnt(0)
	v_cmp_ne_u32_e32 vcc, v37, v118
	s_and_saveexec_b64 s[10:11], vcc
	s_cbranch_execz .LBB337_19
; %bb.17:                               ;   in Loop: Header=BB337_13 Depth=2
	s_mov_b64 s[12:13], 0
.LBB337_18:                             ;   Parent Loop BB337_7 Depth=1
                                        ;     Parent Loop BB337_13 Depth=2
                                        ; =>    This Inner Loop Header: Depth=3
	;;#ASMSTART
	s_sleep 0
	;;#ASMEND
	ds_read_b32 v37, v36 offset:49152
	s_waitcnt lgkmcnt(0)
	v_cmp_eq_u32_e32 vcc, v37, v118
	s_or_b64 s[12:13], vcc, s[12:13]
	s_andn2_b64 exec, exec, s[12:13]
	s_cbranch_execnz .LBB337_18
.LBB337_19:                             ;   in Loop: Header=BB337_13 Depth=2
	s_or_b64 exec, exec, s[10:11]
	v_lshl_or_b32 v37, v40, 14, v119
	ds_read2_b32 v[46:47], v37 offset1:32
	ds_read2_b32 v[64:65], v37 offset0:128 offset1:160
	v_add_u32_e32 v66, 0x400, v37
	ds_read2_b32 v[70:71], v66 offset1:32
	ds_read2_b32 v[66:67], v66 offset0:128 offset1:160
	v_add_u32_e32 v68, 0x800, v37
	;; [unrolled: 3-line block ×3, first 2 shown]
	s_waitcnt lgkmcnt(5)
	v_mfma_f32_16x16x32_fp8_fp8 v[28:31], v[46:47], v[48:49], v[28:31]
	ds_read2_b32 v[74:75], v76 offset1:32
	ds_read2_b32 v[76:77], v76 offset0:128 offset1:160
	ds_read_b32 v78, v36 offset:49156
	ds_write_b32 v36, v38 offset:49152
	s_waitcnt lgkmcnt(8)
	v_mfma_f32_16x16x32_fp8_fp8 v[28:31], v[64:65], v[50:51], v[28:31]
	s_waitcnt lgkmcnt(1)
	v_cmp_ne_u32_e32 vcc, v78, v118
	v_mfma_f32_16x16x32_fp8_fp8 v[28:31], v[70:71], v[52:53], v[28:31]
	v_mfma_f32_16x16x32_fp8_fp8 v[28:31], v[66:67], v[54:55], v[28:31]
	;; [unrolled: 1-line block ×6, first 2 shown]
	s_and_saveexec_b64 s[10:11], vcc
	s_cbranch_execz .LBB337_22
; %bb.20:                               ;   in Loop: Header=BB337_13 Depth=2
	s_mov_b64 s[12:13], 0
.LBB337_21:                             ;   Parent Loop BB337_7 Depth=1
                                        ;     Parent Loop BB337_13 Depth=2
                                        ; =>    This Inner Loop Header: Depth=3
	;;#ASMSTART
	s_sleep 0
	;;#ASMEND
	ds_read_b32 v78, v36 offset:49156
	s_waitcnt lgkmcnt(0)
	v_cmp_eq_u32_e32 vcc, v78, v118
	s_or_b64 s[12:13], vcc, s[12:13]
	s_andn2_b64 exec, exec, s[12:13]
	s_cbranch_execnz .LBB337_21
.LBB337_22:                             ;   in Loop: Header=BB337_13 Depth=2
	s_or_b64 exec, exec, s[10:11]
	v_add_u32_e32 v80, 0x1000, v37
	ds_read2_b32 v[78:79], v80 offset1:32
	ds_read2_b32 v[80:81], v80 offset0:128 offset1:160
	v_add_u32_e32 v84, 0x1400, v37
	ds_read2_b32 v[82:83], v84 offset1:32
	ds_read2_b32 v[84:85], v84 offset0:128 offset1:160
	;; [unrolled: 3-line block ×3, first 2 shown]
	v_add_u32_e32 v92, 0x1c00, v37
	s_waitcnt lgkmcnt(5)
	v_mfma_f32_16x16x32_fp8_fp8 v[20:23], v[78:79], v[48:49], v[20:23]
	ds_read2_b32 v[90:91], v92 offset1:32
	ds_read2_b32 v[92:93], v92 offset0:128 offset1:160
	ds_read_b32 v94, v36 offset:49160
	ds_write_b32 v36, v38 offset:49156
	s_waitcnt lgkmcnt(8)
	v_mfma_f32_16x16x32_fp8_fp8 v[20:23], v[80:81], v[50:51], v[20:23]
	s_waitcnt lgkmcnt(1)
	v_cmp_ne_u32_e32 vcc, v94, v118
	v_mfma_f32_16x16x32_fp8_fp8 v[20:23], v[82:83], v[52:53], v[20:23]
	v_mfma_f32_16x16x32_fp8_fp8 v[20:23], v[84:85], v[54:55], v[20:23]
	;; [unrolled: 1-line block ×6, first 2 shown]
	s_and_saveexec_b64 s[10:11], vcc
	s_cbranch_execz .LBB337_25
; %bb.23:                               ;   in Loop: Header=BB337_13 Depth=2
	s_mov_b64 s[12:13], 0
.LBB337_24:                             ;   Parent Loop BB337_7 Depth=1
                                        ;     Parent Loop BB337_13 Depth=2
                                        ; =>    This Inner Loop Header: Depth=3
	;;#ASMSTART
	s_sleep 0
	;;#ASMEND
	ds_read_b32 v94, v36 offset:49160
	s_waitcnt lgkmcnt(0)
	v_cmp_eq_u32_e32 vcc, v94, v118
	s_or_b64 s[12:13], vcc, s[12:13]
	s_andn2_b64 exec, exec, s[12:13]
	s_cbranch_execnz .LBB337_24
.LBB337_25:                             ;   in Loop: Header=BB337_13 Depth=2
	s_or_b64 exec, exec, s[10:11]
	v_add_u32_e32 v96, 0x2000, v37
	ds_read2_b32 v[94:95], v96 offset1:32
	ds_read2_b32 v[96:97], v96 offset0:128 offset1:160
	v_add_u32_e32 v100, 0x2400, v37
	ds_read2_b32 v[98:99], v100 offset1:32
	ds_read2_b32 v[100:101], v100 offset0:128 offset1:160
	v_add_u32_e32 v104, 0x2800, v37
	s_waitcnt lgkmcnt(3)
	v_mfma_f32_16x16x32_fp8_fp8 v[12:15], v[94:95], v[48:49], v[12:15]
	ds_read2_b32 v[102:103], v104 offset1:32
	ds_read2_b32 v[104:105], v104 offset0:128 offset1:160
	v_add_u32_e32 v108, 0x2c00, v37
	ds_read2_b32 v[106:107], v108 offset1:32
	ds_read2_b32 v[108:109], v108 offset0:128 offset1:160
	s_waitcnt lgkmcnt(6)
	v_mfma_f32_16x16x32_fp8_fp8 v[12:15], v[96:97], v[50:51], v[12:15]
	ds_read_b32 v110, v36 offset:49164
	ds_write_b32 v36, v38 offset:49160
	s_waitcnt lgkmcnt(1)
	v_cmp_ne_u32_e32 vcc, v110, v118
	v_mfma_f32_16x16x32_fp8_fp8 v[12:15], v[98:99], v[52:53], v[12:15]
	v_mfma_f32_16x16x32_fp8_fp8 v[12:15], v[100:101], v[54:55], v[12:15]
	v_mfma_f32_16x16x32_fp8_fp8 v[12:15], v[102:103], v[56:57], v[12:15]
	v_mfma_f32_16x16x32_fp8_fp8 v[12:15], v[104:105], v[58:59], v[12:15]
	v_mfma_f32_16x16x32_fp8_fp8 v[12:15], v[106:107], v[62:63], v[12:15]
	v_mfma_f32_16x16x32_fp8_fp8 v[12:15], v[108:109], v[60:61], v[12:15]
	s_and_saveexec_b64 s[10:11], vcc
	s_cbranch_execz .LBB337_28
; %bb.26:                               ;   in Loop: Header=BB337_13 Depth=2
	s_mov_b64 s[12:13], 0
.LBB337_27:                             ;   Parent Loop BB337_7 Depth=1
                                        ;     Parent Loop BB337_13 Depth=2
                                        ; =>    This Inner Loop Header: Depth=3
	;;#ASMSTART
	s_sleep 0
	;;#ASMEND
	ds_read_b32 v110, v36 offset:49164
	s_waitcnt lgkmcnt(0)
	v_cmp_eq_u32_e32 vcc, v110, v118
	s_or_b64 s[12:13], vcc, s[12:13]
	s_andn2_b64 exec, exec, s[12:13]
	s_cbranch_execnz .LBB337_27
.LBB337_28:                             ;   in Loop: Header=BB337_13 Depth=2
	s_or_b64 exec, exec, s[10:11]
	v_add_u32_e32 v112, 0x3000, v37
	ds_read2_b32 v[110:111], v112 offset1:32
	ds_read2_b32 v[112:113], v112 offset0:128 offset1:160
	v_add_u32_e32 v116, 0x3400, v37
	ds_read2_b32 v[114:115], v116 offset1:32
	ds_read2_b32 v[116:117], v116 offset0:128 offset1:160
	s_waitcnt lgkmcnt(3)
	v_mfma_f32_16x16x32_fp8_fp8 v[4:7], v[110:111], v[48:49], v[4:7]
	v_add_u32_e32 v48, 0x3800, v37
	v_add_u32_e32 v37, 0x3c00, v37
	ds_write_b32 v36, v38 offset:49164
	s_waitcnt lgkmcnt(3)
	v_mfma_f32_16x16x32_fp8_fp8 v[4:7], v[112:113], v[50:51], v[4:7]
	ds_read2_b32 v[50:51], v37 offset1:32
	ds_read_b32 v36, v41 offset:49188
	s_waitcnt lgkmcnt(0)
	v_cmp_ne_u32_e32 vcc, v36, v118
	v_mfma_f32_16x16x32_fp8_fp8 v[4:7], v[114:115], v[52:53], v[4:7]
	ds_read2_b32 v[52:53], v48 offset1:32
	v_mfma_f32_16x16x32_fp8_fp8 v[4:7], v[116:117], v[54:55], v[4:7]
	ds_read2_b32 v[54:55], v48 offset0:128 offset1:160
	ds_read2_b32 v[48:49], v37 offset0:128 offset1:160
	s_waitcnt lgkmcnt(2)
	v_mfma_f32_16x16x32_fp8_fp8 v[4:7], v[52:53], v[56:57], v[4:7]
	s_waitcnt lgkmcnt(1)
	v_mfma_f32_16x16x32_fp8_fp8 v[4:7], v[54:55], v[58:59], v[4:7]
	v_mfma_f32_16x16x32_fp8_fp8 v[4:7], v[50:51], v[62:63], v[4:7]
	s_waitcnt lgkmcnt(0)
	v_mfma_f32_16x16x32_fp8_fp8 v[4:7], v[48:49], v[60:61], v[4:7]
	s_and_saveexec_b64 s[10:11], vcc
	s_cbranch_execz .LBB337_12
; %bb.29:                               ;   in Loop: Header=BB337_13 Depth=2
	s_mov_b64 s[12:13], 0
.LBB337_30:                             ;   Parent Loop BB337_7 Depth=1
                                        ;     Parent Loop BB337_13 Depth=2
                                        ; =>    This Inner Loop Header: Depth=3
	;;#ASMSTART
	s_sleep 0
	;;#ASMEND
	ds_read_b32 v36, v41 offset:49188
	s_waitcnt lgkmcnt(0)
	v_cmp_eq_u32_e32 vcc, v36, v118
	s_or_b64 s[12:13], vcc, s[12:13]
	s_andn2_b64 exec, exec, s[12:13]
	s_cbranch_execnz .LBB337_30
	s_branch .LBB337_12
.LBB337_31:                             ;   in Loop: Header=BB337_7 Depth=1
	s_or_b64 exec, exec, s[8:9]
.LBB337_32:                             ;   in Loop: Header=BB337_7 Depth=1
	s_or_b64 exec, exec, s[6:7]
	v_cmp_le_i32_e32 vcc, s14, v32
	v_cmp_eq_u32_e64 s[6:7], 2, v120
	v_cmp_eq_u32_e64 s[8:9], 3, v120
	s_waitcnt vmcnt(0)
	v_cndmask_b32_e32 v46, 0, v127, vcc
	v_pk_mul_f32 v[28:29], v[46:47], v[28:29] op_sel_hi:[0,1]
	v_cmp_eq_u32_e32 vcc, 1, v120
	v_pk_mul_f32 v[36:37], v[46:47], v[30:31] op_sel_hi:[0,1]
	v_cmp_eq_u32_e64 s[10:11], 0, v120
	v_cndmask_b32_e32 v30, v28, v29, vcc
	v_cndmask_b32_e64 v30, v30, v36, s[6:7]
	v_cndmask_b32_e64 v30, v30, v37, s[8:9]
	ds_bpermute_b32 v38, v125, v30
	v_cmp_eq_u32_e64 s[12:13], 1, v121
	v_add_u32_e32 v39, s61, v122
	s_waitcnt lgkmcnt(0)
	v_cndmask_b32_e64 v30, v37, v38, s[8:9]
	v_cndmask_b32_e64 v31, v36, v38, s[6:7]
	v_cndmask_b32_e32 v29, v29, v38, vcc
	v_cndmask_b32_e64 v38, v28, v38, s[10:11]
	v_or_b32_e32 v28, 16, v32
	v_cmp_le_i32_e64 s[14:15], s14, v28
	v_cndmask_b32_e64 v36, v38, v29, s[12:13]
	s_nop 0
	v_cndmask_b32_e64 v28, 0, v127, s[14:15]
	v_pk_mul_f32 v[48:49], v[28:29], v[24:25] op_sel_hi:[0,1]
	v_pk_mul_f32 v[40:41], v[28:29], v[26:27] op_sel_hi:[0,1]
	v_cndmask_b32_e32 v24, v48, v49, vcc
	v_cndmask_b32_e64 v24, v24, v40, s[6:7]
	v_cndmask_b32_e64 v24, v24, v41, s[8:9]
	ds_bpermute_b32 v25, v125, v24
	v_cmp_eq_u32_e32 vcc, 2, v121
	v_cmp_eq_u32_e64 s[14:15], 3, v121
	s_waitcnt lgkmcnt(0)
	v_cndmask_b32_e64 v27, v40, v25, s[6:7]
	v_cndmask_b32_e32 v24, v36, v31, vcc
	v_cndmask_b32_e64 v24, v24, v30, s[14:15]
	v_cmp_ne_u32_e64 s[6:7], 0, v120
	ds_bpermute_b32 v36, v125, v24
	v_cndmask_b32_e64 v26, v41, v25, s[8:9]
	v_cndmask_b32_e64 v24, v49, v25, s[6:7]
	;; [unrolled: 1-line block ×4, first 2 shown]
	v_cndmask_b32_e32 v37, v37, v27, vcc
	v_cndmask_b32_e64 v37, v37, v26, s[14:15]
	ds_bpermute_b32 v37, v125, v37
	v_cmp_gt_u32_e32 vcc, 64, v39
	s_and_saveexec_b64 s[44:45], vcc
	s_cbranch_execz .LBB337_41
; %bb.33:                               ;   in Loop: Header=BB337_7 Depth=1
	v_cmp_eq_u32_e64 s[8:9], 1, v121
	v_cmp_eq_u32_e64 s[10:11], 0, v121
	v_cmp_eq_u32_e32 vcc, 3, v121
	s_waitcnt lgkmcnt(1)
	v_cndmask_b32_e64 v29, v29, v36, s[8:9]
	s_waitcnt lgkmcnt(0)
	v_cndmask_b32_e64 v40, v24, v37, s[8:9]
	s_mul_i32 s8, s59, s17
	s_ashr_i32 s9, s8, 31
	s_lshl_b64 s[8:9], s[8:9], 1
	v_cndmask_b32_e64 v38, v38, v36, s[10:11]
	v_cndmask_b32_e64 v41, v25, v37, s[10:11]
	s_add_u32 s10, s28, s8
	s_addc_u32 s11, s29, s9
	s_ashr_i32 s39, s38, 31
	v_cvt_f16_f32_e32 v38, v38
	v_cvt_f16_f32_sdwa v29, v29 dst_sel:WORD_1 dst_unused:UNUSED_PAD src0_sel:DWORD
	s_lshl_b64 s[8:9], s[38:39], 1
	v_cvt_f16_f32_e32 v47, v41
	v_cvt_f16_f32_sdwa v48, v40 dst_sel:WORD_1 dst_unused:UNUSED_PAD src0_sel:DWORD
	s_add_u32 s46, s10, s8
	s_addc_u32 s47, s11, s9
	v_cmp_eq_u32_e64 s[6:7], 2, v121
	v_lshl_add_u64 v[24:25], v[34:35], 1, s[46:47]
	v_or_b32_e32 v29, v29, v38
	v_cmp_gt_u32_e64 s[8:9], 62, v39
	;;#ASMSTART
	global_atomic_pk_add_f16 v[24:25], v29, off
	
	;;#ASMEND
	v_lshl_add_u64 v[40:41], v[24:25], 0, 32
	v_or_b32_e32 v29, v48, v47
	;;#ASMSTART
	global_atomic_pk_add_f16 v[40:41], v29, off
	
	;;#ASMEND
	s_and_b64 exec, exec, s[8:9]
	s_cbranch_execz .LBB337_41
; %bb.34:                               ;   in Loop: Header=BB337_7 Depth=1
	v_mov_b32_e32 v47, v46
	v_cndmask_b32_e32 v30, v30, v36, vcc
	v_cndmask_b32_e64 v31, v31, v36, s[6:7]
	v_cndmask_b32_e32 v36, v26, v37, vcc
	v_cndmask_b32_e64 v37, v27, v37, s[6:7]
	v_mov_b32_e32 v26, v46
	v_mov_b32_e32 v27, v46
	v_pk_mul_f32 v[22:23], v[26:27], v[22:23]
	v_pk_mul_f32 v[26:27], v[46:47], v[20:21]
	v_cmp_eq_u32_e32 vcc, 1, v120
	v_cmp_eq_u32_e64 s[6:7], 2, v120
	v_cmp_eq_u32_e64 s[8:9], 3, v120
	v_cndmask_b32_e32 v20, v26, v27, vcc
	v_cndmask_b32_e64 v20, v20, v22, s[6:7]
	v_cndmask_b32_e64 v20, v20, v23, s[8:9]
	v_cvt_f16_f32_e32 v31, v31
	v_cvt_f16_f32_sdwa v30, v30 dst_sel:WORD_1 dst_unused:UNUSED_PAD src0_sel:DWORD
	ds_bpermute_b32 v38, v125, v20
	v_mov_b32_e32 v29, v28
	v_lshl_add_u64 v[24:25], s[34:35], 2, v[24:25]
	v_or_b32_e32 v30, v30, v31
	v_cmp_eq_u32_e64 s[10:11], 0, v120
	;;#ASMSTART
	global_atomic_pk_add_f16 v[24:25], v30, off
	
	;;#ASMEND
	v_cvt_f16_f32_e32 v39, v37
	v_cvt_f16_f32_sdwa v40, v36 dst_sel:WORD_1 dst_unused:UNUSED_PAD src0_sel:DWORD
	v_lshl_add_u64 v[30:31], v[24:25], 0, 32
	s_waitcnt lgkmcnt(0)
	v_cndmask_b32_e64 v20, v23, v38, s[8:9]
	v_cndmask_b32_e32 v23, v27, v38, vcc
	v_cndmask_b32_e64 v24, v26, v38, s[10:11]
	v_mov_b32_e32 v26, v28
	v_mov_b32_e32 v27, v28
	v_pk_mul_f32 v[36:37], v[28:29], v[16:17]
	v_pk_mul_f32 v[26:27], v[26:27], v[18:19]
	v_cndmask_b32_e32 v16, v36, v37, vcc
	v_cndmask_b32_e64 v16, v16, v26, s[6:7]
	v_cndmask_b32_e64 v16, v16, v27, s[8:9]
	ds_bpermute_b32 v17, v125, v16
	v_cmp_eq_u32_e64 s[12:13], 1, v121
	v_cndmask_b32_e64 v21, v22, v38, s[6:7]
	v_cmp_eq_u32_e32 vcc, 2, v121
	v_cndmask_b32_e64 v22, v24, v23, s[12:13]
	v_cmp_eq_u32_e64 s[14:15], 3, v121
	v_cndmask_b32_e32 v16, v22, v21, vcc
	s_waitcnt lgkmcnt(0)
	v_cndmask_b32_e64 v19, v26, v17, s[6:7]
	v_cndmask_b32_e64 v16, v16, v20, s[14:15]
	v_cmp_ne_u32_e64 s[6:7], 0, v120
	ds_bpermute_b32 v22, v125, v16
	v_cndmask_b32_e64 v18, v27, v17, s[8:9]
	v_cndmask_b32_e64 v16, v37, v17, s[6:7]
	;; [unrolled: 1-line block ×4, first 2 shown]
	v_cndmask_b32_e32 v25, v25, v19, vcc
	v_cndmask_b32_e64 v25, v25, v18, s[14:15]
	ds_bpermute_b32 v25, v125, v25
	v_or_b32_e32 v26, v40, v39
	;;#ASMSTART
	global_atomic_pk_add_f16 v[30:31], v26, off
	
	;;#ASMEND
	v_or_b32_e32 v26, 16, v122
	v_add_u32_e32 v26, s61, v26
	v_cmp_gt_u32_e32 vcc, 64, v26
	s_and_b64 exec, exec, vcc
	s_cbranch_execz .LBB337_41
; %bb.35:                               ;   in Loop: Header=BB337_7 Depth=1
	v_cmp_eq_u32_e64 s[8:9], 1, v121
	v_cmp_eq_u32_e64 s[10:11], 0, v121
	v_cmp_eq_u32_e32 vcc, 3, v121
	s_waitcnt lgkmcnt(0)
	v_cndmask_b32_e64 v27, v16, v25, s[8:9]
	v_cndmask_b32_e64 v30, v17, v25, s[10:11]
	scratch_load_dwordx2 v[16:17], off, off ; 8-byte Folded Reload
	v_cndmask_b32_e64 v23, v23, v22, s[8:9]
	v_cndmask_b32_e64 v24, v24, v22, s[10:11]
	v_cvt_f16_f32_e32 v24, v24
	v_cvt_f16_f32_sdwa v23, v23 dst_sel:WORD_1 dst_unused:UNUSED_PAD src0_sel:DWORD
	v_cvt_f16_f32_e32 v36, v30
	v_cvt_f16_f32_sdwa v27, v27 dst_sel:WORD_1 dst_unused:UNUSED_PAD src0_sel:DWORD
	v_cmp_eq_u32_e64 s[6:7], 2, v121
	v_or_b32_e32 v23, v23, v24
	v_cmp_gt_u32_e64 s[8:9], 62, v26
	s_waitcnt vmcnt(0)
	v_lshl_add_u64 v[16:17], v[16:17], 1, s[46:47]
	;;#ASMSTART
	global_atomic_pk_add_f16 v[16:17], v23, off
	
	;;#ASMEND
	v_lshl_add_u64 v[30:31], v[16:17], 0, 32
	v_or_b32_e32 v23, v27, v36
	;;#ASMSTART
	global_atomic_pk_add_f16 v[30:31], v23, off
	
	;;#ASMEND
	s_and_b64 exec, exec, s[8:9]
	s_cbranch_execz .LBB337_41
; %bb.36:                               ;   in Loop: Header=BB337_7 Depth=1
	v_cndmask_b32_e32 v20, v20, v22, vcc
	v_cndmask_b32_e64 v21, v21, v22, s[6:7]
	v_cndmask_b32_e32 v22, v18, v25, vcc
	v_cndmask_b32_e64 v23, v19, v25, s[6:7]
	v_mov_b32_e32 v18, v46
	v_mov_b32_e32 v19, v46
	v_pk_mul_f32 v[14:15], v[18:19], v[14:15]
	v_pk_mul_f32 v[18:19], v[46:47], v[12:13]
	v_cmp_eq_u32_e32 vcc, 1, v120
	v_cmp_eq_u32_e64 s[6:7], 2, v120
	v_cmp_eq_u32_e64 s[8:9], 3, v120
	v_cndmask_b32_e32 v12, v18, v19, vcc
	v_cndmask_b32_e64 v12, v12, v14, s[6:7]
	v_cndmask_b32_e64 v12, v12, v15, s[8:9]
	v_cvt_f16_f32_e32 v21, v21
	v_cvt_f16_f32_sdwa v20, v20 dst_sel:WORD_1 dst_unused:UNUSED_PAD src0_sel:DWORD
	ds_bpermute_b32 v24, v125, v12
	v_lshl_add_u64 v[16:17], s[34:35], 2, v[16:17]
	v_cmp_eq_u32_e64 s[10:11], 0, v120
	v_or_b32_e32 v20, v20, v21
	;;#ASMSTART
	global_atomic_pk_add_f16 v[16:17], v20, off
	
	;;#ASMEND
	v_cvt_f16_f32_e32 v25, v23
	v_cvt_f16_f32_sdwa v26, v22 dst_sel:WORD_1 dst_unused:UNUSED_PAD src0_sel:DWORD
	v_lshl_add_u64 v[20:21], v[16:17], 0, 32
	s_waitcnt lgkmcnt(0)
	v_cndmask_b32_e64 v12, v15, v24, s[8:9]
	v_cndmask_b32_e32 v15, v19, v24, vcc
	v_cndmask_b32_e64 v16, v18, v24, s[10:11]
	v_mov_b32_e32 v18, v28
	v_mov_b32_e32 v19, v28
	v_pk_mul_f32 v[22:23], v[28:29], v[8:9]
	v_pk_mul_f32 v[18:19], v[18:19], v[10:11]
	v_cndmask_b32_e32 v8, v22, v23, vcc
	v_cndmask_b32_e64 v8, v8, v18, s[6:7]
	v_cndmask_b32_e64 v8, v8, v19, s[8:9]
	ds_bpermute_b32 v9, v125, v8
	v_cmp_eq_u32_e64 s[12:13], 1, v121
	v_cndmask_b32_e64 v13, v14, v24, s[6:7]
	v_cmp_eq_u32_e32 vcc, 2, v121
	v_cndmask_b32_e64 v14, v16, v15, s[12:13]
	v_cmp_eq_u32_e64 s[14:15], 3, v121
	v_cndmask_b32_e32 v8, v14, v13, vcc
	s_waitcnt lgkmcnt(0)
	v_cndmask_b32_e64 v11, v18, v9, s[6:7]
	v_cndmask_b32_e64 v8, v8, v12, s[14:15]
	v_cmp_ne_u32_e64 s[6:7], 0, v120
	ds_bpermute_b32 v14, v125, v8
	v_cndmask_b32_e64 v10, v19, v9, s[8:9]
	v_cndmask_b32_e64 v8, v23, v9, s[6:7]
	;; [unrolled: 1-line block ×4, first 2 shown]
	v_cndmask_b32_e32 v17, v17, v11, vcc
	v_cndmask_b32_e64 v17, v17, v10, s[14:15]
	ds_bpermute_b32 v17, v125, v17
	v_or_b32_e32 v18, v26, v25
	;;#ASMSTART
	global_atomic_pk_add_f16 v[20:21], v18, off
	
	;;#ASMEND
	v_or_b32_e32 v18, 32, v122
	v_add_u32_e32 v18, s61, v18
	v_cmp_gt_u32_e32 vcc, 64, v18
	s_and_b64 exec, exec, vcc
	s_cbranch_execz .LBB337_41
; %bb.37:                               ;   in Loop: Header=BB337_7 Depth=1
	v_cmp_eq_u32_e64 s[8:9], 1, v121
	v_cmp_eq_u32_e64 s[10:11], 0, v121
	v_cmp_eq_u32_e32 vcc, 3, v121
	s_waitcnt lgkmcnt(0)
	v_cndmask_b32_e64 v19, v8, v17, s[8:9]
	v_cndmask_b32_e64 v20, v9, v17, s[10:11]
	scratch_load_dwordx2 v[8:9], off, off offset:8 ; 8-byte Folded Reload
	v_cndmask_b32_e64 v15, v15, v14, s[8:9]
	v_cndmask_b32_e64 v16, v16, v14, s[10:11]
	v_cvt_f16_f32_e32 v16, v16
	v_cvt_f16_f32_sdwa v15, v15 dst_sel:WORD_1 dst_unused:UNUSED_PAD src0_sel:DWORD
	v_cvt_f16_f32_e32 v22, v20
	v_cvt_f16_f32_sdwa v19, v19 dst_sel:WORD_1 dst_unused:UNUSED_PAD src0_sel:DWORD
	v_cmp_eq_u32_e64 s[6:7], 2, v121
	v_or_b32_e32 v15, v15, v16
	v_cmp_gt_u32_e64 s[8:9], 62, v18
	s_waitcnt vmcnt(0)
	v_lshl_add_u64 v[8:9], v[8:9], 1, s[46:47]
	;;#ASMSTART
	global_atomic_pk_add_f16 v[8:9], v15, off
	
	;;#ASMEND
	v_lshl_add_u64 v[20:21], v[8:9], 0, 32
	v_or_b32_e32 v15, v19, v22
	;;#ASMSTART
	global_atomic_pk_add_f16 v[20:21], v15, off
	
	;;#ASMEND
	s_and_b64 exec, exec, s[8:9]
	s_cbranch_execz .LBB337_41
; %bb.38:                               ;   in Loop: Header=BB337_7 Depth=1
	v_cndmask_b32_e32 v12, v12, v14, vcc
	v_cndmask_b32_e64 v13, v13, v14, s[6:7]
	v_cndmask_b32_e32 v14, v10, v17, vcc
	v_cndmask_b32_e64 v15, v11, v17, s[6:7]
	v_mov_b32_e32 v10, v46
	v_mov_b32_e32 v11, v46
	v_pk_mul_f32 v[6:7], v[10:11], v[6:7]
	v_pk_mul_f32 v[10:11], v[46:47], v[4:5]
	v_cmp_eq_u32_e32 vcc, 1, v120
	v_cmp_eq_u32_e64 s[6:7], 2, v120
	v_cmp_eq_u32_e64 s[8:9], 3, v120
	v_cndmask_b32_e32 v4, v10, v11, vcc
	v_cndmask_b32_e64 v4, v4, v6, s[6:7]
	v_cndmask_b32_e64 v4, v4, v7, s[8:9]
	v_cvt_f16_f32_e32 v13, v13
	v_cvt_f16_f32_sdwa v12, v12 dst_sel:WORD_1 dst_unused:UNUSED_PAD src0_sel:DWORD
	ds_bpermute_b32 v16, v125, v4
	v_lshl_add_u64 v[8:9], s[34:35], 2, v[8:9]
	v_cmp_eq_u32_e64 s[10:11], 0, v120
	v_or_b32_e32 v12, v12, v13
	;;#ASMSTART
	global_atomic_pk_add_f16 v[8:9], v12, off
	
	;;#ASMEND
	v_lshl_add_u64 v[12:13], v[8:9], 0, 32
	s_waitcnt lgkmcnt(0)
	v_cndmask_b32_e64 v4, v7, v16, s[8:9]
	v_cndmask_b32_e64 v5, v6, v16, s[6:7]
	v_cndmask_b32_e32 v6, v11, v16, vcc
	v_cndmask_b32_e64 v7, v10, v16, s[10:11]
	v_mov_b32_e32 v8, v28
	v_mov_b32_e32 v9, v28
	v_pk_mul_f32 v[10:11], v[28:29], v[0:1]
	v_pk_mul_f32 v[8:9], v[8:9], v[2:3]
	v_cndmask_b32_e32 v0, v10, v11, vcc
	v_cndmask_b32_e64 v0, v0, v8, s[6:7]
	v_cndmask_b32_e64 v0, v0, v9, s[8:9]
	ds_bpermute_b32 v1, v125, v0
	v_cmp_eq_u32_e64 s[12:13], 1, v121
	v_cmp_eq_u32_e32 vcc, 2, v121
	v_cmp_eq_u32_e64 s[14:15], 3, v121
	v_cndmask_b32_e64 v16, v7, v6, s[12:13]
	v_cndmask_b32_e32 v0, v16, v5, vcc
	v_cndmask_b32_e64 v0, v0, v4, s[14:15]
	s_waitcnt lgkmcnt(0)
	v_cndmask_b32_e64 v8, v8, v1, s[6:7]
	v_cmp_ne_u32_e64 s[6:7], 0, v120
	ds_bpermute_b32 v2, v125, v0
	v_cndmask_b32_e64 v3, v9, v1, s[8:9]
	v_cndmask_b32_e64 v0, v11, v1, s[6:7]
	v_cndmask_b32_e64 v1, v10, v1, s[10:11]
	v_cvt_f16_f32_e32 v15, v15
	v_cvt_f16_f32_sdwa v14, v14 dst_sel:WORD_1 dst_unused:UNUSED_PAD src0_sel:DWORD
	v_cndmask_b32_e64 v9, v1, v0, s[12:13]
	v_cndmask_b32_e32 v9, v9, v8, vcc
	v_cndmask_b32_e64 v9, v9, v3, s[14:15]
	ds_bpermute_b32 v9, v125, v9
	v_or_b32_e32 v10, v14, v15
	;;#ASMSTART
	global_atomic_pk_add_f16 v[12:13], v10, off
	
	;;#ASMEND
	v_or_b32_e32 v10, 48, v122
	v_add_u32_e32 v10, s61, v10
	v_cmp_gt_u32_e32 vcc, 64, v10
	s_and_b64 exec, exec, vcc
	s_cbranch_execz .LBB337_41
; %bb.39:                               ;   in Loop: Header=BB337_7 Depth=1
	v_cmp_eq_u32_e64 s[8:9], 1, v121
	v_cmp_eq_u32_e64 s[10:11], 0, v121
	v_cmp_eq_u32_e32 vcc, 3, v121
	s_waitcnt lgkmcnt(0)
	v_cndmask_b32_e64 v11, v0, v9, s[8:9]
	v_cndmask_b32_e64 v12, v1, v9, s[10:11]
	scratch_load_dwordx2 v[0:1], off, off offset:16 ; 8-byte Folded Reload
	v_cndmask_b32_e64 v6, v6, v2, s[8:9]
	v_cndmask_b32_e64 v7, v7, v2, s[10:11]
	v_cvt_f16_f32_e32 v7, v7
	v_cvt_f16_f32_sdwa v6, v6 dst_sel:WORD_1 dst_unused:UNUSED_PAD src0_sel:DWORD
	v_cvt_f16_f32_e32 v12, v12
	v_cvt_f16_f32_sdwa v11, v11 dst_sel:WORD_1 dst_unused:UNUSED_PAD src0_sel:DWORD
	v_cmp_eq_u32_e64 s[6:7], 2, v121
	v_or_b32_e32 v6, v6, v7
	v_cmp_gt_u32_e64 s[8:9], 62, v10
	v_or_b32_e32 v11, v11, v12
	s_waitcnt vmcnt(0)
	v_lshl_add_u64 v[0:1], v[0:1], 1, s[46:47]
	;;#ASMSTART
	global_atomic_pk_add_f16 v[0:1], v6, off
	
	;;#ASMEND
	v_lshl_add_u64 v[6:7], v[0:1], 0, 32
	;;#ASMSTART
	global_atomic_pk_add_f16 v[6:7], v11, off
	
	;;#ASMEND
	s_and_b64 exec, exec, s[8:9]
	s_cbranch_execz .LBB337_41
; %bb.40:                               ;   in Loop: Header=BB337_7 Depth=1
	v_cndmask_b32_e32 v4, v4, v2, vcc
	v_cndmask_b32_e64 v2, v5, v2, s[6:7]
	v_cndmask_b32_e32 v3, v3, v9, vcc
	v_cndmask_b32_e64 v5, v8, v9, s[6:7]
	v_cvt_f16_f32_e32 v2, v2
	v_cvt_f16_f32_sdwa v4, v4 dst_sel:WORD_1 dst_unused:UNUSED_PAD src0_sel:DWORD
	v_cvt_f16_f32_e32 v5, v5
	v_cvt_f16_f32_sdwa v3, v3 dst_sel:WORD_1 dst_unused:UNUSED_PAD src0_sel:DWORD
	v_lshl_add_u64 v[0:1], s[34:35], 2, v[0:1]
	v_or_b32_e32 v2, v4, v2
	;;#ASMSTART
	global_atomic_pk_add_f16 v[0:1], v2, off
	
	;;#ASMEND
	v_lshl_add_u64 v[0:1], v[0:1], 0, 32
	v_or_b32_e32 v2, v3, v5
	;;#ASMSTART
	global_atomic_pk_add_f16 v[0:1], v2, off
	
	;;#ASMEND
.LBB337_41:                             ;   in Loop: Header=BB337_7 Depth=1
	s_or_b64 exec, exec, s[44:45]
	v_subrev_u32_e32 v126, s62, v126
.LBB337_42:                             ;   in Loop: Header=BB337_7 Depth=1
	s_or_b64 exec, exec, s[42:43]
.LBB337_43:                             ;   in Loop: Header=BB337_7 Depth=1
	s_andn2_saveexec_b64 s[6:7], s[40:41]
	s_cbranch_execz .LBB337_52
; %bb.44:                               ;   in Loop: Header=BB337_7 Depth=1
	s_lshl_b32 s39, s62, 1
	v_cmp_gt_i32_e32 vcc, s39, v126
	s_and_saveexec_b64 s[8:9], vcc
	s_cbranch_execz .LBB337_51
; %bb.45:                               ;   in Loop: Header=BB337_7 Depth=1
	s_mul_i32 s10, s38, s19
	s_ashr_i32 s11, s10, 31
	s_waitcnt lgkmcnt(0)
	s_add_u32 s10, s26, s10
	s_addc_u32 s11, s27, s11
	s_ashr_i32 s12, s60, 31
	s_add_u32 s10, s10, s60
	s_addc_u32 s11, s11, s12
	v_lshl_add_u64 v[0:1], s[10:11], 0, v[44:45]
	v_lshl_add_u64 v[16:17], v[0:1], 0, v[42:43]
	s_mov_b64 s[10:11], 0
	s_branch .LBB337_47
.LBB337_46:                             ;   in Loop: Header=BB337_47 Depth=2
	s_or_b64 exec, exec, s[12:13]
	v_or_b32_e32 v20, 0x8000, v124
	v_lshl_add_u32 v20, v18, 12, v20
	;;#ASMSTART
	s_waitcnt vmcnt(3)
	;;#ASMEND
	ds_write2_b32 v20, v12, v13 offset1:32
	ds_write2_b32 v20, v14, v15 offset0:64 offset1:96
	v_add_u32_e32 v12, 0x400, v20
	;;#ASMSTART
	s_waitcnt vmcnt(2)
	;;#ASMEND
	ds_write2_b32 v12, v8, v9 offset1:32
	ds_write2_b32 v12, v10, v11 offset0:64 offset1:96
	v_add_u32_e32 v8, 0x800, v20
	;; [unrolled: 6-line block ×3, first 2 shown]
	v_add_u32_e32 v126, s22, v126
	;;#ASMSTART
	s_waitcnt vmcnt(0)
	;;#ASMEND
	ds_write2_b32 v4, v0, v1 offset1:32
	ds_write2_b32 v4, v2, v3 offset0:64 offset1:96
	v_add_u32_e32 v0, 1, v118
	v_add_u32_e32 v52, s22, v18
	v_cmp_le_i32_e32 vcc, s39, v126
	ds_write_b32 v19, v0 offset:32
	v_add_u32_e32 v0, 2, v118
	s_or_b64 s[10:11], vcc, s[10:11]
	v_cmp_lt_i32_e32 vcc, 3, v52
	s_nop 1
	v_cndmask_b32_e32 v118, v118, v0, vcc
	s_andn2_b64 exec, exec, s[10:11]
	s_cbranch_execz .LBB337_50
.LBB337_47:                             ;   Parent Loop BB337_7 Depth=1
                                        ; =>  This Loop Header: Depth=2
                                        ;       Child Loop BB337_49 Depth 3
	v_cmp_gt_i32_e32 vcc, 4, v52
	s_nop 1
	v_cndmask_b32_e64 v0, -4, 0, vcc
	v_add_u32_e32 v18, v0, v52
	v_lshrrev_b32_e32 v0, 31, v126
	v_add_u32_e32 v0, v126, v0
	v_and_b32_e32 v1, -2, v0
	v_lshlrev_b32_e32 v0, 7, v0
	v_sub_u32_e32 v2, v126, v1
	v_and_b32_e32 v0, 0xffffff00, v0
	v_ashrrev_i32_e32 v1, 31, v0
	v_mul_lo_u32 v2, s53, v2
	v_lshl_add_u64 v[0:1], v[16:17], 0, v[0:1]
	v_ashrrev_i32_e32 v3, 31, v2
	v_lshl_add_u64 v[0:1], v[0:1], 0, v[2:3]
	v_lshlrev_b32_e32 v19, 2, v18
	;;#ASMSTART
	global_load_dwordx4 v[12:15], v[0:1], off offset:0    sc0 sc1 nt  
	global_load_dwordx4 v[8:11], v[0:1], off offset:64   sc0 sc1 nt  
	global_load_dwordx4 v[4:7], v[0:1], off offset:128  sc0 sc1 nt  
	global_load_dwordx4 v[0:3], v[0:1], off offset:192  sc0 sc1 nt  
	
	;;#ASMEND
	ds_read_b32 v20, v19 offset:49184
	v_add_u32_e32 v19, 0xc000, v19
	s_waitcnt lgkmcnt(0)
	v_cmp_ne_u32_e32 vcc, v20, v118
	s_and_saveexec_b64 s[12:13], vcc
	s_cbranch_execz .LBB337_46
; %bb.48:                               ;   in Loop: Header=BB337_47 Depth=2
	s_mov_b64 s[14:15], 0
.LBB337_49:                             ;   Parent Loop BB337_7 Depth=1
                                        ;     Parent Loop BB337_47 Depth=2
                                        ; =>    This Inner Loop Header: Depth=3
	;;#ASMSTART
	s_sleep 0
	;;#ASMEND
	ds_read_b32 v20, v19 offset:32
	s_waitcnt lgkmcnt(0)
	v_cmp_eq_u32_e32 vcc, v20, v118
	s_or_b64 s[14:15], vcc, s[14:15]
	s_andn2_b64 exec, exec, s[14:15]
	s_cbranch_execnz .LBB337_49
	s_branch .LBB337_46
.LBB337_50:                             ;   in Loop: Header=BB337_7 Depth=1
	s_or_b64 exec, exec, s[10:11]
.LBB337_51:                             ;   in Loop: Header=BB337_7 Depth=1
	s_or_b64 exec, exec, s[8:9]
	v_subrev_u32_e32 v126, s39, v126
.LBB337_52:                             ;   in Loop: Header=BB337_7 Depth=1
	s_or_b64 exec, exec, s[6:7]
.LBB337_53:                             ;   in Loop: Header=BB337_7 Depth=1
	s_andn2_saveexec_b64 s[6:7], s[36:37]
	s_cbranch_execz .LBB337_6
; %bb.54:                               ;   in Loop: Header=BB337_7 Depth=1
	s_lshl_b32 s36, s62, 2
	v_cmp_gt_i32_e32 vcc, s36, v126
	s_and_saveexec_b64 s[8:9], vcc
	s_cbranch_execz .LBB337_5
; %bb.55:                               ;   in Loop: Header=BB337_7 Depth=1
	s_mul_i32 s59, s59, s18
	s_ashr_i32 s10, s59, 31
	s_waitcnt lgkmcnt(0)
	s_add_u32 s11, s24, s59
	v_add_u32_e32 v2, s61, v123
	s_addc_u32 s12, s25, s10
	s_ashr_i32 s13, s60, 31
	v_mul_lo_u32 v0, s18, v123
	v_cmp_gt_u32_e32 vcc, 64, v2
	s_add_u32 s10, s11, s60
	s_addc_u32 s11, s12, s13
	v_cndmask_b32_e32 v0, 0, v0, vcc
	v_ashrrev_i32_e32 v1, 31, v0
	v_lshl_add_u64 v[0:1], s[10:11], 0, v[0:1]
	v_lshl_add_u64 v[16:17], v[0:1], 0, v[42:43]
	v_sub_u32_e32 v18, 63, v2
	s_mov_b64 s[10:11], 0
	s_branch .LBB337_57
.LBB337_56:                             ;   in Loop: Header=BB337_57 Depth=2
	s_or_b64 exec, exec, s[12:13]
	v_lshl_or_b32 v21, v19, 12, v124
	;;#ASMSTART
	s_waitcnt vmcnt(3)
	;;#ASMEND
	ds_write2_b32 v21, v12, v13 offset1:32
	ds_write2_b32 v21, v14, v15 offset0:64 offset1:96
	v_add_u32_e32 v12, 0x400, v21
	;;#ASMSTART
	s_waitcnt vmcnt(2)
	;;#ASMEND
	ds_write2_b32 v12, v8, v9 offset1:32
	ds_write2_b32 v12, v10, v11 offset0:64 offset1:96
	v_add_u32_e32 v8, 0x800, v21
	;; [unrolled: 6-line block ×3, first 2 shown]
	v_add_u32_e32 v126, s21, v126
	;;#ASMSTART
	s_waitcnt vmcnt(0)
	;;#ASMEND
	ds_write2_b32 v4, v0, v1 offset1:32
	ds_write2_b32 v4, v2, v3 offset0:64 offset1:96
	v_add_u32_e32 v0, 1, v118
	v_add_u32_e32 v52, s21, v19
	v_cmp_le_i32_e32 vcc, s36, v126
	ds_write_b32 v20, v0
	v_add_u32_e32 v0, 2, v118
	s_or_b64 s[10:11], vcc, s[10:11]
	v_cmp_lt_i32_e32 vcc, 7, v52
	s_nop 1
	v_cndmask_b32_e32 v118, v118, v0, vcc
	s_andn2_b64 exec, exec, s[10:11]
	s_cbranch_execz .LBB337_4
.LBB337_57:                             ;   Parent Loop BB337_7 Depth=1
                                        ; =>  This Loop Header: Depth=2
                                        ;       Child Loop BB337_59 Depth 3
	v_cmp_gt_i32_e32 vcc, 8, v52
	s_nop 1
	v_cndmask_b32_e64 v0, -8, 0, vcc
	v_add_u32_e32 v19, v0, v52
	v_ashrrev_i32_e32 v0, 31, v126
	v_lshrrev_b32_e32 v0, 30, v0
	v_add_u32_e32 v0, v126, v0
	v_and_b32_e32 v1, 0xffffffc, v0
	v_sub_u32_e32 v1, v126, v1
	v_lshlrev_b32_e32 v1, 4, v1
	v_cmp_le_i32_e32 vcc, v1, v18
	v_lshlrev_b32_e32 v0, 6, v0
	v_and_b32_e32 v0, 0xffffff00, v0
	v_cndmask_b32_e32 v2, 0, v1, vcc
	v_ashrrev_i32_e32 v1, 31, v0
	v_mul_lo_u32 v2, v2, s18
	v_lshl_add_u64 v[0:1], v[16:17], 0, v[0:1]
	v_ashrrev_i32_e32 v3, 31, v2
	v_lshl_add_u64 v[0:1], v[0:1], 0, v[2:3]
	v_lshlrev_b32_e32 v20, 2, v19
	;;#ASMSTART
	global_load_dwordx4 v[12:15], v[0:1], off offset:0    
	global_load_dwordx4 v[8:11], v[0:1], off offset:64   
	;; [unrolled: 1-line block ×4, first 2 shown]
	
	;;#ASMEND
	ds_read_b32 v21, v20 offset:49152
	v_add_u32_e32 v20, 0xc000, v20
	s_waitcnt lgkmcnt(0)
	v_cmp_ne_u32_e32 vcc, v21, v118
	s_and_saveexec_b64 s[12:13], vcc
	s_cbranch_execz .LBB337_56
; %bb.58:                               ;   in Loop: Header=BB337_57 Depth=2
	s_mov_b64 s[14:15], 0
.LBB337_59:                             ;   Parent Loop BB337_7 Depth=1
                                        ;     Parent Loop BB337_57 Depth=2
                                        ; =>    This Inner Loop Header: Depth=3
	;;#ASMSTART
	s_sleep 0
	;;#ASMEND
	ds_read_b32 v21, v20
	s_waitcnt lgkmcnt(0)
	v_cmp_eq_u32_e32 vcc, v21, v118
	s_or_b64 s[14:15], vcc, s[14:15]
	s_andn2_b64 exec, exec, s[14:15]
	s_cbranch_execnz .LBB337_59
	s_branch .LBB337_56
.LBB337_60:
	s_endpgm
	.section	.rodata,"a",@progbits
	.p2align	6, 0x0
	.amdhsa_kernel _Z19_skinny_gemm_kernelILi4ELi2ELi2ELi16ELi8EEvPKhS1_P6__halfPKfiiiiiiii
		.amdhsa_group_segment_fixed_size 49200
		.amdhsa_private_segment_fixed_size 28
		.amdhsa_kernarg_size 64
		.amdhsa_user_sgpr_count 2
		.amdhsa_user_sgpr_dispatch_ptr 0
		.amdhsa_user_sgpr_queue_ptr 0
		.amdhsa_user_sgpr_kernarg_segment_ptr 1
		.amdhsa_user_sgpr_dispatch_id 0
		.amdhsa_user_sgpr_kernarg_preload_length 0
		.amdhsa_user_sgpr_kernarg_preload_offset 0
		.amdhsa_user_sgpr_private_segment_size 0
		.amdhsa_uses_dynamic_stack 0
		.amdhsa_enable_private_segment 1
		.amdhsa_system_sgpr_workgroup_id_x 1
		.amdhsa_system_sgpr_workgroup_id_y 0
		.amdhsa_system_sgpr_workgroup_id_z 0
		.amdhsa_system_sgpr_workgroup_info 0
		.amdhsa_system_vgpr_workitem_id 0
		.amdhsa_next_free_vgpr 128
		.amdhsa_next_free_sgpr 63
		.amdhsa_accum_offset 128
		.amdhsa_reserve_vcc 1
		.amdhsa_float_round_mode_32 0
		.amdhsa_float_round_mode_16_64 0
		.amdhsa_float_denorm_mode_32 3
		.amdhsa_float_denorm_mode_16_64 3
		.amdhsa_dx10_clamp 1
		.amdhsa_ieee_mode 1
		.amdhsa_fp16_overflow 0
		.amdhsa_tg_split 0
		.amdhsa_exception_fp_ieee_invalid_op 0
		.amdhsa_exception_fp_denorm_src 0
		.amdhsa_exception_fp_ieee_div_zero 0
		.amdhsa_exception_fp_ieee_overflow 0
		.amdhsa_exception_fp_ieee_underflow 0
		.amdhsa_exception_fp_ieee_inexact 0
		.amdhsa_exception_int_div_zero 0
	.end_amdhsa_kernel
	.section	.text._Z19_skinny_gemm_kernelILi4ELi2ELi2ELi16ELi8EEvPKhS1_P6__halfPKfiiiiiiii,"axG",@progbits,_Z19_skinny_gemm_kernelILi4ELi2ELi2ELi16ELi8EEvPKhS1_P6__halfPKfiiiiiiii,comdat
.Lfunc_end337:
	.size	_Z19_skinny_gemm_kernelILi4ELi2ELi2ELi16ELi8EEvPKhS1_P6__halfPKfiiiiiiii, .Lfunc_end337-_Z19_skinny_gemm_kernelILi4ELi2ELi2ELi16ELi8EEvPKhS1_P6__halfPKfiiiiiiii
                                        ; -- End function
	.set _Z19_skinny_gemm_kernelILi4ELi2ELi2ELi16ELi8EEvPKhS1_P6__halfPKfiiiiiiii.num_vgpr, 128
	.set _Z19_skinny_gemm_kernelILi4ELi2ELi2ELi16ELi8EEvPKhS1_P6__halfPKfiiiiiiii.num_agpr, 0
	.set _Z19_skinny_gemm_kernelILi4ELi2ELi2ELi16ELi8EEvPKhS1_P6__halfPKfiiiiiiii.numbered_sgpr, 63
	.set _Z19_skinny_gemm_kernelILi4ELi2ELi2ELi16ELi8EEvPKhS1_P6__halfPKfiiiiiiii.num_named_barrier, 0
	.set _Z19_skinny_gemm_kernelILi4ELi2ELi2ELi16ELi8EEvPKhS1_P6__halfPKfiiiiiiii.private_seg_size, 28
	.set _Z19_skinny_gemm_kernelILi4ELi2ELi2ELi16ELi8EEvPKhS1_P6__halfPKfiiiiiiii.uses_vcc, 1
	.set _Z19_skinny_gemm_kernelILi4ELi2ELi2ELi16ELi8EEvPKhS1_P6__halfPKfiiiiiiii.uses_flat_scratch, 0
	.set _Z19_skinny_gemm_kernelILi4ELi2ELi2ELi16ELi8EEvPKhS1_P6__halfPKfiiiiiiii.has_dyn_sized_stack, 0
	.set _Z19_skinny_gemm_kernelILi4ELi2ELi2ELi16ELi8EEvPKhS1_P6__halfPKfiiiiiiii.has_recursion, 0
	.set _Z19_skinny_gemm_kernelILi4ELi2ELi2ELi16ELi8EEvPKhS1_P6__halfPKfiiiiiiii.has_indirect_call, 0
	.section	.AMDGPU.csdata,"",@progbits
; Kernel info:
; codeLenInByte = 6580
; TotalNumSgprs: 69
; NumVgprs: 128
; NumAgprs: 0
; TotalNumVgprs: 128
; ScratchSize: 28
; MemoryBound: 0
; FloatMode: 240
; IeeeMode: 1
; LDSByteSize: 49200 bytes/workgroup (compile time only)
; SGPRBlocks: 8
; VGPRBlocks: 15
; NumSGPRsForWavesPerEU: 69
; NumVGPRsForWavesPerEU: 128
; AccumOffset: 128
; Occupancy: 4
; WaveLimiterHint : 0
; COMPUTE_PGM_RSRC2:SCRATCH_EN: 1
; COMPUTE_PGM_RSRC2:USER_SGPR: 2
; COMPUTE_PGM_RSRC2:TRAP_HANDLER: 0
; COMPUTE_PGM_RSRC2:TGID_X_EN: 1
; COMPUTE_PGM_RSRC2:TGID_Y_EN: 0
; COMPUTE_PGM_RSRC2:TGID_Z_EN: 0
; COMPUTE_PGM_RSRC2:TIDIG_COMP_CNT: 0
; COMPUTE_PGM_RSRC3_GFX90A:ACCUM_OFFSET: 31
; COMPUTE_PGM_RSRC3_GFX90A:TG_SPLIT: 0
	.section	.text._Z19_skinny_gemm_kernelILi4ELi2ELi2ELi32ELi4EEvPKhS1_P6__halfPKfiiiiiiii,"axG",@progbits,_Z19_skinny_gemm_kernelILi4ELi2ELi2ELi32ELi4EEvPKhS1_P6__halfPKfiiiiiiii,comdat
	.protected	_Z19_skinny_gemm_kernelILi4ELi2ELi2ELi32ELi4EEvPKhS1_P6__halfPKfiiiiiiii ; -- Begin function _Z19_skinny_gemm_kernelILi4ELi2ELi2ELi32ELi4EEvPKhS1_P6__halfPKfiiiiiiii
	.globl	_Z19_skinny_gemm_kernelILi4ELi2ELi2ELi32ELi4EEvPKhS1_P6__halfPKfiiiiiiii
	.p2align	8
	.type	_Z19_skinny_gemm_kernelILi4ELi2ELi2ELi32ELi4EEvPKhS1_P6__halfPKfiiiiiiii,@function
_Z19_skinny_gemm_kernelILi4ELi2ELi2ELi32ELi4EEvPKhS1_P6__halfPKfiiiiiiii: ; @_Z19_skinny_gemm_kernelILi4ELi2ELi2ELi32ELi4EEvPKhS1_P6__halfPKfiiiiiiii
; %bb.0:
	v_cmp_gt_u32_e32 vcc, 12, v0
	s_and_saveexec_b64 s[4:5], vcc
; %bb.1:
	v_lshlrev_b32_e32 v1, 2, v0
	v_mov_b32_e32 v2, 0
	ds_write_b32 v1, v2 offset:24576
; %bb.2:
	s_or_b64 exec, exec, s[4:5]
	s_load_dwordx8 s[16:23], s[0:1], 0x20
	s_waitcnt lgkmcnt(0)
	s_barrier
	s_add_i32 s3, s16, 0x7f
	s_ashr_i32 s5, s3, 31
	s_add_i32 s4, s17, 63
	s_lshr_b32 s5, s5, 25
	s_ashr_i32 s6, s4, 31
	s_add_i32 s3, s3, s5
	s_ashr_i32 s38, s3, 7
	s_lshr_b32 s3, s6, 26
	s_add_i32 s4, s4, s3
	s_ashr_i32 s11, s4, 6
	s_mul_i32 s3, s11, s38
	s_mul_i32 s3, s3, s20
	s_add_i32 s4, s3, 0x12f
	s_mul_hi_i32 s4, s4, 0x6bca1af3
	s_lshr_b32 s5, s4, 31
	s_ashr_i32 s4, s4, 7
	s_add_i32 s4, s4, s5
	s_add_i32 s5, s2, 1
	s_mul_i32 s5, s4, s5
	v_cvt_f64_i32_e32 v[2:3], s3
	v_cvt_f64_u32_e32 v[4:5], s5
	v_min_f64 v[2:3], v[2:3], v[4:5]
	v_cvt_i32_f64_e32 v62, v[2:3]
	s_mul_i32 s33, s4, s2
	v_cmp_ge_i32_e32 vcc, s33, v62
	s_cbranch_vccnz .LBB338_51
; %bb.3:
	s_load_dwordx8 s[44:51], s[0:1], 0x0
	v_lshrrev_b32_e32 v1, 6, v0
	s_add_i32 s0, s22, s21
	v_cmp_le_i32_e64 s[12:13], s0, v1
	v_mov_b32_e32 v2, s21
	v_cmp_le_i32_e64 s[14:15], s21, v1
	v_mov_b32_e32 v3, s22
	v_cndmask_b32_e64 v3, 0, v3, s[12:13]
	v_cndmask_b32_e64 v2, 0, v2, s[14:15]
	s_abs_i32 s1, s20
	v_add_u32_e32 v2, v2, v3
	v_cvt_f32_u32_e32 v3, s1
	v_sub_u32_e32 v56, v1, v2
	s_ashr_i32 s2, s18, 31
	s_lshr_b32 s2, s2, 26
	v_rcp_iflag_f32_e32 v2, v3
	s_sub_i32 s5, 0, s1
	s_add_i32 s2, s18, s2
	s_ashr_i32 s2, s2, 6
	v_mul_f32_e32 v2, 0x4f7ffffe, v2
	v_cvt_u32_f32_e32 v2, v2
	s_abs_i32 s4, s2
	s_xor_b32 s3, s2, s20
	s_ashr_i32 s3, s3, 31
	v_readfirstlane_b32 s6, v2
	s_mul_i32 s5, s5, s6
	s_mul_hi_u32 s5, s6, s5
	s_add_i32 s6, s6, s5
	s_mul_hi_u32 s5, s4, s6
	s_mul_i32 s6, s5, s1
	s_sub_i32 s4, s4, s6
	s_add_i32 s6, s5, 1
	s_sub_i32 s7, s4, s1
	s_cmp_ge_u32 s4, s1
	s_cselect_b32 s5, s6, s5
	s_cselect_b32 s4, s7, s4
	s_add_i32 s6, s5, 1
	s_cmp_ge_u32 s4, s1
	s_cselect_b32 s1, s6, s5
	s_add_i32 s0, s0, s23
	v_and_b32_e32 v64, 31, v0
	v_lshrrev_b32_e32 v2, 3, v0
	v_cmp_gt_i32_e64 s[28:29], s0, v1
	v_lshlrev_b32_e32 v1, 2, v64
	v_and_b32_e32 v3, 4, v2
	v_and_b32_e32 v5, 1, v0
	v_lshlrev_b32_e32 v2, 6, v3
	v_or_b32_e32 v4, 0x4000, v1
	v_or_b32_e32 v3, v3, v5
	;; [unrolled: 1-line block ×4, first 2 shown]
	v_lshlrev_b32_e32 v2, 1, v5
	v_or_b32_e32 v5, 2, v3
	v_sub_u32_e32 v77, 32, v5
	v_or_b32_e32 v5, 8, v3
	v_sub_u32_e32 v78, 32, v5
	;; [unrolled: 2-line block ×5, first 2 shown]
	v_mul_lo_u32 v34, s17, v3
	v_sub_u32_e32 v81, 32, v5
	v_or_b32_e32 v5, 24, v3
	v_or_b32_e32 v3, 26, v3
	v_sub_u32_e32 v83, 32, v3
	v_lshrrev_b32_e32 v3, 1, v0
	s_abs_i32 s39, s38
	v_and_b32_e32 v50, 16, v3
	v_cvt_f32_u32_e32 v3, s39
                                        ; implicit-def: $vgpr99 : SGPR spill to VGPR lane
	v_sub_u32_e32 v2, v0, v2
	v_writelane_b32 v99, s11, 0
	v_add_u32_e32 v2, 1, v2
	s_waitcnt lgkmcnt(0)
	v_writelane_b32 v99, s44, 1
	v_and_b32_e32 v6, 63, v2
	v_bitop3_b32 v67, v0, 1, v0 bitop3:0xc
	v_bitop3_b32 v68, v0, 3, 1 bitop3:0x6c
	;; [unrolled: 1-line block ×8, first 2 shown]
	v_and_b32_e32 v2, 30, v0
	v_lshlrev_b32_e32 v0, 4, v0
	v_writelane_b32 v99, s45, 2
	s_add_i32 s25, s20, -1
	v_and_b32_e32 v0, 0x200, v0
	v_rcp_iflag_f32_e32 v3, v3
	s_abs_i32 s20, s11
	v_writelane_b32 v99, s46, 3
	s_xor_b32 s1, s1, s3
	v_or_b32_e32 v86, v1, v0
	v_cvt_f32_u32_e32 v1, s20
	v_writelane_b32 v99, s47, 4
	s_sub_i32 s24, s1, s3
	v_writelane_b32 v99, s48, 5
	s_mul_i32 s1, s24, s25
	s_lshl_b32 s0, s17, 1
	v_writelane_b32 v99, s49, 6
	s_sub_i32 s26, s2, s1
	v_add_u32_e32 v36, s0, v34
	s_mul_i32 s1, s17, 6
	v_or_b32_e32 v84, v4, v0
	v_mul_f32_e32 v0, 0x4f7ffffe, v3
	v_writelane_b32 v99, s50, 7
	v_add_u32_e32 v38, s1, v36
	v_cvt_u32_f32_e32 v0, v0
	v_rcp_iflag_f32_e32 v1, v1
	v_writelane_b32 v99, s51, 8
	v_cndmask_b32_e64 v63, 0, 1, s[12:13]
	v_add_u32_e32 v40, s0, v38
	v_writelane_b32 v99, s12, 9
	v_add_u32_e32 v42, s1, v40
	v_add_u32_e32 v44, s0, v42
	v_writelane_b32 v99, s13, 10
	v_writelane_b32 v99, s14, 11
	v_add_u32_e32 v46, s1, v44
	v_readfirstlane_b32 s1, v0
	v_mul_f32_e32 v0, 0x4f7ffffe, v1
	v_writelane_b32 v99, s15, 12
	v_cvt_u32_f32_e32 v0, v0
	v_writelane_b32 v99, s24, 13
	v_add_u32_e32 v48, s0, v46
	s_sub_i32 s0, 0, s39
	v_writelane_b32 v99, s25, 14
	s_mul_i32 s0, s0, s1
	v_writelane_b32 v99, s26, 15
	s_mul_hi_u32 s0, s1, s0
	v_writelane_b32 v99, s28, 16
	s_ashr_i32 s27, s38, 31
	s_add_i32 s30, s1, s0
	s_sub_i32 s0, 0, s20
	v_readfirstlane_b32 s1, v0
	v_writelane_b32 v99, s29, 17
	s_mul_i32 s0, s0, s1
	v_writelane_b32 v99, s27, 18
	s_ashr_i32 s31, s11, 31
	s_mul_hi_u32 s0, s1, s0
	v_mbcnt_lo_u32_b32 v0, -1, 0
	v_writelane_b32 v99, s30, 19
	s_add_i32 s34, s1, s0
	v_mbcnt_hi_u32_b32 v0, -1, v0
	v_writelane_b32 v99, s31, 20
	v_mov_b32_e32 v33, 0
	v_mul_lo_u32 v52, s19, v64
	v_and_or_b32 v0, v0, 64, v6
	v_writelane_b32 v99, s34, 21
	v_or_b32_e32 v75, 32, v64
	v_ashrrev_i32_e32 v35, 31, v34
	v_ashrrev_i32_e32 v37, 31, v36
	;; [unrolled: 1-line block ×6, first 2 shown]
	v_sub_u32_e32 v82, 32, v5
	v_ashrrev_i32_e32 v47, 31, v46
	v_ashrrev_i32_e32 v49, 31, v48
	;; [unrolled: 1-line block ×3, first 2 shown]
	v_mov_b32_e32 v51, v33
	s_lshl_b32 s97, s19, 5
	v_mul_lo_u32 v85, s18, v64
	v_lshlrev_b32_e32 v32, 1, v2
	v_lshlrev_b32_e32 v87, 2, v0
	v_mov_b32_e32 v88, v56
	v_writelane_b32 v99, s38, 22
	v_writelane_b32 v99, s39, 23
	s_branch .LBB338_7
.LBB338_4:                              ;   in Loop: Header=BB338_7 Depth=1
	s_or_b64 exec, exec, s[4:5]
.LBB338_5:                              ;   in Loop: Header=BB338_7 Depth=1
	s_or_b64 exec, exec, s[2:3]
	v_subrev_u32_e32 v88, s10, v88
.LBB338_6:                              ;   in Loop: Header=BB338_7 Depth=1
	s_or_b64 exec, exec, s[0:1]
	s_add_i32 s33, s33, 1
	v_cmp_ge_i32_e32 vcc, s33, v62
	s_cbranch_vccnz .LBB338_51
.LBB338_7:                              ; =>This Loop Header: Depth=1
                                        ;     Child Loop BB338_13 Depth 2
                                        ;       Child Loop BB338_15 Depth 3
                                        ;       Child Loop BB338_18 Depth 3
	;; [unrolled: 1-line block ×3, first 2 shown]
                                        ;     Child Loop BB338_38 Depth 2
                                        ;       Child Loop BB338_40 Depth 3
                                        ;     Child Loop BB338_48 Depth 2
                                        ;       Child Loop BB338_50 Depth 3
	s_abs_i32 s1, s33
	s_mul_hi_u32 s2, s1, s30
	s_mul_i32 s3, s2, s39
	s_ashr_i32 s0, s33, 31
	s_sub_i32 s1, s1, s3
	s_xor_b32 s0, s0, s27
	s_add_i32 s3, s2, 1
	s_sub_i32 s4, s1, s39
	s_cmp_ge_u32 s1, s39
	s_cselect_b32 s2, s3, s2
	s_cselect_b32 s1, s4, s1
	s_add_i32 s3, s2, 1
	s_cmp_ge_u32 s1, s39
	s_cselect_b32 s1, s3, s2
	s_xor_b32 s1, s1, s0
	s_sub_i32 s0, s1, s0
	s_abs_i32 s2, s0
	s_mul_i32 s1, s0, s38
	s_mul_hi_u32 s3, s2, s34
	s_sub_i32 s1, s33, s1
	s_mul_i32 s4, s3, s20
	s_lshl_b32 s52, s1, 7
	s_ashr_i32 s1, s0, 31
	s_sub_i32 s2, s2, s4
	s_xor_b32 s1, s1, s31
	s_add_i32 s4, s3, 1
	s_sub_i32 s5, s2, s20
	s_cmp_ge_u32 s2, s20
	s_cselect_b32 s3, s4, s3
	s_cselect_b32 s2, s5, s2
	s_add_i32 s4, s3, 1
	s_cmp_ge_u32 s2, s20
	s_cselect_b32 s2, s4, s3
	s_xor_b32 s2, s2, s1
	s_sub_i32 s1, s2, s1
	s_mul_i32 s2, s1, s24
	s_lshl_b32 s35, s2, 6
	s_cmp_eq_u32 s1, s25
	s_cselect_b32 s96, s26, s24
	s_sub_i32 s2, s52, s16
	s_add_i32 s53, s2, 0x80
	s_and_saveexec_b64 s[2:3], s[14:15]
	s_xor_b64 s[36:37], exec, s[2:3]
	s_cbranch_execz .LBB338_44
; %bb.8:                                ;   in Loop: Header=BB338_7 Depth=1
	s_mul_i32 s1, s1, s11
	s_sub_i32 s0, s0, s1
	s_lshl_b32 s0, s0, 6
	s_sub_i32 s90, s0, s17
	s_add_i32 s90, s90, 64
	s_max_i32 s1, s90, 0
	s_sub_i32 s54, s0, s1
	s_and_saveexec_b64 s[0:1], s[12:13]
	s_xor_b64 s[4:5], exec, s[0:1]
	s_cbranch_execz .LBB338_34
; %bb.9:                                ;   in Loop: Header=BB338_7 Depth=1
	s_and_saveexec_b64 s[2:3], s[28:29]
	s_cbranch_execz .LBB338_33
; %bb.10:                               ;   in Loop: Header=BB338_7 Depth=1
	global_load_dword v89, v33, s[50:51]
	v_writelane_b32 v99, s2, 24
	v_mov_b32_e32 v31, 0
	v_cmp_gt_i32_e32 vcc, s96, v88
	v_writelane_b32 v99, s3, 25
	v_writelane_b32 v99, s4, 26
	v_mov_b32_e32 v30, v31
	v_mov_b32_e32 v29, v31
	;; [unrolled: 1-line block ×12, first 2 shown]
	s_waitcnt lgkmcnt(1)
	v_mov_b32_e32 v18, v31
	v_mov_b32_e32 v17, v31
	;; [unrolled: 1-line block ×19, first 2 shown]
	v_writelane_b32 v99, s5, 27
	s_and_saveexec_b64 s[0:1], vcc
	s_cbranch_execz .LBB338_23
; %bb.11:                               ;   in Loop: Header=BB338_7 Depth=1
	v_mov_b32_e32 v0, 0
	s_mov_b64 s[2:3], 0
	v_mov_b32_e32 v1, v0
	v_mov_b32_e32 v2, v0
	;; [unrolled: 1-line block ×31, first 2 shown]
	s_branch .LBB338_13
.LBB338_12:                             ;   in Loop: Header=BB338_13 Depth=2
	s_or_b64 exec, exec, s[4:5]
	v_add_u32_e32 v96, 0x800, v93
	ds_read2_b32 v[94:95], v96 offset1:32
	v_add_u32_e32 v88, s23, v88
	s_waitcnt lgkmcnt(0)
	v_mfma_f32_32x32x16_fp8_fp8 v[0:15], v[60:61], v[94:95], v[0:15]
	ds_read2_b32 v[60:61], v96 offset0:128 offset1:160
	s_waitcnt lgkmcnt(0)
	v_mfma_f32_32x32x16_fp8_fp8 v[0:15], v[58:59], v[60:61], v[0:15]
	v_add_u32_e32 v60, 0xc00, v93
	ds_read2_b32 v[58:59], v60 offset1:32
	ds_read2_b32 v[60:61], v60 offset0:128 offset1:160
	ds_write_b32 v91, v92 offset:24588
	s_waitcnt lgkmcnt(2)
	v_mfma_f32_32x32x16_fp8_fp8 v[0:15], v[56:57], v[58:59], v[0:15]
	v_add_u32_e32 v56, s23, v90
	v_add_u32_e32 v57, 2, v63
	v_cmp_lt_i32_e32 vcc, 1, v56
	s_nop 1
	v_cndmask_b32_e32 v63, v63, v57, vcc
	v_cmp_le_i32_e32 vcc, s96, v88
	s_waitcnt lgkmcnt(1)
	v_mfma_f32_32x32x16_fp8_fp8 v[0:15], v[54:55], v[60:61], v[0:15]
	s_or_b64 s[2:3], vcc, s[2:3]
	s_andn2_b64 exec, exec, s[2:3]
	s_cbranch_execz .LBB338_22
.LBB338_13:                             ;   Parent Loop BB338_7 Depth=1
                                        ; =>  This Loop Header: Depth=2
                                        ;       Child Loop BB338_15 Depth 3
                                        ;       Child Loop BB338_18 Depth 3
	;; [unrolled: 1-line block ×3, first 2 shown]
	v_cmp_gt_i32_e32 vcc, 2, v56
	s_nop 1
	v_cndmask_b32_e64 v54, -2, 0, vcc
	v_add_u32_e32 v90, v54, v56
	v_lshlrev_b32_e32 v91, 4, v90
	ds_read_b32 v54, v91 offset:24576
	s_waitcnt lgkmcnt(0)
	v_cmp_ne_u32_e32 vcc, v54, v63
	s_and_saveexec_b64 s[4:5], vcc
	s_cbranch_execz .LBB338_16
; %bb.14:                               ;   in Loop: Header=BB338_13 Depth=2
	s_mov_b64 s[6:7], 0
.LBB338_15:                             ;   Parent Loop BB338_7 Depth=1
                                        ;     Parent Loop BB338_13 Depth=2
                                        ; =>    This Inner Loop Header: Depth=3
	;;#ASMSTART
	s_sleep 0
	;;#ASMEND
	ds_read_b32 v54, v91 offset:24576
	s_waitcnt lgkmcnt(0)
	v_cmp_eq_u32_e32 vcc, v54, v63
	s_or_b64 s[6:7], vcc, s[6:7]
	s_andn2_b64 exec, exec, s[6:7]
	s_cbranch_execnz .LBB338_15
.LBB338_16:                             ;   in Loop: Header=BB338_13 Depth=2
	s_or_b64 exec, exec, s[4:5]
	v_lshl_or_b32 v54, v90, 11, v65
	ds_read2_b32 v[60:61], v54 offset1:32
	ds_read2_b32 v[58:59], v54 offset0:128 offset1:160
	v_add_u32_e32 v54, 0x400, v54
	ds_read2_b32 v[56:57], v54 offset1:32
	ds_read_b32 v93, v91 offset:24580
	ds_read2_b32 v[54:55], v54 offset0:128 offset1:160
	v_add_u32_e32 v92, 1, v63
	ds_write_b32 v91, v92 offset:24576
	s_waitcnt lgkmcnt(2)
	v_cmp_ne_u32_e32 vcc, v93, v63
	s_and_saveexec_b64 s[4:5], vcc
	s_cbranch_execz .LBB338_19
; %bb.17:                               ;   in Loop: Header=BB338_13 Depth=2
	s_mov_b64 s[6:7], 0
.LBB338_18:                             ;   Parent Loop BB338_7 Depth=1
                                        ;     Parent Loop BB338_13 Depth=2
                                        ; =>    This Inner Loop Header: Depth=3
	;;#ASMSTART
	s_sleep 0
	;;#ASMEND
	ds_read_b32 v93, v91 offset:24580
	s_waitcnt lgkmcnt(0)
	v_cmp_eq_u32_e32 vcc, v93, v63
	s_or_b64 s[6:7], vcc, s[6:7]
	s_andn2_b64 exec, exec, s[6:7]
	s_cbranch_execnz .LBB338_18
.LBB338_19:                             ;   in Loop: Header=BB338_13 Depth=2
	s_or_b64 exec, exec, s[4:5]
	v_lshlrev_b32_e32 v93, 12, v90
	v_add_u32_e32 v93, v66, v93
	ds_read2_b32 v[94:95], v93 offset1:32
	v_add_u32_e32 v96, 0x400, v93
	ds_write_b32 v91, v92 offset:24580
	s_waitcnt lgkmcnt(1)
	v_mfma_f32_32x32x16_fp8_fp8 v[16:31], v[60:61], v[94:95], v[16:31]
	ds_read2_b32 v[94:95], v93 offset0:128 offset1:160
	s_waitcnt lgkmcnt(0)
	v_mfma_f32_32x32x16_fp8_fp8 v[16:31], v[58:59], v[94:95], v[16:31]
	ds_read2_b32 v[94:95], v96 offset1:32
	s_waitcnt lgkmcnt(0)
	v_mfma_f32_32x32x16_fp8_fp8 v[16:31], v[56:57], v[94:95], v[16:31]
	ds_read2_b32 v[94:95], v96 offset0:128 offset1:160
	ds_read_b32 v96, v91 offset:24588
	s_waitcnt lgkmcnt(0)
	v_cmp_ne_u32_e32 vcc, v96, v63
	v_mfma_f32_32x32x16_fp8_fp8 v[16:31], v[54:55], v[94:95], v[16:31]
	s_and_saveexec_b64 s[4:5], vcc
	s_cbranch_execz .LBB338_12
; %bb.20:                               ;   in Loop: Header=BB338_13 Depth=2
	s_mov_b64 s[6:7], 0
.LBB338_21:                             ;   Parent Loop BB338_7 Depth=1
                                        ;     Parent Loop BB338_13 Depth=2
                                        ; =>    This Inner Loop Header: Depth=3
	;;#ASMSTART
	s_sleep 0
	;;#ASMEND
	ds_read_b32 v94, v91 offset:24588
	s_waitcnt lgkmcnt(0)
	v_cmp_eq_u32_e32 vcc, v94, v63
	s_or_b64 s[6:7], vcc, s[6:7]
	s_andn2_b64 exec, exec, s[6:7]
	s_cbranch_execnz .LBB338_21
	s_branch .LBB338_12
.LBB338_22:                             ;   in Loop: Header=BB338_7 Depth=1
	s_or_b64 exec, exec, s[2:3]
.LBB338_23:                             ;   in Loop: Header=BB338_7 Depth=1
	v_writelane_b32 v99, s54, 28
	s_nop 1
	v_writelane_b32 v99, s55, 29
	v_writelane_b32 v99, s36, 30
	s_nop 1
	v_writelane_b32 v99, s37, 31
	v_writelane_b32 v99, s53, 32
	;; [unrolled: 1-line block ×4, first 2 shown]
	s_or_b64 exec, exec, s[0:1]
	v_cmp_le_i32_e32 vcc, s90, v64
	v_cmp_eq_u32_e64 s[86:87], 1, v67
	v_cmp_eq_u32_e64 s[50:51], 2, v67
	s_waitcnt vmcnt(0)
	v_cndmask_b32_e32 v54, 0, v89, vcc
	v_pk_mul_f32 v[16:17], v[54:55], v[16:17] op_sel_hi:[0,1]
	v_pk_mul_f32 v[30:31], v[54:55], v[30:31] op_sel_hi:[0,1]
	;; [unrolled: 1-line block ×8, first 2 shown]
	v_cndmask_b32_e64 v54, v16, v17, s[86:87]
	v_cndmask_b32_e64 v54, v54, v18, s[50:51]
	v_cmp_eq_u32_e64 s[54:55], 3, v67
	v_cmp_eq_u32_e64 s[56:57], 4, v67
	v_cmp_eq_u32_e64 s[60:61], 5, v67
	v_cndmask_b32_e64 v54, v54, v19, s[54:55]
	v_cndmask_b32_e64 v54, v54, v20, s[56:57]
	v_cndmask_b32_e64 v54, v54, v21, s[60:61]
	v_cmp_eq_u32_e64 s[64:65], 6, v67
	v_cmp_eq_u32_e64 s[68:69], 7, v67
	v_cmp_eq_u32_e64 s[72:73], 8, v67
	v_cndmask_b32_e64 v54, v54, v22, s[64:65]
	;; [unrolled: 6-line block ×5, first 2 shown]
	ds_bpermute_b32 v54, v87, v54
	v_cmp_eq_u32_e64 s[26:27], 2, v68
	v_cmp_eq_u32_e64 s[28:29], 3, v68
	;; [unrolled: 1-line block ×4, first 2 shown]
	s_waitcnt lgkmcnt(0)
	v_cndmask_b32_e64 v17, v17, v54, s[86:87]
	v_cndmask_b32_e64 v16, v16, v54, s[70:71]
	;; [unrolled: 1-line block ×12, first 2 shown]
	v_cmp_eq_u32_e64 s[36:37], 6, v68
	v_cndmask_b32_e64 v57, v23, v54, s[68:69]
	v_cmp_eq_u32_e64 s[38:39], 7, v68
	v_cndmask_b32_e64 v19, v19, v58, s[36:37]
	v_cndmask_b32_e64 v55, v24, v54, s[72:73]
	v_cndmask_b32_e64 v19, v19, v57, s[38:39]
	v_cmp_eq_u32_e64 s[42:43], 8, v68
	v_cndmask_b32_e64 v25, v25, v54, s[76:77]
	v_cmp_eq_u32_e64 s[44:45], 9, v68
	v_cndmask_b32_e64 v19, v19, v55, s[42:43]
	v_cndmask_b32_e64 v26, v26, v54, s[78:79]
	v_cndmask_b32_e64 v19, v19, v25, s[44:45]
	;; [unrolled: 6-line block ×4, first 2 shown]
	v_cmp_eq_u32_e64 s[62:63], 14, v68
	v_cndmask_b32_e64 v31, v31, v54, s[88:89]
	v_cmp_eq_u32_e64 s[66:67], 15, v68
	v_cndmask_b32_e64 v19, v19, v30, s[62:63]
	v_cmp_le_i32_e64 s[90:91], s90, v75
	v_cndmask_b32_e64 v19, v19, v31, s[66:67]
	ds_bpermute_b32 v54, v87, v19
	v_cmp_eq_u32_e64 s[40:41], 0, v68
	v_cmp_eq_u32_e64 s[2:3], 1, v69
	;; [unrolled: 1-line block ×4, first 2 shown]
	s_waitcnt lgkmcnt(0)
	v_cndmask_b32_e64 v22, v28, v54, s[52:53]
	v_cndmask_b32_e64 v28, v58, v54, s[36:37]
	;; [unrolled: 1-line block ×3, first 2 shown]
	v_pk_mul_f32 v[0:1], v[58:59], v[0:1] op_sel_hi:[0,1]
	v_cndmask_b32_e64 v24, v26, v54, s[46:47]
	v_cndmask_b32_e64 v26, v55, v54, s[42:43]
	v_pk_mul_f32 v[2:3], v[58:59], v[2:3] op_sel_hi:[0,1]
	v_cndmask_b32_e64 v55, v0, v1, s[86:87]
	v_cndmask_b32_e64 v55, v55, v2, s[50:51]
	;; [unrolled: 3-line block ×6, first 2 shown]
	v_cndmask_b32_e64 v17, v17, v54, s[24:25]
	v_cndmask_b32_e64 v16, v16, v54, s[40:41]
	v_pk_mul_f32 v[12:13], v[58:59], v[12:13] op_sel_hi:[0,1]
	v_cndmask_b32_e64 v55, v55, v11, s[74:75]
	v_cndmask_b32_e64 v19, v31, v54, s[66:67]
	;; [unrolled: 1-line block ×14, first 2 shown]
	v_pk_mul_f32 v[14:15], v[58:59], v[14:15] op_sel_hi:[0,1]
	v_cndmask_b32_e64 v55, v55, v13, s[82:83]
	v_cndmask_b32_e64 v54, v54, v31, s[98:99]
	v_cmp_eq_u32_e64 s[10:11], 4, v69
	v_cndmask_b32_e64 v55, v55, v14, s[84:85]
	v_cmp_eq_u32_e64 s[12:13], 5, v69
	v_cndmask_b32_e64 v54, v54, v30, s[10:11]
	v_cndmask_b32_e64 v55, v55, v15, s[88:89]
	;; [unrolled: 1-line block ×3, first 2 shown]
	v_cmp_eq_u32_e64 s[14:15], 6, v69
	ds_bpermute_b32 v55, v87, v55
	v_cmp_eq_u32_e64 s[8:9], 7, v69
	v_cndmask_b32_e64 v54, v54, v28, s[14:15]
	v_cmp_eq_u32_e64 s[6:7], 8, v69
	v_cndmask_b32_e64 v54, v54, v27, s[8:9]
	;; [unrolled: 2-line block ×3, first 2 shown]
	v_cmp_eq_u32_e32 vcc, 10, v69
	v_cndmask_b32_e64 v54, v54, v25, s[4:5]
	v_cmp_eq_u32_e64 s[86:87], 11, v69
	v_cndmask_b32_e32 v54, v54, v24, vcc
	s_waitcnt lgkmcnt(0)
	v_cndmask_b32_e64 v2, v2, v55, s[50:51]
	v_cmp_ne_u32_e64 s[50:51], 0, v67
	v_cndmask_b32_e64 v54, v54, v23, s[86:87]
	v_cmp_eq_u32_e64 s[90:91], 12, v69
	v_cndmask_b32_e64 v1, v1, v55, s[50:51]
	v_cndmask_b32_e64 v0, v0, v55, s[70:71]
	;; [unrolled: 1-line block ×4, first 2 shown]
	v_cmp_eq_u32_e64 s[88:89], 13, v69
	v_cndmask_b32_e64 v14, v14, v55, s[84:85]
	v_cndmask_b32_e64 v13, v13, v55, s[82:83]
	;; [unrolled: 1-line block ×14, first 2 shown]
	v_cmp_eq_u32_e64 s[84:85], 14, v69
	v_cndmask_b32_e64 v55, v55, v2, s[26:27]
	v_cmp_eq_u32_e64 s[82:83], 15, v69
	v_cndmask_b32_e64 v54, v54, v20, s[84:85]
	v_cndmask_b32_e64 v55, v55, v3, s[28:29]
	;; [unrolled: 1-line block ×4, first 2 shown]
	ds_bpermute_b32 v54, v87, v54
	v_cndmask_b32_e64 v55, v55, v5, s[34:35]
	v_cndmask_b32_e64 v55, v55, v6, s[36:37]
	;; [unrolled: 1-line block ×4, first 2 shown]
	v_cmp_eq_u32_e64 s[80:81], 0, v69
	v_cndmask_b32_e64 v55, v55, v9, s[44:45]
	s_waitcnt lgkmcnt(0)
	v_cndmask_b32_e64 v17, v17, v54, s[2:3]
	v_cndmask_b32_e64 v16, v16, v54, s[80:81]
	v_cmp_eq_u32_e64 s[74:75], 1, v70
	v_cndmask_b32_e64 v55, v55, v10, s[46:47]
	v_cndmask_b32_e64 v19, v19, v54, s[82:83]
	;; [unrolled: 1-line block ×6, first 2 shown]
	v_cndmask_b32_e32 v24, v24, v54, vcc
	v_cndmask_b32_e64 v25, v25, v54, s[4:5]
	v_cndmask_b32_e64 v26, v26, v54, s[6:7]
	;; [unrolled: 1-line block ×9, first 2 shown]
	v_cmp_eq_u32_e64 s[78:79], 2, v70
	v_cndmask_b32_e64 v55, v55, v11, s[48:49]
	v_cmp_eq_u32_e64 s[76:77], 3, v70
	v_cndmask_b32_e64 v54, v54, v18, s[78:79]
	v_cndmask_b32_e64 v55, v55, v12, s[52:53]
	v_cndmask_b32_e64 v54, v54, v31, s[76:77]
	v_cmp_eq_u32_e64 s[72:73], 4, v70
	v_cndmask_b32_e64 v55, v55, v13, s[58:59]
	v_cmp_eq_u32_e64 s[68:69], 5, v70
	v_cndmask_b32_e64 v54, v54, v30, s[72:73]
	v_cndmask_b32_e64 v55, v55, v14, s[62:63]
	;; [unrolled: 1-line block ×3, first 2 shown]
	v_cmp_eq_u32_e64 s[64:65], 6, v70
	v_cndmask_b32_e64 v55, v55, v15, s[66:67]
	v_cmp_eq_u32_e64 s[60:61], 7, v70
	v_cndmask_b32_e64 v54, v54, v28, s[64:65]
	ds_bpermute_b32 v55, v87, v55
	v_cndmask_b32_e64 v54, v54, v27, s[60:61]
	v_cmp_eq_u32_e64 s[56:57], 8, v70
	v_cmp_eq_u32_e64 s[54:55], 9, v70
	;; [unrolled: 1-line block ×3, first 2 shown]
	v_cndmask_b32_e64 v54, v54, v26, s[56:57]
	v_cndmask_b32_e64 v54, v54, v25, s[54:55]
	;; [unrolled: 1-line block ×3, first 2 shown]
	v_cmp_eq_u32_e64 s[70:71], 11, v70
	s_waitcnt lgkmcnt(0)
	v_cndmask_b32_e64 v15, v15, v55, s[66:67]
	v_cmp_eq_u32_e64 s[66:67], 12, v70
	v_cndmask_b32_e64 v54, v54, v23, s[70:71]
	v_cndmask_b32_e64 v14, v14, v55, s[62:63]
	;; [unrolled: 1-line block ×3, first 2 shown]
	v_cmp_eq_u32_e64 s[62:63], 13, v70
	v_cndmask_b32_e64 v1, v1, v55, s[24:25]
	v_cndmask_b32_e64 v0, v0, v55, s[40:41]
	v_cndmask_b32_e64 v54, v54, v21, s[62:63]
	v_cndmask_b32_e64 v13, v13, v55, s[58:59]
	v_cmp_eq_u32_e64 s[92:93], 14, v70
	v_cndmask_b32_e64 v12, v12, v55, s[52:53]
	v_cndmask_b32_e64 v11, v11, v55, s[48:49]
	;; [unrolled: 1-line block ×13, first 2 shown]
	v_cmp_eq_u32_e64 s[94:95], 15, v70
	v_cndmask_b32_e64 v55, v55, v2, s[0:1]
	v_cndmask_b32_e64 v55, v55, v3, s[98:99]
	;; [unrolled: 1-line block ×3, first 2 shown]
	ds_bpermute_b32 v54, v87, v54
	v_cndmask_b32_e64 v55, v55, v4, s[10:11]
	v_cndmask_b32_e64 v55, v55, v5, s[12:13]
	v_cndmask_b32_e64 v55, v55, v6, s[14:15]
	v_cmp_eq_u32_e64 s[48:49], 0, v70
	v_cndmask_b32_e64 v55, v55, v7, s[8:9]
	v_cndmask_b32_e64 v55, v55, v8, s[6:7]
	v_writelane_b32 v99, s48, 35
	s_waitcnt lgkmcnt(0)
	v_cndmask_b32_e64 v17, v17, v54, s[74:75]
	v_cndmask_b32_e64 v55, v55, v9, s[4:5]
	v_writelane_b32 v99, s49, 36
	v_cndmask_b32_e64 v16, v16, v54, s[48:49]
	v_cmp_eq_u32_e64 s[48:49], 1, v71
	v_cndmask_b32_e64 v19, v19, v54, s[94:95]
	v_cndmask_b32_e64 v20, v20, v54, s[92:93]
	;; [unrolled: 1-line block ×15, first 2 shown]
	v_cmp_eq_u32_e64 s[44:45], 2, v71
	v_cndmask_b32_e32 v55, v55, v10, vcc
	v_cmp_eq_u32_e64 s[46:47], 3, v71
	v_cndmask_b32_e64 v54, v54, v18, s[44:45]
	v_cndmask_b32_e64 v55, v55, v11, s[86:87]
	s_mov_b64 s[52:53], s[44:45]
	v_cndmask_b32_e64 v54, v54, v31, s[46:47]
	v_cmp_eq_u32_e64 s[44:45], 4, v71
	v_cndmask_b32_e64 v55, v55, v12, s[90:91]
	v_cmp_eq_u32_e64 s[42:43], 5, v71
	v_cndmask_b32_e64 v54, v54, v30, s[44:45]
	v_cndmask_b32_e64 v55, v55, v13, s[88:89]
	;; [unrolled: 1-line block ×3, first 2 shown]
	v_cmp_eq_u32_e64 s[38:39], 6, v71
	v_cndmask_b32_e64 v55, v55, v14, s[84:85]
	v_cmp_eq_u32_e64 s[36:37], 7, v71
	v_cndmask_b32_e64 v54, v54, v28, s[38:39]
	v_cndmask_b32_e64 v55, v55, v15, s[82:83]
	;; [unrolled: 1-line block ×3, first 2 shown]
	v_cmp_eq_u32_e64 s[34:35], 8, v71
	ds_bpermute_b32 v55, v87, v55
	v_cmp_eq_u32_e64 s[30:31], 9, v71
	v_cndmask_b32_e64 v54, v54, v26, s[34:35]
	v_cmp_eq_u32_e64 s[26:27], 10, v71
	v_cndmask_b32_e64 v54, v54, v25, s[30:31]
	;; [unrolled: 2-line block ×4, first 2 shown]
	s_waitcnt lgkmcnt(0)
	v_cndmask_b32_e64 v15, v15, v55, s[82:83]
	v_cndmask_b32_e64 v54, v54, v22, s[58:59]
	v_cmp_eq_u32_e64 s[82:83], 13, v71
	v_cndmask_b32_e64 v14, v14, v55, s[84:85]
	v_cmp_eq_u32_e64 s[84:85], 14, v71
	v_cndmask_b32_e64 v54, v54, v21, s[82:83]
	v_cndmask_b32_e64 v12, v12, v55, s[90:91]
	;; [unrolled: 1-line block ×3, first 2 shown]
	v_cmp_eq_u32_e64 s[90:91], 15, v71
	v_cndmask_b32_e64 v1, v1, v55, s[2:3]
	v_cndmask_b32_e64 v0, v0, v55, s[80:81]
	;; [unrolled: 1-line block ×5, first 2 shown]
	v_cndmask_b32_e32 v10, v10, v55, vcc
	v_cndmask_b32_e64 v9, v9, v55, s[4:5]
	v_cndmask_b32_e64 v8, v8, v55, s[6:7]
	;; [unrolled: 1-line block ×9, first 2 shown]
	ds_bpermute_b32 v54, v87, v54
	v_cndmask_b32_e64 v55, v55, v2, s[78:79]
	v_cndmask_b32_e64 v55, v55, v3, s[76:77]
	;; [unrolled: 1-line block ×4, first 2 shown]
	v_writelane_b32 v99, s52, 37
	v_cndmask_b32_e64 v55, v55, v6, s[64:65]
	v_cndmask_b32_e64 v55, v55, v7, s[60:61]
	v_writelane_b32 v99, s53, 38
	s_waitcnt lgkmcnt(0)
	v_cndmask_b32_e64 v18, v18, v54, s[52:53]
	v_cmp_eq_u32_e64 s[52:53], 0, v71
	v_cndmask_b32_e64 v17, v17, v54, s[48:49]
	v_cmp_eq_u32_e64 s[28:29], 1, v72
	v_writelane_b32 v99, s52, 39
	v_cndmask_b32_e64 v55, v55, v8, s[56:57]
	v_cndmask_b32_e64 v19, v19, v54, s[90:91]
	;; [unrolled: 1-line block ×16, first 2 shown]
	v_cmp_eq_u32_e64 s[24:25], 2, v72
	v_cndmask_b32_e64 v55, v55, v9, s[54:55]
	v_writelane_b32 v99, s53, 40
	v_cndmask_b32_e64 v54, v54, v18, s[24:25]
	v_cmp_eq_u32_e64 s[52:53], 3, v72
	v_cndmask_b32_e64 v55, v55, v10, s[50:51]
	v_cmp_eq_u32_e64 s[4:5], 4, v72
	v_cndmask_b32_e64 v54, v54, v31, s[52:53]
	v_cndmask_b32_e64 v55, v55, v11, s[70:71]
	v_cndmask_b32_e64 v54, v54, v30, s[4:5]
	v_cmp_eq_u32_e64 s[14:15], 5, v72
	v_cndmask_b32_e64 v55, v55, v12, s[66:67]
	v_cmp_eq_u32_e64 s[12:13], 6, v72
	v_cndmask_b32_e64 v54, v54, v29, s[14:15]
	v_cndmask_b32_e64 v55, v55, v13, s[62:63]
	;; [unrolled: 6-line block ×3, first 2 shown]
	v_cndmask_b32_e64 v54, v54, v26, s[8:9]
	v_cmp_eq_u32_e64 s[6:7], 9, v72
	ds_bpermute_b32 v55, v87, v55
	v_cmp_eq_u32_e32 vcc, 10, v72
	v_cndmask_b32_e64 v54, v54, v25, s[6:7]
	v_cmp_eq_u32_e64 s[80:81], 11, v72
	v_cndmask_b32_e32 v54, v54, v24, vcc
	v_cmp_eq_u32_e64 s[86:87], 12, v72
	v_cndmask_b32_e64 v54, v54, v23, s[80:81]
	v_cmp_eq_u32_e64 s[88:89], 13, v72
	v_cndmask_b32_e64 v54, v54, v22, s[86:87]
	s_waitcnt lgkmcnt(0)
	v_cndmask_b32_e64 v13, v13, v55, s[62:63]
	v_cndmask_b32_e64 v54, v54, v21, s[88:89]
	v_cmp_eq_u32_e64 s[62:63], 14, v72
	v_cndmask_b32_e64 v12, v12, v55, s[66:67]
	v_cmp_eq_u32_e64 s[66:67], 15, v72
	v_cndmask_b32_e64 v54, v54, v20, s[62:63]
	v_readlane_b32 s0, v99, 35
	v_cndmask_b32_e64 v54, v54, v19, s[66:67]
	ds_bpermute_b32 v54, v87, v54
	v_cndmask_b32_e64 v14, v14, v55, s[92:93]
	s_mov_b64 s[92:93], s[24:25]
	s_mov_b64 s[2:3], s[28:29]
	v_cndmask_b32_e64 v57, v11, v55, s[70:71]
	v_cmp_eq_u32_e64 s[70:71], 0, v72
	v_readlane_b32 s1, v99, 36
	v_cndmask_b32_e64 v15, v15, v55, s[94:95]
	s_waitcnt lgkmcnt(0)
	v_cndmask_b32_e64 v19, v19, v54, s[66:67]
	v_cndmask_b32_e64 v20, v20, v54, s[62:63]
	;; [unrolled: 1-line block ×5, first 2 shown]
	v_cndmask_b32_e32 v24, v24, v54, vcc
	v_cndmask_b32_e64 v25, v25, v54, s[6:7]
	v_cndmask_b32_e64 v26, v26, v54, s[8:9]
	;; [unrolled: 1-line block ×21, first 2 shown]
	s_mov_b64 s[0:1], s[48:49]
	v_readlane_b32 s94, v99, 37
	v_cndmask_b32_e64 v0, v55, v93, s[0:1]
	v_readlane_b32 s95, v99, 38
	v_cmp_eq_u32_e64 s[50:51], 1, v73
	v_cmp_eq_u32_e64 s[54:55], 2, v73
	v_cndmask_b32_e64 v0, v0, v92, s[94:95]
	v_cndmask_b32_e64 v0, v0, v91, s[46:47]
	;; [unrolled: 1-line block ×12, first 2 shown]
	v_cmp_eq_u32_e64 s[56:57], 3, v73
	v_cndmask_b32_e64 v0, v0, v12, s[58:59]
	v_cmp_eq_u32_e64 s[60:61], 4, v73
	v_cndmask_b32_e64 v8, v9, v31, s[56:57]
	v_cndmask_b32_e64 v0, v0, v13, s[82:83]
	;; [unrolled: 1-line block ×3, first 2 shown]
	v_cmp_eq_u32_e64 s[64:65], 5, v73
	v_cndmask_b32_e64 v0, v0, v14, s[84:85]
	v_cmp_eq_u32_e64 s[68:69], 6, v73
	v_cndmask_b32_e64 v6, v7, v29, s[64:65]
	v_cndmask_b32_e64 v0, v0, v15, s[90:91]
	;; [unrolled: 1-line block ×3, first 2 shown]
	v_cmp_eq_u32_e64 s[72:73], 7, v73
	ds_bpermute_b32 v94, v87, v0
	v_cmp_eq_u32_e64 s[76:77], 8, v73
	v_cndmask_b32_e64 v4, v5, v27, s[72:73]
	v_cmp_eq_u32_e64 s[78:79], 9, v73
	v_cndmask_b32_e64 v3, v4, v26, s[76:77]
	;; [unrolled: 2-line block ×4, first 2 shown]
	s_waitcnt lgkmcnt(0)
	v_cndmask_b32_e64 v95, v15, v94, s[90:91]
	v_cndmask_b32_e64 v0, v0, v23, s[74:75]
	v_cmp_eq_u32_e64 s[90:91], 12, v73
	v_cndmask_b32_e64 v96, v14, v94, s[84:85]
	v_cmp_eq_u32_e64 s[84:85], 13, v73
	v_cndmask_b32_e64 v0, v0, v22, s[90:91]
	v_cndmask_b32_e64 v97, v13, v94, s[82:83]
	;; [unrolled: 1-line block ×3, first 2 shown]
	v_cmp_eq_u32_e64 s[82:83], 14, v73
	v_cndmask_b32_e64 v98, v12, v94, s[58:59]
	v_cmp_eq_u32_e64 s[58:59], 15, v73
	v_cndmask_b32_e64 v0, v0, v20, s[82:83]
	v_cmp_eq_u32_e64 s[24:25], 1, v74
	v_cndmask_b32_e64 v0, v0, v19, s[58:59]
	ds_bpermute_b32 v1, v87, v0
	v_cmp_eq_u32_e64 s[28:29], 3, v74
	s_waitcnt lgkmcnt(0)
	v_cndmask_b32_e64 v10, v27, v1, s[72:73]
	v_cndmask_b32_e64 v27, v93, v94, s[0:1]
	v_readlane_b32 s0, v99, 39
	v_readlane_b32 s1, v99, 40
	v_cndmask_b32_e64 v11, v28, v1, s[68:69]
	v_cndmask_b32_e64 v9, v26, v1, s[76:77]
	v_cndmask_b32_e64 v28, v55, v94, s[0:1]
	s_mov_b64 s[0:1], s[2:3]
	v_cndmask_b32_e64 v12, v29, v1, s[64:65]
	v_cndmask_b32_e64 v26, v92, v94, s[94:95]
	v_cndmask_b32_e64 v29, v28, v27, s[0:1]
	s_mov_b64 s[2:3], s[92:93]
	;; [unrolled: 4-line block ×3, first 2 shown]
	v_cndmask_b32_e64 v7, v24, v1, s[48:49]
	v_cndmask_b32_e64 v24, v90, v94, s[44:45]
	;; [unrolled: 1-line block ×18, first 2 shown]
	v_cmp_eq_u32_e64 s[40:41], 0, v73
	v_cndmask_b32_e64 v19, v58, v94, s[30:31]
	v_cndmask_b32_e64 v29, v29, v20, s[8:9]
	v_cndmask_b32_e64 v13, v30, v1, s[60:61]
	v_cndmask_b32_e64 v14, v31, v1, s[56:57]
	v_cndmask_b32_e64 v15, v18, v1, s[54:55]
	v_cndmask_b32_e64 v1, v16, v1, s[40:41]
	v_cndmask_b32_e64 v16, v54, v94, s[26:27]
	v_cndmask_b32_e64 v29, v29, v19, s[6:7]
	v_cndmask_b32_e32 v29, v29, v16, vcc
	v_cndmask_b32_e64 v29, v29, v17, s[80:81]
	v_cndmask_b32_e64 v29, v29, v98, s[86:87]
	;; [unrolled: 1-line block ×5, first 2 shown]
	ds_bpermute_b32 v29, v87, v29
	v_cndmask_b32_e64 v18, v1, v0, s[24:25]
	v_cmp_eq_u32_e64 s[26:27], 2, v74
	v_cmp_eq_u32_e64 s[30:31], 4, v74
	;; [unrolled: 1-line block ×3, first 2 shown]
	s_waitcnt lgkmcnt(0)
	v_cndmask_b32_e64 v92, v27, v29, s[0:1]
	v_cndmask_b32_e64 v93, v28, v29, s[70:71]
	;; [unrolled: 1-line block ×18, first 2 shown]
	v_cndmask_b32_e32 v16, v16, v29, vcc
	v_cndmask_b32_e64 v19, v19, v57, s[78:79]
	v_cndmask_b32_e64 v17, v17, v29, s[80:81]
	;; [unrolled: 1-line block ×12, first 2 shown]
	ds_bpermute_b32 v94, v87, v19
	v_cndmask_b32_e64 v18, v18, v15, s[26:27]
	v_cndmask_b32_e64 v18, v18, v14, s[28:29]
	;; [unrolled: 1-line block ×4, first 2 shown]
	s_waitcnt lgkmcnt(0)
	v_cndmask_b32_e64 v23, v17, v94, s[74:75]
	v_cndmask_b32_e64 v24, v16, v94, s[48:49]
	v_cndmask_b32_e64 v16, v92, v94, s[50:51]
	v_cndmask_b32_e64 v17, v93, v94, s[40:41]
	v_cndmask_b32_e64 v21, v54, v94, s[84:85]
	v_cndmask_b32_e64 v22, v55, v94, s[90:91]
	v_cndmask_b32_e64 v54, v91, v94, s[54:55]
	v_cndmask_b32_e64 v55, v17, v16, s[24:25]
	v_cndmask_b32_e64 v20, v31, v94, s[82:83]
	v_cndmask_b32_e64 v31, v90, v94, s[56:57]
	v_cndmask_b32_e64 v55, v55, v54, s[26:27]
	v_cndmask_b32_e64 v19, v30, v94, s[58:59]
	v_cndmask_b32_e64 v30, v89, v94, s[60:61]
	v_cndmask_b32_e64 v55, v55, v31, s[28:29]
	v_cndmask_b32_e64 v29, v61, v94, s[64:65]
	v_cndmask_b32_e64 v55, v55, v30, s[30:31]
	v_cmp_eq_u32_e64 s[36:37], 6, v74
	v_cndmask_b32_e64 v28, v60, v94, s[68:69]
	v_cndmask_b32_e64 v55, v55, v29, s[34:35]
	v_cndmask_b32_e64 v18, v18, v11, s[36:37]
	v_cmp_eq_u32_e64 s[38:39], 7, v74
	v_cndmask_b32_e64 v27, v59, v94, s[72:73]
	v_cndmask_b32_e64 v55, v55, v28, s[36:37]
	v_cndmask_b32_e64 v18, v18, v10, s[38:39]
	;; [unrolled: 4-line block ×4, first 2 shown]
	v_cmp_eq_u32_e64 s[46:47], 10, v74
	v_cndmask_b32_e64 v55, v55, v25, s[44:45]
	v_cmp_eq_u32_e64 s[52:53], 11, v74
	v_cndmask_b32_e64 v18, v18, v7, s[46:47]
	v_cndmask_b32_e64 v55, v55, v24, s[46:47]
	;; [unrolled: 1-line block ×3, first 2 shown]
	v_cmp_eq_u32_e64 s[66:67], 12, v74
	v_cndmask_b32_e64 v55, v55, v23, s[52:53]
	v_cmp_eq_u32_e64 s[62:63], 13, v74
	v_cndmask_b32_e64 v18, v18, v5, s[66:67]
	v_cndmask_b32_e64 v55, v55, v22, s[66:67]
	v_cndmask_b32_e64 v18, v18, v4, s[62:63]
	v_cmp_eq_u32_e32 vcc, 14, v74
	v_cndmask_b32_e64 v55, v55, v21, s[62:63]
	v_cmp_eq_u32_e64 s[6:7], 15, v74
	v_cndmask_b32_e32 v18, v18, v3, vcc
	v_cndmask_b32_e32 v55, v55, v20, vcc
	v_cndmask_b32_e64 v18, v18, v2, s[6:7]
	v_cndmask_b32_e64 v55, v55, v19, s[6:7]
	ds_bpermute_b32 v18, v87, v18
	ds_bpermute_b32 v58, v87, v55
	v_readlane_b32 s53, v99, 32
	s_nop 1
	v_cmp_lt_i32_e32 vcc, s53, v76
	s_and_saveexec_b64 s[40:41], vcc
	v_readlane_b32 s44, v99, 1
	v_readlane_b32 s45, v99, 2
	;; [unrolled: 1-line block ×11, first 2 shown]
	s_cbranch_execz .LBB338_32
; %bb.24:                               ;   in Loop: Header=BB338_7 Depth=1
	s_mul_i32 s0, s52, s17
	s_ashr_i32 s1, s0, 31
	s_lshl_b64 s[0:1], s[0:1], 1
	s_add_u32 s2, s48, s0
	v_cmp_eq_u32_e64 s[34:35], 1, v74
	v_cmp_eq_u32_e64 s[36:37], 0, v74
	s_addc_u32 s3, s49, s1
	s_ashr_i32 s55, s54, 31
	s_waitcnt lgkmcnt(1)
	v_cndmask_b32_e64 v55, v0, v18, s[34:35]
	v_cndmask_b32_e64 v57, v1, v18, s[36:37]
	s_lshl_b64 s[0:1], s[54:55], 1
	s_waitcnt lgkmcnt(0)
	v_cndmask_b32_e64 v59, v16, v58, s[34:35]
	v_cndmask_b32_e64 v60, v17, v58, s[36:37]
	v_cvt_f16_f32_e32 v57, v57
	v_cvt_f16_f32_sdwa v55, v55 dst_sel:WORD_1 dst_unused:UNUSED_PAD src0_sel:DWORD
	s_add_u32 s42, s2, s0
	v_cvt_f16_f32_e32 v60, v60
	v_cvt_f16_f32_sdwa v59, v59 dst_sel:WORD_1 dst_unused:UNUSED_PAD src0_sel:DWORD
	s_addc_u32 s43, s3, s1
	v_lshl_add_u64 v[0:1], s[42:43], 0, v[32:33]
	v_cmp_eq_u32_e32 vcc, 15, v74
	v_cmp_eq_u32_e64 s[6:7], 14, v74
	v_cmp_eq_u32_e64 s[8:9], 13, v74
	;; [unrolled: 1-line block ×13, first 2 shown]
	v_lshl_add_u64 v[16:17], v[34:35], 1, v[0:1]
	v_or_b32_e32 v55, v55, v57
	v_cmp_lt_i32_e64 s[34:35], s53, v77
	;;#ASMSTART
	global_atomic_pk_add_f16 v[16:17], v55, off
	
	;;#ASMEND
	v_lshl_add_u64 v[16:17], v[16:17], 0, 64
	v_or_b32_e32 v55, v59, v60
	;;#ASMSTART
	global_atomic_pk_add_f16 v[16:17], v55, off
	
	;;#ASMEND
	s_and_b64 exec, exec, s[34:35]
	s_cbranch_execz .LBB338_32
; %bb.25:                               ;   in Loop: Header=BB338_7 Depth=1
	v_cndmask_b32_e32 v2, v2, v18, vcc
	v_cndmask_b32_e64 v3, v3, v18, s[6:7]
	v_cndmask_b32_e64 v16, v4, v18, s[8:9]
	v_cndmask_b32_e64 v17, v5, v18, s[10:11]
	v_cndmask_b32_e64 v55, v6, v18, s[12:13]
	v_cndmask_b32_e64 v57, v7, v18, s[14:15]
	v_cndmask_b32_e64 v59, v8, v18, s[0:1]
	v_cndmask_b32_e64 v60, v9, v18, s[2:3]
	v_cndmask_b32_e64 v61, v10, v18, s[4:5]
	v_cndmask_b32_e64 v89, v11, v18, s[38:39]
	v_cndmask_b32_e64 v90, v12, v18, s[24:25]
	v_cndmask_b32_e64 v91, v13, v18, s[26:27]
	v_cndmask_b32_e64 v92, v14, v18, s[28:29]
	v_cndmask_b32_e64 v18, v15, v18, s[30:31]
	v_cndmask_b32_e64 v5, v20, v58, s[6:7]
	v_cndmask_b32_e64 v6, v21, v58, s[8:9]
	v_cndmask_b32_e64 v20, v31, v58, s[28:29]
	v_cndmask_b32_e64 v21, v54, v58, s[30:31]
	v_cndmask_b32_e64 v7, v22, v58, s[10:11]
	v_cndmask_b32_e64 v8, v23, v58, s[12:13]
	v_cvt_f16_f32_e32 v22, v18
	v_cvt_f16_f32_sdwa v23, v92 dst_sel:WORD_1 dst_unused:UNUSED_PAD src0_sel:DWORD
	v_cvt_f16_f32_e32 v21, v21
	v_cvt_f16_f32_sdwa v20, v20 dst_sel:WORD_1 dst_unused:UNUSED_PAD src0_sel:DWORD
	v_cndmask_b32_e32 v4, v19, v58, vcc
	v_cndmask_b32_e64 v9, v24, v58, s[14:15]
	v_cndmask_b32_e64 v10, v25, v58, s[0:1]
	;; [unrolled: 1-line block ×7, first 2 shown]
	v_lshl_add_u64 v[18:19], v[36:37], 1, v[0:1]
	v_cmp_lt_i32_e32 vcc, s53, v78
	v_or_b32_e32 v22, v23, v22
	;;#ASMSTART
	global_atomic_pk_add_f16 v[18:19], v22, off
	
	;;#ASMEND
	v_lshl_add_u64 v[18:19], v[18:19], 0, 64
	v_or_b32_e32 v20, v20, v21
	;;#ASMSTART
	global_atomic_pk_add_f16 v[18:19], v20, off
	
	;;#ASMEND
	s_and_b64 exec, exec, vcc
	s_cbranch_execz .LBB338_32
; %bb.26:                               ;   in Loop: Header=BB338_7 Depth=1
	v_cvt_f16_f32_e32 v20, v91
	v_cvt_f16_f32_sdwa v21, v90 dst_sel:WORD_1 dst_unused:UNUSED_PAD src0_sel:DWORD
	v_cvt_f16_f32_e32 v22, v15
	v_cvt_f16_f32_sdwa v23, v14 dst_sel:WORD_1 dst_unused:UNUSED_PAD src0_sel:DWORD
	v_lshl_add_u64 v[18:19], v[38:39], 1, v[0:1]
	v_or_b32_e32 v14, v21, v20
	v_cmp_lt_i32_e32 vcc, s53, v79
	;;#ASMSTART
	global_atomic_pk_add_f16 v[18:19], v14, off
	
	;;#ASMEND
	v_lshl_add_u64 v[14:15], v[18:19], 0, 64
	v_or_b32_e32 v18, v23, v22
	;;#ASMSTART
	global_atomic_pk_add_f16 v[14:15], v18, off
	
	;;#ASMEND
	s_and_b64 exec, exec, vcc
	s_cbranch_execz .LBB338_32
; %bb.27:                               ;   in Loop: Header=BB338_7 Depth=1
	v_cvt_f16_f32_e32 v18, v89
	v_cvt_f16_f32_sdwa v19, v61 dst_sel:WORD_1 dst_unused:UNUSED_PAD src0_sel:DWORD
	v_cvt_f16_f32_e32 v20, v13
	v_cvt_f16_f32_sdwa v21, v12 dst_sel:WORD_1 dst_unused:UNUSED_PAD src0_sel:DWORD
	v_lshl_add_u64 v[14:15], v[40:41], 1, v[0:1]
	v_or_b32_e32 v12, v19, v18
	v_cmp_lt_i32_e32 vcc, s53, v80
	;; [unrolled: 20-line block ×5, first 2 shown]
	;;#ASMSTART
	global_atomic_pk_add_f16 v[8:9], v6, off
	
	;;#ASMEND
	v_lshl_add_u64 v[6:7], v[8:9], 0, 64
	v_or_b32_e32 v8, v13, v12
	;;#ASMSTART
	global_atomic_pk_add_f16 v[6:7], v8, off
	
	;;#ASMEND
	s_and_b64 exec, exec, vcc
	s_cbranch_execz .LBB338_32
; %bb.31:                               ;   in Loop: Header=BB338_7 Depth=1
	v_cvt_f16_f32_e32 v3, v3
	v_cvt_f16_f32_sdwa v2, v2 dst_sel:WORD_1 dst_unused:UNUSED_PAD src0_sel:DWORD
	v_cvt_f16_f32_e32 v5, v5
	v_cvt_f16_f32_sdwa v4, v4 dst_sel:WORD_1 dst_unused:UNUSED_PAD src0_sel:DWORD
	v_lshl_add_u64 v[0:1], v[48:49], 1, v[0:1]
	v_or_b32_e32 v2, v2, v3
	;;#ASMSTART
	global_atomic_pk_add_f16 v[0:1], v2, off
	
	;;#ASMEND
	v_lshl_add_u64 v[0:1], v[0:1], 0, 64
	v_or_b32_e32 v2, v4, v5
	;;#ASMSTART
	global_atomic_pk_add_f16 v[0:1], v2, off
	
	;;#ASMEND
.LBB338_32:                             ;   in Loop: Header=BB338_7 Depth=1
	s_or_b64 exec, exec, s[40:41]
	v_readlane_b32 s12, v99, 9
	v_readlane_b32 s14, v99, 11
	;; [unrolled: 1-line block ×6, first 2 shown]
	v_subrev_u32_e32 v88, s96, v88
	v_readlane_b32 s11, v99, 0
	v_readlane_b32 s13, v99, 10
	;; [unrolled: 1-line block ×17, first 2 shown]
.LBB338_33:                             ;   in Loop: Header=BB338_7 Depth=1
	s_or_b64 exec, exec, s[2:3]
.LBB338_34:                             ;   in Loop: Header=BB338_7 Depth=1
	s_andn2_saveexec_b64 s[0:1], s[4:5]
	s_cbranch_execz .LBB338_43
; %bb.35:                               ;   in Loop: Header=BB338_7 Depth=1
	s_lshl_b32 s10, s96, 1
	v_cmp_gt_i32_e32 vcc, s10, v88
	s_and_saveexec_b64 s[2:3], vcc
	s_cbranch_execz .LBB338_42
; %bb.36:                               ;   in Loop: Header=BB338_7 Depth=1
	s_mul_i32 s4, s54, s19
	s_ashr_i32 s5, s4, 31
	s_add_u32 s4, s46, s4
	s_addc_u32 s5, s47, s5
	s_ashr_i32 s6, s35, 31
	s_add_u32 s4, s4, s35
	s_addc_u32 s5, s5, s6
	v_lshl_add_u64 v[0:1], s[4:5], 0, v[52:53]
	v_lshl_add_u64 v[8:9], v[0:1], 0, v[50:51]
	s_mov_b64 s[4:5], 0
	s_branch .LBB338_38
.LBB338_37:                             ;   in Loop: Header=BB338_38 Depth=2
	s_or_b64 exec, exec, s[6:7]
	v_lshl_add_u32 v12, v10, 11, v84
	;;#ASMSTART
	s_waitcnt vmcnt(1)
	;;#ASMEND
	ds_write2_b32 v12, v4, v5 offset1:32
	ds_write2_b32 v12, v6, v7 offset0:64 offset1:96
	v_add_u32_e32 v4, 0x400, v12
	v_add_u32_e32 v88, s22, v88
	;;#ASMSTART
	s_waitcnt vmcnt(0)
	;;#ASMEND
	ds_write2_b32 v4, v0, v1 offset1:32
	ds_write2_b32 v4, v2, v3 offset0:64 offset1:96
	v_add_u32_e32 v0, 1, v63
	v_add_u32_e32 v56, s22, v10
	v_cmp_le_i32_e32 vcc, s10, v88
	ds_write_b32 v11, v0 offset:32
	v_add_u32_e32 v0, 2, v63
	s_or_b64 s[4:5], vcc, s[4:5]
	v_cmp_lt_i32_e32 vcc, 3, v56
	s_nop 1
	v_cndmask_b32_e32 v63, v63, v0, vcc
	s_andn2_b64 exec, exec, s[4:5]
	s_cbranch_execz .LBB338_41
.LBB338_38:                             ;   Parent Loop BB338_7 Depth=1
                                        ; =>  This Loop Header: Depth=2
                                        ;       Child Loop BB338_40 Depth 3
	v_cmp_gt_i32_e32 vcc, 4, v56
	s_nop 1
	v_cndmask_b32_e64 v0, -4, 0, vcc
	v_add_u32_e32 v10, v0, v56
	v_lshrrev_b32_e32 v0, 31, v88
	v_add_u32_e32 v0, v88, v0
	v_and_b32_e32 v1, -2, v0
	v_lshlrev_b32_e32 v0, 5, v0
	v_sub_u32_e32 v2, v88, v1
	v_and_b32_e32 v0, 0xffffffc0, v0
	v_ashrrev_i32_e32 v1, 31, v0
	v_mul_lo_u32 v2, s97, v2
	v_lshl_add_u64 v[0:1], v[8:9], 0, v[0:1]
	v_ashrrev_i32_e32 v3, 31, v2
	v_lshl_add_u64 v[0:1], v[0:1], 0, v[2:3]
	v_lshlrev_b32_e32 v11, 2, v10
	;;#ASMSTART
	global_load_dwordx4 v[4:7], v[0:1], off offset:0   sc0 sc1 nt  
	global_load_dwordx4 v[0:3], v[0:1], off offset:32  sc0 sc1 nt  
	
	;;#ASMEND
	ds_read_b32 v12, v11 offset:24608
	v_add_u32_e32 v11, 0x6000, v11
	s_waitcnt lgkmcnt(0)
	v_cmp_ne_u32_e32 vcc, v12, v63
	s_and_saveexec_b64 s[6:7], vcc
	s_cbranch_execz .LBB338_37
; %bb.39:                               ;   in Loop: Header=BB338_38 Depth=2
	s_mov_b64 s[8:9], 0
.LBB338_40:                             ;   Parent Loop BB338_7 Depth=1
                                        ;     Parent Loop BB338_38 Depth=2
                                        ; =>    This Inner Loop Header: Depth=3
	;;#ASMSTART
	s_sleep 0
	;;#ASMEND
	ds_read_b32 v12, v11 offset:32
	s_waitcnt lgkmcnt(0)
	v_cmp_eq_u32_e32 vcc, v12, v63
	s_or_b64 s[8:9], vcc, s[8:9]
	s_andn2_b64 exec, exec, s[8:9]
	s_cbranch_execnz .LBB338_40
	s_branch .LBB338_37
.LBB338_41:                             ;   in Loop: Header=BB338_7 Depth=1
	s_or_b64 exec, exec, s[4:5]
.LBB338_42:                             ;   in Loop: Header=BB338_7 Depth=1
	s_or_b64 exec, exec, s[2:3]
	v_subrev_u32_e32 v88, s10, v88
.LBB338_43:                             ;   in Loop: Header=BB338_7 Depth=1
	s_or_b64 exec, exec, s[0:1]
.LBB338_44:                             ;   in Loop: Header=BB338_7 Depth=1
	s_andn2_saveexec_b64 s[0:1], s[36:37]
	s_cbranch_execz .LBB338_6
; %bb.45:                               ;   in Loop: Header=BB338_7 Depth=1
	s_lshl_b32 s10, s96, 2
	v_cmp_gt_i32_e32 vcc, s10, v88
	s_and_saveexec_b64 s[2:3], vcc
	s_cbranch_execz .LBB338_5
; %bb.46:                               ;   in Loop: Header=BB338_7 Depth=1
	s_mul_i32 s4, s52, s18
	s_max_i32 s6, s53, 0
	s_ashr_i32 s5, s4, 31
	s_add_u32 s4, s44, s4
	v_add_u32_e32 v2, s6, v64
	s_movk_i32 s6, 0x80
	s_addc_u32 s5, s45, s5
	s_ashr_i32 s7, s35, 31
	v_cmp_gt_u32_e32 vcc, s6, v2
	s_add_u32 s4, s4, s35
	s_addc_u32 s5, s5, s7
	v_cndmask_b32_e32 v0, 0, v85, vcc
	v_ashrrev_i32_e32 v1, 31, v0
	v_lshl_add_u64 v[0:1], s[4:5], 0, v[0:1]
	v_lshl_add_u64 v[8:9], v[0:1], 0, v[50:51]
	v_sub_u32_e32 v10, 0x7f, v2
	s_mov_b64 s[4:5], 0
	s_branch .LBB338_48
.LBB338_47:                             ;   in Loop: Header=BB338_48 Depth=2
	s_or_b64 exec, exec, s[6:7]
	v_lshl_or_b32 v13, v11, 11, v86
	;;#ASMSTART
	s_waitcnt vmcnt(1)
	;;#ASMEND
	ds_write2_b32 v13, v4, v5 offset1:32
	ds_write2_b32 v13, v6, v7 offset0:64 offset1:96
	v_add_u32_e32 v4, 0x400, v13
	v_add_u32_e32 v88, s21, v88
	;;#ASMSTART
	s_waitcnt vmcnt(0)
	;;#ASMEND
	ds_write2_b32 v4, v0, v1 offset1:32
	ds_write2_b32 v4, v2, v3 offset0:64 offset1:96
	v_add_u32_e32 v0, 1, v63
	v_add_u32_e32 v56, s21, v11
	v_cmp_le_i32_e32 vcc, s10, v88
	ds_write_b32 v12, v0
	v_add_u32_e32 v0, 2, v63
	s_or_b64 s[4:5], vcc, s[4:5]
	v_cmp_lt_i32_e32 vcc, 7, v56
	s_nop 1
	v_cndmask_b32_e32 v63, v63, v0, vcc
	s_andn2_b64 exec, exec, s[4:5]
	s_cbranch_execz .LBB338_4
.LBB338_48:                             ;   Parent Loop BB338_7 Depth=1
                                        ; =>  This Loop Header: Depth=2
                                        ;       Child Loop BB338_50 Depth 3
	v_cmp_gt_i32_e32 vcc, 8, v56
	s_nop 1
	v_cndmask_b32_e64 v0, -8, 0, vcc
	v_add_u32_e32 v11, v0, v56
	v_ashrrev_i32_e32 v0, 31, v88
	v_lshrrev_b32_e32 v0, 30, v0
	v_add_u32_e32 v0, v88, v0
	v_and_b32_e32 v1, 0x7fffffc, v0
	v_sub_u32_e32 v1, v88, v1
	v_lshlrev_b32_e32 v1, 5, v1
	v_cmp_le_i32_e32 vcc, v1, v10
	v_lshlrev_b32_e32 v0, 4, v0
	v_and_b32_e32 v0, 0xffffffc0, v0
	v_cndmask_b32_e32 v2, 0, v1, vcc
	v_ashrrev_i32_e32 v1, 31, v0
	v_mul_lo_u32 v2, v2, s18
	v_lshl_add_u64 v[0:1], v[8:9], 0, v[0:1]
	v_ashrrev_i32_e32 v3, 31, v2
	v_lshl_add_u64 v[0:1], v[0:1], 0, v[2:3]
	v_lshlrev_b32_e32 v12, 2, v11
	;;#ASMSTART
	global_load_dwordx4 v[4:7], v[0:1], off offset:0   
	global_load_dwordx4 v[0:3], v[0:1], off offset:32  
	
	;;#ASMEND
	ds_read_b32 v13, v12 offset:24576
	v_add_u32_e32 v12, 0x6000, v12
	s_waitcnt lgkmcnt(0)
	v_cmp_ne_u32_e32 vcc, v13, v63
	s_and_saveexec_b64 s[6:7], vcc
	s_cbranch_execz .LBB338_47
; %bb.49:                               ;   in Loop: Header=BB338_48 Depth=2
	s_mov_b64 s[8:9], 0
.LBB338_50:                             ;   Parent Loop BB338_7 Depth=1
                                        ;     Parent Loop BB338_48 Depth=2
                                        ; =>    This Inner Loop Header: Depth=3
	;;#ASMSTART
	s_sleep 0
	;;#ASMEND
	ds_read_b32 v13, v12
	s_waitcnt lgkmcnt(0)
	v_cmp_eq_u32_e32 vcc, v13, v63
	s_or_b64 s[8:9], vcc, s[8:9]
	s_andn2_b64 exec, exec, s[8:9]
	s_cbranch_execnz .LBB338_50
	s_branch .LBB338_47
.LBB338_51:
	s_endpgm
	.section	.rodata,"a",@progbits
	.p2align	6, 0x0
	.amdhsa_kernel _Z19_skinny_gemm_kernelILi4ELi2ELi2ELi32ELi4EEvPKhS1_P6__halfPKfiiiiiiii
		.amdhsa_group_segment_fixed_size 24624
		.amdhsa_private_segment_fixed_size 0
		.amdhsa_kernarg_size 64
		.amdhsa_user_sgpr_count 2
		.amdhsa_user_sgpr_dispatch_ptr 0
		.amdhsa_user_sgpr_queue_ptr 0
		.amdhsa_user_sgpr_kernarg_segment_ptr 1
		.amdhsa_user_sgpr_dispatch_id 0
		.amdhsa_user_sgpr_kernarg_preload_length 0
		.amdhsa_user_sgpr_kernarg_preload_offset 0
		.amdhsa_user_sgpr_private_segment_size 0
		.amdhsa_uses_dynamic_stack 0
		.amdhsa_enable_private_segment 0
		.amdhsa_system_sgpr_workgroup_id_x 1
		.amdhsa_system_sgpr_workgroup_id_y 0
		.amdhsa_system_sgpr_workgroup_id_z 0
		.amdhsa_system_sgpr_workgroup_info 0
		.amdhsa_system_vgpr_workitem_id 0
		.amdhsa_next_free_vgpr 100
		.amdhsa_next_free_sgpr 100
		.amdhsa_accum_offset 100
		.amdhsa_reserve_vcc 1
		.amdhsa_float_round_mode_32 0
		.amdhsa_float_round_mode_16_64 0
		.amdhsa_float_denorm_mode_32 3
		.amdhsa_float_denorm_mode_16_64 3
		.amdhsa_dx10_clamp 1
		.amdhsa_ieee_mode 1
		.amdhsa_fp16_overflow 0
		.amdhsa_tg_split 0
		.amdhsa_exception_fp_ieee_invalid_op 0
		.amdhsa_exception_fp_denorm_src 0
		.amdhsa_exception_fp_ieee_div_zero 0
		.amdhsa_exception_fp_ieee_overflow 0
		.amdhsa_exception_fp_ieee_underflow 0
		.amdhsa_exception_fp_ieee_inexact 0
		.amdhsa_exception_int_div_zero 0
	.end_amdhsa_kernel
	.section	.text._Z19_skinny_gemm_kernelILi4ELi2ELi2ELi32ELi4EEvPKhS1_P6__halfPKfiiiiiiii,"axG",@progbits,_Z19_skinny_gemm_kernelILi4ELi2ELi2ELi32ELi4EEvPKhS1_P6__halfPKfiiiiiiii,comdat
.Lfunc_end338:
	.size	_Z19_skinny_gemm_kernelILi4ELi2ELi2ELi32ELi4EEvPKhS1_P6__halfPKfiiiiiiii, .Lfunc_end338-_Z19_skinny_gemm_kernelILi4ELi2ELi2ELi32ELi4EEvPKhS1_P6__halfPKfiiiiiiii
                                        ; -- End function
	.set _Z19_skinny_gemm_kernelILi4ELi2ELi2ELi32ELi4EEvPKhS1_P6__halfPKfiiiiiiii.num_vgpr, 100
	.set _Z19_skinny_gemm_kernelILi4ELi2ELi2ELi32ELi4EEvPKhS1_P6__halfPKfiiiiiiii.num_agpr, 0
	.set _Z19_skinny_gemm_kernelILi4ELi2ELi2ELi32ELi4EEvPKhS1_P6__halfPKfiiiiiiii.numbered_sgpr, 100
	.set _Z19_skinny_gemm_kernelILi4ELi2ELi2ELi32ELi4EEvPKhS1_P6__halfPKfiiiiiiii.num_named_barrier, 0
	.set _Z19_skinny_gemm_kernelILi4ELi2ELi2ELi32ELi4EEvPKhS1_P6__halfPKfiiiiiiii.private_seg_size, 0
	.set _Z19_skinny_gemm_kernelILi4ELi2ELi2ELi32ELi4EEvPKhS1_P6__halfPKfiiiiiiii.uses_vcc, 1
	.set _Z19_skinny_gemm_kernelILi4ELi2ELi2ELi32ELi4EEvPKhS1_P6__halfPKfiiiiiiii.uses_flat_scratch, 0
	.set _Z19_skinny_gemm_kernelILi4ELi2ELi2ELi32ELi4EEvPKhS1_P6__halfPKfiiiiiiii.has_dyn_sized_stack, 0
	.set _Z19_skinny_gemm_kernelILi4ELi2ELi2ELi32ELi4EEvPKhS1_P6__halfPKfiiiiiiii.has_recursion, 0
	.set _Z19_skinny_gemm_kernelILi4ELi2ELi2ELi32ELi4EEvPKhS1_P6__halfPKfiiiiiiii.has_indirect_call, 0
	.section	.AMDGPU.csdata,"",@progbits
; Kernel info:
; codeLenInByte = 9756
; TotalNumSgprs: 106
; NumVgprs: 100
; NumAgprs: 0
; TotalNumVgprs: 100
; ScratchSize: 0
; MemoryBound: 0
; FloatMode: 240
; IeeeMode: 1
; LDSByteSize: 24624 bytes/workgroup (compile time only)
; SGPRBlocks: 13
; VGPRBlocks: 12
; NumSGPRsForWavesPerEU: 106
; NumVGPRsForWavesPerEU: 100
; AccumOffset: 100
; Occupancy: 4
; WaveLimiterHint : 0
; COMPUTE_PGM_RSRC2:SCRATCH_EN: 0
; COMPUTE_PGM_RSRC2:USER_SGPR: 2
; COMPUTE_PGM_RSRC2:TRAP_HANDLER: 0
; COMPUTE_PGM_RSRC2:TGID_X_EN: 1
; COMPUTE_PGM_RSRC2:TGID_Y_EN: 0
; COMPUTE_PGM_RSRC2:TGID_Z_EN: 0
; COMPUTE_PGM_RSRC2:TIDIG_COMP_CNT: 0
; COMPUTE_PGM_RSRC3_GFX90A:ACCUM_OFFSET: 24
; COMPUTE_PGM_RSRC3_GFX90A:TG_SPLIT: 0
	.section	.text._Z19_skinny_gemm_kernelILi4ELi2ELi2ELi32ELi8EEvPKhS1_P6__halfPKfiiiiiiii,"axG",@progbits,_Z19_skinny_gemm_kernelILi4ELi2ELi2ELi32ELi8EEvPKhS1_P6__halfPKfiiiiiiii,comdat
	.protected	_Z19_skinny_gemm_kernelILi4ELi2ELi2ELi32ELi8EEvPKhS1_P6__halfPKfiiiiiiii ; -- Begin function _Z19_skinny_gemm_kernelILi4ELi2ELi2ELi32ELi8EEvPKhS1_P6__halfPKfiiiiiiii
	.globl	_Z19_skinny_gemm_kernelILi4ELi2ELi2ELi32ELi8EEvPKhS1_P6__halfPKfiiiiiiii
	.p2align	8
	.type	_Z19_skinny_gemm_kernelILi4ELi2ELi2ELi32ELi8EEvPKhS1_P6__halfPKfiiiiiiii,@function
_Z19_skinny_gemm_kernelILi4ELi2ELi2ELi32ELi8EEvPKhS1_P6__halfPKfiiiiiiii: ; @_Z19_skinny_gemm_kernelILi4ELi2ELi2ELi32ELi8EEvPKhS1_P6__halfPKfiiiiiiii
; %bb.0:
	v_cmp_gt_u32_e32 vcc, 12, v0
	s_and_saveexec_b64 s[4:5], vcc
; %bb.1:
	v_lshlrev_b32_e32 v1, 2, v0
	v_mov_b32_e32 v2, 0
	ds_write_b32 v1, v2 offset:49152
; %bb.2:
	s_or_b64 exec, exec, s[4:5]
	s_load_dwordx8 s[16:23], s[0:1], 0x20
	s_waitcnt lgkmcnt(0)
	s_barrier
	s_add_i32 s3, s16, 0x7f
	s_ashr_i32 s5, s3, 31
	s_add_i32 s4, s17, 63
	s_lshr_b32 s5, s5, 25
	s_ashr_i32 s6, s4, 31
	s_add_i32 s3, s3, s5
	s_ashr_i32 s11, s3, 7
	s_lshr_b32 s3, s6, 26
	s_add_i32 s4, s4, s3
	s_ashr_i32 s12, s4, 6
	s_mul_i32 s3, s12, s11
	s_mul_i32 s3, s3, s20
	s_add_i32 s4, s3, 0x12f
	s_mul_hi_i32 s4, s4, 0x6bca1af3
	s_lshr_b32 s5, s4, 31
	s_ashr_i32 s4, s4, 7
	s_add_i32 s4, s4, s5
	s_add_i32 s5, s2, 1
	s_mul_i32 s5, s4, s5
	v_cvt_f64_i32_e32 v[2:3], s3
	v_cvt_f64_u32_e32 v[4:5], s5
	v_min_f64 v[2:3], v[2:3], v[4:5]
	v_cvt_i32_f64_e32 v70, v[2:3]
	s_mul_i32 s33, s4, s2
	v_cmp_ge_i32_e32 vcc, s33, v70
	s_cbranch_vccnz .LBB339_51
; %bb.3:
	s_load_dwordx8 s[44:51], s[0:1], 0x0
	v_lshrrev_b32_e32 v1, 6, v0
	s_add_i32 s0, s22, s21
	v_cmp_le_i32_e64 s[14:15], s0, v1
	v_mov_b32_e32 v2, s21
	v_cmp_le_i32_e64 s[24:25], s21, v1
	v_mov_b32_e32 v3, s22
	v_cndmask_b32_e64 v3, 0, v3, s[14:15]
	v_cndmask_b32_e64 v2, 0, v2, s[24:25]
	s_abs_i32 s1, s20
	v_add_u32_e32 v2, v2, v3
	v_cvt_f32_u32_e32 v3, s1
	v_sub_u32_e32 v56, v1, v2
	s_ashr_i32 s2, s18, 31
	s_lshr_b32 s2, s2, 25
	v_rcp_iflag_f32_e32 v2, v3
	s_sub_i32 s5, 0, s1
	s_add_i32 s2, s18, s2
	s_ashr_i32 s2, s2, 7
	v_mul_f32_e32 v2, 0x4f7ffffe, v2
	v_cvt_u32_f32_e32 v2, v2
	s_abs_i32 s4, s2
	s_xor_b32 s3, s2, s20
	s_ashr_i32 s3, s3, 31
	v_readfirstlane_b32 s6, v2
	s_mul_i32 s5, s5, s6
	s_mul_hi_u32 s5, s6, s5
	s_add_i32 s6, s6, s5
	s_mul_hi_u32 s5, s4, s6
	s_mul_i32 s6, s5, s1
	s_sub_i32 s4, s4, s6
	s_add_i32 s6, s5, 1
	s_sub_i32 s7, s4, s1
	s_cmp_ge_u32 s4, s1
	s_cselect_b32 s5, s6, s5
	s_cselect_b32 s4, s7, s4
	s_add_i32 s6, s5, 1
	s_cmp_ge_u32 s4, s1
	s_cselect_b32 s1, s6, s5
	s_add_i32 s0, s0, s23
	v_and_b32_e32 v72, 31, v0
	v_lshrrev_b32_e32 v2, 3, v0
	v_cmp_gt_i32_e64 s[28:29], s0, v1
	v_lshlrev_b32_e32 v1, 2, v72
	v_and_b32_e32 v3, 4, v2
	v_and_b32_e32 v5, 1, v0
	v_lshlrev_b32_e32 v2, 6, v3
	v_or_b32_e32 v4, 0x8000, v1
	v_or_b32_e32 v3, v3, v5
	v_or_b32_e32 v73, v1, v2
	v_or_b32_e32 v74, v4, v2
	v_lshlrev_b32_e32 v2, 1, v5
	v_or_b32_e32 v5, 2, v3
	v_sub_u32_e32 v85, 32, v5
	v_or_b32_e32 v5, 8, v3
	v_sub_u32_e32 v86, 32, v5
	;; [unrolled: 2-line block ×3, first 2 shown]
	v_or_b32_e32 v5, 16, v3
                                        ; implicit-def: $vgpr105 : SGPR spill to VGPR lane
	v_sub_u32_e32 v88, 32, v5
	v_or_b32_e32 v5, 18, v3
	v_writelane_b32 v105, s11, 0
	v_sub_u32_e32 v84, 32, v3
	v_mul_lo_u32 v34, s17, v3
	v_sub_u32_e32 v89, 32, v5
	v_or_b32_e32 v5, 24, v3
	v_or_b32_e32 v3, 26, v3
	v_writelane_b32 v105, s12, 1
	v_sub_u32_e32 v91, 32, v3
	v_lshrrev_b32_e32 v3, 1, v0
	s_abs_i32 s30, s11
	s_waitcnt lgkmcnt(0)
	v_writelane_b32 v105, s44, 2
	v_and_b32_e32 v50, 16, v3
	v_cvt_f32_u32_e32 v3, s30
	v_writelane_b32 v105, s45, 3
	v_sub_u32_e32 v2, v0, v2
	v_writelane_b32 v105, s46, 4
	v_add_u32_e32 v2, 1, v2
	v_writelane_b32 v105, s47, 5
	v_and_b32_e32 v6, 63, v2
	v_bitop3_b32 v75, v0, 1, v0 bitop3:0xc
	v_bitop3_b32 v76, v0, 3, 1 bitop3:0x6c
	;; [unrolled: 1-line block ×8, first 2 shown]
	v_and_b32_e32 v2, 30, v0
	v_lshlrev_b32_e32 v0, 4, v0
	v_writelane_b32 v105, s48, 6
	v_and_b32_e32 v0, 0x200, v0
	v_rcp_iflag_f32_e32 v3, v3
	s_abs_i32 s34, s12
	v_writelane_b32 v105, s49, 7
	s_xor_b32 s1, s1, s3
	v_or_b32_e32 v94, v1, v0
	v_cvt_f32_u32_e32 v1, s34
	v_writelane_b32 v105, s50, 8
	s_sub_i32 s13, s1, s3
	s_add_i32 s26, s20, -1
	v_writelane_b32 v105, s51, 9
	v_cndmask_b32_e64 v71, 0, 1, s[14:15]
	s_mul_i32 s1, s13, s26
	s_lshl_b32 s0, s17, 1
	v_writelane_b32 v105, s14, 10
	s_sub_i32 s27, s2, s1
	v_add_u32_e32 v36, s0, v34
	s_mul_i32 s1, s17, 6
	v_or_b32_e32 v92, v4, v0
	v_mul_f32_e32 v0, 0x4f7ffffe, v3
	v_writelane_b32 v105, s15, 11
	v_add_u32_e32 v38, s1, v36
	v_cvt_u32_f32_e32 v0, v0
	v_rcp_iflag_f32_e32 v1, v1
	v_writelane_b32 v105, s24, 12
	v_add_u32_e32 v40, s0, v38
	v_add_u32_e32 v42, s1, v40
	v_writelane_b32 v105, s25, 13
	v_writelane_b32 v105, s13, 14
	v_add_u32_e32 v44, s0, v42
	v_writelane_b32 v105, s26, 15
	v_add_u32_e32 v46, s1, v44
	v_readfirstlane_b32 s1, v0
	v_mul_f32_e32 v0, 0x4f7ffffe, v1
	v_writelane_b32 v105, s27, 16
	v_cvt_u32_f32_e32 v0, v0
	v_writelane_b32 v105, s28, 17
	v_add_u32_e32 v48, s0, v46
	s_sub_i32 s0, 0, s30
	v_writelane_b32 v105, s29, 18
	s_lshl_b32 s31, s19, 5
	s_mul_i32 s0, s0, s1
	v_writelane_b32 v105, s30, 19
	s_mul_hi_u32 s0, s1, s0
	v_writelane_b32 v105, s31, 20
	s_ashr_i32 s35, s11, 31
	s_add_i32 s36, s1, s0
	s_sub_i32 s0, 0, s34
	v_readfirstlane_b32 s1, v0
	v_mbcnt_lo_u32_b32 v0, -1, 0
	v_writelane_b32 v105, s34, 21
	s_mul_i32 s0, s0, s1
	v_mbcnt_hi_u32_b32 v0, -1, v0
	v_writelane_b32 v105, s35, 22
	v_mov_b32_e32 v33, 0
	v_mul_lo_u32 v52, s19, v72
	s_ashr_i32 s37, s12, 31
	s_mul_hi_u32 s0, s1, s0
	v_and_or_b32 v0, v0, 64, v6
	v_writelane_b32 v105, s36, 23
	v_or_b32_e32 v83, 32, v72
	v_ashrrev_i32_e32 v35, 31, v34
	v_ashrrev_i32_e32 v37, 31, v36
	;; [unrolled: 1-line block ×6, first 2 shown]
	v_sub_u32_e32 v90, 32, v5
	v_ashrrev_i32_e32 v47, 31, v46
	v_ashrrev_i32_e32 v49, 31, v48
	;; [unrolled: 1-line block ×3, first 2 shown]
	v_mov_b32_e32 v51, v33
	v_mul_lo_u32 v93, s18, v72
	s_add_i32 s38, s1, s0
	v_lshlrev_b32_e32 v32, 1, v2
	v_lshlrev_b32_e32 v95, 2, v0
	v_mov_b32_e32 v96, v56
	v_writelane_b32 v105, s37, 24
	v_writelane_b32 v105, s38, 25
	s_branch .LBB339_7
.LBB339_4:                              ;   in Loop: Header=BB339_7 Depth=1
	s_or_b64 exec, exec, s[4:5]
.LBB339_5:                              ;   in Loop: Header=BB339_7 Depth=1
	s_or_b64 exec, exec, s[2:3]
	v_subrev_u32_e32 v96, s10, v96
.LBB339_6:                              ;   in Loop: Header=BB339_7 Depth=1
	s_or_b64 exec, exec, s[0:1]
	s_add_i32 s33, s33, 1
	v_cmp_ge_i32_e32 vcc, s33, v70
	s_cbranch_vccnz .LBB339_51
.LBB339_7:                              ; =>This Loop Header: Depth=1
                                        ;     Child Loop BB339_13 Depth 2
                                        ;       Child Loop BB339_15 Depth 3
                                        ;       Child Loop BB339_18 Depth 3
	;; [unrolled: 1-line block ×3, first 2 shown]
                                        ;     Child Loop BB339_38 Depth 2
                                        ;       Child Loop BB339_40 Depth 3
                                        ;     Child Loop BB339_48 Depth 2
                                        ;       Child Loop BB339_50 Depth 3
	s_abs_i32 s1, s33
	s_mul_hi_u32 s2, s1, s36
	s_mul_i32 s3, s2, s30
	s_ashr_i32 s0, s33, 31
	s_sub_i32 s1, s1, s3
	s_xor_b32 s0, s0, s35
	s_add_i32 s3, s2, 1
	s_sub_i32 s4, s1, s30
	s_cmp_ge_u32 s1, s30
	s_cselect_b32 s2, s3, s2
	s_cselect_b32 s1, s4, s1
	s_add_i32 s3, s2, 1
	s_cmp_ge_u32 s1, s30
	s_cselect_b32 s1, s3, s2
	s_xor_b32 s1, s1, s0
	s_sub_i32 s0, s1, s0
	s_abs_i32 s2, s0
	s_mul_i32 s1, s0, s11
	s_mul_hi_u32 s3, s2, s38
	s_sub_i32 s1, s33, s1
	s_mul_i32 s4, s3, s34
	s_lshl_b32 s52, s1, 7
	s_ashr_i32 s1, s0, 31
	s_sub_i32 s2, s2, s4
	s_xor_b32 s1, s1, s37
	s_add_i32 s4, s3, 1
	s_sub_i32 s5, s2, s34
	s_cmp_ge_u32 s2, s34
	s_cselect_b32 s3, s4, s3
	s_cselect_b32 s2, s5, s2
	s_add_i32 s4, s3, 1
	s_cmp_ge_u32 s2, s34
	s_cselect_b32 s2, s4, s3
	s_xor_b32 s2, s2, s1
	s_sub_i32 s1, s2, s1
	s_mul_i32 s2, s1, s13
	s_lshl_b32 s39, s2, 7
	s_cmp_eq_u32 s1, s26
	s_cselect_b32 s20, s27, s13
	s_sub_i32 s2, s52, s16
	s_add_i32 s53, s2, 0x80
	s_and_saveexec_b64 s[2:3], s[24:25]
	s_xor_b64 s[40:41], exec, s[2:3]
	s_cbranch_execz .LBB339_44
; %bb.8:                                ;   in Loop: Header=BB339_7 Depth=1
	s_mul_i32 s1, s1, s12
	s_sub_i32 s0, s0, s1
	s_lshl_b32 s0, s0, 6
	s_sub_i32 s90, s0, s17
	s_add_i32 s90, s90, 64
	s_max_i32 s1, s90, 0
	s_sub_i32 s54, s0, s1
	s_and_saveexec_b64 s[0:1], s[14:15]
	s_xor_b64 s[4:5], exec, s[0:1]
	s_cbranch_execz .LBB339_34
; %bb.9:                                ;   in Loop: Header=BB339_7 Depth=1
	s_and_saveexec_b64 s[2:3], s[28:29]
	s_cbranch_execz .LBB339_33
; %bb.10:                               ;   in Loop: Header=BB339_7 Depth=1
	global_load_dword v97, v33, s[50:51]
	v_writelane_b32 v105, s2, 26
	v_mov_b32_e32 v31, 0
	v_cmp_gt_i32_e32 vcc, s20, v96
	v_writelane_b32 v105, s3, 27
	v_writelane_b32 v105, s4, 28
	v_mov_b32_e32 v30, v31
	v_mov_b32_e32 v29, v31
	v_mov_b32_e32 v28, v31
	v_mov_b32_e32 v27, v31
	v_mov_b32_e32 v26, v31
	v_mov_b32_e32 v25, v31
	v_mov_b32_e32 v24, v31
	v_mov_b32_e32 v23, v31
	v_mov_b32_e32 v22, v31
	v_mov_b32_e32 v21, v31
	v_mov_b32_e32 v20, v31
	v_mov_b32_e32 v19, v31
	s_waitcnt lgkmcnt(1)
	v_mov_b32_e32 v18, v31
	v_mov_b32_e32 v17, v31
	;; [unrolled: 1-line block ×19, first 2 shown]
	v_writelane_b32 v105, s5, 29
	s_and_saveexec_b64 s[0:1], vcc
	s_cbranch_execz .LBB339_23
; %bb.11:                               ;   in Loop: Header=BB339_7 Depth=1
	v_mov_b32_e32 v0, 0
	s_mov_b64 s[2:3], 0
	v_mov_b32_e32 v1, v0
	v_mov_b32_e32 v2, v0
	v_mov_b32_e32 v3, v0
	v_mov_b32_e32 v4, v0
	v_mov_b32_e32 v5, v0
	v_mov_b32_e32 v6, v0
	v_mov_b32_e32 v7, v0
	v_mov_b32_e32 v8, v0
	v_mov_b32_e32 v9, v0
	v_mov_b32_e32 v10, v0
	v_mov_b32_e32 v11, v0
	v_mov_b32_e32 v12, v0
	v_mov_b32_e32 v13, v0
	v_mov_b32_e32 v14, v0
	v_mov_b32_e32 v15, v0
	v_mov_b32_e32 v16, v0
	v_mov_b32_e32 v17, v0
	v_mov_b32_e32 v18, v0
	v_mov_b32_e32 v19, v0
	v_mov_b32_e32 v20, v0
	v_mov_b32_e32 v21, v0
	v_mov_b32_e32 v22, v0
	v_mov_b32_e32 v23, v0
	v_mov_b32_e32 v24, v0
	v_mov_b32_e32 v25, v0
	v_mov_b32_e32 v26, v0
	v_mov_b32_e32 v27, v0
	v_mov_b32_e32 v28, v0
	v_mov_b32_e32 v29, v0
	v_mov_b32_e32 v30, v0
	v_mov_b32_e32 v31, v0
	s_branch .LBB339_13
.LBB339_12:                             ;   in Loop: Header=BB339_13 Depth=2
	s_or_b64 exec, exec, s[4:5]
	v_add_u32_e32 v104, 0x1000, v101
	ds_read2_b32 v[102:103], v104 offset1:32
	v_add_u32_e32 v96, s23, v96
	s_waitcnt lgkmcnt(0)
	v_mfma_f32_32x32x16_fp8_fp8 v[0:15], v[68:69], v[102:103], v[0:15]
	ds_read2_b32 v[68:69], v104 offset0:128 offset1:160
	s_waitcnt lgkmcnt(0)
	v_mfma_f32_32x32x16_fp8_fp8 v[0:15], v[66:67], v[68:69], v[0:15]
	v_add_u32_e32 v68, 0x1400, v101
	ds_read2_b32 v[66:67], v68 offset1:32
	s_waitcnt lgkmcnt(0)
	v_mfma_f32_32x32x16_fp8_fp8 v[0:15], v[64:65], v[66:67], v[0:15]
	ds_read2_b32 v[64:65], v68 offset0:128 offset1:160
	s_waitcnt lgkmcnt(0)
	v_mfma_f32_32x32x16_fp8_fp8 v[0:15], v[62:63], v[64:65], v[0:15]
	v_add_u32_e32 v64, 0x1800, v101
	ds_read2_b32 v[62:63], v64 offset1:32
	;; [unrolled: 7-line block ×3, first 2 shown]
	ds_read2_b32 v[60:61], v60 offset0:128 offset1:160
	ds_write_b32 v99, v100 offset:49164
	s_waitcnt lgkmcnt(2)
	v_mfma_f32_32x32x16_fp8_fp8 v[0:15], v[56:57], v[58:59], v[0:15]
	v_add_u32_e32 v56, s23, v98
	v_add_u32_e32 v57, 2, v71
	v_cmp_lt_i32_e32 vcc, 1, v56
	s_nop 1
	v_cndmask_b32_e32 v71, v71, v57, vcc
	v_cmp_le_i32_e32 vcc, s20, v96
	s_waitcnt lgkmcnt(1)
	v_mfma_f32_32x32x16_fp8_fp8 v[0:15], v[54:55], v[60:61], v[0:15]
	s_or_b64 s[2:3], vcc, s[2:3]
	s_andn2_b64 exec, exec, s[2:3]
	s_cbranch_execz .LBB339_22
.LBB339_13:                             ;   Parent Loop BB339_7 Depth=1
                                        ; =>  This Loop Header: Depth=2
                                        ;       Child Loop BB339_15 Depth 3
                                        ;       Child Loop BB339_18 Depth 3
	;; [unrolled: 1-line block ×3, first 2 shown]
	v_cmp_gt_i32_e32 vcc, 2, v56
	s_nop 1
	v_cndmask_b32_e64 v54, -2, 0, vcc
	v_add_u32_e32 v98, v54, v56
	v_lshlrev_b32_e32 v99, 4, v98
	ds_read_b32 v54, v99 offset:49152
	s_waitcnt lgkmcnt(0)
	v_cmp_ne_u32_e32 vcc, v54, v71
	s_and_saveexec_b64 s[4:5], vcc
	s_cbranch_execz .LBB339_16
; %bb.14:                               ;   in Loop: Header=BB339_13 Depth=2
	s_mov_b64 s[6:7], 0
.LBB339_15:                             ;   Parent Loop BB339_7 Depth=1
                                        ;     Parent Loop BB339_13 Depth=2
                                        ; =>    This Inner Loop Header: Depth=3
	;;#ASMSTART
	s_sleep 0
	;;#ASMEND
	ds_read_b32 v54, v99 offset:49152
	s_waitcnt lgkmcnt(0)
	v_cmp_eq_u32_e32 vcc, v54, v71
	s_or_b64 s[6:7], vcc, s[6:7]
	s_andn2_b64 exec, exec, s[6:7]
	s_cbranch_execnz .LBB339_15
.LBB339_16:                             ;   in Loop: Header=BB339_13 Depth=2
	s_or_b64 exec, exec, s[4:5]
	v_lshl_or_b32 v54, v98, 12, v73
	v_add_u32_e32 v55, 0x400, v54
	ds_read2_b32 v[68:69], v54 offset1:32
	ds_read2_b32 v[66:67], v54 offset0:128 offset1:160
	ds_read2_b32 v[64:65], v55 offset1:32
	ds_read2_b32 v[62:63], v55 offset0:128 offset1:160
	v_add_u32_e32 v55, 0x800, v54
	v_add_u32_e32 v54, 0xc00, v54
	ds_read2_b32 v[60:61], v55 offset1:32
	ds_read2_b32 v[58:59], v55 offset0:128 offset1:160
	ds_read2_b32 v[56:57], v54 offset1:32
	ds_read_b32 v101, v99 offset:49156
	ds_read2_b32 v[54:55], v54 offset0:128 offset1:160
	v_add_u32_e32 v100, 1, v71
	ds_write_b32 v99, v100 offset:49152
	s_waitcnt lgkmcnt(2)
	v_cmp_ne_u32_e32 vcc, v101, v71
	s_and_saveexec_b64 s[4:5], vcc
	s_cbranch_execz .LBB339_19
; %bb.17:                               ;   in Loop: Header=BB339_13 Depth=2
	s_mov_b64 s[6:7], 0
.LBB339_18:                             ;   Parent Loop BB339_7 Depth=1
                                        ;     Parent Loop BB339_13 Depth=2
                                        ; =>    This Inner Loop Header: Depth=3
	;;#ASMSTART
	s_sleep 0
	;;#ASMEND
	ds_read_b32 v101, v99 offset:49156
	s_waitcnt lgkmcnt(0)
	v_cmp_eq_u32_e32 vcc, v101, v71
	s_or_b64 s[6:7], vcc, s[6:7]
	s_andn2_b64 exec, exec, s[6:7]
	s_cbranch_execnz .LBB339_18
.LBB339_19:                             ;   in Loop: Header=BB339_13 Depth=2
	s_or_b64 exec, exec, s[4:5]
	v_lshlrev_b32_e32 v101, 13, v98
	v_add_u32_e32 v101, v74, v101
	ds_read2_b32 v[102:103], v101 offset1:32
	v_add_u32_e32 v104, 0x400, v101
	ds_write_b32 v99, v100 offset:49156
	s_waitcnt lgkmcnt(1)
	v_mfma_f32_32x32x16_fp8_fp8 v[16:31], v[68:69], v[102:103], v[16:31]
	ds_read2_b32 v[102:103], v101 offset0:128 offset1:160
	s_waitcnt lgkmcnt(0)
	v_mfma_f32_32x32x16_fp8_fp8 v[16:31], v[66:67], v[102:103], v[16:31]
	ds_read2_b32 v[102:103], v104 offset1:32
	s_waitcnt lgkmcnt(0)
	v_mfma_f32_32x32x16_fp8_fp8 v[16:31], v[64:65], v[102:103], v[16:31]
	ds_read2_b32 v[102:103], v104 offset0:128 offset1:160
	v_add_u32_e32 v104, 0x800, v101
	s_waitcnt lgkmcnt(0)
	v_mfma_f32_32x32x16_fp8_fp8 v[16:31], v[62:63], v[102:103], v[16:31]
	ds_read2_b32 v[102:103], v104 offset1:32
	s_waitcnt lgkmcnt(0)
	v_mfma_f32_32x32x16_fp8_fp8 v[16:31], v[60:61], v[102:103], v[16:31]
	ds_read2_b32 v[102:103], v104 offset0:128 offset1:160
	v_add_u32_e32 v104, 0xc00, v101
	s_waitcnt lgkmcnt(0)
	v_mfma_f32_32x32x16_fp8_fp8 v[16:31], v[58:59], v[102:103], v[16:31]
	ds_read2_b32 v[102:103], v104 offset1:32
	s_waitcnt lgkmcnt(0)
	v_mfma_f32_32x32x16_fp8_fp8 v[16:31], v[56:57], v[102:103], v[16:31]
	ds_read2_b32 v[102:103], v104 offset0:128 offset1:160
	ds_read_b32 v104, v99 offset:49164
	s_waitcnt lgkmcnt(0)
	v_cmp_ne_u32_e32 vcc, v104, v71
	v_mfma_f32_32x32x16_fp8_fp8 v[16:31], v[54:55], v[102:103], v[16:31]
	s_and_saveexec_b64 s[4:5], vcc
	s_cbranch_execz .LBB339_12
; %bb.20:                               ;   in Loop: Header=BB339_13 Depth=2
	s_mov_b64 s[6:7], 0
.LBB339_21:                             ;   Parent Loop BB339_7 Depth=1
                                        ;     Parent Loop BB339_13 Depth=2
                                        ; =>    This Inner Loop Header: Depth=3
	;;#ASMSTART
	s_sleep 0
	;;#ASMEND
	ds_read_b32 v102, v99 offset:49164
	s_waitcnt lgkmcnt(0)
	v_cmp_eq_u32_e32 vcc, v102, v71
	s_or_b64 s[6:7], vcc, s[6:7]
	s_andn2_b64 exec, exec, s[6:7]
	s_cbranch_execnz .LBB339_21
	s_branch .LBB339_12
.LBB339_22:                             ;   in Loop: Header=BB339_7 Depth=1
	s_or_b64 exec, exec, s[2:3]
.LBB339_23:                             ;   in Loop: Header=BB339_7 Depth=1
	v_writelane_b32 v105, s54, 30
	s_nop 1
	v_writelane_b32 v105, s55, 31
	v_writelane_b32 v105, s40, 32
	s_nop 1
	v_writelane_b32 v105, s41, 33
	v_writelane_b32 v105, s53, 34
	;; [unrolled: 1-line block ×4, first 2 shown]
	s_or_b64 exec, exec, s[0:1]
	v_cmp_le_i32_e32 vcc, s90, v72
	v_cmp_eq_u32_e64 s[86:87], 1, v75
	v_cmp_eq_u32_e64 s[50:51], 2, v75
	s_waitcnt vmcnt(0)
	v_cndmask_b32_e32 v54, 0, v97, vcc
	v_pk_mul_f32 v[16:17], v[54:55], v[16:17] op_sel_hi:[0,1]
	v_pk_mul_f32 v[30:31], v[54:55], v[30:31] op_sel_hi:[0,1]
	;; [unrolled: 1-line block ×8, first 2 shown]
	v_cndmask_b32_e64 v54, v16, v17, s[86:87]
	v_cndmask_b32_e64 v54, v54, v18, s[50:51]
	v_cmp_eq_u32_e64 s[54:55], 3, v75
	v_cmp_eq_u32_e64 s[56:57], 4, v75
	v_cmp_eq_u32_e64 s[60:61], 5, v75
	v_cndmask_b32_e64 v54, v54, v19, s[54:55]
	v_cndmask_b32_e64 v54, v54, v20, s[56:57]
	v_cndmask_b32_e64 v54, v54, v21, s[60:61]
	v_cmp_eq_u32_e64 s[64:65], 6, v75
	v_cmp_eq_u32_e64 s[68:69], 7, v75
	v_cmp_eq_u32_e64 s[72:73], 8, v75
	v_cndmask_b32_e64 v54, v54, v22, s[64:65]
	;; [unrolled: 6-line block ×5, first 2 shown]
	ds_bpermute_b32 v54, v95, v54
	v_cmp_eq_u32_e64 s[26:27], 2, v76
	v_cmp_eq_u32_e64 s[28:29], 3, v76
	;; [unrolled: 1-line block ×4, first 2 shown]
	s_waitcnt lgkmcnt(0)
	v_cndmask_b32_e64 v62, v17, v54, s[86:87]
	v_cndmask_b32_e64 v16, v16, v54, s[70:71]
	v_cndmask_b32_e64 v61, v18, v54, s[50:51]
	v_cndmask_b32_e64 v17, v16, v62, s[24:25]
	v_cndmask_b32_e64 v60, v19, v54, s[54:55]
	v_cndmask_b32_e64 v17, v17, v61, s[26:27]
	v_cndmask_b32_e64 v59, v20, v54, s[56:57]
	v_cndmask_b32_e64 v17, v17, v60, s[28:29]
	v_cndmask_b32_e64 v58, v21, v54, s[60:61]
	v_cndmask_b32_e64 v17, v17, v59, s[30:31]
	v_cndmask_b32_e64 v57, v22, v54, s[64:65]
	v_cndmask_b32_e64 v17, v17, v58, s[34:35]
	v_cmp_eq_u32_e64 s[36:37], 6, v76
	v_cndmask_b32_e64 v55, v23, v54, s[68:69]
	v_cmp_eq_u32_e64 s[38:39], 7, v76
	v_cndmask_b32_e64 v17, v17, v57, s[36:37]
	v_cndmask_b32_e64 v24, v24, v54, s[72:73]
	v_cndmask_b32_e64 v17, v17, v55, s[38:39]
	v_cmp_eq_u32_e64 s[42:43], 8, v76
	v_cndmask_b32_e64 v25, v25, v54, s[76:77]
	v_cmp_eq_u32_e64 s[44:45], 9, v76
	v_cndmask_b32_e64 v17, v17, v24, s[42:43]
	v_cndmask_b32_e64 v26, v26, v54, s[78:79]
	v_cndmask_b32_e64 v17, v17, v25, s[44:45]
	;; [unrolled: 6-line block ×4, first 2 shown]
	v_cmp_eq_u32_e64 s[62:63], 14, v76
	v_cndmask_b32_e64 v31, v31, v54, s[88:89]
	v_cmp_eq_u32_e64 s[66:67], 15, v76
	v_cndmask_b32_e64 v17, v17, v30, s[62:63]
	v_cmp_le_i32_e64 s[90:91], s90, v83
	v_cndmask_b32_e64 v17, v17, v31, s[66:67]
	ds_bpermute_b32 v54, v95, v17
	v_cmp_eq_u32_e64 s[40:41], 0, v76
	v_cmp_eq_u32_e64 s[4:5], 1, v77
	;; [unrolled: 1-line block ×4, first 2 shown]
	s_waitcnt lgkmcnt(0)
	v_cndmask_b32_e64 v21, v27, v54, s[48:49]
	v_cndmask_b32_e64 v27, v58, v54, s[34:35]
	;; [unrolled: 1-line block ×3, first 2 shown]
	v_pk_mul_f32 v[0:1], v[58:59], v[0:1] op_sel_hi:[0,1]
	v_cndmask_b32_e64 v23, v25, v54, s[44:45]
	v_cndmask_b32_e64 v25, v55, v54, s[38:39]
	v_pk_mul_f32 v[2:3], v[58:59], v[2:3] op_sel_hi:[0,1]
	v_cndmask_b32_e64 v55, v0, v1, s[86:87]
	v_cndmask_b32_e64 v55, v55, v2, s[50:51]
	;; [unrolled: 3-line block ×6, first 2 shown]
	v_cndmask_b32_e64 v17, v31, v54, s[66:67]
	v_cndmask_b32_e64 v31, v62, v54, s[24:25]
	;; [unrolled: 1-line block ×3, first 2 shown]
	v_pk_mul_f32 v[12:13], v[58:59], v[12:13] op_sel_hi:[0,1]
	v_cndmask_b32_e64 v55, v55, v11, s[74:75]
	v_cndmask_b32_e64 v18, v30, v54, s[62:63]
	;; [unrolled: 1-line block ×13, first 2 shown]
	v_pk_mul_f32 v[14:15], v[58:59], v[14:15] op_sel_hi:[0,1]
	v_cndmask_b32_e64 v55, v55, v13, s[82:83]
	v_cndmask_b32_e64 v54, v54, v29, s[8:9]
	v_cmp_eq_u32_e64 s[10:11], 4, v77
	v_cndmask_b32_e64 v55, v55, v14, s[84:85]
	v_cmp_eq_u32_e64 s[12:13], 5, v77
	v_cndmask_b32_e64 v54, v54, v28, s[10:11]
	v_cndmask_b32_e64 v55, v55, v15, s[88:89]
	;; [unrolled: 1-line block ×3, first 2 shown]
	v_cmp_eq_u32_e64 s[14:15], 6, v77
	ds_bpermute_b32 v55, v95, v55
	v_cmp_eq_u32_e64 s[96:97], 7, v77
	v_cndmask_b32_e64 v54, v54, v26, s[14:15]
	v_cmp_eq_u32_e64 s[98:99], 8, v77
	v_cndmask_b32_e64 v54, v54, v25, s[96:97]
	v_cmp_eq_u32_e32 vcc, 9, v77
	v_cndmask_b32_e64 v54, v54, v24, s[98:99]
	v_cmp_eq_u32_e64 s[0:1], 10, v77
	v_cndmask_b32_e32 v54, v54, v23, vcc
	v_cmp_eq_u32_e64 s[86:87], 11, v77
	v_cndmask_b32_e64 v54, v54, v22, s[0:1]
	s_waitcnt lgkmcnt(0)
	v_cndmask_b32_e64 v2, v2, v55, s[50:51]
	v_cmp_ne_u32_e64 s[50:51], 0, v75
	v_cndmask_b32_e64 v54, v54, v21, s[86:87]
	v_cmp_eq_u32_e64 s[90:91], 12, v77
	v_cndmask_b32_e64 v1, v1, v55, s[50:51]
	v_cndmask_b32_e64 v0, v0, v55, s[70:71]
	v_cndmask_b32_e64 v54, v54, v20, s[90:91]
	v_cndmask_b32_e64 v15, v15, v55, s[88:89]
	v_cmp_eq_u32_e64 s[88:89], 13, v77
	v_cndmask_b32_e64 v14, v14, v55, s[84:85]
	v_cndmask_b32_e64 v13, v13, v55, s[82:83]
	v_cndmask_b32_e64 v12, v12, v55, s[80:81]
	v_cndmask_b32_e64 v11, v11, v55, s[74:75]
	v_cndmask_b32_e64 v10, v10, v55, s[78:79]
	v_cndmask_b32_e64 v9, v9, v55, s[76:77]
	v_cndmask_b32_e64 v8, v8, v55, s[72:73]
	v_cndmask_b32_e64 v7, v7, v55, s[68:69]
	v_cndmask_b32_e64 v6, v6, v55, s[64:65]
	v_cndmask_b32_e64 v5, v5, v55, s[60:61]
	v_cndmask_b32_e64 v4, v4, v55, s[56:57]
	v_cndmask_b32_e64 v3, v3, v55, s[54:55]
	v_cndmask_b32_e64 v55, v0, v1, s[24:25]
	v_cndmask_b32_e64 v54, v54, v19, s[88:89]
	v_cmp_eq_u32_e64 s[84:85], 14, v77
	v_cndmask_b32_e64 v55, v55, v2, s[26:27]
	v_cmp_eq_u32_e64 s[82:83], 15, v77
	v_cndmask_b32_e64 v54, v54, v18, s[84:85]
	v_cndmask_b32_e64 v55, v55, v3, s[28:29]
	;; [unrolled: 1-line block ×4, first 2 shown]
	ds_bpermute_b32 v54, v95, v54
	v_cndmask_b32_e64 v55, v55, v5, s[34:35]
	v_cndmask_b32_e64 v55, v55, v6, s[36:37]
	;; [unrolled: 1-line block ×4, first 2 shown]
	v_cmp_eq_u32_e64 s[80:81], 0, v77
	v_cndmask_b32_e64 v55, v55, v9, s[44:45]
	s_waitcnt lgkmcnt(0)
	v_cndmask_b32_e64 v31, v31, v54, s[4:5]
	v_cndmask_b32_e64 v16, v16, v54, s[80:81]
	v_cmp_eq_u32_e64 s[74:75], 1, v78
	v_cndmask_b32_e64 v55, v55, v10, s[46:47]
	v_cndmask_b32_e64 v17, v17, v54, s[82:83]
	;; [unrolled: 1-line block ×7, first 2 shown]
	v_cndmask_b32_e32 v23, v23, v54, vcc
	v_cndmask_b32_e64 v24, v24, v54, s[98:99]
	v_cndmask_b32_e64 v25, v25, v54, s[96:97]
	;; [unrolled: 1-line block ×8, first 2 shown]
	v_cmp_eq_u32_e64 s[78:79], 2, v78
	v_cndmask_b32_e64 v55, v55, v11, s[48:49]
	v_cmp_eq_u32_e64 s[76:77], 3, v78
	v_cndmask_b32_e64 v54, v54, v30, s[78:79]
	v_cndmask_b32_e64 v55, v55, v12, s[52:53]
	;; [unrolled: 1-line block ×3, first 2 shown]
	v_cmp_eq_u32_e64 s[72:73], 4, v78
	v_cndmask_b32_e64 v55, v55, v13, s[58:59]
	v_cmp_eq_u32_e64 s[68:69], 5, v78
	v_cndmask_b32_e64 v54, v54, v28, s[72:73]
	v_cndmask_b32_e64 v55, v55, v14, s[62:63]
	;; [unrolled: 1-line block ×3, first 2 shown]
	v_cmp_eq_u32_e64 s[64:65], 6, v78
	v_cndmask_b32_e64 v55, v55, v15, s[66:67]
	v_cmp_eq_u32_e64 s[60:61], 7, v78
	v_cndmask_b32_e64 v54, v54, v26, s[64:65]
	ds_bpermute_b32 v55, v95, v55
	v_cndmask_b32_e64 v54, v54, v25, s[60:61]
	v_cmp_eq_u32_e64 s[56:57], 8, v78
	v_cmp_eq_u32_e64 s[54:55], 9, v78
	;; [unrolled: 1-line block ×3, first 2 shown]
	v_cndmask_b32_e64 v54, v54, v24, s[56:57]
	v_cndmask_b32_e64 v54, v54, v23, s[54:55]
	;; [unrolled: 1-line block ×3, first 2 shown]
	v_cmp_eq_u32_e64 s[70:71], 11, v78
	s_waitcnt lgkmcnt(0)
	v_cndmask_b32_e64 v15, v15, v55, s[66:67]
	v_cmp_eq_u32_e64 s[66:67], 12, v78
	v_cndmask_b32_e64 v54, v54, v21, s[70:71]
	v_cndmask_b32_e64 v14, v14, v55, s[62:63]
	;; [unrolled: 1-line block ×3, first 2 shown]
	v_cmp_eq_u32_e64 s[62:63], 13, v78
	v_cndmask_b32_e64 v1, v1, v55, s[24:25]
	v_cndmask_b32_e64 v0, v0, v55, s[40:41]
	;; [unrolled: 1-line block ×4, first 2 shown]
	v_cmp_eq_u32_e64 s[92:93], 14, v78
	v_cndmask_b32_e64 v12, v12, v55, s[52:53]
	v_cndmask_b32_e64 v11, v11, v55, s[48:49]
	;; [unrolled: 1-line block ×13, first 2 shown]
	v_cmp_eq_u32_e64 s[94:95], 15, v78
	v_cndmask_b32_e64 v55, v55, v2, s[6:7]
	v_cndmask_b32_e64 v55, v55, v3, s[8:9]
	;; [unrolled: 1-line block ×3, first 2 shown]
	ds_bpermute_b32 v54, v95, v54
	v_cndmask_b32_e64 v55, v55, v4, s[10:11]
	v_cndmask_b32_e64 v55, v55, v5, s[12:13]
	;; [unrolled: 1-line block ×4, first 2 shown]
	v_cmp_eq_u32_e64 s[48:49], 0, v78
	v_cndmask_b32_e64 v55, v55, v8, s[98:99]
	s_waitcnt lgkmcnt(0)
	v_cndmask_b32_e64 v31, v31, v54, s[74:75]
	v_cndmask_b32_e64 v16, v16, v54, s[48:49]
	v_cmp_eq_u32_e64 s[46:47], 1, v79
	v_cndmask_b32_e32 v55, v55, v9, vcc
	v_cndmask_b32_e64 v17, v17, v54, s[94:95]
	v_cndmask_b32_e64 v18, v18, v54, s[92:93]
	;; [unrolled: 1-line block ×15, first 2 shown]
	v_cmp_eq_u32_e64 s[44:45], 2, v79
	v_cndmask_b32_e64 v55, v55, v10, s[0:1]
	v_cmp_eq_u32_e64 s[42:43], 3, v79
	v_cndmask_b32_e64 v54, v54, v30, s[44:45]
	v_cndmask_b32_e64 v55, v55, v11, s[86:87]
	v_cndmask_b32_e64 v54, v54, v29, s[42:43]
	v_cmp_eq_u32_e64 s[38:39], 4, v79
	v_cndmask_b32_e64 v55, v55, v12, s[90:91]
	v_cmp_eq_u32_e64 s[36:37], 5, v79
	v_cndmask_b32_e64 v54, v54, v28, s[38:39]
	v_cndmask_b32_e64 v55, v55, v13, s[88:89]
	v_cndmask_b32_e64 v54, v54, v27, s[36:37]
	;; [unrolled: 6-line block ×3, first 2 shown]
	v_cmp_eq_u32_e64 s[28:29], 8, v79
	ds_bpermute_b32 v55, v95, v55
	v_cmp_eq_u32_e64 s[26:27], 9, v79
	v_cndmask_b32_e64 v54, v54, v24, s[28:29]
	v_cmp_eq_u32_e64 s[24:25], 10, v79
	v_cndmask_b32_e64 v54, v54, v23, s[26:27]
	;; [unrolled: 2-line block ×4, first 2 shown]
	s_waitcnt lgkmcnt(0)
	v_cndmask_b32_e64 v15, v15, v55, s[82:83]
	v_cndmask_b32_e64 v54, v54, v20, s[58:59]
	v_cmp_eq_u32_e64 s[82:83], 13, v79
	v_cndmask_b32_e64 v14, v14, v55, s[84:85]
	v_cmp_eq_u32_e64 s[84:85], 14, v79
	v_cndmask_b32_e64 v54, v54, v19, s[82:83]
	v_cndmask_b32_e64 v1, v1, v55, s[4:5]
	;; [unrolled: 1-line block ×6, first 2 shown]
	v_cmp_eq_u32_e64 s[90:91], 15, v79
	v_cndmask_b32_e64 v11, v11, v55, s[86:87]
	v_cndmask_b32_e64 v10, v10, v55, s[0:1]
	v_cndmask_b32_e32 v9, v9, v55, vcc
	v_cndmask_b32_e64 v8, v8, v55, s[98:99]
	v_cndmask_b32_e64 v7, v7, v55, s[96:97]
	;; [unrolled: 1-line block ×10, first 2 shown]
	ds_bpermute_b32 v54, v95, v54
	v_cndmask_b32_e64 v55, v55, v3, s[76:77]
	v_cndmask_b32_e64 v55, v55, v4, s[72:73]
	;; [unrolled: 1-line block ×4, first 2 shown]
	v_cmp_eq_u32_e64 s[52:53], 0, v79
	v_cndmask_b32_e64 v55, v55, v7, s[60:61]
	s_waitcnt lgkmcnt(0)
	v_cndmask_b32_e64 v31, v31, v54, s[46:47]
	v_cndmask_b32_e64 v16, v16, v54, s[52:53]
	v_cmp_eq_u32_e64 s[0:1], 1, v80
	v_cndmask_b32_e64 v55, v55, v8, s[56:57]
	v_cndmask_b32_e64 v17, v17, v54, s[90:91]
	;; [unrolled: 1-line block ×16, first 2 shown]
	v_cmp_eq_u32_e64 s[2:3], 2, v80
	v_cndmask_b32_e64 v55, v55, v9, s[54:55]
	v_cmp_eq_u32_e64 s[98:99], 3, v80
	v_cndmask_b32_e64 v54, v54, v30, s[2:3]
	v_cndmask_b32_e64 v55, v55, v10, s[50:51]
	v_cndmask_b32_e64 v54, v54, v29, s[98:99]
	v_cmp_eq_u32_e64 s[96:97], 4, v80
	v_cndmask_b32_e64 v55, v55, v11, s[70:71]
	v_cmp_eq_u32_e64 s[14:15], 5, v80
	v_cndmask_b32_e64 v54, v54, v28, s[96:97]
	v_cndmask_b32_e64 v55, v55, v12, s[66:67]
	v_cndmask_b32_e64 v54, v54, v27, s[14:15]
	;; [unrolled: 6-line block ×3, first 2 shown]
	v_cmp_eq_u32_e64 s[8:9], 8, v80
	v_cndmask_b32_e64 v55, v55, v15, s[94:95]
	v_cmp_eq_u32_e64 s[6:7], 9, v80
	v_cndmask_b32_e64 v54, v54, v24, s[8:9]
	ds_bpermute_b32 v55, v95, v55
	v_cndmask_b32_e64 v54, v54, v23, s[6:7]
	v_cmp_eq_u32_e32 vcc, 10, v80
	v_cmp_eq_u32_e64 s[80:81], 11, v80
	v_cmp_eq_u32_e64 s[86:87], 12, v80
	v_cndmask_b32_e32 v54, v54, v22, vcc
	v_cndmask_b32_e64 v54, v54, v21, s[80:81]
	v_cndmask_b32_e64 v54, v54, v20, s[86:87]
	v_cmp_eq_u32_e64 s[88:89], 13, v80
	s_waitcnt lgkmcnt(0)
	v_cndmask_b32_e64 v13, v13, v55, s[62:63]
	v_cmp_eq_u32_e64 s[62:63], 14, v80
	v_cndmask_b32_e64 v54, v54, v19, s[88:89]
	v_cndmask_b32_e64 v12, v12, v55, s[66:67]
	v_cndmask_b32_e64 v54, v54, v18, s[62:63]
	v_cmp_eq_u32_e64 s[66:67], 15, v80
	v_cndmask_b32_e64 v57, v11, v55, s[70:71]
	v_cmp_eq_u32_e64 s[70:71], 0, v80
	v_cndmask_b32_e64 v54, v54, v17, s[66:67]
	ds_bpermute_b32 v54, v95, v54
	v_cndmask_b32_e64 v15, v15, v55, s[94:95]
	v_cndmask_b32_e64 v14, v14, v55, s[92:93]
	;; [unrolled: 1-line block ×4, first 2 shown]
	s_waitcnt lgkmcnt(0)
	v_cndmask_b32_e64 v17, v17, v54, s[66:67]
	v_cndmask_b32_e64 v18, v18, v54, s[62:63]
	;; [unrolled: 1-line block ×5, first 2 shown]
	v_cndmask_b32_e32 v22, v22, v54, vcc
	v_cndmask_b32_e64 v23, v23, v54, s[6:7]
	v_cndmask_b32_e64 v24, v24, v54, s[8:9]
	;; [unrolled: 1-line block ×28, first 2 shown]
	v_cmp_eq_u32_e64 s[50:51], 1, v81
	v_cndmask_b32_e64 v0, v0, v54, s[24:25]
	v_cmp_eq_u32_e64 s[54:55], 2, v81
	v_cndmask_b32_e64 v10, v16, v31, s[50:51]
	v_cndmask_b32_e64 v0, v0, v57, s[40:41]
	v_cndmask_b32_e64 v9, v10, v30, s[54:55]
	v_cmp_eq_u32_e64 s[56:57], 3, v81
	v_cndmask_b32_e64 v0, v0, v12, s[58:59]
	v_cmp_eq_u32_e64 s[60:61], 4, v81
	v_cndmask_b32_e64 v8, v9, v29, s[56:57]
	v_cndmask_b32_e64 v0, v0, v13, s[82:83]
	v_cndmask_b32_e64 v7, v8, v28, s[60:61]
	;; [unrolled: 6-line block ×3, first 2 shown]
	v_cmp_eq_u32_e64 s[72:73], 7, v81
	ds_bpermute_b32 v67, v95, v0
	v_cmp_eq_u32_e64 s[76:77], 8, v81
	v_cndmask_b32_e64 v4, v5, v25, s[72:73]
	v_cmp_eq_u32_e64 s[78:79], 9, v81
	v_cndmask_b32_e64 v3, v4, v24, s[76:77]
	;; [unrolled: 2-line block ×4, first 2 shown]
	s_waitcnt lgkmcnt(0)
	v_cndmask_b32_e64 v68, v15, v67, s[90:91]
	v_cndmask_b32_e64 v0, v0, v21, s[74:75]
	v_cmp_eq_u32_e64 s[90:91], 12, v81
	v_cndmask_b32_e64 v69, v14, v67, s[84:85]
	v_cmp_eq_u32_e64 s[84:85], 13, v81
	v_cndmask_b32_e64 v0, v0, v20, s[90:91]
	v_cndmask_b32_e64 v97, v13, v67, s[82:83]
	;; [unrolled: 1-line block ×3, first 2 shown]
	v_cmp_eq_u32_e64 s[82:83], 14, v81
	v_cndmask_b32_e64 v98, v12, v67, s[58:59]
	v_cmp_eq_u32_e64 s[58:59], 15, v81
	v_cndmask_b32_e64 v0, v0, v18, s[82:83]
	s_nop 0
	v_cndmask_b32_e64 v0, v0, v17, s[58:59]
	ds_bpermute_b32 v1, v95, v0
	s_waitcnt lgkmcnt(0)
	v_cndmask_b32_e64 v12, v27, v1, s[64:65]
	v_cndmask_b32_e64 v13, v28, v1, s[60:61]
	;; [unrolled: 1-line block ×29, first 2 shown]
	v_cmp_eq_u32_e64 s[40:41], 0, v81
	v_cndmask_b32_e64 v19, v58, v67, s[26:27]
	v_cndmask_b32_e64 v29, v29, v20, s[8:9]
	;; [unrolled: 1-line block ×8, first 2 shown]
	v_cndmask_b32_e32 v29, v29, v16, vcc
	v_cndmask_b32_e64 v29, v29, v17, s[80:81]
	v_cndmask_b32_e64 v29, v29, v98, s[86:87]
	v_cndmask_b32_e64 v29, v29, v97, s[88:89]
	v_cndmask_b32_e64 v29, v29, v69, s[62:63]
	v_cndmask_b32_e64 v29, v29, v68, s[66:67]
	ds_bpermute_b32 v29, v95, v29
	v_cmp_eq_u32_e64 s[24:25], 1, v82
	v_cmp_eq_u32_e64 s[26:27], 2, v82
	;; [unrolled: 1-line block ×3, first 2 shown]
	v_cndmask_b32_e64 v18, v1, v0, s[24:25]
	s_waitcnt lgkmcnt(0)
	v_cndmask_b32_e64 v65, v27, v29, s[0:1]
	v_cndmask_b32_e64 v66, v28, v29, s[70:71]
	;; [unrolled: 1-line block ×18, first 2 shown]
	v_cndmask_b32_e32 v16, v16, v29, vcc
	v_cndmask_b32_e64 v19, v19, v57, s[78:79]
	v_cndmask_b32_e64 v17, v17, v29, s[80:81]
	;; [unrolled: 1-line block ×12, first 2 shown]
	ds_bpermute_b32 v67, v95, v19
	v_cndmask_b32_e64 v18, v18, v15, s[26:27]
	v_cndmask_b32_e64 v18, v18, v14, s[28:29]
	v_cmp_eq_u32_e64 s[30:31], 4, v82
	v_cmp_eq_u32_e64 s[34:35], 5, v82
	s_waitcnt lgkmcnt(0)
	v_cndmask_b32_e64 v23, v17, v67, s[74:75]
	v_cndmask_b32_e64 v24, v16, v67, s[48:49]
	;; [unrolled: 1-line block ×18, first 2 shown]
	v_cmp_eq_u32_e64 s[36:37], 6, v82
	v_cndmask_b32_e64 v28, v60, v67, s[68:69]
	v_cndmask_b32_e64 v55, v55, v29, s[34:35]
	v_cndmask_b32_e64 v18, v18, v11, s[36:37]
	v_cmp_eq_u32_e64 s[38:39], 7, v82
	v_cndmask_b32_e64 v27, v59, v67, s[72:73]
	v_cndmask_b32_e64 v55, v55, v28, s[36:37]
	v_cndmask_b32_e64 v18, v18, v10, s[38:39]
	;; [unrolled: 4-line block ×4, first 2 shown]
	v_cmp_eq_u32_e64 s[46:47], 10, v82
	v_cndmask_b32_e64 v55, v55, v25, s[44:45]
	v_cmp_eq_u32_e64 s[52:53], 11, v82
	v_cndmask_b32_e64 v18, v18, v7, s[46:47]
	v_cndmask_b32_e64 v55, v55, v24, s[46:47]
	;; [unrolled: 1-line block ×3, first 2 shown]
	v_cmp_eq_u32_e64 s[66:67], 12, v82
	v_cndmask_b32_e64 v55, v55, v23, s[52:53]
	v_cmp_eq_u32_e64 s[62:63], 13, v82
	v_cndmask_b32_e64 v18, v18, v5, s[66:67]
	v_cndmask_b32_e64 v55, v55, v22, s[66:67]
	;; [unrolled: 1-line block ×3, first 2 shown]
	v_cmp_eq_u32_e32 vcc, 14, v82
	v_cndmask_b32_e64 v55, v55, v21, s[62:63]
	v_cmp_eq_u32_e64 s[6:7], 15, v82
	v_cndmask_b32_e32 v18, v18, v3, vcc
	v_cndmask_b32_e32 v55, v55, v20, vcc
	v_cndmask_b32_e64 v18, v18, v2, s[6:7]
	v_cndmask_b32_e64 v55, v55, v19, s[6:7]
	ds_bpermute_b32 v18, v95, v18
	ds_bpermute_b32 v58, v95, v55
	v_readlane_b32 s53, v105, 34
	s_nop 1
	v_cmp_lt_i32_e32 vcc, s53, v84
	s_and_saveexec_b64 s[40:41], vcc
	v_readlane_b32 s44, v105, 2
	v_readlane_b32 s45, v105, 3
	;; [unrolled: 1-line block ×11, first 2 shown]
	s_cbranch_execz .LBB339_32
; %bb.24:                               ;   in Loop: Header=BB339_7 Depth=1
	s_mul_i32 s0, s52, s17
	s_ashr_i32 s1, s0, 31
	s_lshl_b64 s[0:1], s[0:1], 1
	s_add_u32 s2, s48, s0
	v_cmp_eq_u32_e64 s[34:35], 1, v82
	v_cmp_eq_u32_e64 s[36:37], 0, v82
	s_addc_u32 s3, s49, s1
	s_ashr_i32 s55, s54, 31
	s_waitcnt lgkmcnt(1)
	v_cndmask_b32_e64 v55, v0, v18, s[34:35]
	v_cndmask_b32_e64 v57, v1, v18, s[36:37]
	s_lshl_b64 s[0:1], s[54:55], 1
	s_waitcnt lgkmcnt(0)
	v_cndmask_b32_e64 v59, v16, v58, s[34:35]
	v_cndmask_b32_e64 v60, v17, v58, s[36:37]
	v_cvt_f16_f32_e32 v57, v57
	v_cvt_f16_f32_sdwa v55, v55 dst_sel:WORD_1 dst_unused:UNUSED_PAD src0_sel:DWORD
	s_add_u32 s42, s2, s0
	v_cvt_f16_f32_e32 v60, v60
	v_cvt_f16_f32_sdwa v59, v59 dst_sel:WORD_1 dst_unused:UNUSED_PAD src0_sel:DWORD
	s_addc_u32 s43, s3, s1
	v_lshl_add_u64 v[0:1], s[42:43], 0, v[32:33]
	v_cmp_eq_u32_e32 vcc, 15, v82
	v_cmp_eq_u32_e64 s[6:7], 14, v82
	v_cmp_eq_u32_e64 s[8:9], 13, v82
	;; [unrolled: 1-line block ×13, first 2 shown]
	v_lshl_add_u64 v[16:17], v[34:35], 1, v[0:1]
	v_or_b32_e32 v55, v55, v57
	v_cmp_lt_i32_e64 s[34:35], s53, v85
	;;#ASMSTART
	global_atomic_pk_add_f16 v[16:17], v55, off
	
	;;#ASMEND
	v_lshl_add_u64 v[16:17], v[16:17], 0, 64
	v_or_b32_e32 v55, v59, v60
	;;#ASMSTART
	global_atomic_pk_add_f16 v[16:17], v55, off
	
	;;#ASMEND
	s_and_b64 exec, exec, s[34:35]
	s_cbranch_execz .LBB339_32
; %bb.25:                               ;   in Loop: Header=BB339_7 Depth=1
	v_cndmask_b32_e32 v2, v2, v18, vcc
	v_cndmask_b32_e64 v3, v3, v18, s[6:7]
	v_cndmask_b32_e64 v16, v4, v18, s[8:9]
	v_cndmask_b32_e64 v17, v5, v18, s[10:11]
	v_cndmask_b32_e64 v55, v6, v18, s[12:13]
	v_cndmask_b32_e64 v57, v7, v18, s[14:15]
	v_cndmask_b32_e64 v59, v8, v18, s[0:1]
	v_cndmask_b32_e64 v60, v9, v18, s[2:3]
	v_cndmask_b32_e64 v61, v10, v18, s[4:5]
	v_cndmask_b32_e64 v62, v11, v18, s[38:39]
	v_cndmask_b32_e64 v63, v12, v18, s[24:25]
	v_cndmask_b32_e64 v64, v13, v18, s[26:27]
	v_cndmask_b32_e64 v65, v14, v18, s[28:29]
	v_cndmask_b32_e64 v18, v15, v18, s[30:31]
	v_cndmask_b32_e64 v5, v20, v58, s[6:7]
	v_cndmask_b32_e64 v6, v21, v58, s[8:9]
	v_cndmask_b32_e64 v20, v31, v58, s[28:29]
	v_cndmask_b32_e64 v21, v54, v58, s[30:31]
	v_cndmask_b32_e64 v7, v22, v58, s[10:11]
	v_cndmask_b32_e64 v8, v23, v58, s[12:13]
	v_cvt_f16_f32_e32 v22, v18
	v_cvt_f16_f32_sdwa v23, v65 dst_sel:WORD_1 dst_unused:UNUSED_PAD src0_sel:DWORD
	v_cvt_f16_f32_e32 v21, v21
	v_cvt_f16_f32_sdwa v20, v20 dst_sel:WORD_1 dst_unused:UNUSED_PAD src0_sel:DWORD
	v_cndmask_b32_e32 v4, v19, v58, vcc
	v_cndmask_b32_e64 v9, v24, v58, s[14:15]
	v_cndmask_b32_e64 v10, v25, v58, s[0:1]
	;; [unrolled: 1-line block ×7, first 2 shown]
	v_lshl_add_u64 v[18:19], v[36:37], 1, v[0:1]
	v_cmp_lt_i32_e32 vcc, s53, v86
	v_or_b32_e32 v22, v23, v22
	;;#ASMSTART
	global_atomic_pk_add_f16 v[18:19], v22, off
	
	;;#ASMEND
	v_lshl_add_u64 v[18:19], v[18:19], 0, 64
	v_or_b32_e32 v20, v20, v21
	;;#ASMSTART
	global_atomic_pk_add_f16 v[18:19], v20, off
	
	;;#ASMEND
	s_and_b64 exec, exec, vcc
	s_cbranch_execz .LBB339_32
; %bb.26:                               ;   in Loop: Header=BB339_7 Depth=1
	v_cvt_f16_f32_e32 v20, v64
	v_cvt_f16_f32_sdwa v21, v63 dst_sel:WORD_1 dst_unused:UNUSED_PAD src0_sel:DWORD
	v_cvt_f16_f32_e32 v22, v15
	v_cvt_f16_f32_sdwa v23, v14 dst_sel:WORD_1 dst_unused:UNUSED_PAD src0_sel:DWORD
	v_lshl_add_u64 v[18:19], v[38:39], 1, v[0:1]
	v_or_b32_e32 v14, v21, v20
	v_cmp_lt_i32_e32 vcc, s53, v87
	;;#ASMSTART
	global_atomic_pk_add_f16 v[18:19], v14, off
	
	;;#ASMEND
	v_lshl_add_u64 v[14:15], v[18:19], 0, 64
	v_or_b32_e32 v18, v23, v22
	;;#ASMSTART
	global_atomic_pk_add_f16 v[14:15], v18, off
	
	;;#ASMEND
	s_and_b64 exec, exec, vcc
	s_cbranch_execz .LBB339_32
; %bb.27:                               ;   in Loop: Header=BB339_7 Depth=1
	v_cvt_f16_f32_e32 v18, v62
	v_cvt_f16_f32_sdwa v19, v61 dst_sel:WORD_1 dst_unused:UNUSED_PAD src0_sel:DWORD
	v_cvt_f16_f32_e32 v20, v13
	v_cvt_f16_f32_sdwa v21, v12 dst_sel:WORD_1 dst_unused:UNUSED_PAD src0_sel:DWORD
	v_lshl_add_u64 v[14:15], v[40:41], 1, v[0:1]
	v_or_b32_e32 v12, v19, v18
	v_cmp_lt_i32_e32 vcc, s53, v88
	;; [unrolled: 20-line block ×5, first 2 shown]
	;;#ASMSTART
	global_atomic_pk_add_f16 v[8:9], v6, off
	
	;;#ASMEND
	v_lshl_add_u64 v[6:7], v[8:9], 0, 64
	v_or_b32_e32 v8, v13, v12
	;;#ASMSTART
	global_atomic_pk_add_f16 v[6:7], v8, off
	
	;;#ASMEND
	s_and_b64 exec, exec, vcc
	s_cbranch_execz .LBB339_32
; %bb.31:                               ;   in Loop: Header=BB339_7 Depth=1
	v_cvt_f16_f32_e32 v3, v3
	v_cvt_f16_f32_sdwa v2, v2 dst_sel:WORD_1 dst_unused:UNUSED_PAD src0_sel:DWORD
	v_cvt_f16_f32_e32 v5, v5
	v_cvt_f16_f32_sdwa v4, v4 dst_sel:WORD_1 dst_unused:UNUSED_PAD src0_sel:DWORD
	v_lshl_add_u64 v[0:1], v[48:49], 1, v[0:1]
	v_or_b32_e32 v2, v2, v3
	;;#ASMSTART
	global_atomic_pk_add_f16 v[0:1], v2, off
	
	;;#ASMEND
	v_lshl_add_u64 v[0:1], v[0:1], 0, 64
	v_or_b32_e32 v2, v4, v5
	;;#ASMSTART
	global_atomic_pk_add_f16 v[0:1], v2, off
	
	;;#ASMEND
.LBB339_32:                             ;   in Loop: Header=BB339_7 Depth=1
	s_or_b64 exec, exec, s[40:41]
	v_readlane_b32 s14, v105, 10
	v_readlane_b32 s24, v105, 12
	;; [unrolled: 1-line block ×6, first 2 shown]
	v_subrev_u32_e32 v96, s20, v96
	v_readlane_b32 s11, v105, 0
	v_readlane_b32 s12, v105, 1
	v_readlane_b32 s15, v105, 11
	v_readlane_b32 s25, v105, 13
	v_readlane_b32 s13, v105, 14
	v_readlane_b32 s26, v105, 15
	v_readlane_b32 s27, v105, 16
	v_readlane_b32 s29, v105, 18
	v_readlane_b32 s30, v105, 19
	v_readlane_b32 s31, v105, 20
	v_readlane_b32 s34, v105, 21
	v_readlane_b32 s35, v105, 22
	v_readlane_b32 s36, v105, 23
	v_readlane_b32 s37, v105, 24
	v_readlane_b32 s38, v105, 25
	v_readlane_b32 s39, v105, 35
	v_readlane_b32 s41, v105, 33
	v_readlane_b32 s5, v105, 29
	v_readlane_b32 s3, v105, 27
.LBB339_33:                             ;   in Loop: Header=BB339_7 Depth=1
	s_or_b64 exec, exec, s[2:3]
.LBB339_34:                             ;   in Loop: Header=BB339_7 Depth=1
	s_andn2_saveexec_b64 s[0:1], s[4:5]
	s_cbranch_execz .LBB339_43
; %bb.35:                               ;   in Loop: Header=BB339_7 Depth=1
	s_lshl_b32 s10, s20, 1
	v_cmp_gt_i32_e32 vcc, s10, v96
	s_and_saveexec_b64 s[2:3], vcc
	s_cbranch_execz .LBB339_42
; %bb.36:                               ;   in Loop: Header=BB339_7 Depth=1
	s_mul_i32 s4, s54, s19
	s_ashr_i32 s5, s4, 31
	s_add_u32 s4, s46, s4
	s_addc_u32 s5, s47, s5
	s_ashr_i32 s6, s39, 31
	s_add_u32 s4, s4, s39
	s_addc_u32 s5, s5, s6
	v_lshl_add_u64 v[0:1], s[4:5], 0, v[52:53]
	v_lshl_add_u64 v[16:17], v[0:1], 0, v[50:51]
	s_mov_b64 s[4:5], 0
	s_branch .LBB339_38
.LBB339_37:                             ;   in Loop: Header=BB339_38 Depth=2
	s_or_b64 exec, exec, s[6:7]
	v_lshl_add_u32 v20, v18, 12, v92
	;;#ASMSTART
	s_waitcnt vmcnt(3)
	;;#ASMEND
	ds_write2_b32 v20, v12, v13 offset1:32
	ds_write2_b32 v20, v14, v15 offset0:64 offset1:96
	v_add_u32_e32 v12, 0x400, v20
	;;#ASMSTART
	s_waitcnt vmcnt(2)
	;;#ASMEND
	ds_write2_b32 v12, v8, v9 offset1:32
	ds_write2_b32 v12, v10, v11 offset0:64 offset1:96
	v_add_u32_e32 v8, 0x800, v20
	;; [unrolled: 6-line block ×3, first 2 shown]
	v_add_u32_e32 v96, s22, v96
	;;#ASMSTART
	s_waitcnt vmcnt(0)
	;;#ASMEND
	ds_write2_b32 v4, v0, v1 offset1:32
	ds_write2_b32 v4, v2, v3 offset0:64 offset1:96
	v_add_u32_e32 v0, 1, v71
	v_add_u32_e32 v56, s22, v18
	v_cmp_le_i32_e32 vcc, s10, v96
	ds_write_b32 v19, v0 offset:32
	v_add_u32_e32 v0, 2, v71
	s_or_b64 s[4:5], vcc, s[4:5]
	v_cmp_lt_i32_e32 vcc, 3, v56
	s_nop 1
	v_cndmask_b32_e32 v71, v71, v0, vcc
	s_andn2_b64 exec, exec, s[4:5]
	s_cbranch_execz .LBB339_41
.LBB339_38:                             ;   Parent Loop BB339_7 Depth=1
                                        ; =>  This Loop Header: Depth=2
                                        ;       Child Loop BB339_40 Depth 3
	v_cmp_gt_i32_e32 vcc, 4, v56
	s_nop 1
	v_cndmask_b32_e64 v0, -4, 0, vcc
	s_waitcnt lgkmcnt(1)
	v_add_u32_e32 v18, v0, v56
	v_lshrrev_b32_e32 v0, 31, v96
	v_add_u32_e32 v0, v96, v0
	v_and_b32_e32 v1, -2, v0
	v_lshlrev_b32_e32 v0, 6, v0
	v_sub_u32_e32 v2, v96, v1
	v_and_b32_e32 v0, 0xffffff80, v0
	v_ashrrev_i32_e32 v1, 31, v0
	v_mul_lo_u32 v2, s31, v2
	v_lshl_add_u64 v[0:1], v[16:17], 0, v[0:1]
	v_ashrrev_i32_e32 v3, 31, v2
	v_lshl_add_u64 v[0:1], v[0:1], 0, v[2:3]
	v_lshlrev_b32_e32 v19, 2, v18
	;;#ASMSTART
	global_load_dwordx4 v[12:15], v[0:1], off offset:0   sc0 sc1 nt  
	global_load_dwordx4 v[8:11], v[0:1], off offset:32  sc0 sc1 nt  
	global_load_dwordx4 v[4:7], v[0:1], off offset:64  sc0 sc1 nt  
	;; [unrolled: 1-line block ×3, first 2 shown]
	
	;;#ASMEND
	ds_read_b32 v20, v19 offset:49184
	v_add_u32_e32 v19, 0xc000, v19
	s_waitcnt lgkmcnt(0)
	v_cmp_ne_u32_e32 vcc, v20, v71
	s_and_saveexec_b64 s[6:7], vcc
	s_cbranch_execz .LBB339_37
; %bb.39:                               ;   in Loop: Header=BB339_38 Depth=2
	s_mov_b64 s[8:9], 0
.LBB339_40:                             ;   Parent Loop BB339_7 Depth=1
                                        ;     Parent Loop BB339_38 Depth=2
                                        ; =>    This Inner Loop Header: Depth=3
	;;#ASMSTART
	s_sleep 0
	;;#ASMEND
	ds_read_b32 v20, v19 offset:32
	s_waitcnt lgkmcnt(0)
	v_cmp_eq_u32_e32 vcc, v20, v71
	s_or_b64 s[8:9], vcc, s[8:9]
	s_andn2_b64 exec, exec, s[8:9]
	s_cbranch_execnz .LBB339_40
	s_branch .LBB339_37
.LBB339_41:                             ;   in Loop: Header=BB339_7 Depth=1
	s_or_b64 exec, exec, s[4:5]
.LBB339_42:                             ;   in Loop: Header=BB339_7 Depth=1
	s_or_b64 exec, exec, s[2:3]
	v_subrev_u32_e32 v96, s10, v96
.LBB339_43:                             ;   in Loop: Header=BB339_7 Depth=1
	s_or_b64 exec, exec, s[0:1]
.LBB339_44:                             ;   in Loop: Header=BB339_7 Depth=1
	s_andn2_saveexec_b64 s[0:1], s[40:41]
	s_cbranch_execz .LBB339_6
; %bb.45:                               ;   in Loop: Header=BB339_7 Depth=1
	s_lshl_b32 s10, s20, 2
	v_cmp_gt_i32_e32 vcc, s10, v96
	s_and_saveexec_b64 s[2:3], vcc
	s_cbranch_execz .LBB339_5
; %bb.46:                               ;   in Loop: Header=BB339_7 Depth=1
	s_mul_i32 s4, s52, s18
	s_max_i32 s6, s53, 0
	s_ashr_i32 s5, s4, 31
	s_add_u32 s4, s44, s4
	v_add_u32_e32 v2, s6, v72
	s_movk_i32 s6, 0x80
	s_addc_u32 s5, s45, s5
	s_ashr_i32 s7, s39, 31
	v_cmp_gt_u32_e32 vcc, s6, v2
	s_add_u32 s4, s4, s39
	s_addc_u32 s5, s5, s7
	v_cndmask_b32_e32 v0, 0, v93, vcc
	v_ashrrev_i32_e32 v1, 31, v0
	v_lshl_add_u64 v[0:1], s[4:5], 0, v[0:1]
	v_lshl_add_u64 v[16:17], v[0:1], 0, v[50:51]
	s_waitcnt lgkmcnt(1)
	v_sub_u32_e32 v18, 0x7f, v2
	s_mov_b64 s[4:5], 0
	s_branch .LBB339_48
.LBB339_47:                             ;   in Loop: Header=BB339_48 Depth=2
	s_or_b64 exec, exec, s[6:7]
	v_lshl_or_b32 v21, v19, 12, v94
	;;#ASMSTART
	s_waitcnt vmcnt(3)
	;;#ASMEND
	ds_write2_b32 v21, v12, v13 offset1:32
	ds_write2_b32 v21, v14, v15 offset0:64 offset1:96
	v_add_u32_e32 v12, 0x400, v21
	;;#ASMSTART
	s_waitcnt vmcnt(2)
	;;#ASMEND
	ds_write2_b32 v12, v8, v9 offset1:32
	ds_write2_b32 v12, v10, v11 offset0:64 offset1:96
	v_add_u32_e32 v8, 0x800, v21
	;; [unrolled: 6-line block ×3, first 2 shown]
	v_add_u32_e32 v96, s21, v96
	;;#ASMSTART
	s_waitcnt vmcnt(0)
	;;#ASMEND
	ds_write2_b32 v4, v0, v1 offset1:32
	ds_write2_b32 v4, v2, v3 offset0:64 offset1:96
	v_add_u32_e32 v0, 1, v71
	v_add_u32_e32 v56, s21, v19
	v_cmp_le_i32_e32 vcc, s10, v96
	ds_write_b32 v20, v0
	v_add_u32_e32 v0, 2, v71
	s_or_b64 s[4:5], vcc, s[4:5]
	v_cmp_lt_i32_e32 vcc, 7, v56
	s_nop 1
	v_cndmask_b32_e32 v71, v71, v0, vcc
	s_andn2_b64 exec, exec, s[4:5]
	s_cbranch_execz .LBB339_4
.LBB339_48:                             ;   Parent Loop BB339_7 Depth=1
                                        ; =>  This Loop Header: Depth=2
                                        ;       Child Loop BB339_50 Depth 3
	v_cmp_gt_i32_e32 vcc, 8, v56
	s_nop 1
	v_cndmask_b32_e64 v0, -8, 0, vcc
	v_add_u32_e32 v19, v0, v56
	v_ashrrev_i32_e32 v0, 31, v96
	v_lshrrev_b32_e32 v0, 30, v0
	v_add_u32_e32 v0, v96, v0
	v_and_b32_e32 v1, 0x7fffffc, v0
	v_sub_u32_e32 v1, v96, v1
	v_lshlrev_b32_e32 v1, 5, v1
	v_cmp_le_i32_e32 vcc, v1, v18
	v_lshlrev_b32_e32 v0, 5, v0
	v_and_b32_e32 v0, 0xffffff80, v0
	v_cndmask_b32_e32 v2, 0, v1, vcc
	v_ashrrev_i32_e32 v1, 31, v0
	v_mul_lo_u32 v2, v2, s18
	v_lshl_add_u64 v[0:1], v[16:17], 0, v[0:1]
	v_ashrrev_i32_e32 v3, 31, v2
	v_lshl_add_u64 v[0:1], v[0:1], 0, v[2:3]
	v_lshlrev_b32_e32 v20, 2, v19
	;;#ASMSTART
	global_load_dwordx4 v[12:15], v[0:1], off offset:0   
	global_load_dwordx4 v[8:11], v[0:1], off offset:32  
	;; [unrolled: 1-line block ×4, first 2 shown]
	
	;;#ASMEND
	ds_read_b32 v21, v20 offset:49152
	v_add_u32_e32 v20, 0xc000, v20
	s_waitcnt lgkmcnt(0)
	v_cmp_ne_u32_e32 vcc, v21, v71
	s_and_saveexec_b64 s[6:7], vcc
	s_cbranch_execz .LBB339_47
; %bb.49:                               ;   in Loop: Header=BB339_48 Depth=2
	s_mov_b64 s[8:9], 0
.LBB339_50:                             ;   Parent Loop BB339_7 Depth=1
                                        ;     Parent Loop BB339_48 Depth=2
                                        ; =>    This Inner Loop Header: Depth=3
	;;#ASMSTART
	s_sleep 0
	;;#ASMEND
	ds_read_b32 v21, v20
	s_waitcnt lgkmcnt(0)
	v_cmp_eq_u32_e32 vcc, v21, v71
	s_or_b64 s[8:9], vcc, s[8:9]
	s_andn2_b64 exec, exec, s[8:9]
	s_cbranch_execnz .LBB339_50
	s_branch .LBB339_47
.LBB339_51:
	s_endpgm
	.section	.rodata,"a",@progbits
	.p2align	6, 0x0
	.amdhsa_kernel _Z19_skinny_gemm_kernelILi4ELi2ELi2ELi32ELi8EEvPKhS1_P6__halfPKfiiiiiiii
		.amdhsa_group_segment_fixed_size 49200
		.amdhsa_private_segment_fixed_size 0
		.amdhsa_kernarg_size 64
		.amdhsa_user_sgpr_count 2
		.amdhsa_user_sgpr_dispatch_ptr 0
		.amdhsa_user_sgpr_queue_ptr 0
		.amdhsa_user_sgpr_kernarg_segment_ptr 1
		.amdhsa_user_sgpr_dispatch_id 0
		.amdhsa_user_sgpr_kernarg_preload_length 0
		.amdhsa_user_sgpr_kernarg_preload_offset 0
		.amdhsa_user_sgpr_private_segment_size 0
		.amdhsa_uses_dynamic_stack 0
		.amdhsa_enable_private_segment 0
		.amdhsa_system_sgpr_workgroup_id_x 1
		.amdhsa_system_sgpr_workgroup_id_y 0
		.amdhsa_system_sgpr_workgroup_id_z 0
		.amdhsa_system_sgpr_workgroup_info 0
		.amdhsa_system_vgpr_workitem_id 0
		.amdhsa_next_free_vgpr 106
		.amdhsa_next_free_sgpr 100
		.amdhsa_accum_offset 108
		.amdhsa_reserve_vcc 1
		.amdhsa_float_round_mode_32 0
		.amdhsa_float_round_mode_16_64 0
		.amdhsa_float_denorm_mode_32 3
		.amdhsa_float_denorm_mode_16_64 3
		.amdhsa_dx10_clamp 1
		.amdhsa_ieee_mode 1
		.amdhsa_fp16_overflow 0
		.amdhsa_tg_split 0
		.amdhsa_exception_fp_ieee_invalid_op 0
		.amdhsa_exception_fp_denorm_src 0
		.amdhsa_exception_fp_ieee_div_zero 0
		.amdhsa_exception_fp_ieee_overflow 0
		.amdhsa_exception_fp_ieee_underflow 0
		.amdhsa_exception_fp_ieee_inexact 0
		.amdhsa_exception_int_div_zero 0
	.end_amdhsa_kernel
	.section	.text._Z19_skinny_gemm_kernelILi4ELi2ELi2ELi32ELi8EEvPKhS1_P6__halfPKfiiiiiiii,"axG",@progbits,_Z19_skinny_gemm_kernelILi4ELi2ELi2ELi32ELi8EEvPKhS1_P6__halfPKfiiiiiiii,comdat
.Lfunc_end339:
	.size	_Z19_skinny_gemm_kernelILi4ELi2ELi2ELi32ELi8EEvPKhS1_P6__halfPKfiiiiiiii, .Lfunc_end339-_Z19_skinny_gemm_kernelILi4ELi2ELi2ELi32ELi8EEvPKhS1_P6__halfPKfiiiiiiii
                                        ; -- End function
	.set _Z19_skinny_gemm_kernelILi4ELi2ELi2ELi32ELi8EEvPKhS1_P6__halfPKfiiiiiiii.num_vgpr, 106
	.set _Z19_skinny_gemm_kernelILi4ELi2ELi2ELi32ELi8EEvPKhS1_P6__halfPKfiiiiiiii.num_agpr, 0
	.set _Z19_skinny_gemm_kernelILi4ELi2ELi2ELi32ELi8EEvPKhS1_P6__halfPKfiiiiiiii.numbered_sgpr, 100
	.set _Z19_skinny_gemm_kernelILi4ELi2ELi2ELi32ELi8EEvPKhS1_P6__halfPKfiiiiiiii.num_named_barrier, 0
	.set _Z19_skinny_gemm_kernelILi4ELi2ELi2ELi32ELi8EEvPKhS1_P6__halfPKfiiiiiiii.private_seg_size, 0
	.set _Z19_skinny_gemm_kernelILi4ELi2ELi2ELi32ELi8EEvPKhS1_P6__halfPKfiiiiiiii.uses_vcc, 1
	.set _Z19_skinny_gemm_kernelILi4ELi2ELi2ELi32ELi8EEvPKhS1_P6__halfPKfiiiiiiii.uses_flat_scratch, 0
	.set _Z19_skinny_gemm_kernelILi4ELi2ELi2ELi32ELi8EEvPKhS1_P6__halfPKfiiiiiiii.has_dyn_sized_stack, 0
	.set _Z19_skinny_gemm_kernelILi4ELi2ELi2ELi32ELi8EEvPKhS1_P6__halfPKfiiiiiiii.has_recursion, 0
	.set _Z19_skinny_gemm_kernelILi4ELi2ELi2ELi32ELi8EEvPKhS1_P6__halfPKfiiiiiiii.has_indirect_call, 0
	.section	.AMDGPU.csdata,"",@progbits
; Kernel info:
; codeLenInByte = 10140
; TotalNumSgprs: 106
; NumVgprs: 106
; NumAgprs: 0
; TotalNumVgprs: 106
; ScratchSize: 0
; MemoryBound: 0
; FloatMode: 240
; IeeeMode: 1
; LDSByteSize: 49200 bytes/workgroup (compile time only)
; SGPRBlocks: 13
; VGPRBlocks: 13
; NumSGPRsForWavesPerEU: 106
; NumVGPRsForWavesPerEU: 106
; AccumOffset: 108
; Occupancy: 4
; WaveLimiterHint : 0
; COMPUTE_PGM_RSRC2:SCRATCH_EN: 0
; COMPUTE_PGM_RSRC2:USER_SGPR: 2
; COMPUTE_PGM_RSRC2:TRAP_HANDLER: 0
; COMPUTE_PGM_RSRC2:TGID_X_EN: 1
; COMPUTE_PGM_RSRC2:TGID_Y_EN: 0
; COMPUTE_PGM_RSRC2:TGID_Z_EN: 0
; COMPUTE_PGM_RSRC2:TIDIG_COMP_CNT: 0
; COMPUTE_PGM_RSRC3_GFX90A:ACCUM_OFFSET: 26
; COMPUTE_PGM_RSRC3_GFX90A:TG_SPLIT: 0
	.section	.text._Z19_skinny_gemm_kernelILi4ELi2ELi3ELi16ELi4EEvPKhS1_P6__halfPKfiiiiiiii,"axG",@progbits,_Z19_skinny_gemm_kernelILi4ELi2ELi3ELi16ELi4EEvPKhS1_P6__halfPKfiiiiiiii,comdat
	.protected	_Z19_skinny_gemm_kernelILi4ELi2ELi3ELi16ELi4EEvPKhS1_P6__halfPKfiiiiiiii ; -- Begin function _Z19_skinny_gemm_kernelILi4ELi2ELi3ELi16ELi4EEvPKhS1_P6__halfPKfiiiiiiii
	.globl	_Z19_skinny_gemm_kernelILi4ELi2ELi3ELi16ELi4EEvPKhS1_P6__halfPKfiiiiiiii
	.p2align	8
	.type	_Z19_skinny_gemm_kernelILi4ELi2ELi3ELi16ELi4EEvPKhS1_P6__halfPKfiiiiiiii,@function
_Z19_skinny_gemm_kernelILi4ELi2ELi3ELi16ELi4EEvPKhS1_P6__halfPKfiiiiiiii: ; @_Z19_skinny_gemm_kernelILi4ELi2ELi3ELi16ELi4EEvPKhS1_P6__halfPKfiiiiiiii
; %bb.0:
	v_cmp_gt_u32_e32 vcc, 18, v0
	v_lshlrev_b32_e32 v1, 2, v0
	s_and_saveexec_b64 s[4:5], vcc
; %bb.1:
	v_mov_b32_e32 v2, 0
	ds_write_b32 v1, v2 offset:36864
; %bb.2:
	s_or_b64 exec, exec, s[4:5]
	s_load_dwordx8 s[16:23], s[0:1], 0x20
	s_waitcnt lgkmcnt(0)
	s_barrier
	s_add_i32 s3, s16, 63
	s_ashr_i32 s5, s3, 31
	s_add_i32 s4, s17, 31
	s_lshr_b32 s5, s5, 26
	s_ashr_i32 s6, s4, 31
	s_add_i32 s3, s3, s5
	s_ashr_i32 s33, s3, 6
	s_lshr_b32 s3, s6, 27
	s_add_i32 s4, s4, s3
	s_ashr_i32 s48, s4, 5
	s_mul_i32 s3, s48, s33
	s_mul_i32 s3, s3, s20
	s_add_i32 s4, s3, 0x12f
	s_mul_hi_i32 s4, s4, 0x6bca1af3
	s_lshr_b32 s5, s4, 31
	s_ashr_i32 s4, s4, 7
	s_add_i32 s4, s4, s5
	s_add_i32 s5, s2, 1
	s_mul_i32 s5, s4, s5
	v_cvt_f64_i32_e32 v[2:3], s3
	v_cvt_f64_u32_e32 v[4:5], s5
	v_min_f64 v[2:3], v[2:3], v[4:5]
	v_cvt_i32_f64_e32 v33, v[2:3]
	s_mul_i32 s49, s4, s2
	v_cmp_ge_i32_e32 vcc, s49, v33
	s_cbranch_vccnz .LBB340_60
; %bb.3:
	v_lshrrev_b32_e32 v2, 6, v0
	s_add_i32 s4, s22, s21
	s_load_dwordx8 s[24:31], s[0:1], 0x0
	v_cmp_le_i32_e64 s[0:1], s4, v2
	v_mov_b32_e32 v3, s21
	v_cmp_le_i32_e64 s[2:3], s21, v2
	v_mov_b32_e32 v4, s22
	v_cndmask_b32_e64 v4, 0, v4, s[0:1]
	v_cndmask_b32_e64 v3, 0, v3, s[2:3]
	s_abs_i32 s5, s20
	v_add_u32_e32 v3, v3, v4
	v_cvt_f32_u32_e32 v4, s5
	v_sub_u32_e32 v50, v2, v3
	s_ashr_i32 s6, s18, 31
	s_lshr_b32 s6, s6, 25
	v_rcp_iflag_f32_e32 v3, v4
	s_sub_i32 s9, 0, s5
	s_add_i32 s6, s18, s6
	s_ashr_i32 s6, s6, 7
	v_mul_f32_e32 v3, 0x4f7ffffe, v3
	v_cvt_u32_f32_e32 v3, v3
	s_abs_i32 s8, s6
	s_xor_b32 s7, s6, s20
	s_ashr_i32 s7, s7, 31
	v_readfirstlane_b32 s10, v3
	s_mul_i32 s9, s9, s10
	s_mul_hi_u32 s9, s10, s9
	s_add_i32 s10, s10, s9
	s_mul_hi_u32 s9, s8, s10
	s_mul_i32 s10, s9, s5
	s_sub_i32 s8, s8, s10
	s_add_i32 s10, s9, 1
	s_sub_i32 s11, s8, s5
	s_cmp_ge_u32 s8, s5
	s_cselect_b32 s9, s10, s9
	s_cselect_b32 s8, s11, s8
	s_add_i32 s10, s9, 1
	s_cmp_ge_u32 s8, s5
	s_cselect_b32 s5, s10, s9
	s_xor_b32 s5, s5, s7
	s_sub_i32 s50, s5, s7
	s_add_i32 s20, s20, -1
	s_mul_i32 s5, s50, s20
	s_add_i32 s4, s4, s23
	s_sub_i32 s51, s6, s5
	v_cmp_gt_i32_e64 s[4:5], s4, v2
	v_lshlrev_b32_e32 v2, 1, v0
	v_lshlrev_b32_e32 v3, 4, v0
	v_and_b32_e32 v1, 60, v1
	v_and_b32_e32 v2, 64, v2
	;; [unrolled: 1-line block ×3, first 2 shown]
	v_or3_b32 v85, v1, v2, v4
	v_and_b32_e32 v1, 1, v0
	v_lshrrev_b32_e32 v4, 2, v0
	s_abs_i32 s52, s33
	v_and_or_b32 v90, v4, 12, v1
	v_cvt_f32_u32_e32 v4, s52
	v_lshlrev_b32_e32 v2, 1, v1
	v_and_b32_e32 v32, 14, v0
	v_sub_u32_e32 v2, v0, v2
	v_bitop3_b32 v87, v0, 1, v0 bitop3:0xc
	v_bitop3_b32 v88, v0, 3, 1 bitop3:0x6c
	v_and_b32_e32 v42, 48, v3
	v_bfe_u32 v94, v0, 2, 4
	v_and_b32_e32 v1, 60, v0
	v_lshlrev_b32_e32 v3, 8, v0
	v_lshlrev_b32_e32 v0, 6, v0
	v_and_b32_e32 v3, 0x200, v3
	v_and_b32_e32 v0, 64, v0
	v_or3_b32 v95, v1, v3, v0
	v_rcp_iflag_f32_e32 v0, v4
	s_abs_i32 s54, s48
	v_cvt_f32_u32_e32 v1, s54
	v_mad_u64_u32 v[34:35], s[6:7], s17, v90, v[32:33]
	v_mul_f32_e32 v0, 0x4f7ffffe, v0
	v_cvt_u32_f32_e32 v0, v0
	v_rcp_iflag_f32_e32 v1, v1
	s_lshl_b32 s6, s17, 4
	v_add_u32_e32 v36, s6, v34
	v_readfirstlane_b32 s7, v0
	v_mul_f32_e32 v0, 0x4f7ffffe, v1
	v_add_u32_e32 v38, s6, v36
	v_cvt_u32_f32_e32 v0, v0
	v_add_u32_e32 v40, s6, v38
	s_sub_i32 s6, 0, s52
	s_mul_i32 s6, s6, s7
	s_mul_hi_u32 s6, s7, s6
	v_add_u32_e32 v2, 1, v2
	s_add_i32 s56, s7, s6
	s_sub_i32 s6, 0, s54
	v_readfirstlane_b32 s7, v0
	v_mbcnt_lo_u32_b32 v0, -1, 0
	v_and_b32_e32 v2, 63, v2
	s_mul_i32 s6, s6, s7
	v_mbcnt_hi_u32_b32 v0, -1, v0
	v_mul_lo_u32 v44, s19, v94
	s_mul_hi_u32 s6, s7, s6
	v_and_or_b32 v0, v0, 64, v2
	v_cndmask_b32_e64 v84, 0, 1, s[0:1]
	v_or_b32_e32 v86, 0x6000, v85
	s_ashr_i32 s35, s17, 31
	s_mov_b32 s34, s17
	v_or_b32_e32 v89, 16, v32
	v_ashrrev_i32_e32 v35, 31, v34
	v_or_b32_e32 v91, 16, v90
	v_ashrrev_i32_e32 v37, 31, v36
	;; [unrolled: 2-line block ×4, first 2 shown]
	v_ashrrev_i32_e32 v45, 31, v44
	v_mov_b32_e32 v43, 0
	v_or_b32_e32 v96, 0x6000, v95
	s_lshl_b32 s53, s19, 4
	v_mul_lo_u32 v97, s18, v94
	s_ashr_i32 s55, s33, 31
	s_ashr_i32 s57, s48, 31
	s_add_i32 s58, s7, s6
	v_lshlrev_b32_e32 v98, 2, v0
	v_mov_b32_e32 v99, v50
	s_branch .LBB340_7
.LBB340_4:                              ;   in Loop: Header=BB340_7 Depth=1
	s_or_b64 exec, exec, s[10:11]
.LBB340_5:                              ;   in Loop: Header=BB340_7 Depth=1
	s_or_b64 exec, exec, s[8:9]
	v_subrev_u32_e32 v99, s36, v99
.LBB340_6:                              ;   in Loop: Header=BB340_7 Depth=1
	s_or_b64 exec, exec, s[6:7]
	s_add_i32 s49, s49, 1
	v_cmp_ge_i32_e32 vcc, s49, v33
	s_cbranch_vccnz .LBB340_60
.LBB340_7:                              ; =>This Loop Header: Depth=1
                                        ;     Child Loop BB340_13 Depth 2
                                        ;       Child Loop BB340_15 Depth 3
                                        ;       Child Loop BB340_18 Depth 3
	;; [unrolled: 1-line block ×6, first 2 shown]
                                        ;     Child Loop BB340_47 Depth 2
                                        ;       Child Loop BB340_49 Depth 3
                                        ;     Child Loop BB340_57 Depth 2
                                        ;       Child Loop BB340_59 Depth 3
	s_abs_i32 s7, s49
	s_mul_hi_u32 s8, s7, s56
	s_mul_i32 s9, s8, s52
	s_ashr_i32 s6, s49, 31
	s_sub_i32 s7, s7, s9
	s_xor_b32 s6, s6, s55
	s_add_i32 s9, s8, 1
	s_sub_i32 s10, s7, s52
	s_cmp_ge_u32 s7, s52
	s_cselect_b32 s8, s9, s8
	s_cselect_b32 s7, s10, s7
	s_add_i32 s9, s8, 1
	s_cmp_ge_u32 s7, s52
	s_cselect_b32 s7, s9, s8
	s_xor_b32 s7, s7, s6
	s_sub_i32 s6, s7, s6
	s_abs_i32 s8, s6
	s_mul_i32 s7, s6, s33
	s_mul_hi_u32 s9, s8, s58
	s_sub_i32 s7, s49, s7
	s_mul_i32 s10, s9, s54
	s_lshl_b32 s59, s7, 6
	s_ashr_i32 s7, s6, 31
	s_sub_i32 s8, s8, s10
	s_xor_b32 s7, s7, s57
	s_add_i32 s10, s9, 1
	s_sub_i32 s11, s8, s54
	s_cmp_ge_u32 s8, s54
	s_cselect_b32 s9, s10, s9
	s_cselect_b32 s8, s11, s8
	s_add_i32 s10, s9, 1
	s_cmp_ge_u32 s8, s54
	s_cselect_b32 s8, s10, s9
	s_xor_b32 s8, s8, s7
	s_sub_i32 s7, s8, s7
	s_mul_i32 s8, s7, s50
	s_lshl_b32 s60, s8, 7
	s_cmp_eq_u32 s7, s20
	s_cselect_b32 s62, s51, s50
	s_sub_i32 s8, s59, s16
	s_add_i32 s8, s8, 64
	s_max_i32 s61, s8, 0
	s_and_saveexec_b64 s[8:9], s[2:3]
	s_xor_b64 s[36:37], exec, s[8:9]
	s_cbranch_execz .LBB340_53
; %bb.8:                                ;   in Loop: Header=BB340_7 Depth=1
	s_mul_i32 s7, s7, s48
	s_sub_i32 s6, s6, s7
	s_lshl_b32 s6, s6, 5
	s_sub_i32 s14, s6, s17
	s_add_i32 s14, s14, 32
	s_max_i32 s7, s14, 0
	s_sub_i32 s38, s6, s7
	s_and_saveexec_b64 s[6:7], s[0:1]
	s_xor_b64 s[40:41], exec, s[6:7]
	s_cbranch_execz .LBB340_43
; %bb.9:                                ;   in Loop: Header=BB340_7 Depth=1
	s_and_saveexec_b64 s[42:43], s[4:5]
	s_cbranch_execz .LBB340_42
; %bb.10:                               ;   in Loop: Header=BB340_7 Depth=1
	s_waitcnt lgkmcnt(0)
	global_load_dword v100, v43, s[30:31]
	v_mov_b32_e32 v31, 0
	v_cmp_gt_i32_e32 vcc, s62, v99
	v_mov_b32_e32 v30, v31
	v_mov_b32_e32 v29, v31
	;; [unrolled: 1-line block ×31, first 2 shown]
	s_and_saveexec_b64 s[6:7], vcc
	s_cbranch_execz .LBB340_32
; %bb.11:                               ;   in Loop: Header=BB340_7 Depth=1
	v_mov_b32_e32 v4, 0
	s_mov_b64 s[8:9], 0
	v_mov_b32_e32 v5, v4
	v_mov_b32_e32 v6, v4
	;; [unrolled: 1-line block ×31, first 2 shown]
	s_branch .LBB340_13
.LBB340_12:                             ;   in Loop: Header=BB340_13 Depth=2
	s_or_b64 exec, exec, s[10:11]
	v_add_u32_e32 v52, 0x800, v104
	ds_read2_b32 v[50:51], v52 offset1:32
	v_add_u32_e32 v56, 0xc00, v104
	v_add_u32_e32 v99, s23, v99
	s_waitcnt lgkmcnt(0)
	v_mfma_f32_16x16x32_fp8_fp8 v[24:27], v[46:47], v[50:51], v[24:27]
	ds_read2_b32 v[46:47], v52 offset0:128 offset1:160
	ds_read2_b32 v[52:53], v56 offset1:32
	v_mfma_f32_16x16x32_fp8_fp8 v[16:19], v[62:63], v[50:51], v[16:19]
	v_mfma_f32_16x16x32_fp8_fp8 v[8:11], v[70:71], v[50:51], v[8:11]
	;; [unrolled: 1-line block ×3, first 2 shown]
	v_add_u32_e32 v50, s23, v101
	v_cmp_lt_i32_e32 vcc, 2, v50
	s_waitcnt lgkmcnt(1)
	v_mfma_f32_16x16x32_fp8_fp8 v[24:27], v[54:55], v[46:47], v[24:27]
	ds_read2_b32 v[54:55], v56 offset0:128 offset1:160
	;;#ASMSTART
	s_waitcnt lgkmcnt(0)
	;;#ASMEND
	ds_write_b32 v102, v103 offset:36916
	v_mfma_f32_16x16x32_fp8_fp8 v[16:19], v[64:65], v[46:47], v[16:19]
	v_mfma_f32_16x16x32_fp8_fp8 v[8:11], v[72:73], v[46:47], v[8:11]
	;; [unrolled: 1-line block ×3, first 2 shown]
	v_add_u32_e32 v46, 2, v84
	v_cndmask_b32_e32 v84, v84, v46, vcc
	v_cmp_le_i32_e32 vcc, s62, v99
	s_waitcnt lgkmcnt(2)
	v_mfma_f32_16x16x32_fp8_fp8 v[24:27], v[58:59], v[52:53], v[24:27]
	s_or_b64 s[8:9], vcc, s[8:9]
	v_mfma_f32_16x16x32_fp8_fp8 v[16:19], v[66:67], v[52:53], v[16:19]
	v_mfma_f32_16x16x32_fp8_fp8 v[8:11], v[74:75], v[52:53], v[8:11]
	;; [unrolled: 1-line block ×3, first 2 shown]
	s_waitcnt lgkmcnt(1)
	v_mfma_f32_16x16x32_fp8_fp8 v[24:27], v[60:61], v[54:55], v[24:27]
	v_mfma_f32_16x16x32_fp8_fp8 v[16:19], v[68:69], v[54:55], v[16:19]
	;; [unrolled: 1-line block ×4, first 2 shown]
	s_andn2_b64 exec, exec, s[8:9]
	s_cbranch_execz .LBB340_31
.LBB340_13:                             ;   Parent Loop BB340_7 Depth=1
                                        ; =>  This Loop Header: Depth=2
                                        ;       Child Loop BB340_15 Depth 3
                                        ;       Child Loop BB340_18 Depth 3
	;; [unrolled: 1-line block ×6, first 2 shown]
	v_cmp_gt_i32_e32 vcc, 3, v50
	s_nop 1
	v_cndmask_b32_e64 v46, -3, 0, vcc
	v_add_u32_e32 v101, v46, v50
	v_lshlrev_b32_e32 v102, 3, v101
	ds_read_b32 v46, v102 offset:36912
	s_waitcnt lgkmcnt(0)
	v_cmp_ne_u32_e32 vcc, v46, v84
	s_and_saveexec_b64 s[10:11], vcc
	s_cbranch_execz .LBB340_16
; %bb.14:                               ;   in Loop: Header=BB340_13 Depth=2
	s_mov_b64 s[12:13], 0
.LBB340_15:                             ;   Parent Loop BB340_7 Depth=1
                                        ;     Parent Loop BB340_13 Depth=2
                                        ; =>    This Inner Loop Header: Depth=3
	;;#ASMSTART
	s_sleep 0
	;;#ASMEND
	ds_read_b32 v46, v102 offset:36912
	s_waitcnt lgkmcnt(0)
	v_cmp_eq_u32_e32 vcc, v46, v84
	s_or_b64 s[12:13], vcc, s[12:13]
	s_andn2_b64 exec, exec, s[12:13]
	s_cbranch_execnz .LBB340_15
.LBB340_16:                             ;   in Loop: Header=BB340_13 Depth=2
	s_or_b64 exec, exec, s[10:11]
	v_lshlrev_b32_e32 v46, 12, v101
	v_add_u32_e32 v104, v86, v46
	v_add_u32_e32 v46, 0x400, v104
	;; [unrolled: 1-line block ×3, first 2 shown]
	ds_read2_b32 v[48:49], v104 offset1:32
	ds_read2_b32 v[50:51], v104 offset0:128 offset1:160
	ds_read2_b32 v[56:57], v46 offset1:32
	ds_read2_b32 v[52:53], v46 offset0:128 offset1:160
	;;#ASMSTART
	s_waitcnt lgkmcnt(0)
	;;#ASMEND
	ds_write_b32 v102, v103 offset:36912
	v_lshlrev_b32_e32 v105, 4, v101
	ds_read_b32 v46, v105 offset:36864
	s_waitcnt lgkmcnt(0)
	v_cmp_ne_u32_e32 vcc, v46, v84
	s_and_saveexec_b64 s[10:11], vcc
	s_cbranch_execz .LBB340_19
; %bb.17:                               ;   in Loop: Header=BB340_13 Depth=2
	s_mov_b64 s[12:13], 0
.LBB340_18:                             ;   Parent Loop BB340_7 Depth=1
                                        ;     Parent Loop BB340_13 Depth=2
                                        ; =>    This Inner Loop Header: Depth=3
	;;#ASMSTART
	s_sleep 0
	;;#ASMEND
	ds_read_b32 v46, v105 offset:36864
	s_waitcnt lgkmcnt(0)
	v_cmp_eq_u32_e32 vcc, v46, v84
	s_or_b64 s[12:13], vcc, s[12:13]
	s_andn2_b64 exec, exec, s[12:13]
	s_cbranch_execnz .LBB340_18
.LBB340_19:                             ;   in Loop: Header=BB340_13 Depth=2
	s_or_b64 exec, exec, s[10:11]
	v_lshlrev_b32_e32 v62, 13, v101
	v_or_b32_e32 v58, v85, v62
	ds_read2_b32 v[46:47], v58 offset1:32
	ds_read2_b32 v[54:55], v58 offset0:128 offset1:160
	v_add_u32_e32 v60, 0x400, v58
	ds_read2_b32 v[58:59], v60 offset1:32
	ds_read2_b32 v[60:61], v60 offset0:128 offset1:160
	ds_read_b32 v63, v105 offset:36868
	ds_write_b32 v105, v103 offset:36864
	s_waitcnt lgkmcnt(5)
	v_mfma_f32_16x16x32_fp8_fp8 v[28:31], v[46:47], v[48:49], v[28:31]
	s_waitcnt lgkmcnt(1)
	v_cmp_ne_u32_e32 vcc, v63, v84
	v_mfma_f32_16x16x32_fp8_fp8 v[28:31], v[54:55], v[50:51], v[28:31]
	v_mfma_f32_16x16x32_fp8_fp8 v[28:31], v[58:59], v[56:57], v[28:31]
	;; [unrolled: 1-line block ×3, first 2 shown]
	s_and_saveexec_b64 s[10:11], vcc
	s_cbranch_execz .LBB340_22
; %bb.20:                               ;   in Loop: Header=BB340_13 Depth=2
	s_mov_b64 s[12:13], 0
.LBB340_21:                             ;   Parent Loop BB340_7 Depth=1
                                        ;     Parent Loop BB340_13 Depth=2
                                        ; =>    This Inner Loop Header: Depth=3
	;;#ASMSTART
	s_sleep 0
	;;#ASMEND
	ds_read_b32 v63, v105 offset:36868
	s_waitcnt lgkmcnt(0)
	v_cmp_eq_u32_e32 vcc, v63, v84
	s_or_b64 s[12:13], vcc, s[12:13]
	s_andn2_b64 exec, exec, s[12:13]
	s_cbranch_execnz .LBB340_21
.LBB340_22:                             ;   in Loop: Header=BB340_13 Depth=2
	s_or_b64 exec, exec, s[10:11]
	v_add_u32_e32 v82, v85, v62
	v_add_u32_e32 v64, 0x800, v82
	ds_read2_b32 v[62:63], v64 offset1:32
	ds_read2_b32 v[64:65], v64 offset0:128 offset1:160
	v_add_u32_e32 v68, 0xc00, v82
	ds_read2_b32 v[66:67], v68 offset1:32
	ds_read2_b32 v[68:69], v68 offset0:128 offset1:160
	ds_read_b32 v70, v105 offset:36872
	ds_write_b32 v105, v103 offset:36868
	s_waitcnt lgkmcnt(5)
	v_mfma_f32_16x16x32_fp8_fp8 v[20:23], v[62:63], v[48:49], v[20:23]
	s_waitcnt lgkmcnt(1)
	v_cmp_ne_u32_e32 vcc, v70, v84
	v_mfma_f32_16x16x32_fp8_fp8 v[20:23], v[64:65], v[50:51], v[20:23]
	v_mfma_f32_16x16x32_fp8_fp8 v[20:23], v[66:67], v[56:57], v[20:23]
	;; [unrolled: 1-line block ×3, first 2 shown]
	s_and_saveexec_b64 s[10:11], vcc
	s_cbranch_execz .LBB340_25
; %bb.23:                               ;   in Loop: Header=BB340_13 Depth=2
	s_mov_b64 s[12:13], 0
.LBB340_24:                             ;   Parent Loop BB340_7 Depth=1
                                        ;     Parent Loop BB340_13 Depth=2
                                        ; =>    This Inner Loop Header: Depth=3
	;;#ASMSTART
	s_sleep 0
	;;#ASMEND
	ds_read_b32 v70, v105 offset:36872
	s_waitcnt lgkmcnt(0)
	v_cmp_eq_u32_e32 vcc, v70, v84
	s_or_b64 s[12:13], vcc, s[12:13]
	s_andn2_b64 exec, exec, s[12:13]
	s_cbranch_execnz .LBB340_24
.LBB340_25:                             ;   in Loop: Header=BB340_13 Depth=2
	s_or_b64 exec, exec, s[10:11]
	v_add_u32_e32 v72, 0x1000, v82
	ds_read2_b32 v[70:71], v72 offset1:32
	ds_read2_b32 v[72:73], v72 offset0:128 offset1:160
	v_add_u32_e32 v76, 0x1400, v82
	ds_read2_b32 v[74:75], v76 offset1:32
	ds_read2_b32 v[76:77], v76 offset0:128 offset1:160
	ds_read_b32 v78, v105 offset:36876
	ds_write_b32 v105, v103 offset:36872
	s_waitcnt lgkmcnt(5)
	v_mfma_f32_16x16x32_fp8_fp8 v[12:15], v[70:71], v[48:49], v[12:15]
	s_waitcnt lgkmcnt(1)
	v_cmp_ne_u32_e32 vcc, v78, v84
	v_mfma_f32_16x16x32_fp8_fp8 v[12:15], v[72:73], v[50:51], v[12:15]
	v_mfma_f32_16x16x32_fp8_fp8 v[12:15], v[74:75], v[56:57], v[12:15]
	;; [unrolled: 1-line block ×3, first 2 shown]
	s_and_saveexec_b64 s[10:11], vcc
	s_cbranch_execz .LBB340_28
; %bb.26:                               ;   in Loop: Header=BB340_13 Depth=2
	s_mov_b64 s[12:13], 0
.LBB340_27:                             ;   Parent Loop BB340_7 Depth=1
                                        ;     Parent Loop BB340_13 Depth=2
                                        ; =>    This Inner Loop Header: Depth=3
	;;#ASMSTART
	s_sleep 0
	;;#ASMEND
	ds_read_b32 v78, v105 offset:36876
	s_waitcnt lgkmcnt(0)
	v_cmp_eq_u32_e32 vcc, v78, v84
	s_or_b64 s[12:13], vcc, s[12:13]
	s_andn2_b64 exec, exec, s[12:13]
	s_cbranch_execnz .LBB340_27
.LBB340_28:                             ;   in Loop: Header=BB340_13 Depth=2
	s_or_b64 exec, exec, s[10:11]
	v_add_u32_e32 v80, 0x1800, v82
	ds_read2_b32 v[78:79], v80 offset1:32
	ds_read2_b32 v[80:81], v80 offset0:128 offset1:160
	v_add_u32_e32 v106, 0x1c00, v82
	ds_read2_b32 v[82:83], v106 offset1:32
	ds_write_b32 v105, v103 offset:36876
	s_waitcnt lgkmcnt(3)
	v_mfma_f32_16x16x32_fp8_fp8 v[0:3], v[78:79], v[48:49], v[0:3]
	ds_read2_b32 v[48:49], v106 offset0:128 offset1:160
	s_waitcnt lgkmcnt(3)
	v_mfma_f32_16x16x32_fp8_fp8 v[0:3], v[80:81], v[50:51], v[0:3]
	ds_read_b32 v50, v102 offset:36916
	s_waitcnt lgkmcnt(0)
	v_cmp_ne_u32_e32 vcc, v50, v84
	v_mfma_f32_16x16x32_fp8_fp8 v[0:3], v[82:83], v[56:57], v[0:3]
	v_mfma_f32_16x16x32_fp8_fp8 v[0:3], v[48:49], v[52:53], v[0:3]
	s_and_saveexec_b64 s[10:11], vcc
	s_cbranch_execz .LBB340_12
; %bb.29:                               ;   in Loop: Header=BB340_13 Depth=2
	s_mov_b64 s[12:13], 0
.LBB340_30:                             ;   Parent Loop BB340_7 Depth=1
                                        ;     Parent Loop BB340_13 Depth=2
                                        ; =>    This Inner Loop Header: Depth=3
	;;#ASMSTART
	s_sleep 0
	;;#ASMEND
	ds_read_b32 v50, v102 offset:36916
	s_waitcnt lgkmcnt(0)
	v_cmp_eq_u32_e32 vcc, v50, v84
	s_or_b64 s[12:13], vcc, s[12:13]
	s_andn2_b64 exec, exec, s[12:13]
	s_cbranch_execnz .LBB340_30
	s_branch .LBB340_12
.LBB340_31:                             ;   in Loop: Header=BB340_7 Depth=1
	s_or_b64 exec, exec, s[8:9]
.LBB340_32:                             ;   in Loop: Header=BB340_7 Depth=1
	s_or_b64 exec, exec, s[6:7]
	v_cmp_le_i32_e32 vcc, s14, v32
	v_cmp_eq_u32_e64 s[6:7], 2, v87
	v_cmp_eq_u32_e64 s[8:9], 3, v87
	s_waitcnt vmcnt(0)
	v_cndmask_b32_e32 v46, 0, v100, vcc
	v_pk_mul_f32 v[28:29], v[46:47], v[28:29] op_sel_hi:[0,1]
	v_cmp_eq_u32_e32 vcc, 1, v87
	v_pk_mul_f32 v[48:49], v[46:47], v[30:31] op_sel_hi:[0,1]
	v_cmp_eq_u32_e64 s[10:11], 0, v87
	v_cndmask_b32_e32 v30, v28, v29, vcc
	v_cndmask_b32_e64 v30, v30, v48, s[6:7]
	v_cndmask_b32_e64 v30, v30, v49, s[8:9]
	ds_bpermute_b32 v47, v98, v30
	v_cmp_le_i32_e64 s[14:15], s14, v89
	v_cmp_eq_u32_e64 s[12:13], 1, v88
	v_add_u32_e32 v51, s61, v90
	s_waitcnt lgkmcnt(0)
	v_cndmask_b32_e64 v30, v49, v47, s[8:9]
	v_cndmask_b32_e64 v31, v48, v47, s[6:7]
	v_cndmask_b32_e32 v29, v29, v47, vcc
	v_cndmask_b32_e64 v47, v28, v47, s[10:11]
	v_cndmask_b32_e64 v28, 0, v100, s[14:15]
	v_pk_mul_f32 v[54:55], v[28:29], v[24:25] op_sel_hi:[0,1]
	v_pk_mul_f32 v[52:53], v[28:29], v[26:27] op_sel_hi:[0,1]
	v_cndmask_b32_e32 v24, v54, v55, vcc
	v_cndmask_b32_e64 v24, v24, v52, s[6:7]
	v_cndmask_b32_e64 v24, v24, v53, s[8:9]
	ds_bpermute_b32 v25, v98, v24
	v_cndmask_b32_e64 v48, v47, v29, s[12:13]
	v_cmp_eq_u32_e32 vcc, 2, v88
	v_cmp_eq_u32_e64 s[14:15], 3, v88
	s_waitcnt lgkmcnt(0)
	v_cndmask_b32_e64 v27, v52, v25, s[6:7]
	v_cndmask_b32_e32 v24, v48, v31, vcc
	v_cndmask_b32_e64 v24, v24, v30, s[14:15]
	v_cmp_ne_u32_e64 s[6:7], 0, v87
	ds_bpermute_b32 v48, v98, v24
	v_cndmask_b32_e64 v26, v53, v25, s[8:9]
	v_cndmask_b32_e64 v24, v55, v25, s[6:7]
	;; [unrolled: 1-line block ×4, first 2 shown]
	v_cndmask_b32_e32 v49, v49, v27, vcc
	v_cndmask_b32_e64 v49, v49, v26, s[14:15]
	ds_bpermute_b32 v49, v98, v49
	v_cmp_gt_u32_e32 vcc, 64, v51
	s_and_saveexec_b64 s[44:45], vcc
	s_cbranch_execz .LBB340_41
; %bb.33:                               ;   in Loop: Header=BB340_7 Depth=1
	v_cmp_eq_u32_e64 s[8:9], 1, v88
	v_cmp_eq_u32_e64 s[10:11], 0, v88
	v_cmp_eq_u32_e32 vcc, 3, v88
	s_waitcnt lgkmcnt(1)
	v_cndmask_b32_e64 v29, v29, v48, s[8:9]
	s_waitcnt lgkmcnt(0)
	v_cndmask_b32_e64 v52, v24, v49, s[8:9]
	s_mul_i32 s8, s59, s17
	s_ashr_i32 s9, s8, 31
	s_lshl_b64 s[8:9], s[8:9], 1
	v_cndmask_b32_e64 v47, v47, v48, s[10:11]
	v_cndmask_b32_e64 v53, v25, v49, s[10:11]
	s_add_u32 s10, s28, s8
	s_addc_u32 s11, s29, s9
	s_ashr_i32 s39, s38, 31
	v_cvt_f16_f32_e32 v47, v47
	v_cvt_f16_f32_sdwa v29, v29 dst_sel:WORD_1 dst_unused:UNUSED_PAD src0_sel:DWORD
	s_lshl_b64 s[8:9], s[38:39], 1
	v_cvt_f16_f32_e32 v54, v53
	v_cvt_f16_f32_sdwa v55, v52 dst_sel:WORD_1 dst_unused:UNUSED_PAD src0_sel:DWORD
	s_add_u32 s46, s10, s8
	s_addc_u32 s47, s11, s9
	v_cmp_eq_u32_e64 s[6:7], 2, v88
	v_lshl_add_u64 v[24:25], v[34:35], 1, s[46:47]
	v_or_b32_e32 v29, v29, v47
	v_cmp_gt_u32_e64 s[8:9], 62, v51
	;;#ASMSTART
	global_atomic_pk_add_f16 v[24:25], v29, off
	
	;;#ASMEND
	v_lshl_add_u64 v[52:53], v[24:25], 0, 32
	v_or_b32_e32 v29, v55, v54
	;;#ASMSTART
	global_atomic_pk_add_f16 v[52:53], v29, off
	
	;;#ASMEND
	s_and_b64 exec, exec, s[8:9]
	s_cbranch_execz .LBB340_41
; %bb.34:                               ;   in Loop: Header=BB340_7 Depth=1
	v_mov_b32_e32 v47, v46
	v_cndmask_b32_e32 v30, v30, v48, vcc
	v_cndmask_b32_e64 v31, v31, v48, s[6:7]
	v_cndmask_b32_e32 v48, v26, v49, vcc
	v_cndmask_b32_e64 v49, v27, v49, s[6:7]
	v_mov_b32_e32 v26, v46
	v_mov_b32_e32 v27, v46
	v_pk_mul_f32 v[22:23], v[26:27], v[22:23]
	v_pk_mul_f32 v[26:27], v[46:47], v[20:21]
	v_cmp_eq_u32_e32 vcc, 1, v87
	v_cmp_eq_u32_e64 s[6:7], 2, v87
	v_cmp_eq_u32_e64 s[8:9], 3, v87
	v_cndmask_b32_e32 v20, v26, v27, vcc
	v_cndmask_b32_e64 v20, v20, v22, s[6:7]
	v_cndmask_b32_e64 v20, v20, v23, s[8:9]
	v_cvt_f16_f32_e32 v31, v31
	v_cvt_f16_f32_sdwa v30, v30 dst_sel:WORD_1 dst_unused:UNUSED_PAD src0_sel:DWORD
	ds_bpermute_b32 v51, v98, v20
	v_mov_b32_e32 v29, v28
	v_lshl_add_u64 v[24:25], s[34:35], 2, v[24:25]
	v_or_b32_e32 v30, v30, v31
	v_cmp_eq_u32_e64 s[10:11], 0, v87
	;;#ASMSTART
	global_atomic_pk_add_f16 v[24:25], v30, off
	
	;;#ASMEND
	v_cvt_f16_f32_e32 v52, v49
	v_cvt_f16_f32_sdwa v53, v48 dst_sel:WORD_1 dst_unused:UNUSED_PAD src0_sel:DWORD
	v_lshl_add_u64 v[30:31], v[24:25], 0, 32
	s_waitcnt lgkmcnt(0)
	v_cndmask_b32_e64 v20, v23, v51, s[8:9]
	v_cndmask_b32_e32 v23, v27, v51, vcc
	v_cndmask_b32_e64 v24, v26, v51, s[10:11]
	v_mov_b32_e32 v26, v28
	v_mov_b32_e32 v27, v28
	v_pk_mul_f32 v[48:49], v[28:29], v[16:17]
	v_pk_mul_f32 v[26:27], v[26:27], v[18:19]
	v_cndmask_b32_e32 v16, v48, v49, vcc
	v_cndmask_b32_e64 v16, v16, v26, s[6:7]
	v_cndmask_b32_e64 v16, v16, v27, s[8:9]
	ds_bpermute_b32 v17, v98, v16
	v_cmp_eq_u32_e64 s[12:13], 1, v88
	v_cndmask_b32_e64 v21, v22, v51, s[6:7]
	v_cmp_eq_u32_e32 vcc, 2, v88
	v_cndmask_b32_e64 v22, v24, v23, s[12:13]
	v_cmp_eq_u32_e64 s[14:15], 3, v88
	v_cndmask_b32_e32 v16, v22, v21, vcc
	s_waitcnt lgkmcnt(0)
	v_cndmask_b32_e64 v19, v26, v17, s[6:7]
	v_cndmask_b32_e64 v16, v16, v20, s[14:15]
	v_cmp_ne_u32_e64 s[6:7], 0, v87
	ds_bpermute_b32 v22, v98, v16
	v_cndmask_b32_e64 v18, v27, v17, s[8:9]
	v_cndmask_b32_e64 v16, v49, v17, s[6:7]
	;; [unrolled: 1-line block ×4, first 2 shown]
	v_cndmask_b32_e32 v25, v25, v19, vcc
	v_cndmask_b32_e64 v25, v25, v18, s[14:15]
	ds_bpermute_b32 v25, v98, v25
	v_or_b32_e32 v26, v53, v52
	;;#ASMSTART
	global_atomic_pk_add_f16 v[30:31], v26, off
	
	;;#ASMEND
	v_add_u32_e32 v26, s61, v91
	v_cmp_gt_u32_e32 vcc, 64, v26
	s_and_b64 exec, exec, vcc
	s_cbranch_execz .LBB340_41
; %bb.35:                               ;   in Loop: Header=BB340_7 Depth=1
	v_cmp_eq_u32_e64 s[8:9], 1, v88
	v_cmp_eq_u32_e64 s[10:11], 0, v88
	v_cmp_eq_u32_e32 vcc, 3, v88
	s_waitcnt lgkmcnt(1)
	v_cndmask_b32_e64 v23, v23, v22, s[8:9]
	v_cndmask_b32_e64 v24, v24, v22, s[10:11]
	s_waitcnt lgkmcnt(0)
	v_cndmask_b32_e64 v27, v16, v25, s[8:9]
	v_cndmask_b32_e64 v30, v17, v25, s[10:11]
	v_cvt_f16_f32_e32 v24, v24
	v_cvt_f16_f32_sdwa v23, v23 dst_sel:WORD_1 dst_unused:UNUSED_PAD src0_sel:DWORD
	v_cvt_f16_f32_e32 v48, v30
	v_cvt_f16_f32_sdwa v27, v27 dst_sel:WORD_1 dst_unused:UNUSED_PAD src0_sel:DWORD
	v_cmp_eq_u32_e64 s[6:7], 2, v88
	v_lshl_add_u64 v[16:17], v[36:37], 1, s[46:47]
	v_or_b32_e32 v23, v23, v24
	v_cmp_gt_u32_e64 s[8:9], 62, v26
	;;#ASMSTART
	global_atomic_pk_add_f16 v[16:17], v23, off
	
	;;#ASMEND
	v_lshl_add_u64 v[30:31], v[16:17], 0, 32
	v_or_b32_e32 v23, v27, v48
	;;#ASMSTART
	global_atomic_pk_add_f16 v[30:31], v23, off
	
	;;#ASMEND
	s_and_b64 exec, exec, s[8:9]
	s_cbranch_execz .LBB340_41
; %bb.36:                               ;   in Loop: Header=BB340_7 Depth=1
	v_cndmask_b32_e32 v20, v20, v22, vcc
	v_cndmask_b32_e64 v21, v21, v22, s[6:7]
	v_cndmask_b32_e32 v22, v18, v25, vcc
	v_cndmask_b32_e64 v23, v19, v25, s[6:7]
	v_mov_b32_e32 v18, v46
	v_mov_b32_e32 v19, v46
	v_pk_mul_f32 v[14:15], v[18:19], v[14:15]
	v_pk_mul_f32 v[18:19], v[46:47], v[12:13]
	v_cmp_eq_u32_e32 vcc, 1, v87
	v_cmp_eq_u32_e64 s[6:7], 2, v87
	v_cmp_eq_u32_e64 s[8:9], 3, v87
	v_cndmask_b32_e32 v12, v18, v19, vcc
	v_cndmask_b32_e64 v12, v12, v14, s[6:7]
	v_cndmask_b32_e64 v12, v12, v15, s[8:9]
	v_cvt_f16_f32_e32 v21, v21
	v_cvt_f16_f32_sdwa v20, v20 dst_sel:WORD_1 dst_unused:UNUSED_PAD src0_sel:DWORD
	ds_bpermute_b32 v24, v98, v12
	v_lshl_add_u64 v[16:17], s[34:35], 2, v[16:17]
	v_cmp_eq_u32_e64 s[10:11], 0, v87
	v_or_b32_e32 v20, v20, v21
	;;#ASMSTART
	global_atomic_pk_add_f16 v[16:17], v20, off
	
	;;#ASMEND
	v_cvt_f16_f32_e32 v25, v23
	v_cvt_f16_f32_sdwa v26, v22 dst_sel:WORD_1 dst_unused:UNUSED_PAD src0_sel:DWORD
	v_lshl_add_u64 v[20:21], v[16:17], 0, 32
	s_waitcnt lgkmcnt(0)
	v_cndmask_b32_e64 v12, v15, v24, s[8:9]
	v_cndmask_b32_e32 v15, v19, v24, vcc
	v_cndmask_b32_e64 v16, v18, v24, s[10:11]
	v_mov_b32_e32 v18, v28
	v_mov_b32_e32 v19, v28
	v_pk_mul_f32 v[22:23], v[28:29], v[8:9]
	v_pk_mul_f32 v[18:19], v[18:19], v[10:11]
	v_cndmask_b32_e32 v8, v22, v23, vcc
	v_cndmask_b32_e64 v8, v8, v18, s[6:7]
	v_cndmask_b32_e64 v8, v8, v19, s[8:9]
	ds_bpermute_b32 v9, v98, v8
	v_cmp_eq_u32_e64 s[12:13], 1, v88
	v_cndmask_b32_e64 v13, v14, v24, s[6:7]
	v_cmp_eq_u32_e32 vcc, 2, v88
	v_cndmask_b32_e64 v14, v16, v15, s[12:13]
	v_cmp_eq_u32_e64 s[14:15], 3, v88
	v_cndmask_b32_e32 v8, v14, v13, vcc
	s_waitcnt lgkmcnt(0)
	v_cndmask_b32_e64 v11, v18, v9, s[6:7]
	v_cndmask_b32_e64 v8, v8, v12, s[14:15]
	v_cmp_ne_u32_e64 s[6:7], 0, v87
	ds_bpermute_b32 v14, v98, v8
	v_cndmask_b32_e64 v10, v19, v9, s[8:9]
	v_cndmask_b32_e64 v8, v23, v9, s[6:7]
	;; [unrolled: 1-line block ×4, first 2 shown]
	v_cndmask_b32_e32 v17, v17, v11, vcc
	v_cndmask_b32_e64 v17, v17, v10, s[14:15]
	ds_bpermute_b32 v17, v98, v17
	v_or_b32_e32 v18, v26, v25
	;;#ASMSTART
	global_atomic_pk_add_f16 v[20:21], v18, off
	
	;;#ASMEND
	v_add_u32_e32 v18, s61, v92
	v_cmp_gt_u32_e32 vcc, 64, v18
	s_and_b64 exec, exec, vcc
	s_cbranch_execz .LBB340_41
; %bb.37:                               ;   in Loop: Header=BB340_7 Depth=1
	v_cmp_eq_u32_e64 s[8:9], 1, v88
	v_cmp_eq_u32_e64 s[10:11], 0, v88
	v_cmp_eq_u32_e32 vcc, 3, v88
	s_waitcnt lgkmcnt(1)
	v_cndmask_b32_e64 v15, v15, v14, s[8:9]
	v_cndmask_b32_e64 v16, v16, v14, s[10:11]
	s_waitcnt lgkmcnt(0)
	v_cndmask_b32_e64 v19, v8, v17, s[8:9]
	v_cndmask_b32_e64 v20, v9, v17, s[10:11]
	v_cvt_f16_f32_e32 v16, v16
	v_cvt_f16_f32_sdwa v15, v15 dst_sel:WORD_1 dst_unused:UNUSED_PAD src0_sel:DWORD
	v_cvt_f16_f32_e32 v22, v20
	v_cvt_f16_f32_sdwa v19, v19 dst_sel:WORD_1 dst_unused:UNUSED_PAD src0_sel:DWORD
	v_cmp_eq_u32_e64 s[6:7], 2, v88
	v_lshl_add_u64 v[8:9], v[38:39], 1, s[46:47]
	v_or_b32_e32 v15, v15, v16
	v_cmp_gt_u32_e64 s[8:9], 62, v18
	;;#ASMSTART
	global_atomic_pk_add_f16 v[8:9], v15, off
	
	;;#ASMEND
	v_lshl_add_u64 v[20:21], v[8:9], 0, 32
	v_or_b32_e32 v15, v19, v22
	;;#ASMSTART
	global_atomic_pk_add_f16 v[20:21], v15, off
	
	;;#ASMEND
	s_and_b64 exec, exec, s[8:9]
	s_cbranch_execz .LBB340_41
; %bb.38:                               ;   in Loop: Header=BB340_7 Depth=1
	v_cndmask_b32_e32 v12, v12, v14, vcc
	v_cndmask_b32_e64 v13, v13, v14, s[6:7]
	v_cvt_f16_f32_e32 v13, v13
	v_cvt_f16_f32_sdwa v12, v12 dst_sel:WORD_1 dst_unused:UNUSED_PAD src0_sel:DWORD
	v_cndmask_b32_e32 v14, v10, v17, vcc
	v_cndmask_b32_e64 v15, v11, v17, s[6:7]
	v_mov_b32_e32 v10, v46
	v_or_b32_e32 v16, v12, v13
	v_mov_b32_e32 v11, v46
	v_pk_mul_f32 v[12:13], v[46:47], v[0:1]
	v_cmp_eq_u32_e32 vcc, 1, v87
	v_pk_mul_f32 v[10:11], v[10:11], v[2:3]
	v_cmp_eq_u32_e64 s[6:7], 2, v87
	v_cndmask_b32_e32 v0, v12, v13, vcc
	v_cmp_eq_u32_e64 s[8:9], 3, v87
	v_cndmask_b32_e64 v0, v0, v10, s[6:7]
	v_lshl_add_u64 v[8:9], s[34:35], 2, v[8:9]
	v_cndmask_b32_e64 v0, v0, v11, s[8:9]
	ds_bpermute_b32 v1, v98, v0
	;;#ASMSTART
	global_atomic_pk_add_f16 v[8:9], v16, off
	
	;;#ASMEND
	v_cvt_f16_f32_e32 v16, v15
	v_cvt_f16_f32_sdwa v17, v14 dst_sel:WORD_1 dst_unused:UNUSED_PAD src0_sel:DWORD
	v_lshl_add_u64 v[14:15], v[8:9], 0, 32
	v_mov_b32_e32 v8, v28
	v_mov_b32_e32 v9, v28
	v_pk_mul_f32 v[6:7], v[8:9], v[6:7]
	v_pk_mul_f32 v[8:9], v[28:29], v[4:5]
	s_waitcnt lgkmcnt(0)
	v_cndmask_b32_e64 v2, v11, v1, s[8:9]
	v_cndmask_b32_e32 v4, v8, v9, vcc
	v_cndmask_b32_e64 v4, v4, v6, s[6:7]
	v_cndmask_b32_e64 v4, v4, v7, s[8:9]
	ds_bpermute_b32 v11, v98, v4
	v_cmp_eq_u32_e64 s[10:11], 0, v87
	v_cndmask_b32_e64 v3, v10, v1, s[6:7]
	v_cndmask_b32_e32 v0, v13, v1, vcc
	v_cndmask_b32_e64 v1, v12, v1, s[10:11]
	v_cmp_eq_u32_e64 s[12:13], 1, v88
	v_cmp_eq_u32_e32 vcc, 2, v88
	s_waitcnt lgkmcnt(0)
	v_cndmask_b32_e64 v6, v6, v11, s[6:7]
	v_cndmask_b32_e64 v10, v1, v0, s[12:13]
	v_cmp_ne_u32_e64 s[6:7], 0, v87
	v_cndmask_b32_e32 v4, v10, v3, vcc
	v_cndmask_b32_e64 v10, v8, v11, s[10:11]
	v_cndmask_b32_e64 v9, v9, v11, s[6:7]
	;; [unrolled: 1-line block ×4, first 2 shown]
	v_cmp_eq_u32_e64 s[14:15], 3, v88
	v_cndmask_b32_e32 v7, v7, v6, vcc
	v_or_b32_e32 v8, v17, v16
	v_cndmask_b32_e64 v4, v4, v2, s[14:15]
	v_cndmask_b32_e64 v7, v7, v5, s[14:15]
	ds_bpermute_b32 v4, v98, v4
	ds_bpermute_b32 v7, v98, v7
	;;#ASMSTART
	global_atomic_pk_add_f16 v[14:15], v8, off
	
	;;#ASMEND
	v_add_u32_e32 v8, s61, v93
	v_cmp_gt_u32_e32 vcc, 64, v8
	s_and_b64 exec, exec, vcc
	s_cbranch_execz .LBB340_41
; %bb.39:                               ;   in Loop: Header=BB340_7 Depth=1
	v_cmp_eq_u32_e64 s[8:9], 1, v88
	v_cmp_eq_u32_e64 s[10:11], 0, v88
	v_cmp_eq_u32_e32 vcc, 3, v88
	s_waitcnt lgkmcnt(1)
	v_cndmask_b32_e64 v0, v0, v4, s[8:9]
	v_cndmask_b32_e64 v1, v1, v4, s[10:11]
	s_waitcnt lgkmcnt(0)
	v_cndmask_b32_e64 v9, v9, v7, s[8:9]
	v_cndmask_b32_e64 v10, v10, v7, s[10:11]
	v_cvt_f16_f32_e32 v11, v1
	v_cvt_f16_f32_sdwa v12, v0 dst_sel:WORD_1 dst_unused:UNUSED_PAD src0_sel:DWORD
	v_cvt_f16_f32_e32 v13, v10
	v_cvt_f16_f32_sdwa v9, v9 dst_sel:WORD_1 dst_unused:UNUSED_PAD src0_sel:DWORD
	v_cmp_eq_u32_e64 s[6:7], 2, v88
	v_lshl_add_u64 v[0:1], v[40:41], 1, s[46:47]
	v_or_b32_e32 v10, v12, v11
	v_cmp_gt_u32_e64 s[8:9], 62, v8
	;;#ASMSTART
	global_atomic_pk_add_f16 v[0:1], v10, off
	
	;;#ASMEND
	v_lshl_add_u64 v[10:11], v[0:1], 0, 32
	v_or_b32_e32 v9, v9, v13
	;;#ASMSTART
	global_atomic_pk_add_f16 v[10:11], v9, off
	
	;;#ASMEND
	s_and_b64 exec, exec, s[8:9]
	s_cbranch_execz .LBB340_41
; %bb.40:                               ;   in Loop: Header=BB340_7 Depth=1
	v_cndmask_b32_e32 v2, v2, v4, vcc
	v_cndmask_b32_e64 v3, v3, v4, s[6:7]
	v_cndmask_b32_e32 v4, v5, v7, vcc
	v_cndmask_b32_e64 v5, v6, v7, s[6:7]
	v_cvt_f16_f32_e32 v3, v3
	v_cvt_f16_f32_sdwa v2, v2 dst_sel:WORD_1 dst_unused:UNUSED_PAD src0_sel:DWORD
	v_cvt_f16_f32_e32 v5, v5
	v_cvt_f16_f32_sdwa v4, v4 dst_sel:WORD_1 dst_unused:UNUSED_PAD src0_sel:DWORD
	v_lshl_add_u64 v[0:1], s[34:35], 2, v[0:1]
	v_or_b32_e32 v2, v2, v3
	;;#ASMSTART
	global_atomic_pk_add_f16 v[0:1], v2, off
	
	;;#ASMEND
	v_lshl_add_u64 v[0:1], v[0:1], 0, 32
	v_or_b32_e32 v2, v4, v5
	;;#ASMSTART
	global_atomic_pk_add_f16 v[0:1], v2, off
	
	;;#ASMEND
.LBB340_41:                             ;   in Loop: Header=BB340_7 Depth=1
	s_or_b64 exec, exec, s[44:45]
	v_subrev_u32_e32 v99, s62, v99
.LBB340_42:                             ;   in Loop: Header=BB340_7 Depth=1
	s_or_b64 exec, exec, s[42:43]
.LBB340_43:                             ;   in Loop: Header=BB340_7 Depth=1
	s_andn2_saveexec_b64 s[6:7], s[40:41]
	s_cbranch_execz .LBB340_52
; %bb.44:                               ;   in Loop: Header=BB340_7 Depth=1
	s_lshl_b32 s39, s62, 1
	v_cmp_gt_i32_e32 vcc, s39, v99
	s_and_saveexec_b64 s[8:9], vcc
	s_cbranch_execz .LBB340_51
; %bb.45:                               ;   in Loop: Header=BB340_7 Depth=1
	s_mul_i32 s10, s38, s19
	s_ashr_i32 s11, s10, 31
	s_waitcnt lgkmcnt(0)
	s_add_u32 s10, s26, s10
	s_addc_u32 s11, s27, s11
	s_ashr_i32 s12, s60, 31
	s_add_u32 s10, s10, s60
	s_addc_u32 s11, s11, s12
	v_lshl_add_u64 v[0:1], s[10:11], 0, v[44:45]
	v_lshl_add_u64 v[8:9], v[0:1], 0, v[42:43]
	s_mov_b64 s[10:11], 0
	s_branch .LBB340_47
.LBB340_46:                             ;   in Loop: Header=BB340_47 Depth=2
	s_or_b64 exec, exec, s[12:13]
	v_lshl_add_u32 v12, v10, 11, v96
	;;#ASMSTART
	s_waitcnt vmcnt(1)
	;;#ASMEND
	ds_write2_b32 v12, v4, v5 offset1:32
	ds_write2_b32 v12, v6, v7 offset0:64 offset1:96
	v_add_u32_e32 v4, 0x400, v12
	v_add_u32_e32 v99, s22, v99
	;;#ASMSTART
	s_waitcnt vmcnt(0)
	;;#ASMEND
	ds_write2_b32 v4, v0, v1 offset1:32
	ds_write2_b32 v4, v2, v3 offset0:64 offset1:96
	v_add_u32_e32 v0, 1, v84
	v_add_u32_e32 v50, s22, v10
	v_cmp_le_i32_e32 vcc, s39, v99
	ds_write_b32 v11, v0 offset:48
	v_add_u32_e32 v0, 2, v84
	s_or_b64 s[10:11], vcc, s[10:11]
	v_cmp_lt_i32_e32 vcc, 5, v50
	s_nop 1
	v_cndmask_b32_e32 v84, v84, v0, vcc
	s_andn2_b64 exec, exec, s[10:11]
	s_cbranch_execz .LBB340_50
.LBB340_47:                             ;   Parent Loop BB340_7 Depth=1
                                        ; =>  This Loop Header: Depth=2
                                        ;       Child Loop BB340_49 Depth 3
	v_cmp_gt_i32_e32 vcc, 6, v50
	s_nop 1
	v_cndmask_b32_e64 v0, -6, 0, vcc
	v_add_u32_e32 v10, v0, v50
	v_lshrrev_b32_e32 v0, 31, v99
	v_add_u32_e32 v0, v99, v0
	v_and_b32_e32 v1, -2, v0
	v_lshlrev_b32_e32 v0, 6, v0
	v_sub_u32_e32 v2, v99, v1
	v_and_b32_e32 v0, 0xffffff80, v0
	v_ashrrev_i32_e32 v1, 31, v0
	v_mul_lo_u32 v2, s53, v2
	v_lshl_add_u64 v[0:1], v[8:9], 0, v[0:1]
	v_ashrrev_i32_e32 v3, 31, v2
	v_lshl_add_u64 v[0:1], v[0:1], 0, v[2:3]
	v_lshlrev_b32_e32 v11, 2, v10
	;;#ASMSTART
	global_load_dwordx4 v[4:7], v[0:1], off offset:0   sc0 sc1 nt  
	global_load_dwordx4 v[0:3], v[0:1], off offset:64  sc0 sc1 nt  
	
	;;#ASMEND
	ds_read_b32 v12, v11 offset:36912
	v_add_u32_e32 v11, 0x9000, v11
	s_waitcnt lgkmcnt(0)
	v_cmp_ne_u32_e32 vcc, v12, v84
	s_and_saveexec_b64 s[12:13], vcc
	s_cbranch_execz .LBB340_46
; %bb.48:                               ;   in Loop: Header=BB340_47 Depth=2
	s_mov_b64 s[14:15], 0
.LBB340_49:                             ;   Parent Loop BB340_7 Depth=1
                                        ;     Parent Loop BB340_47 Depth=2
                                        ; =>    This Inner Loop Header: Depth=3
	;;#ASMSTART
	s_sleep 0
	;;#ASMEND
	ds_read_b32 v12, v11 offset:48
	s_waitcnt lgkmcnt(0)
	v_cmp_eq_u32_e32 vcc, v12, v84
	s_or_b64 s[14:15], vcc, s[14:15]
	s_andn2_b64 exec, exec, s[14:15]
	s_cbranch_execnz .LBB340_49
	s_branch .LBB340_46
.LBB340_50:                             ;   in Loop: Header=BB340_7 Depth=1
	s_or_b64 exec, exec, s[10:11]
.LBB340_51:                             ;   in Loop: Header=BB340_7 Depth=1
	s_or_b64 exec, exec, s[8:9]
	v_subrev_u32_e32 v99, s39, v99
.LBB340_52:                             ;   in Loop: Header=BB340_7 Depth=1
	s_or_b64 exec, exec, s[6:7]
.LBB340_53:                             ;   in Loop: Header=BB340_7 Depth=1
	s_andn2_saveexec_b64 s[6:7], s[36:37]
	s_cbranch_execz .LBB340_6
; %bb.54:                               ;   in Loop: Header=BB340_7 Depth=1
	s_lshl_b32 s36, s62, 2
	v_cmp_gt_i32_e32 vcc, s36, v99
	s_and_saveexec_b64 s[8:9], vcc
	s_cbranch_execz .LBB340_5
; %bb.55:                               ;   in Loop: Header=BB340_7 Depth=1
	s_mul_i32 s59, s59, s18
	s_ashr_i32 s10, s59, 31
	s_waitcnt lgkmcnt(0)
	s_add_u32 s11, s24, s59
	v_add_u32_e32 v2, s61, v94
	s_addc_u32 s12, s25, s10
	s_ashr_i32 s13, s60, 31
	v_cmp_gt_u32_e32 vcc, 64, v2
	s_add_u32 s10, s11, s60
	s_addc_u32 s11, s12, s13
	v_cndmask_b32_e32 v0, 0, v97, vcc
	v_ashrrev_i32_e32 v1, 31, v0
	v_lshl_add_u64 v[0:1], s[10:11], 0, v[0:1]
	v_lshl_add_u64 v[8:9], v[0:1], 0, v[42:43]
	v_sub_u32_e32 v10, 63, v2
	s_mov_b64 s[10:11], 0
	s_branch .LBB340_57
.LBB340_56:                             ;   in Loop: Header=BB340_57 Depth=2
	s_or_b64 exec, exec, s[12:13]
	v_lshl_or_b32 v13, v11, 11, v95
	;;#ASMSTART
	s_waitcnt vmcnt(1)
	;;#ASMEND
	ds_write2_b32 v13, v4, v5 offset1:32
	ds_write2_b32 v13, v6, v7 offset0:64 offset1:96
	v_add_u32_e32 v4, 0x400, v13
	v_add_u32_e32 v99, s21, v99
	;;#ASMSTART
	s_waitcnt vmcnt(0)
	;;#ASMEND
	ds_write2_b32 v4, v0, v1 offset1:32
	ds_write2_b32 v4, v2, v3 offset0:64 offset1:96
	v_add_u32_e32 v0, 1, v84
	v_add_u32_e32 v50, s21, v11
	v_cmp_le_i32_e32 vcc, s36, v99
	ds_write_b32 v12, v0
	v_add_u32_e32 v0, 2, v84
	s_or_b64 s[10:11], vcc, s[10:11]
	v_cmp_lt_i32_e32 vcc, 11, v50
	s_nop 1
	v_cndmask_b32_e32 v84, v84, v0, vcc
	s_andn2_b64 exec, exec, s[10:11]
	s_cbranch_execz .LBB340_4
.LBB340_57:                             ;   Parent Loop BB340_7 Depth=1
                                        ; =>  This Loop Header: Depth=2
                                        ;       Child Loop BB340_59 Depth 3
	v_cmp_gt_i32_e32 vcc, 12, v50
	s_nop 1
	v_cndmask_b32_e64 v0, -12, 0, vcc
	v_add_u32_e32 v11, v0, v50
	v_ashrrev_i32_e32 v0, 31, v99
	v_lshrrev_b32_e32 v0, 30, v0
	v_add_u32_e32 v0, v99, v0
	v_and_b32_e32 v1, 0xffffffc, v0
	v_sub_u32_e32 v1, v99, v1
	v_lshlrev_b32_e32 v1, 4, v1
	v_cmp_le_i32_e32 vcc, v1, v10
	v_lshlrev_b32_e32 v0, 5, v0
	v_and_b32_e32 v0, 0xffffff80, v0
	v_cndmask_b32_e32 v2, 0, v1, vcc
	v_ashrrev_i32_e32 v1, 31, v0
	v_mul_lo_u32 v2, v2, s18
	v_lshl_add_u64 v[0:1], v[8:9], 0, v[0:1]
	v_ashrrev_i32_e32 v3, 31, v2
	v_lshl_add_u64 v[0:1], v[0:1], 0, v[2:3]
	v_lshlrev_b32_e32 v12, 2, v11
	;;#ASMSTART
	global_load_dwordx4 v[4:7], v[0:1], off offset:0   
	global_load_dwordx4 v[0:3], v[0:1], off offset:64  
	
	;;#ASMEND
	ds_read_b32 v13, v12 offset:36864
	v_add_u32_e32 v12, 0x9000, v12
	s_waitcnt lgkmcnt(0)
	v_cmp_ne_u32_e32 vcc, v13, v84
	s_and_saveexec_b64 s[12:13], vcc
	s_cbranch_execz .LBB340_56
; %bb.58:                               ;   in Loop: Header=BB340_57 Depth=2
	s_mov_b64 s[14:15], 0
.LBB340_59:                             ;   Parent Loop BB340_7 Depth=1
                                        ;     Parent Loop BB340_57 Depth=2
                                        ; =>    This Inner Loop Header: Depth=3
	;;#ASMSTART
	s_sleep 0
	;;#ASMEND
	ds_read_b32 v13, v12
	s_waitcnt lgkmcnt(0)
	v_cmp_eq_u32_e32 vcc, v13, v84
	s_or_b64 s[14:15], vcc, s[14:15]
	s_andn2_b64 exec, exec, s[14:15]
	s_cbranch_execnz .LBB340_59
	s_branch .LBB340_56
.LBB340_60:
	s_endpgm
	.section	.rodata,"a",@progbits
	.p2align	6, 0x0
	.amdhsa_kernel _Z19_skinny_gemm_kernelILi4ELi2ELi3ELi16ELi4EEvPKhS1_P6__halfPKfiiiiiiii
		.amdhsa_group_segment_fixed_size 36936
		.amdhsa_private_segment_fixed_size 0
		.amdhsa_kernarg_size 64
		.amdhsa_user_sgpr_count 2
		.amdhsa_user_sgpr_dispatch_ptr 0
		.amdhsa_user_sgpr_queue_ptr 0
		.amdhsa_user_sgpr_kernarg_segment_ptr 1
		.amdhsa_user_sgpr_dispatch_id 0
		.amdhsa_user_sgpr_kernarg_preload_length 0
		.amdhsa_user_sgpr_kernarg_preload_offset 0
		.amdhsa_user_sgpr_private_segment_size 0
		.amdhsa_uses_dynamic_stack 0
		.amdhsa_enable_private_segment 0
		.amdhsa_system_sgpr_workgroup_id_x 1
		.amdhsa_system_sgpr_workgroup_id_y 0
		.amdhsa_system_sgpr_workgroup_id_z 0
		.amdhsa_system_sgpr_workgroup_info 0
		.amdhsa_system_vgpr_workitem_id 0
		.amdhsa_next_free_vgpr 107
		.amdhsa_next_free_sgpr 63
		.amdhsa_accum_offset 108
		.amdhsa_reserve_vcc 1
		.amdhsa_float_round_mode_32 0
		.amdhsa_float_round_mode_16_64 0
		.amdhsa_float_denorm_mode_32 3
		.amdhsa_float_denorm_mode_16_64 3
		.amdhsa_dx10_clamp 1
		.amdhsa_ieee_mode 1
		.amdhsa_fp16_overflow 0
		.amdhsa_tg_split 0
		.amdhsa_exception_fp_ieee_invalid_op 0
		.amdhsa_exception_fp_denorm_src 0
		.amdhsa_exception_fp_ieee_div_zero 0
		.amdhsa_exception_fp_ieee_overflow 0
		.amdhsa_exception_fp_ieee_underflow 0
		.amdhsa_exception_fp_ieee_inexact 0
		.amdhsa_exception_int_div_zero 0
	.end_amdhsa_kernel
	.section	.text._Z19_skinny_gemm_kernelILi4ELi2ELi3ELi16ELi4EEvPKhS1_P6__halfPKfiiiiiiii,"axG",@progbits,_Z19_skinny_gemm_kernelILi4ELi2ELi3ELi16ELi4EEvPKhS1_P6__halfPKfiiiiiiii,comdat
.Lfunc_end340:
	.size	_Z19_skinny_gemm_kernelILi4ELi2ELi3ELi16ELi4EEvPKhS1_P6__halfPKfiiiiiiii, .Lfunc_end340-_Z19_skinny_gemm_kernelILi4ELi2ELi3ELi16ELi4EEvPKhS1_P6__halfPKfiiiiiiii
                                        ; -- End function
	.set _Z19_skinny_gemm_kernelILi4ELi2ELi3ELi16ELi4EEvPKhS1_P6__halfPKfiiiiiiii.num_vgpr, 107
	.set _Z19_skinny_gemm_kernelILi4ELi2ELi3ELi16ELi4EEvPKhS1_P6__halfPKfiiiiiiii.num_agpr, 0
	.set _Z19_skinny_gemm_kernelILi4ELi2ELi3ELi16ELi4EEvPKhS1_P6__halfPKfiiiiiiii.numbered_sgpr, 63
	.set _Z19_skinny_gemm_kernelILi4ELi2ELi3ELi16ELi4EEvPKhS1_P6__halfPKfiiiiiiii.num_named_barrier, 0
	.set _Z19_skinny_gemm_kernelILi4ELi2ELi3ELi16ELi4EEvPKhS1_P6__halfPKfiiiiiiii.private_seg_size, 0
	.set _Z19_skinny_gemm_kernelILi4ELi2ELi3ELi16ELi4EEvPKhS1_P6__halfPKfiiiiiiii.uses_vcc, 1
	.set _Z19_skinny_gemm_kernelILi4ELi2ELi3ELi16ELi4EEvPKhS1_P6__halfPKfiiiiiiii.uses_flat_scratch, 0
	.set _Z19_skinny_gemm_kernelILi4ELi2ELi3ELi16ELi4EEvPKhS1_P6__halfPKfiiiiiiii.has_dyn_sized_stack, 0
	.set _Z19_skinny_gemm_kernelILi4ELi2ELi3ELi16ELi4EEvPKhS1_P6__halfPKfiiiiiiii.has_recursion, 0
	.set _Z19_skinny_gemm_kernelILi4ELi2ELi3ELi16ELi4EEvPKhS1_P6__halfPKfiiiiiiii.has_indirect_call, 0
	.section	.AMDGPU.csdata,"",@progbits
; Kernel info:
; codeLenInByte = 5724
; TotalNumSgprs: 69
; NumVgprs: 107
; NumAgprs: 0
; TotalNumVgprs: 107
; ScratchSize: 0
; MemoryBound: 0
; FloatMode: 240
; IeeeMode: 1
; LDSByteSize: 36936 bytes/workgroup (compile time only)
; SGPRBlocks: 8
; VGPRBlocks: 13
; NumSGPRsForWavesPerEU: 69
; NumVGPRsForWavesPerEU: 107
; AccumOffset: 108
; Occupancy: 4
; WaveLimiterHint : 0
; COMPUTE_PGM_RSRC2:SCRATCH_EN: 0
; COMPUTE_PGM_RSRC2:USER_SGPR: 2
; COMPUTE_PGM_RSRC2:TRAP_HANDLER: 0
; COMPUTE_PGM_RSRC2:TGID_X_EN: 1
; COMPUTE_PGM_RSRC2:TGID_Y_EN: 0
; COMPUTE_PGM_RSRC2:TGID_Z_EN: 0
; COMPUTE_PGM_RSRC2:TIDIG_COMP_CNT: 0
; COMPUTE_PGM_RSRC3_GFX90A:ACCUM_OFFSET: 26
; COMPUTE_PGM_RSRC3_GFX90A:TG_SPLIT: 0
	.section	.text._Z19_skinny_gemm_kernelILi4ELi2ELi3ELi32ELi4EEvPKhS1_P6__halfPKfiiiiiiii,"axG",@progbits,_Z19_skinny_gemm_kernelILi4ELi2ELi3ELi32ELi4EEvPKhS1_P6__halfPKfiiiiiiii,comdat
	.protected	_Z19_skinny_gemm_kernelILi4ELi2ELi3ELi32ELi4EEvPKhS1_P6__halfPKfiiiiiiii ; -- Begin function _Z19_skinny_gemm_kernelILi4ELi2ELi3ELi32ELi4EEvPKhS1_P6__halfPKfiiiiiiii
	.globl	_Z19_skinny_gemm_kernelILi4ELi2ELi3ELi32ELi4EEvPKhS1_P6__halfPKfiiiiiiii
	.p2align	8
	.type	_Z19_skinny_gemm_kernelILi4ELi2ELi3ELi32ELi4EEvPKhS1_P6__halfPKfiiiiiiii,@function
_Z19_skinny_gemm_kernelILi4ELi2ELi3ELi32ELi4EEvPKhS1_P6__halfPKfiiiiiiii: ; @_Z19_skinny_gemm_kernelILi4ELi2ELi3ELi32ELi4EEvPKhS1_P6__halfPKfiiiiiiii
; %bb.0:
	v_cmp_gt_u32_e32 vcc, 18, v0
	s_and_saveexec_b64 s[4:5], vcc
; %bb.1:
	v_lshlrev_b32_e32 v1, 2, v0
	v_mov_b32_e32 v2, 0
	ds_write_b32 v1, v2 offset:36864
; %bb.2:
	s_or_b64 exec, exec, s[4:5]
	s_load_dwordx8 s[16:23], s[0:1], 0x20
	s_waitcnt lgkmcnt(0)
	s_barrier
	s_add_i32 s3, s16, 0x7f
	s_ashr_i32 s5, s3, 31
	s_add_i32 s4, s17, 63
	s_lshr_b32 s5, s5, 25
	s_ashr_i32 s6, s4, 31
	s_add_i32 s3, s3, s5
	s_ashr_i32 s38, s3, 7
	s_lshr_b32 s3, s6, 26
	s_add_i32 s4, s4, s3
	s_ashr_i32 s11, s4, 6
	s_mul_i32 s3, s11, s38
	s_mul_i32 s3, s3, s20
	s_add_i32 s4, s3, 0x12f
	s_mul_hi_i32 s4, s4, 0x6bca1af3
	s_lshr_b32 s5, s4, 31
	s_ashr_i32 s4, s4, 7
	s_add_i32 s4, s4, s5
	s_add_i32 s5, s2, 1
	s_mul_i32 s5, s4, s5
	v_cvt_f64_i32_e32 v[2:3], s3
	v_cvt_f64_u32_e32 v[4:5], s5
	v_min_f64 v[2:3], v[2:3], v[4:5]
	v_cvt_i32_f64_e32 v62, v[2:3]
	s_mul_i32 s33, s4, s2
	v_cmp_ge_i32_e32 vcc, s33, v62
	s_cbranch_vccnz .LBB341_51
; %bb.3:
	s_load_dwordx8 s[44:51], s[0:1], 0x0
	v_lshrrev_b32_e32 v1, 6, v0
	s_add_i32 s0, s22, s21
	v_cmp_le_i32_e64 s[12:13], s0, v1
	v_mov_b32_e32 v2, s21
	v_cmp_le_i32_e64 s[14:15], s21, v1
	v_mov_b32_e32 v3, s22
	v_cndmask_b32_e64 v3, 0, v3, s[12:13]
	v_cndmask_b32_e64 v2, 0, v2, s[14:15]
	s_abs_i32 s1, s20
	v_add_u32_e32 v2, v2, v3
	v_cvt_f32_u32_e32 v3, s1
	v_sub_u32_e32 v56, v1, v2
	s_ashr_i32 s2, s18, 31
	s_lshr_b32 s2, s2, 26
	v_rcp_iflag_f32_e32 v2, v3
	s_sub_i32 s5, 0, s1
	s_add_i32 s2, s18, s2
	s_ashr_i32 s2, s2, 6
	v_mul_f32_e32 v2, 0x4f7ffffe, v2
	v_cvt_u32_f32_e32 v2, v2
	s_abs_i32 s4, s2
	s_xor_b32 s3, s2, s20
	s_ashr_i32 s3, s3, 31
	v_readfirstlane_b32 s6, v2
	s_mul_i32 s5, s5, s6
	s_mul_hi_u32 s5, s6, s5
	s_add_i32 s6, s6, s5
	s_mul_hi_u32 s5, s4, s6
	s_mul_i32 s6, s5, s1
	s_sub_i32 s4, s4, s6
	s_add_i32 s6, s5, 1
	s_sub_i32 s7, s4, s1
	s_cmp_ge_u32 s4, s1
	s_cselect_b32 s5, s6, s5
	s_cselect_b32 s4, s7, s4
	s_add_i32 s6, s5, 1
	s_cmp_ge_u32 s4, s1
	s_cselect_b32 s1, s6, s5
	s_add_i32 s0, s0, s23
	v_and_b32_e32 v64, 31, v0
	v_lshrrev_b32_e32 v2, 3, v0
	v_cmp_gt_i32_e64 s[28:29], s0, v1
	v_lshlrev_b32_e32 v1, 2, v64
	v_and_b32_e32 v3, 4, v2
	v_and_b32_e32 v5, 1, v0
	v_lshlrev_b32_e32 v2, 6, v3
	v_or_b32_e32 v4, 0x6000, v1
	v_or_b32_e32 v3, v3, v5
	;; [unrolled: 1-line block ×4, first 2 shown]
	v_lshlrev_b32_e32 v2, 1, v5
	v_or_b32_e32 v5, 2, v3
	v_sub_u32_e32 v77, 32, v5
	v_or_b32_e32 v5, 8, v3
	v_sub_u32_e32 v78, 32, v5
	;; [unrolled: 2-line block ×5, first 2 shown]
	v_mul_lo_u32 v34, s17, v3
	v_sub_u32_e32 v81, 32, v5
	v_or_b32_e32 v5, 24, v3
	v_or_b32_e32 v3, 26, v3
	v_sub_u32_e32 v83, 32, v3
	v_lshrrev_b32_e32 v3, 1, v0
	s_abs_i32 s39, s38
	v_and_b32_e32 v50, 16, v3
	v_cvt_f32_u32_e32 v3, s39
                                        ; implicit-def: $vgpr99 : SGPR spill to VGPR lane
	v_sub_u32_e32 v2, v0, v2
	v_writelane_b32 v99, s11, 0
	v_add_u32_e32 v2, 1, v2
	s_waitcnt lgkmcnt(0)
	v_writelane_b32 v99, s44, 1
	v_and_b32_e32 v6, 63, v2
	v_bitop3_b32 v67, v0, 1, v0 bitop3:0xc
	v_bitop3_b32 v68, v0, 3, 1 bitop3:0x6c
	;; [unrolled: 1-line block ×8, first 2 shown]
	v_and_b32_e32 v2, 30, v0
	v_lshlrev_b32_e32 v0, 4, v0
	v_writelane_b32 v99, s45, 2
	s_add_i32 s25, s20, -1
	v_and_b32_e32 v0, 0x200, v0
	v_rcp_iflag_f32_e32 v3, v3
	s_abs_i32 s20, s11
	v_writelane_b32 v99, s46, 3
	s_xor_b32 s1, s1, s3
	v_or_b32_e32 v86, v1, v0
	v_cvt_f32_u32_e32 v1, s20
	v_writelane_b32 v99, s47, 4
	s_sub_i32 s24, s1, s3
	v_writelane_b32 v99, s48, 5
	s_mul_i32 s1, s24, s25
	s_lshl_b32 s0, s17, 1
	v_writelane_b32 v99, s49, 6
	s_sub_i32 s26, s2, s1
	v_add_u32_e32 v36, s0, v34
	s_mul_i32 s1, s17, 6
	v_or_b32_e32 v84, v4, v0
	v_mul_f32_e32 v0, 0x4f7ffffe, v3
	v_writelane_b32 v99, s50, 7
	v_add_u32_e32 v38, s1, v36
	v_cvt_u32_f32_e32 v0, v0
	v_rcp_iflag_f32_e32 v1, v1
	v_writelane_b32 v99, s51, 8
	v_cndmask_b32_e64 v63, 0, 1, s[12:13]
	v_add_u32_e32 v40, s0, v38
	v_writelane_b32 v99, s12, 9
	v_add_u32_e32 v42, s1, v40
	v_add_u32_e32 v44, s0, v42
	v_writelane_b32 v99, s13, 10
	v_writelane_b32 v99, s14, 11
	v_add_u32_e32 v46, s1, v44
	v_readfirstlane_b32 s1, v0
	v_mul_f32_e32 v0, 0x4f7ffffe, v1
	v_writelane_b32 v99, s15, 12
	v_cvt_u32_f32_e32 v0, v0
	v_writelane_b32 v99, s24, 13
	v_add_u32_e32 v48, s0, v46
	s_sub_i32 s0, 0, s39
	v_writelane_b32 v99, s25, 14
	s_mul_i32 s0, s0, s1
	v_writelane_b32 v99, s26, 15
	s_mul_hi_u32 s0, s1, s0
	v_writelane_b32 v99, s28, 16
	s_ashr_i32 s27, s38, 31
	s_add_i32 s30, s1, s0
	s_sub_i32 s0, 0, s20
	v_readfirstlane_b32 s1, v0
	v_writelane_b32 v99, s29, 17
	s_mul_i32 s0, s0, s1
	v_writelane_b32 v99, s27, 18
	s_ashr_i32 s31, s11, 31
	s_mul_hi_u32 s0, s1, s0
	v_mbcnt_lo_u32_b32 v0, -1, 0
	v_writelane_b32 v99, s30, 19
	s_add_i32 s34, s1, s0
	v_mbcnt_hi_u32_b32 v0, -1, v0
	v_writelane_b32 v99, s31, 20
	v_mov_b32_e32 v33, 0
	v_mul_lo_u32 v52, s19, v64
	v_and_or_b32 v0, v0, 64, v6
	v_writelane_b32 v99, s34, 21
	v_or_b32_e32 v75, 32, v64
	v_ashrrev_i32_e32 v35, 31, v34
	v_ashrrev_i32_e32 v37, 31, v36
	v_ashrrev_i32_e32 v39, 31, v38
	v_ashrrev_i32_e32 v41, 31, v40
	v_ashrrev_i32_e32 v43, 31, v42
	v_ashrrev_i32_e32 v45, 31, v44
	v_sub_u32_e32 v82, 32, v5
	v_ashrrev_i32_e32 v47, 31, v46
	v_ashrrev_i32_e32 v49, 31, v48
	;; [unrolled: 1-line block ×3, first 2 shown]
	v_mov_b32_e32 v51, v33
	s_lshl_b32 s97, s19, 5
	v_mul_lo_u32 v85, s18, v64
	v_lshlrev_b32_e32 v32, 1, v2
	v_lshlrev_b32_e32 v87, 2, v0
	v_mov_b32_e32 v88, v56
	v_writelane_b32 v99, s38, 22
	v_writelane_b32 v99, s39, 23
	s_branch .LBB341_7
.LBB341_4:                              ;   in Loop: Header=BB341_7 Depth=1
	s_or_b64 exec, exec, s[4:5]
.LBB341_5:                              ;   in Loop: Header=BB341_7 Depth=1
	s_or_b64 exec, exec, s[2:3]
	v_subrev_u32_e32 v88, s10, v88
.LBB341_6:                              ;   in Loop: Header=BB341_7 Depth=1
	s_or_b64 exec, exec, s[0:1]
	s_add_i32 s33, s33, 1
	v_cmp_ge_i32_e32 vcc, s33, v62
	s_cbranch_vccnz .LBB341_51
.LBB341_7:                              ; =>This Loop Header: Depth=1
                                        ;     Child Loop BB341_13 Depth 2
                                        ;       Child Loop BB341_15 Depth 3
                                        ;       Child Loop BB341_18 Depth 3
	;; [unrolled: 1-line block ×3, first 2 shown]
                                        ;     Child Loop BB341_38 Depth 2
                                        ;       Child Loop BB341_40 Depth 3
                                        ;     Child Loop BB341_48 Depth 2
                                        ;       Child Loop BB341_50 Depth 3
	s_abs_i32 s1, s33
	s_mul_hi_u32 s2, s1, s30
	s_mul_i32 s3, s2, s39
	s_ashr_i32 s0, s33, 31
	s_sub_i32 s1, s1, s3
	s_xor_b32 s0, s0, s27
	s_add_i32 s3, s2, 1
	s_sub_i32 s4, s1, s39
	s_cmp_ge_u32 s1, s39
	s_cselect_b32 s2, s3, s2
	s_cselect_b32 s1, s4, s1
	s_add_i32 s3, s2, 1
	s_cmp_ge_u32 s1, s39
	s_cselect_b32 s1, s3, s2
	s_xor_b32 s1, s1, s0
	s_sub_i32 s0, s1, s0
	s_abs_i32 s2, s0
	s_mul_i32 s1, s0, s38
	s_mul_hi_u32 s3, s2, s34
	s_sub_i32 s1, s33, s1
	s_mul_i32 s4, s3, s20
	s_lshl_b32 s52, s1, 7
	s_ashr_i32 s1, s0, 31
	s_sub_i32 s2, s2, s4
	s_xor_b32 s1, s1, s31
	s_add_i32 s4, s3, 1
	s_sub_i32 s5, s2, s20
	s_cmp_ge_u32 s2, s20
	s_cselect_b32 s3, s4, s3
	s_cselect_b32 s2, s5, s2
	s_add_i32 s4, s3, 1
	s_cmp_ge_u32 s2, s20
	s_cselect_b32 s2, s4, s3
	s_xor_b32 s2, s2, s1
	s_sub_i32 s1, s2, s1
	s_mul_i32 s2, s1, s24
	s_lshl_b32 s35, s2, 6
	s_cmp_eq_u32 s1, s25
	s_cselect_b32 s96, s26, s24
	s_sub_i32 s2, s52, s16
	s_add_i32 s53, s2, 0x80
	s_and_saveexec_b64 s[2:3], s[14:15]
	s_xor_b64 s[36:37], exec, s[2:3]
	s_cbranch_execz .LBB341_44
; %bb.8:                                ;   in Loop: Header=BB341_7 Depth=1
	s_mul_i32 s1, s1, s11
	s_sub_i32 s0, s0, s1
	s_lshl_b32 s0, s0, 6
	s_sub_i32 s90, s0, s17
	s_add_i32 s90, s90, 64
	s_max_i32 s1, s90, 0
	s_sub_i32 s54, s0, s1
	s_and_saveexec_b64 s[0:1], s[12:13]
	s_xor_b64 s[4:5], exec, s[0:1]
	s_cbranch_execz .LBB341_34
; %bb.9:                                ;   in Loop: Header=BB341_7 Depth=1
	s_and_saveexec_b64 s[2:3], s[28:29]
	s_cbranch_execz .LBB341_33
; %bb.10:                               ;   in Loop: Header=BB341_7 Depth=1
	global_load_dword v89, v33, s[50:51]
	v_writelane_b32 v99, s2, 24
	v_mov_b32_e32 v31, 0
	v_cmp_gt_i32_e32 vcc, s96, v88
	v_writelane_b32 v99, s3, 25
	v_writelane_b32 v99, s4, 26
	v_mov_b32_e32 v30, v31
	v_mov_b32_e32 v29, v31
	;; [unrolled: 1-line block ×12, first 2 shown]
	s_waitcnt lgkmcnt(1)
	v_mov_b32_e32 v18, v31
	v_mov_b32_e32 v17, v31
	;; [unrolled: 1-line block ×19, first 2 shown]
	v_writelane_b32 v99, s5, 27
	s_and_saveexec_b64 s[0:1], vcc
	s_cbranch_execz .LBB341_23
; %bb.11:                               ;   in Loop: Header=BB341_7 Depth=1
	v_mov_b32_e32 v0, 0
	s_mov_b64 s[2:3], 0
	v_mov_b32_e32 v1, v0
	v_mov_b32_e32 v2, v0
	;; [unrolled: 1-line block ×31, first 2 shown]
	s_branch .LBB341_13
.LBB341_12:                             ;   in Loop: Header=BB341_13 Depth=2
	s_or_b64 exec, exec, s[4:5]
	v_add_u32_e32 v96, 0x800, v93
	ds_read2_b32 v[94:95], v96 offset1:32
	v_add_u32_e32 v88, s23, v88
	s_waitcnt lgkmcnt(0)
	v_mfma_f32_32x32x16_fp8_fp8 v[0:15], v[60:61], v[94:95], v[0:15]
	ds_read2_b32 v[60:61], v96 offset0:128 offset1:160
	s_waitcnt lgkmcnt(0)
	v_mfma_f32_32x32x16_fp8_fp8 v[0:15], v[58:59], v[60:61], v[0:15]
	v_add_u32_e32 v60, 0xc00, v93
	ds_read2_b32 v[58:59], v60 offset1:32
	ds_read2_b32 v[60:61], v60 offset0:128 offset1:160
	ds_write_b32 v91, v92 offset:36876
	s_waitcnt lgkmcnt(2)
	v_mfma_f32_32x32x16_fp8_fp8 v[0:15], v[56:57], v[58:59], v[0:15]
	v_add_u32_e32 v56, s23, v90
	v_add_u32_e32 v57, 2, v63
	v_cmp_lt_i32_e32 vcc, 2, v56
	s_nop 1
	v_cndmask_b32_e32 v63, v63, v57, vcc
	v_cmp_le_i32_e32 vcc, s96, v88
	s_waitcnt lgkmcnt(1)
	v_mfma_f32_32x32x16_fp8_fp8 v[0:15], v[54:55], v[60:61], v[0:15]
	s_or_b64 s[2:3], vcc, s[2:3]
	s_andn2_b64 exec, exec, s[2:3]
	s_cbranch_execz .LBB341_22
.LBB341_13:                             ;   Parent Loop BB341_7 Depth=1
                                        ; =>  This Loop Header: Depth=2
                                        ;       Child Loop BB341_15 Depth 3
                                        ;       Child Loop BB341_18 Depth 3
	;; [unrolled: 1-line block ×3, first 2 shown]
	v_cmp_gt_i32_e32 vcc, 3, v56
	s_nop 1
	v_cndmask_b32_e64 v54, -3, 0, vcc
	v_add_u32_e32 v90, v54, v56
	v_lshlrev_b32_e32 v91, 4, v90
	ds_read_b32 v54, v91 offset:36864
	s_waitcnt lgkmcnt(0)
	v_cmp_ne_u32_e32 vcc, v54, v63
	s_and_saveexec_b64 s[4:5], vcc
	s_cbranch_execz .LBB341_16
; %bb.14:                               ;   in Loop: Header=BB341_13 Depth=2
	s_mov_b64 s[6:7], 0
.LBB341_15:                             ;   Parent Loop BB341_7 Depth=1
                                        ;     Parent Loop BB341_13 Depth=2
                                        ; =>    This Inner Loop Header: Depth=3
	;;#ASMSTART
	s_sleep 0
	;;#ASMEND
	ds_read_b32 v54, v91 offset:36864
	s_waitcnt lgkmcnt(0)
	v_cmp_eq_u32_e32 vcc, v54, v63
	s_or_b64 s[6:7], vcc, s[6:7]
	s_andn2_b64 exec, exec, s[6:7]
	s_cbranch_execnz .LBB341_15
.LBB341_16:                             ;   in Loop: Header=BB341_13 Depth=2
	s_or_b64 exec, exec, s[4:5]
	v_lshl_or_b32 v54, v90, 11, v65
	ds_read2_b32 v[60:61], v54 offset1:32
	ds_read2_b32 v[58:59], v54 offset0:128 offset1:160
	v_add_u32_e32 v54, 0x400, v54
	ds_read2_b32 v[56:57], v54 offset1:32
	ds_read_b32 v93, v91 offset:36868
	ds_read2_b32 v[54:55], v54 offset0:128 offset1:160
	v_add_u32_e32 v92, 1, v63
	ds_write_b32 v91, v92 offset:36864
	s_waitcnt lgkmcnt(2)
	v_cmp_ne_u32_e32 vcc, v93, v63
	s_and_saveexec_b64 s[4:5], vcc
	s_cbranch_execz .LBB341_19
; %bb.17:                               ;   in Loop: Header=BB341_13 Depth=2
	s_mov_b64 s[6:7], 0
.LBB341_18:                             ;   Parent Loop BB341_7 Depth=1
                                        ;     Parent Loop BB341_13 Depth=2
                                        ; =>    This Inner Loop Header: Depth=3
	;;#ASMSTART
	s_sleep 0
	;;#ASMEND
	ds_read_b32 v93, v91 offset:36868
	s_waitcnt lgkmcnt(0)
	v_cmp_eq_u32_e32 vcc, v93, v63
	s_or_b64 s[6:7], vcc, s[6:7]
	s_andn2_b64 exec, exec, s[6:7]
	s_cbranch_execnz .LBB341_18
.LBB341_19:                             ;   in Loop: Header=BB341_13 Depth=2
	s_or_b64 exec, exec, s[4:5]
	v_lshlrev_b32_e32 v93, 12, v90
	v_add_u32_e32 v93, v66, v93
	ds_read2_b32 v[94:95], v93 offset1:32
	v_add_u32_e32 v96, 0x400, v93
	ds_write_b32 v91, v92 offset:36868
	s_waitcnt lgkmcnt(1)
	v_mfma_f32_32x32x16_fp8_fp8 v[16:31], v[60:61], v[94:95], v[16:31]
	ds_read2_b32 v[94:95], v93 offset0:128 offset1:160
	s_waitcnt lgkmcnt(0)
	v_mfma_f32_32x32x16_fp8_fp8 v[16:31], v[58:59], v[94:95], v[16:31]
	ds_read2_b32 v[94:95], v96 offset1:32
	s_waitcnt lgkmcnt(0)
	v_mfma_f32_32x32x16_fp8_fp8 v[16:31], v[56:57], v[94:95], v[16:31]
	ds_read2_b32 v[94:95], v96 offset0:128 offset1:160
	ds_read_b32 v96, v91 offset:36876
	s_waitcnt lgkmcnt(0)
	v_cmp_ne_u32_e32 vcc, v96, v63
	v_mfma_f32_32x32x16_fp8_fp8 v[16:31], v[54:55], v[94:95], v[16:31]
	s_and_saveexec_b64 s[4:5], vcc
	s_cbranch_execz .LBB341_12
; %bb.20:                               ;   in Loop: Header=BB341_13 Depth=2
	s_mov_b64 s[6:7], 0
.LBB341_21:                             ;   Parent Loop BB341_7 Depth=1
                                        ;     Parent Loop BB341_13 Depth=2
                                        ; =>    This Inner Loop Header: Depth=3
	;;#ASMSTART
	s_sleep 0
	;;#ASMEND
	ds_read_b32 v94, v91 offset:36876
	s_waitcnt lgkmcnt(0)
	v_cmp_eq_u32_e32 vcc, v94, v63
	s_or_b64 s[6:7], vcc, s[6:7]
	s_andn2_b64 exec, exec, s[6:7]
	s_cbranch_execnz .LBB341_21
	s_branch .LBB341_12
.LBB341_22:                             ;   in Loop: Header=BB341_7 Depth=1
	s_or_b64 exec, exec, s[2:3]
.LBB341_23:                             ;   in Loop: Header=BB341_7 Depth=1
	v_writelane_b32 v99, s54, 28
	s_nop 1
	v_writelane_b32 v99, s55, 29
	v_writelane_b32 v99, s36, 30
	s_nop 1
	v_writelane_b32 v99, s37, 31
	v_writelane_b32 v99, s53, 32
	;; [unrolled: 1-line block ×4, first 2 shown]
	s_or_b64 exec, exec, s[0:1]
	v_cmp_le_i32_e32 vcc, s90, v64
	v_cmp_eq_u32_e64 s[86:87], 1, v67
	v_cmp_eq_u32_e64 s[50:51], 2, v67
	s_waitcnt vmcnt(0)
	v_cndmask_b32_e32 v54, 0, v89, vcc
	v_pk_mul_f32 v[16:17], v[54:55], v[16:17] op_sel_hi:[0,1]
	v_pk_mul_f32 v[30:31], v[54:55], v[30:31] op_sel_hi:[0,1]
	;; [unrolled: 1-line block ×8, first 2 shown]
	v_cndmask_b32_e64 v54, v16, v17, s[86:87]
	v_cndmask_b32_e64 v54, v54, v18, s[50:51]
	v_cmp_eq_u32_e64 s[54:55], 3, v67
	v_cmp_eq_u32_e64 s[56:57], 4, v67
	v_cmp_eq_u32_e64 s[60:61], 5, v67
	v_cndmask_b32_e64 v54, v54, v19, s[54:55]
	v_cndmask_b32_e64 v54, v54, v20, s[56:57]
	v_cndmask_b32_e64 v54, v54, v21, s[60:61]
	v_cmp_eq_u32_e64 s[64:65], 6, v67
	v_cmp_eq_u32_e64 s[68:69], 7, v67
	v_cmp_eq_u32_e64 s[72:73], 8, v67
	v_cndmask_b32_e64 v54, v54, v22, s[64:65]
	;; [unrolled: 6-line block ×5, first 2 shown]
	ds_bpermute_b32 v54, v87, v54
	v_cmp_eq_u32_e64 s[26:27], 2, v68
	v_cmp_eq_u32_e64 s[28:29], 3, v68
	;; [unrolled: 1-line block ×4, first 2 shown]
	s_waitcnt lgkmcnt(0)
	v_cndmask_b32_e64 v17, v17, v54, s[86:87]
	v_cndmask_b32_e64 v16, v16, v54, s[70:71]
	;; [unrolled: 1-line block ×12, first 2 shown]
	v_cmp_eq_u32_e64 s[36:37], 6, v68
	v_cndmask_b32_e64 v57, v23, v54, s[68:69]
	v_cmp_eq_u32_e64 s[38:39], 7, v68
	v_cndmask_b32_e64 v19, v19, v58, s[36:37]
	v_cndmask_b32_e64 v55, v24, v54, s[72:73]
	v_cndmask_b32_e64 v19, v19, v57, s[38:39]
	v_cmp_eq_u32_e64 s[42:43], 8, v68
	v_cndmask_b32_e64 v25, v25, v54, s[76:77]
	v_cmp_eq_u32_e64 s[44:45], 9, v68
	v_cndmask_b32_e64 v19, v19, v55, s[42:43]
	v_cndmask_b32_e64 v26, v26, v54, s[78:79]
	v_cndmask_b32_e64 v19, v19, v25, s[44:45]
	;; [unrolled: 6-line block ×4, first 2 shown]
	v_cmp_eq_u32_e64 s[62:63], 14, v68
	v_cndmask_b32_e64 v31, v31, v54, s[88:89]
	v_cmp_eq_u32_e64 s[66:67], 15, v68
	v_cndmask_b32_e64 v19, v19, v30, s[62:63]
	v_cmp_le_i32_e64 s[90:91], s90, v75
	v_cndmask_b32_e64 v19, v19, v31, s[66:67]
	ds_bpermute_b32 v54, v87, v19
	v_cmp_eq_u32_e64 s[40:41], 0, v68
	v_cmp_eq_u32_e64 s[2:3], 1, v69
	;; [unrolled: 1-line block ×4, first 2 shown]
	s_waitcnt lgkmcnt(0)
	v_cndmask_b32_e64 v22, v28, v54, s[52:53]
	v_cndmask_b32_e64 v28, v58, v54, s[36:37]
	;; [unrolled: 1-line block ×3, first 2 shown]
	v_pk_mul_f32 v[0:1], v[58:59], v[0:1] op_sel_hi:[0,1]
	v_cndmask_b32_e64 v24, v26, v54, s[46:47]
	v_cndmask_b32_e64 v26, v55, v54, s[42:43]
	v_pk_mul_f32 v[2:3], v[58:59], v[2:3] op_sel_hi:[0,1]
	v_cndmask_b32_e64 v55, v0, v1, s[86:87]
	v_cndmask_b32_e64 v55, v55, v2, s[50:51]
	;; [unrolled: 3-line block ×6, first 2 shown]
	v_cndmask_b32_e64 v17, v17, v54, s[24:25]
	v_cndmask_b32_e64 v16, v16, v54, s[40:41]
	v_pk_mul_f32 v[12:13], v[58:59], v[12:13] op_sel_hi:[0,1]
	v_cndmask_b32_e64 v55, v55, v11, s[74:75]
	v_cndmask_b32_e64 v19, v31, v54, s[66:67]
	;; [unrolled: 1-line block ×14, first 2 shown]
	v_pk_mul_f32 v[14:15], v[58:59], v[14:15] op_sel_hi:[0,1]
	v_cndmask_b32_e64 v55, v55, v13, s[82:83]
	v_cndmask_b32_e64 v54, v54, v31, s[98:99]
	v_cmp_eq_u32_e64 s[10:11], 4, v69
	v_cndmask_b32_e64 v55, v55, v14, s[84:85]
	v_cmp_eq_u32_e64 s[12:13], 5, v69
	v_cndmask_b32_e64 v54, v54, v30, s[10:11]
	v_cndmask_b32_e64 v55, v55, v15, s[88:89]
	;; [unrolled: 1-line block ×3, first 2 shown]
	v_cmp_eq_u32_e64 s[14:15], 6, v69
	ds_bpermute_b32 v55, v87, v55
	v_cmp_eq_u32_e64 s[8:9], 7, v69
	v_cndmask_b32_e64 v54, v54, v28, s[14:15]
	v_cmp_eq_u32_e64 s[6:7], 8, v69
	v_cndmask_b32_e64 v54, v54, v27, s[8:9]
	;; [unrolled: 2-line block ×3, first 2 shown]
	v_cmp_eq_u32_e32 vcc, 10, v69
	v_cndmask_b32_e64 v54, v54, v25, s[4:5]
	v_cmp_eq_u32_e64 s[86:87], 11, v69
	v_cndmask_b32_e32 v54, v54, v24, vcc
	s_waitcnt lgkmcnt(0)
	v_cndmask_b32_e64 v2, v2, v55, s[50:51]
	v_cmp_ne_u32_e64 s[50:51], 0, v67
	v_cndmask_b32_e64 v54, v54, v23, s[86:87]
	v_cmp_eq_u32_e64 s[90:91], 12, v69
	v_cndmask_b32_e64 v1, v1, v55, s[50:51]
	v_cndmask_b32_e64 v0, v0, v55, s[70:71]
	v_cndmask_b32_e64 v54, v54, v22, s[90:91]
	v_cndmask_b32_e64 v15, v15, v55, s[88:89]
	v_cmp_eq_u32_e64 s[88:89], 13, v69
	v_cndmask_b32_e64 v14, v14, v55, s[84:85]
	v_cndmask_b32_e64 v13, v13, v55, s[82:83]
	;; [unrolled: 1-line block ×14, first 2 shown]
	v_cmp_eq_u32_e64 s[84:85], 14, v69
	v_cndmask_b32_e64 v55, v55, v2, s[26:27]
	v_cmp_eq_u32_e64 s[82:83], 15, v69
	v_cndmask_b32_e64 v54, v54, v20, s[84:85]
	v_cndmask_b32_e64 v55, v55, v3, s[28:29]
	;; [unrolled: 1-line block ×4, first 2 shown]
	ds_bpermute_b32 v54, v87, v54
	v_cndmask_b32_e64 v55, v55, v5, s[34:35]
	v_cndmask_b32_e64 v55, v55, v6, s[36:37]
	;; [unrolled: 1-line block ×4, first 2 shown]
	v_cmp_eq_u32_e64 s[80:81], 0, v69
	v_cndmask_b32_e64 v55, v55, v9, s[44:45]
	s_waitcnt lgkmcnt(0)
	v_cndmask_b32_e64 v17, v17, v54, s[2:3]
	v_cndmask_b32_e64 v16, v16, v54, s[80:81]
	v_cmp_eq_u32_e64 s[74:75], 1, v70
	v_cndmask_b32_e64 v55, v55, v10, s[46:47]
	v_cndmask_b32_e64 v19, v19, v54, s[82:83]
	;; [unrolled: 1-line block ×6, first 2 shown]
	v_cndmask_b32_e32 v24, v24, v54, vcc
	v_cndmask_b32_e64 v25, v25, v54, s[4:5]
	v_cndmask_b32_e64 v26, v26, v54, s[6:7]
	;; [unrolled: 1-line block ×9, first 2 shown]
	v_cmp_eq_u32_e64 s[78:79], 2, v70
	v_cndmask_b32_e64 v55, v55, v11, s[48:49]
	v_cmp_eq_u32_e64 s[76:77], 3, v70
	v_cndmask_b32_e64 v54, v54, v18, s[78:79]
	v_cndmask_b32_e64 v55, v55, v12, s[52:53]
	;; [unrolled: 1-line block ×3, first 2 shown]
	v_cmp_eq_u32_e64 s[72:73], 4, v70
	v_cndmask_b32_e64 v55, v55, v13, s[58:59]
	v_cmp_eq_u32_e64 s[68:69], 5, v70
	v_cndmask_b32_e64 v54, v54, v30, s[72:73]
	v_cndmask_b32_e64 v55, v55, v14, s[62:63]
	;; [unrolled: 1-line block ×3, first 2 shown]
	v_cmp_eq_u32_e64 s[64:65], 6, v70
	v_cndmask_b32_e64 v55, v55, v15, s[66:67]
	v_cmp_eq_u32_e64 s[60:61], 7, v70
	v_cndmask_b32_e64 v54, v54, v28, s[64:65]
	ds_bpermute_b32 v55, v87, v55
	v_cndmask_b32_e64 v54, v54, v27, s[60:61]
	v_cmp_eq_u32_e64 s[56:57], 8, v70
	v_cmp_eq_u32_e64 s[54:55], 9, v70
	;; [unrolled: 1-line block ×3, first 2 shown]
	v_cndmask_b32_e64 v54, v54, v26, s[56:57]
	v_cndmask_b32_e64 v54, v54, v25, s[54:55]
	;; [unrolled: 1-line block ×3, first 2 shown]
	v_cmp_eq_u32_e64 s[70:71], 11, v70
	s_waitcnt lgkmcnt(0)
	v_cndmask_b32_e64 v15, v15, v55, s[66:67]
	v_cmp_eq_u32_e64 s[66:67], 12, v70
	v_cndmask_b32_e64 v54, v54, v23, s[70:71]
	v_cndmask_b32_e64 v14, v14, v55, s[62:63]
	;; [unrolled: 1-line block ×3, first 2 shown]
	v_cmp_eq_u32_e64 s[62:63], 13, v70
	v_cndmask_b32_e64 v1, v1, v55, s[24:25]
	v_cndmask_b32_e64 v0, v0, v55, s[40:41]
	;; [unrolled: 1-line block ×4, first 2 shown]
	v_cmp_eq_u32_e64 s[92:93], 14, v70
	v_cndmask_b32_e64 v12, v12, v55, s[52:53]
	v_cndmask_b32_e64 v11, v11, v55, s[48:49]
	;; [unrolled: 1-line block ×13, first 2 shown]
	v_cmp_eq_u32_e64 s[94:95], 15, v70
	v_cndmask_b32_e64 v55, v55, v2, s[0:1]
	v_cndmask_b32_e64 v55, v55, v3, s[98:99]
	;; [unrolled: 1-line block ×3, first 2 shown]
	ds_bpermute_b32 v54, v87, v54
	v_cndmask_b32_e64 v55, v55, v4, s[10:11]
	v_cndmask_b32_e64 v55, v55, v5, s[12:13]
	;; [unrolled: 1-line block ×3, first 2 shown]
	v_cmp_eq_u32_e64 s[48:49], 0, v70
	v_cndmask_b32_e64 v55, v55, v7, s[8:9]
	v_cndmask_b32_e64 v55, v55, v8, s[6:7]
	v_writelane_b32 v99, s48, 35
	s_waitcnt lgkmcnt(0)
	v_cndmask_b32_e64 v17, v17, v54, s[74:75]
	v_cndmask_b32_e64 v55, v55, v9, s[4:5]
	v_writelane_b32 v99, s49, 36
	v_cndmask_b32_e64 v16, v16, v54, s[48:49]
	v_cmp_eq_u32_e64 s[48:49], 1, v71
	v_cndmask_b32_e64 v19, v19, v54, s[94:95]
	v_cndmask_b32_e64 v20, v20, v54, s[92:93]
	;; [unrolled: 1-line block ×15, first 2 shown]
	v_cmp_eq_u32_e64 s[44:45], 2, v71
	v_cndmask_b32_e32 v55, v55, v10, vcc
	v_cmp_eq_u32_e64 s[46:47], 3, v71
	v_cndmask_b32_e64 v54, v54, v18, s[44:45]
	v_cndmask_b32_e64 v55, v55, v11, s[86:87]
	s_mov_b64 s[52:53], s[44:45]
	v_cndmask_b32_e64 v54, v54, v31, s[46:47]
	v_cmp_eq_u32_e64 s[44:45], 4, v71
	v_cndmask_b32_e64 v55, v55, v12, s[90:91]
	v_cmp_eq_u32_e64 s[42:43], 5, v71
	v_cndmask_b32_e64 v54, v54, v30, s[44:45]
	v_cndmask_b32_e64 v55, v55, v13, s[88:89]
	;; [unrolled: 1-line block ×3, first 2 shown]
	v_cmp_eq_u32_e64 s[38:39], 6, v71
	v_cndmask_b32_e64 v55, v55, v14, s[84:85]
	v_cmp_eq_u32_e64 s[36:37], 7, v71
	v_cndmask_b32_e64 v54, v54, v28, s[38:39]
	v_cndmask_b32_e64 v55, v55, v15, s[82:83]
	;; [unrolled: 1-line block ×3, first 2 shown]
	v_cmp_eq_u32_e64 s[34:35], 8, v71
	ds_bpermute_b32 v55, v87, v55
	v_cmp_eq_u32_e64 s[30:31], 9, v71
	v_cndmask_b32_e64 v54, v54, v26, s[34:35]
	v_cmp_eq_u32_e64 s[26:27], 10, v71
	v_cndmask_b32_e64 v54, v54, v25, s[30:31]
	v_cmp_eq_u32_e64 s[40:41], 11, v71
	v_cndmask_b32_e64 v54, v54, v24, s[26:27]
	v_cmp_eq_u32_e64 s[58:59], 12, v71
	v_cndmask_b32_e64 v54, v54, v23, s[40:41]
	s_waitcnt lgkmcnt(0)
	v_cndmask_b32_e64 v15, v15, v55, s[82:83]
	v_cndmask_b32_e64 v54, v54, v22, s[58:59]
	v_cmp_eq_u32_e64 s[82:83], 13, v71
	v_cndmask_b32_e64 v14, v14, v55, s[84:85]
	v_cmp_eq_u32_e64 s[84:85], 14, v71
	v_cndmask_b32_e64 v54, v54, v21, s[82:83]
	v_cndmask_b32_e64 v12, v12, v55, s[90:91]
	;; [unrolled: 1-line block ×3, first 2 shown]
	v_cmp_eq_u32_e64 s[90:91], 15, v71
	v_cndmask_b32_e64 v1, v1, v55, s[2:3]
	v_cndmask_b32_e64 v0, v0, v55, s[80:81]
	;; [unrolled: 1-line block ×5, first 2 shown]
	v_cndmask_b32_e32 v10, v10, v55, vcc
	v_cndmask_b32_e64 v9, v9, v55, s[4:5]
	v_cndmask_b32_e64 v8, v8, v55, s[6:7]
	;; [unrolled: 1-line block ×9, first 2 shown]
	ds_bpermute_b32 v54, v87, v54
	v_cndmask_b32_e64 v55, v55, v2, s[78:79]
	v_cndmask_b32_e64 v55, v55, v3, s[76:77]
	;; [unrolled: 1-line block ×4, first 2 shown]
	v_writelane_b32 v99, s52, 37
	v_cndmask_b32_e64 v55, v55, v6, s[64:65]
	v_cndmask_b32_e64 v55, v55, v7, s[60:61]
	v_writelane_b32 v99, s53, 38
	s_waitcnt lgkmcnt(0)
	v_cndmask_b32_e64 v18, v18, v54, s[52:53]
	v_cmp_eq_u32_e64 s[52:53], 0, v71
	v_cndmask_b32_e64 v17, v17, v54, s[48:49]
	v_cmp_eq_u32_e64 s[28:29], 1, v72
	v_writelane_b32 v99, s52, 39
	v_cndmask_b32_e64 v55, v55, v8, s[56:57]
	v_cndmask_b32_e64 v19, v19, v54, s[90:91]
	;; [unrolled: 1-line block ×16, first 2 shown]
	v_cmp_eq_u32_e64 s[24:25], 2, v72
	v_cndmask_b32_e64 v55, v55, v9, s[54:55]
	v_writelane_b32 v99, s53, 40
	v_cndmask_b32_e64 v54, v54, v18, s[24:25]
	v_cmp_eq_u32_e64 s[52:53], 3, v72
	v_cndmask_b32_e64 v55, v55, v10, s[50:51]
	v_cmp_eq_u32_e64 s[4:5], 4, v72
	v_cndmask_b32_e64 v54, v54, v31, s[52:53]
	v_cndmask_b32_e64 v55, v55, v11, s[70:71]
	v_cndmask_b32_e64 v54, v54, v30, s[4:5]
	v_cmp_eq_u32_e64 s[14:15], 5, v72
	v_cndmask_b32_e64 v55, v55, v12, s[66:67]
	v_cmp_eq_u32_e64 s[12:13], 6, v72
	v_cndmask_b32_e64 v54, v54, v29, s[14:15]
	v_cndmask_b32_e64 v55, v55, v13, s[62:63]
	;; [unrolled: 6-line block ×3, first 2 shown]
	v_cndmask_b32_e64 v54, v54, v26, s[8:9]
	v_cmp_eq_u32_e64 s[6:7], 9, v72
	ds_bpermute_b32 v55, v87, v55
	v_cmp_eq_u32_e32 vcc, 10, v72
	v_cndmask_b32_e64 v54, v54, v25, s[6:7]
	v_cmp_eq_u32_e64 s[80:81], 11, v72
	v_cndmask_b32_e32 v54, v54, v24, vcc
	v_cmp_eq_u32_e64 s[86:87], 12, v72
	v_cndmask_b32_e64 v54, v54, v23, s[80:81]
	v_cmp_eq_u32_e64 s[88:89], 13, v72
	v_cndmask_b32_e64 v54, v54, v22, s[86:87]
	s_waitcnt lgkmcnt(0)
	v_cndmask_b32_e64 v13, v13, v55, s[62:63]
	v_cndmask_b32_e64 v54, v54, v21, s[88:89]
	v_cmp_eq_u32_e64 s[62:63], 14, v72
	v_cndmask_b32_e64 v12, v12, v55, s[66:67]
	v_cmp_eq_u32_e64 s[66:67], 15, v72
	v_cndmask_b32_e64 v54, v54, v20, s[62:63]
	v_readlane_b32 s0, v99, 35
	v_cndmask_b32_e64 v54, v54, v19, s[66:67]
	ds_bpermute_b32 v54, v87, v54
	v_cndmask_b32_e64 v14, v14, v55, s[92:93]
	s_mov_b64 s[92:93], s[24:25]
	s_mov_b64 s[2:3], s[28:29]
	v_cndmask_b32_e64 v57, v11, v55, s[70:71]
	v_cmp_eq_u32_e64 s[70:71], 0, v72
	v_readlane_b32 s1, v99, 36
	v_cndmask_b32_e64 v15, v15, v55, s[94:95]
	s_waitcnt lgkmcnt(0)
	v_cndmask_b32_e64 v19, v19, v54, s[66:67]
	v_cndmask_b32_e64 v20, v20, v54, s[62:63]
	v_cndmask_b32_e64 v21, v21, v54, s[88:89]
	v_cndmask_b32_e64 v22, v22, v54, s[86:87]
	v_cndmask_b32_e64 v23, v23, v54, s[80:81]
	v_cndmask_b32_e32 v24, v24, v54, vcc
	v_cndmask_b32_e64 v25, v25, v54, s[6:7]
	v_cndmask_b32_e64 v26, v26, v54, s[8:9]
	;; [unrolled: 1-line block ×21, first 2 shown]
	s_mov_b64 s[0:1], s[48:49]
	v_readlane_b32 s94, v99, 37
	v_cndmask_b32_e64 v0, v55, v93, s[0:1]
	v_readlane_b32 s95, v99, 38
	v_cmp_eq_u32_e64 s[50:51], 1, v73
	v_cmp_eq_u32_e64 s[54:55], 2, v73
	v_cndmask_b32_e64 v0, v0, v92, s[94:95]
	v_cndmask_b32_e64 v0, v0, v91, s[46:47]
	;; [unrolled: 1-line block ×12, first 2 shown]
	v_cmp_eq_u32_e64 s[56:57], 3, v73
	v_cndmask_b32_e64 v0, v0, v12, s[58:59]
	v_cmp_eq_u32_e64 s[60:61], 4, v73
	v_cndmask_b32_e64 v8, v9, v31, s[56:57]
	v_cndmask_b32_e64 v0, v0, v13, s[82:83]
	v_cndmask_b32_e64 v7, v8, v30, s[60:61]
	v_cmp_eq_u32_e64 s[64:65], 5, v73
	v_cndmask_b32_e64 v0, v0, v14, s[84:85]
	v_cmp_eq_u32_e64 s[68:69], 6, v73
	v_cndmask_b32_e64 v6, v7, v29, s[64:65]
	v_cndmask_b32_e64 v0, v0, v15, s[90:91]
	;; [unrolled: 1-line block ×3, first 2 shown]
	v_cmp_eq_u32_e64 s[72:73], 7, v73
	ds_bpermute_b32 v94, v87, v0
	v_cmp_eq_u32_e64 s[76:77], 8, v73
	v_cndmask_b32_e64 v4, v5, v27, s[72:73]
	v_cmp_eq_u32_e64 s[78:79], 9, v73
	v_cndmask_b32_e64 v3, v4, v26, s[76:77]
	;; [unrolled: 2-line block ×4, first 2 shown]
	s_waitcnt lgkmcnt(0)
	v_cndmask_b32_e64 v95, v15, v94, s[90:91]
	v_cndmask_b32_e64 v0, v0, v23, s[74:75]
	v_cmp_eq_u32_e64 s[90:91], 12, v73
	v_cndmask_b32_e64 v96, v14, v94, s[84:85]
	v_cmp_eq_u32_e64 s[84:85], 13, v73
	v_cndmask_b32_e64 v0, v0, v22, s[90:91]
	v_cndmask_b32_e64 v97, v13, v94, s[82:83]
	;; [unrolled: 1-line block ×3, first 2 shown]
	v_cmp_eq_u32_e64 s[82:83], 14, v73
	v_cndmask_b32_e64 v98, v12, v94, s[58:59]
	v_cmp_eq_u32_e64 s[58:59], 15, v73
	v_cndmask_b32_e64 v0, v0, v20, s[82:83]
	;; [unrolled: 2-line block ×3, first 2 shown]
	ds_bpermute_b32 v1, v87, v0
	v_cmp_eq_u32_e64 s[28:29], 3, v74
	s_waitcnt lgkmcnt(0)
	v_cndmask_b32_e64 v10, v27, v1, s[72:73]
	v_cndmask_b32_e64 v27, v93, v94, s[0:1]
	v_readlane_b32 s0, v99, 39
	v_readlane_b32 s1, v99, 40
	v_cndmask_b32_e64 v11, v28, v1, s[68:69]
	v_cndmask_b32_e64 v9, v26, v1, s[76:77]
	v_cndmask_b32_e64 v28, v55, v94, s[0:1]
	s_mov_b64 s[0:1], s[2:3]
	v_cndmask_b32_e64 v12, v29, v1, s[64:65]
	v_cndmask_b32_e64 v26, v92, v94, s[94:95]
	v_cndmask_b32_e64 v29, v28, v27, s[0:1]
	s_mov_b64 s[2:3], s[92:93]
	;; [unrolled: 4-line block ×3, first 2 shown]
	v_cndmask_b32_e64 v7, v24, v1, s[48:49]
	v_cndmask_b32_e64 v24, v90, v94, s[44:45]
	;; [unrolled: 1-line block ×18, first 2 shown]
	v_cmp_eq_u32_e64 s[40:41], 0, v73
	v_cndmask_b32_e64 v19, v58, v94, s[30:31]
	v_cndmask_b32_e64 v29, v29, v20, s[8:9]
	;; [unrolled: 1-line block ×8, first 2 shown]
	v_cndmask_b32_e32 v29, v29, v16, vcc
	v_cndmask_b32_e64 v29, v29, v17, s[80:81]
	v_cndmask_b32_e64 v29, v29, v98, s[86:87]
	;; [unrolled: 1-line block ×5, first 2 shown]
	ds_bpermute_b32 v29, v87, v29
	v_cndmask_b32_e64 v18, v1, v0, s[24:25]
	v_cmp_eq_u32_e64 s[26:27], 2, v74
	v_cmp_eq_u32_e64 s[30:31], 4, v74
	;; [unrolled: 1-line block ×3, first 2 shown]
	s_waitcnt lgkmcnt(0)
	v_cndmask_b32_e64 v92, v27, v29, s[0:1]
	v_cndmask_b32_e64 v93, v28, v29, s[70:71]
	;; [unrolled: 1-line block ×18, first 2 shown]
	v_cndmask_b32_e32 v16, v16, v29, vcc
	v_cndmask_b32_e64 v19, v19, v57, s[78:79]
	v_cndmask_b32_e64 v17, v17, v29, s[80:81]
	;; [unrolled: 1-line block ×12, first 2 shown]
	ds_bpermute_b32 v94, v87, v19
	v_cndmask_b32_e64 v18, v18, v15, s[26:27]
	v_cndmask_b32_e64 v18, v18, v14, s[28:29]
	;; [unrolled: 1-line block ×4, first 2 shown]
	s_waitcnt lgkmcnt(0)
	v_cndmask_b32_e64 v23, v17, v94, s[74:75]
	v_cndmask_b32_e64 v24, v16, v94, s[48:49]
	v_cndmask_b32_e64 v16, v92, v94, s[50:51]
	v_cndmask_b32_e64 v17, v93, v94, s[40:41]
	v_cndmask_b32_e64 v21, v54, v94, s[84:85]
	v_cndmask_b32_e64 v22, v55, v94, s[90:91]
	v_cndmask_b32_e64 v54, v91, v94, s[54:55]
	v_cndmask_b32_e64 v55, v17, v16, s[24:25]
	v_cndmask_b32_e64 v20, v31, v94, s[82:83]
	v_cndmask_b32_e64 v31, v90, v94, s[56:57]
	v_cndmask_b32_e64 v55, v55, v54, s[26:27]
	v_cndmask_b32_e64 v19, v30, v94, s[58:59]
	v_cndmask_b32_e64 v30, v89, v94, s[60:61]
	v_cndmask_b32_e64 v55, v55, v31, s[28:29]
	v_cndmask_b32_e64 v29, v61, v94, s[64:65]
	v_cndmask_b32_e64 v55, v55, v30, s[30:31]
	v_cmp_eq_u32_e64 s[36:37], 6, v74
	v_cndmask_b32_e64 v28, v60, v94, s[68:69]
	v_cndmask_b32_e64 v55, v55, v29, s[34:35]
	v_cndmask_b32_e64 v18, v18, v11, s[36:37]
	v_cmp_eq_u32_e64 s[38:39], 7, v74
	v_cndmask_b32_e64 v27, v59, v94, s[72:73]
	v_cndmask_b32_e64 v55, v55, v28, s[36:37]
	v_cndmask_b32_e64 v18, v18, v10, s[38:39]
	;; [unrolled: 4-line block ×4, first 2 shown]
	v_cmp_eq_u32_e64 s[46:47], 10, v74
	v_cndmask_b32_e64 v55, v55, v25, s[44:45]
	v_cmp_eq_u32_e64 s[52:53], 11, v74
	v_cndmask_b32_e64 v18, v18, v7, s[46:47]
	v_cndmask_b32_e64 v55, v55, v24, s[46:47]
	;; [unrolled: 1-line block ×3, first 2 shown]
	v_cmp_eq_u32_e64 s[66:67], 12, v74
	v_cndmask_b32_e64 v55, v55, v23, s[52:53]
	v_cmp_eq_u32_e64 s[62:63], 13, v74
	v_cndmask_b32_e64 v18, v18, v5, s[66:67]
	v_cndmask_b32_e64 v55, v55, v22, s[66:67]
	;; [unrolled: 1-line block ×3, first 2 shown]
	v_cmp_eq_u32_e32 vcc, 14, v74
	v_cndmask_b32_e64 v55, v55, v21, s[62:63]
	v_cmp_eq_u32_e64 s[6:7], 15, v74
	v_cndmask_b32_e32 v18, v18, v3, vcc
	v_cndmask_b32_e32 v55, v55, v20, vcc
	v_cndmask_b32_e64 v18, v18, v2, s[6:7]
	v_cndmask_b32_e64 v55, v55, v19, s[6:7]
	ds_bpermute_b32 v18, v87, v18
	ds_bpermute_b32 v58, v87, v55
	v_readlane_b32 s53, v99, 32
	s_nop 1
	v_cmp_lt_i32_e32 vcc, s53, v76
	s_and_saveexec_b64 s[40:41], vcc
	v_readlane_b32 s44, v99, 1
	v_readlane_b32 s45, v99, 2
	;; [unrolled: 1-line block ×11, first 2 shown]
	s_cbranch_execz .LBB341_32
; %bb.24:                               ;   in Loop: Header=BB341_7 Depth=1
	s_mul_i32 s0, s52, s17
	s_ashr_i32 s1, s0, 31
	s_lshl_b64 s[0:1], s[0:1], 1
	s_add_u32 s2, s48, s0
	v_cmp_eq_u32_e64 s[34:35], 1, v74
	v_cmp_eq_u32_e64 s[36:37], 0, v74
	s_addc_u32 s3, s49, s1
	s_ashr_i32 s55, s54, 31
	s_waitcnt lgkmcnt(1)
	v_cndmask_b32_e64 v55, v0, v18, s[34:35]
	v_cndmask_b32_e64 v57, v1, v18, s[36:37]
	s_lshl_b64 s[0:1], s[54:55], 1
	s_waitcnt lgkmcnt(0)
	v_cndmask_b32_e64 v59, v16, v58, s[34:35]
	v_cndmask_b32_e64 v60, v17, v58, s[36:37]
	v_cvt_f16_f32_e32 v57, v57
	v_cvt_f16_f32_sdwa v55, v55 dst_sel:WORD_1 dst_unused:UNUSED_PAD src0_sel:DWORD
	s_add_u32 s42, s2, s0
	v_cvt_f16_f32_e32 v60, v60
	v_cvt_f16_f32_sdwa v59, v59 dst_sel:WORD_1 dst_unused:UNUSED_PAD src0_sel:DWORD
	s_addc_u32 s43, s3, s1
	v_lshl_add_u64 v[0:1], s[42:43], 0, v[32:33]
	v_cmp_eq_u32_e32 vcc, 15, v74
	v_cmp_eq_u32_e64 s[6:7], 14, v74
	v_cmp_eq_u32_e64 s[8:9], 13, v74
	;; [unrolled: 1-line block ×13, first 2 shown]
	v_lshl_add_u64 v[16:17], v[34:35], 1, v[0:1]
	v_or_b32_e32 v55, v55, v57
	v_cmp_lt_i32_e64 s[34:35], s53, v77
	;;#ASMSTART
	global_atomic_pk_add_f16 v[16:17], v55, off
	
	;;#ASMEND
	v_lshl_add_u64 v[16:17], v[16:17], 0, 64
	v_or_b32_e32 v55, v59, v60
	;;#ASMSTART
	global_atomic_pk_add_f16 v[16:17], v55, off
	
	;;#ASMEND
	s_and_b64 exec, exec, s[34:35]
	s_cbranch_execz .LBB341_32
; %bb.25:                               ;   in Loop: Header=BB341_7 Depth=1
	v_cndmask_b32_e32 v2, v2, v18, vcc
	v_cndmask_b32_e64 v3, v3, v18, s[6:7]
	v_cndmask_b32_e64 v16, v4, v18, s[8:9]
	;; [unrolled: 1-line block ×19, first 2 shown]
	v_cvt_f16_f32_e32 v22, v18
	v_cvt_f16_f32_sdwa v23, v92 dst_sel:WORD_1 dst_unused:UNUSED_PAD src0_sel:DWORD
	v_cvt_f16_f32_e32 v21, v21
	v_cvt_f16_f32_sdwa v20, v20 dst_sel:WORD_1 dst_unused:UNUSED_PAD src0_sel:DWORD
	v_cndmask_b32_e32 v4, v19, v58, vcc
	v_cndmask_b32_e64 v9, v24, v58, s[14:15]
	v_cndmask_b32_e64 v10, v25, v58, s[0:1]
	;; [unrolled: 1-line block ×7, first 2 shown]
	v_lshl_add_u64 v[18:19], v[36:37], 1, v[0:1]
	v_cmp_lt_i32_e32 vcc, s53, v78
	v_or_b32_e32 v22, v23, v22
	;;#ASMSTART
	global_atomic_pk_add_f16 v[18:19], v22, off
	
	;;#ASMEND
	v_lshl_add_u64 v[18:19], v[18:19], 0, 64
	v_or_b32_e32 v20, v20, v21
	;;#ASMSTART
	global_atomic_pk_add_f16 v[18:19], v20, off
	
	;;#ASMEND
	s_and_b64 exec, exec, vcc
	s_cbranch_execz .LBB341_32
; %bb.26:                               ;   in Loop: Header=BB341_7 Depth=1
	v_cvt_f16_f32_e32 v20, v91
	v_cvt_f16_f32_sdwa v21, v90 dst_sel:WORD_1 dst_unused:UNUSED_PAD src0_sel:DWORD
	v_cvt_f16_f32_e32 v22, v15
	v_cvt_f16_f32_sdwa v23, v14 dst_sel:WORD_1 dst_unused:UNUSED_PAD src0_sel:DWORD
	v_lshl_add_u64 v[18:19], v[38:39], 1, v[0:1]
	v_or_b32_e32 v14, v21, v20
	v_cmp_lt_i32_e32 vcc, s53, v79
	;;#ASMSTART
	global_atomic_pk_add_f16 v[18:19], v14, off
	
	;;#ASMEND
	v_lshl_add_u64 v[14:15], v[18:19], 0, 64
	v_or_b32_e32 v18, v23, v22
	;;#ASMSTART
	global_atomic_pk_add_f16 v[14:15], v18, off
	
	;;#ASMEND
	s_and_b64 exec, exec, vcc
	s_cbranch_execz .LBB341_32
; %bb.27:                               ;   in Loop: Header=BB341_7 Depth=1
	v_cvt_f16_f32_e32 v18, v89
	v_cvt_f16_f32_sdwa v19, v61 dst_sel:WORD_1 dst_unused:UNUSED_PAD src0_sel:DWORD
	v_cvt_f16_f32_e32 v20, v13
	v_cvt_f16_f32_sdwa v21, v12 dst_sel:WORD_1 dst_unused:UNUSED_PAD src0_sel:DWORD
	v_lshl_add_u64 v[14:15], v[40:41], 1, v[0:1]
	v_or_b32_e32 v12, v19, v18
	v_cmp_lt_i32_e32 vcc, s53, v80
	;; [unrolled: 20-line block ×5, first 2 shown]
	;;#ASMSTART
	global_atomic_pk_add_f16 v[8:9], v6, off
	
	;;#ASMEND
	v_lshl_add_u64 v[6:7], v[8:9], 0, 64
	v_or_b32_e32 v8, v13, v12
	;;#ASMSTART
	global_atomic_pk_add_f16 v[6:7], v8, off
	
	;;#ASMEND
	s_and_b64 exec, exec, vcc
	s_cbranch_execz .LBB341_32
; %bb.31:                               ;   in Loop: Header=BB341_7 Depth=1
	v_cvt_f16_f32_e32 v3, v3
	v_cvt_f16_f32_sdwa v2, v2 dst_sel:WORD_1 dst_unused:UNUSED_PAD src0_sel:DWORD
	v_cvt_f16_f32_e32 v5, v5
	v_cvt_f16_f32_sdwa v4, v4 dst_sel:WORD_1 dst_unused:UNUSED_PAD src0_sel:DWORD
	v_lshl_add_u64 v[0:1], v[48:49], 1, v[0:1]
	v_or_b32_e32 v2, v2, v3
	;;#ASMSTART
	global_atomic_pk_add_f16 v[0:1], v2, off
	
	;;#ASMEND
	v_lshl_add_u64 v[0:1], v[0:1], 0, 64
	v_or_b32_e32 v2, v4, v5
	;;#ASMSTART
	global_atomic_pk_add_f16 v[0:1], v2, off
	
	;;#ASMEND
.LBB341_32:                             ;   in Loop: Header=BB341_7 Depth=1
	s_or_b64 exec, exec, s[40:41]
	v_readlane_b32 s12, v99, 9
	v_readlane_b32 s14, v99, 11
	;; [unrolled: 1-line block ×6, first 2 shown]
	v_subrev_u32_e32 v88, s96, v88
	v_readlane_b32 s11, v99, 0
	v_readlane_b32 s13, v99, 10
	;; [unrolled: 1-line block ×17, first 2 shown]
.LBB341_33:                             ;   in Loop: Header=BB341_7 Depth=1
	s_or_b64 exec, exec, s[2:3]
.LBB341_34:                             ;   in Loop: Header=BB341_7 Depth=1
	s_andn2_saveexec_b64 s[0:1], s[4:5]
	s_cbranch_execz .LBB341_43
; %bb.35:                               ;   in Loop: Header=BB341_7 Depth=1
	s_lshl_b32 s10, s96, 1
	v_cmp_gt_i32_e32 vcc, s10, v88
	s_and_saveexec_b64 s[2:3], vcc
	s_cbranch_execz .LBB341_42
; %bb.36:                               ;   in Loop: Header=BB341_7 Depth=1
	s_mul_i32 s4, s54, s19
	s_ashr_i32 s5, s4, 31
	s_add_u32 s4, s46, s4
	s_addc_u32 s5, s47, s5
	s_ashr_i32 s6, s35, 31
	s_add_u32 s4, s4, s35
	s_addc_u32 s5, s5, s6
	v_lshl_add_u64 v[0:1], s[4:5], 0, v[52:53]
	v_lshl_add_u64 v[8:9], v[0:1], 0, v[50:51]
	s_mov_b64 s[4:5], 0
	s_branch .LBB341_38
.LBB341_37:                             ;   in Loop: Header=BB341_38 Depth=2
	s_or_b64 exec, exec, s[6:7]
	v_lshl_add_u32 v12, v10, 11, v84
	;;#ASMSTART
	s_waitcnt vmcnt(1)
	;;#ASMEND
	ds_write2_b32 v12, v4, v5 offset1:32
	ds_write2_b32 v12, v6, v7 offset0:64 offset1:96
	v_add_u32_e32 v4, 0x400, v12
	v_add_u32_e32 v88, s22, v88
	;;#ASMSTART
	s_waitcnt vmcnt(0)
	;;#ASMEND
	ds_write2_b32 v4, v0, v1 offset1:32
	ds_write2_b32 v4, v2, v3 offset0:64 offset1:96
	v_add_u32_e32 v0, 1, v63
	v_add_u32_e32 v56, s22, v10
	v_cmp_le_i32_e32 vcc, s10, v88
	ds_write_b32 v11, v0 offset:48
	v_add_u32_e32 v0, 2, v63
	s_or_b64 s[4:5], vcc, s[4:5]
	v_cmp_lt_i32_e32 vcc, 5, v56
	s_nop 1
	v_cndmask_b32_e32 v63, v63, v0, vcc
	s_andn2_b64 exec, exec, s[4:5]
	s_cbranch_execz .LBB341_41
.LBB341_38:                             ;   Parent Loop BB341_7 Depth=1
                                        ; =>  This Loop Header: Depth=2
                                        ;       Child Loop BB341_40 Depth 3
	v_cmp_gt_i32_e32 vcc, 6, v56
	s_nop 1
	v_cndmask_b32_e64 v0, -6, 0, vcc
	v_add_u32_e32 v10, v0, v56
	v_lshrrev_b32_e32 v0, 31, v88
	v_add_u32_e32 v0, v88, v0
	v_and_b32_e32 v1, -2, v0
	v_lshlrev_b32_e32 v0, 5, v0
	v_sub_u32_e32 v2, v88, v1
	v_and_b32_e32 v0, 0xffffffc0, v0
	v_ashrrev_i32_e32 v1, 31, v0
	v_mul_lo_u32 v2, s97, v2
	v_lshl_add_u64 v[0:1], v[8:9], 0, v[0:1]
	v_ashrrev_i32_e32 v3, 31, v2
	v_lshl_add_u64 v[0:1], v[0:1], 0, v[2:3]
	v_lshlrev_b32_e32 v11, 2, v10
	;;#ASMSTART
	global_load_dwordx4 v[4:7], v[0:1], off offset:0   sc0 sc1 nt  
	global_load_dwordx4 v[0:3], v[0:1], off offset:32  sc0 sc1 nt  
	
	;;#ASMEND
	ds_read_b32 v12, v11 offset:36912
	v_add_u32_e32 v11, 0x9000, v11
	s_waitcnt lgkmcnt(0)
	v_cmp_ne_u32_e32 vcc, v12, v63
	s_and_saveexec_b64 s[6:7], vcc
	s_cbranch_execz .LBB341_37
; %bb.39:                               ;   in Loop: Header=BB341_38 Depth=2
	s_mov_b64 s[8:9], 0
.LBB341_40:                             ;   Parent Loop BB341_7 Depth=1
                                        ;     Parent Loop BB341_38 Depth=2
                                        ; =>    This Inner Loop Header: Depth=3
	;;#ASMSTART
	s_sleep 0
	;;#ASMEND
	ds_read_b32 v12, v11 offset:48
	s_waitcnt lgkmcnt(0)
	v_cmp_eq_u32_e32 vcc, v12, v63
	s_or_b64 s[8:9], vcc, s[8:9]
	s_andn2_b64 exec, exec, s[8:9]
	s_cbranch_execnz .LBB341_40
	s_branch .LBB341_37
.LBB341_41:                             ;   in Loop: Header=BB341_7 Depth=1
	s_or_b64 exec, exec, s[4:5]
.LBB341_42:                             ;   in Loop: Header=BB341_7 Depth=1
	s_or_b64 exec, exec, s[2:3]
	v_subrev_u32_e32 v88, s10, v88
.LBB341_43:                             ;   in Loop: Header=BB341_7 Depth=1
	s_or_b64 exec, exec, s[0:1]
.LBB341_44:                             ;   in Loop: Header=BB341_7 Depth=1
	s_andn2_saveexec_b64 s[0:1], s[36:37]
	s_cbranch_execz .LBB341_6
; %bb.45:                               ;   in Loop: Header=BB341_7 Depth=1
	s_lshl_b32 s10, s96, 2
	v_cmp_gt_i32_e32 vcc, s10, v88
	s_and_saveexec_b64 s[2:3], vcc
	s_cbranch_execz .LBB341_5
; %bb.46:                               ;   in Loop: Header=BB341_7 Depth=1
	s_mul_i32 s4, s52, s18
	s_max_i32 s6, s53, 0
	s_ashr_i32 s5, s4, 31
	s_add_u32 s4, s44, s4
	v_add_u32_e32 v2, s6, v64
	s_movk_i32 s6, 0x80
	s_addc_u32 s5, s45, s5
	s_ashr_i32 s7, s35, 31
	v_cmp_gt_u32_e32 vcc, s6, v2
	s_add_u32 s4, s4, s35
	s_addc_u32 s5, s5, s7
	v_cndmask_b32_e32 v0, 0, v85, vcc
	v_ashrrev_i32_e32 v1, 31, v0
	v_lshl_add_u64 v[0:1], s[4:5], 0, v[0:1]
	v_lshl_add_u64 v[8:9], v[0:1], 0, v[50:51]
	v_sub_u32_e32 v10, 0x7f, v2
	s_mov_b64 s[4:5], 0
	s_branch .LBB341_48
.LBB341_47:                             ;   in Loop: Header=BB341_48 Depth=2
	s_or_b64 exec, exec, s[6:7]
	v_lshl_or_b32 v13, v11, 11, v86
	;;#ASMSTART
	s_waitcnt vmcnt(1)
	;;#ASMEND
	ds_write2_b32 v13, v4, v5 offset1:32
	ds_write2_b32 v13, v6, v7 offset0:64 offset1:96
	v_add_u32_e32 v4, 0x400, v13
	v_add_u32_e32 v88, s21, v88
	;;#ASMSTART
	s_waitcnt vmcnt(0)
	;;#ASMEND
	ds_write2_b32 v4, v0, v1 offset1:32
	ds_write2_b32 v4, v2, v3 offset0:64 offset1:96
	v_add_u32_e32 v0, 1, v63
	v_add_u32_e32 v56, s21, v11
	v_cmp_le_i32_e32 vcc, s10, v88
	ds_write_b32 v12, v0
	v_add_u32_e32 v0, 2, v63
	s_or_b64 s[4:5], vcc, s[4:5]
	v_cmp_lt_i32_e32 vcc, 11, v56
	s_nop 1
	v_cndmask_b32_e32 v63, v63, v0, vcc
	s_andn2_b64 exec, exec, s[4:5]
	s_cbranch_execz .LBB341_4
.LBB341_48:                             ;   Parent Loop BB341_7 Depth=1
                                        ; =>  This Loop Header: Depth=2
                                        ;       Child Loop BB341_50 Depth 3
	v_cmp_gt_i32_e32 vcc, 12, v56
	s_nop 1
	v_cndmask_b32_e64 v0, -12, 0, vcc
	v_add_u32_e32 v11, v0, v56
	v_ashrrev_i32_e32 v0, 31, v88
	v_lshrrev_b32_e32 v0, 30, v0
	v_add_u32_e32 v0, v88, v0
	v_and_b32_e32 v1, 0x7fffffc, v0
	v_sub_u32_e32 v1, v88, v1
	v_lshlrev_b32_e32 v1, 5, v1
	v_cmp_le_i32_e32 vcc, v1, v10
	v_lshlrev_b32_e32 v0, 4, v0
	v_and_b32_e32 v0, 0xffffffc0, v0
	v_cndmask_b32_e32 v2, 0, v1, vcc
	v_ashrrev_i32_e32 v1, 31, v0
	v_mul_lo_u32 v2, v2, s18
	v_lshl_add_u64 v[0:1], v[8:9], 0, v[0:1]
	v_ashrrev_i32_e32 v3, 31, v2
	v_lshl_add_u64 v[0:1], v[0:1], 0, v[2:3]
	v_lshlrev_b32_e32 v12, 2, v11
	;;#ASMSTART
	global_load_dwordx4 v[4:7], v[0:1], off offset:0   
	global_load_dwordx4 v[0:3], v[0:1], off offset:32  
	
	;;#ASMEND
	ds_read_b32 v13, v12 offset:36864
	v_add_u32_e32 v12, 0x9000, v12
	s_waitcnt lgkmcnt(0)
	v_cmp_ne_u32_e32 vcc, v13, v63
	s_and_saveexec_b64 s[6:7], vcc
	s_cbranch_execz .LBB341_47
; %bb.49:                               ;   in Loop: Header=BB341_48 Depth=2
	s_mov_b64 s[8:9], 0
.LBB341_50:                             ;   Parent Loop BB341_7 Depth=1
                                        ;     Parent Loop BB341_48 Depth=2
                                        ; =>    This Inner Loop Header: Depth=3
	;;#ASMSTART
	s_sleep 0
	;;#ASMEND
	ds_read_b32 v13, v12
	s_waitcnt lgkmcnt(0)
	v_cmp_eq_u32_e32 vcc, v13, v63
	s_or_b64 s[8:9], vcc, s[8:9]
	s_andn2_b64 exec, exec, s[8:9]
	s_cbranch_execnz .LBB341_50
	s_branch .LBB341_47
.LBB341_51:
	s_endpgm
	.section	.rodata,"a",@progbits
	.p2align	6, 0x0
	.amdhsa_kernel _Z19_skinny_gemm_kernelILi4ELi2ELi3ELi32ELi4EEvPKhS1_P6__halfPKfiiiiiiii
		.amdhsa_group_segment_fixed_size 36936
		.amdhsa_private_segment_fixed_size 0
		.amdhsa_kernarg_size 64
		.amdhsa_user_sgpr_count 2
		.amdhsa_user_sgpr_dispatch_ptr 0
		.amdhsa_user_sgpr_queue_ptr 0
		.amdhsa_user_sgpr_kernarg_segment_ptr 1
		.amdhsa_user_sgpr_dispatch_id 0
		.amdhsa_user_sgpr_kernarg_preload_length 0
		.amdhsa_user_sgpr_kernarg_preload_offset 0
		.amdhsa_user_sgpr_private_segment_size 0
		.amdhsa_uses_dynamic_stack 0
		.amdhsa_enable_private_segment 0
		.amdhsa_system_sgpr_workgroup_id_x 1
		.amdhsa_system_sgpr_workgroup_id_y 0
		.amdhsa_system_sgpr_workgroup_id_z 0
		.amdhsa_system_sgpr_workgroup_info 0
		.amdhsa_system_vgpr_workitem_id 0
		.amdhsa_next_free_vgpr 100
		.amdhsa_next_free_sgpr 100
		.amdhsa_accum_offset 100
		.amdhsa_reserve_vcc 1
		.amdhsa_float_round_mode_32 0
		.amdhsa_float_round_mode_16_64 0
		.amdhsa_float_denorm_mode_32 3
		.amdhsa_float_denorm_mode_16_64 3
		.amdhsa_dx10_clamp 1
		.amdhsa_ieee_mode 1
		.amdhsa_fp16_overflow 0
		.amdhsa_tg_split 0
		.amdhsa_exception_fp_ieee_invalid_op 0
		.amdhsa_exception_fp_denorm_src 0
		.amdhsa_exception_fp_ieee_div_zero 0
		.amdhsa_exception_fp_ieee_overflow 0
		.amdhsa_exception_fp_ieee_underflow 0
		.amdhsa_exception_fp_ieee_inexact 0
		.amdhsa_exception_int_div_zero 0
	.end_amdhsa_kernel
	.section	.text._Z19_skinny_gemm_kernelILi4ELi2ELi3ELi32ELi4EEvPKhS1_P6__halfPKfiiiiiiii,"axG",@progbits,_Z19_skinny_gemm_kernelILi4ELi2ELi3ELi32ELi4EEvPKhS1_P6__halfPKfiiiiiiii,comdat
.Lfunc_end341:
	.size	_Z19_skinny_gemm_kernelILi4ELi2ELi3ELi32ELi4EEvPKhS1_P6__halfPKfiiiiiiii, .Lfunc_end341-_Z19_skinny_gemm_kernelILi4ELi2ELi3ELi32ELi4EEvPKhS1_P6__halfPKfiiiiiiii
                                        ; -- End function
	.set _Z19_skinny_gemm_kernelILi4ELi2ELi3ELi32ELi4EEvPKhS1_P6__halfPKfiiiiiiii.num_vgpr, 100
	.set _Z19_skinny_gemm_kernelILi4ELi2ELi3ELi32ELi4EEvPKhS1_P6__halfPKfiiiiiiii.num_agpr, 0
	.set _Z19_skinny_gemm_kernelILi4ELi2ELi3ELi32ELi4EEvPKhS1_P6__halfPKfiiiiiiii.numbered_sgpr, 100
	.set _Z19_skinny_gemm_kernelILi4ELi2ELi3ELi32ELi4EEvPKhS1_P6__halfPKfiiiiiiii.num_named_barrier, 0
	.set _Z19_skinny_gemm_kernelILi4ELi2ELi3ELi32ELi4EEvPKhS1_P6__halfPKfiiiiiiii.private_seg_size, 0
	.set _Z19_skinny_gemm_kernelILi4ELi2ELi3ELi32ELi4EEvPKhS1_P6__halfPKfiiiiiiii.uses_vcc, 1
	.set _Z19_skinny_gemm_kernelILi4ELi2ELi3ELi32ELi4EEvPKhS1_P6__halfPKfiiiiiiii.uses_flat_scratch, 0
	.set _Z19_skinny_gemm_kernelILi4ELi2ELi3ELi32ELi4EEvPKhS1_P6__halfPKfiiiiiiii.has_dyn_sized_stack, 0
	.set _Z19_skinny_gemm_kernelILi4ELi2ELi3ELi32ELi4EEvPKhS1_P6__halfPKfiiiiiiii.has_recursion, 0
	.set _Z19_skinny_gemm_kernelILi4ELi2ELi3ELi32ELi4EEvPKhS1_P6__halfPKfiiiiiiii.has_indirect_call, 0
	.section	.AMDGPU.csdata,"",@progbits
; Kernel info:
; codeLenInByte = 9756
; TotalNumSgprs: 106
; NumVgprs: 100
; NumAgprs: 0
; TotalNumVgprs: 100
; ScratchSize: 0
; MemoryBound: 0
; FloatMode: 240
; IeeeMode: 1
; LDSByteSize: 36936 bytes/workgroup (compile time only)
; SGPRBlocks: 13
; VGPRBlocks: 12
; NumSGPRsForWavesPerEU: 106
; NumVGPRsForWavesPerEU: 100
; AccumOffset: 100
; Occupancy: 4
; WaveLimiterHint : 0
; COMPUTE_PGM_RSRC2:SCRATCH_EN: 0
; COMPUTE_PGM_RSRC2:USER_SGPR: 2
; COMPUTE_PGM_RSRC2:TRAP_HANDLER: 0
; COMPUTE_PGM_RSRC2:TGID_X_EN: 1
; COMPUTE_PGM_RSRC2:TGID_Y_EN: 0
; COMPUTE_PGM_RSRC2:TGID_Z_EN: 0
; COMPUTE_PGM_RSRC2:TIDIG_COMP_CNT: 0
; COMPUTE_PGM_RSRC3_GFX90A:ACCUM_OFFSET: 24
; COMPUTE_PGM_RSRC3_GFX90A:TG_SPLIT: 0
	.section	.text._Z19_skinny_gemm_kernelILi4ELi2ELi4ELi16ELi4EEvPKhS1_P6__halfPKfiiiiiiii,"axG",@progbits,_Z19_skinny_gemm_kernelILi4ELi2ELi4ELi16ELi4EEvPKhS1_P6__halfPKfiiiiiiii,comdat
	.protected	_Z19_skinny_gemm_kernelILi4ELi2ELi4ELi16ELi4EEvPKhS1_P6__halfPKfiiiiiiii ; -- Begin function _Z19_skinny_gemm_kernelILi4ELi2ELi4ELi16ELi4EEvPKhS1_P6__halfPKfiiiiiiii
	.globl	_Z19_skinny_gemm_kernelILi4ELi2ELi4ELi16ELi4EEvPKhS1_P6__halfPKfiiiiiiii
	.p2align	8
	.type	_Z19_skinny_gemm_kernelILi4ELi2ELi4ELi16ELi4EEvPKhS1_P6__halfPKfiiiiiiii,@function
_Z19_skinny_gemm_kernelILi4ELi2ELi4ELi16ELi4EEvPKhS1_P6__halfPKfiiiiiiii: ; @_Z19_skinny_gemm_kernelILi4ELi2ELi4ELi16ELi4EEvPKhS1_P6__halfPKfiiiiiiii
; %bb.0:
	v_cmp_gt_u32_e32 vcc, 24, v0
	v_lshlrev_b32_e32 v1, 2, v0
	s_and_saveexec_b64 s[4:5], vcc
; %bb.1:
	v_mov_b32_e32 v2, 0
	ds_write_b32 v1, v2 offset:49152
; %bb.2:
	s_or_b64 exec, exec, s[4:5]
	s_load_dwordx8 s[16:23], s[0:1], 0x20
	s_waitcnt lgkmcnt(0)
	s_barrier
	s_add_i32 s3, s16, 63
	s_ashr_i32 s5, s3, 31
	s_add_i32 s4, s17, 31
	s_lshr_b32 s5, s5, 26
	s_ashr_i32 s6, s4, 31
	s_add_i32 s3, s3, s5
	s_ashr_i32 s33, s3, 6
	s_lshr_b32 s3, s6, 27
	s_add_i32 s4, s4, s3
	s_ashr_i32 s48, s4, 5
	s_mul_i32 s3, s48, s33
	s_mul_i32 s3, s3, s20
	s_add_i32 s4, s3, 0x12f
	s_mul_hi_i32 s4, s4, 0x6bca1af3
	s_lshr_b32 s5, s4, 31
	s_ashr_i32 s4, s4, 7
	s_add_i32 s4, s4, s5
	s_add_i32 s5, s2, 1
	s_mul_i32 s5, s4, s5
	v_cvt_f64_i32_e32 v[2:3], s3
	v_cvt_f64_u32_e32 v[4:5], s5
	v_min_f64 v[2:3], v[2:3], v[4:5]
	v_cvt_i32_f64_e32 v33, v[2:3]
	s_mul_i32 s49, s4, s2
	v_cmp_ge_i32_e32 vcc, s49, v33
	s_cbranch_vccnz .LBB342_60
; %bb.3:
	v_lshrrev_b32_e32 v2, 6, v0
	s_add_i32 s4, s22, s21
	s_load_dwordx8 s[24:31], s[0:1], 0x0
	v_cmp_le_i32_e64 s[0:1], s4, v2
	v_mov_b32_e32 v3, s21
	v_cmp_le_i32_e64 s[2:3], s21, v2
	v_mov_b32_e32 v4, s22
	v_cndmask_b32_e64 v4, 0, v4, s[0:1]
	v_cndmask_b32_e64 v3, 0, v3, s[2:3]
	s_abs_i32 s5, s20
	v_add_u32_e32 v3, v3, v4
	v_cvt_f32_u32_e32 v4, s5
	v_sub_u32_e32 v50, v2, v3
	s_ashr_i32 s6, s18, 31
	s_lshr_b32 s6, s6, 25
	v_rcp_iflag_f32_e32 v3, v4
	s_sub_i32 s9, 0, s5
	s_add_i32 s6, s18, s6
	s_ashr_i32 s6, s6, 7
	v_mul_f32_e32 v3, 0x4f7ffffe, v3
	v_cvt_u32_f32_e32 v3, v3
	s_abs_i32 s8, s6
	s_xor_b32 s7, s6, s20
	s_ashr_i32 s7, s7, 31
	v_readfirstlane_b32 s10, v3
	s_mul_i32 s9, s9, s10
	s_mul_hi_u32 s9, s10, s9
	s_add_i32 s10, s10, s9
	s_mul_hi_u32 s9, s8, s10
	s_mul_i32 s10, s9, s5
	s_sub_i32 s8, s8, s10
	s_add_i32 s10, s9, 1
	s_sub_i32 s11, s8, s5
	s_cmp_ge_u32 s8, s5
	s_cselect_b32 s9, s10, s9
	s_cselect_b32 s8, s11, s8
	s_add_i32 s10, s9, 1
	s_cmp_ge_u32 s8, s5
	s_cselect_b32 s5, s10, s9
	s_xor_b32 s5, s5, s7
	s_sub_i32 s50, s5, s7
	s_add_i32 s20, s20, -1
	s_mul_i32 s5, s50, s20
	s_add_i32 s4, s4, s23
	s_sub_i32 s51, s6, s5
	v_cmp_gt_i32_e64 s[4:5], s4, v2
	v_lshlrev_b32_e32 v2, 1, v0
	v_lshlrev_b32_e32 v3, 4, v0
	v_and_b32_e32 v1, 60, v1
	v_and_b32_e32 v2, 64, v2
	;; [unrolled: 1-line block ×3, first 2 shown]
	v_or3_b32 v85, v1, v2, v4
	v_and_b32_e32 v1, 1, v0
	v_lshrrev_b32_e32 v4, 2, v0
	s_abs_i32 s52, s33
	v_and_or_b32 v90, v4, 12, v1
	v_cvt_f32_u32_e32 v4, s52
	v_lshlrev_b32_e32 v2, 1, v1
	v_and_b32_e32 v32, 14, v0
	v_sub_u32_e32 v2, v0, v2
	v_bitop3_b32 v87, v0, 1, v0 bitop3:0xc
	v_bitop3_b32 v88, v0, 3, 1 bitop3:0x6c
	v_and_b32_e32 v42, 48, v3
	v_bfe_u32 v94, v0, 2, 4
	v_and_b32_e32 v1, 60, v0
	v_lshlrev_b32_e32 v3, 8, v0
	v_lshlrev_b32_e32 v0, 6, v0
	v_and_b32_e32 v3, 0x200, v3
	v_and_b32_e32 v0, 64, v0
	v_or3_b32 v95, v1, v3, v0
	v_rcp_iflag_f32_e32 v0, v4
	s_abs_i32 s54, s48
	v_cvt_f32_u32_e32 v1, s54
	v_mad_u64_u32 v[34:35], s[6:7], s17, v90, v[32:33]
	v_mul_f32_e32 v0, 0x4f7ffffe, v0
	v_cvt_u32_f32_e32 v0, v0
	v_rcp_iflag_f32_e32 v1, v1
	s_lshl_b32 s6, s17, 4
	v_add_u32_e32 v36, s6, v34
	v_readfirstlane_b32 s7, v0
	v_mul_f32_e32 v0, 0x4f7ffffe, v1
	v_add_u32_e32 v38, s6, v36
	v_cvt_u32_f32_e32 v0, v0
	v_add_u32_e32 v40, s6, v38
	s_sub_i32 s6, 0, s52
	s_mul_i32 s6, s6, s7
	s_mul_hi_u32 s6, s7, s6
	v_add_u32_e32 v2, 1, v2
	s_add_i32 s56, s7, s6
	s_sub_i32 s6, 0, s54
	v_readfirstlane_b32 s7, v0
	v_mbcnt_lo_u32_b32 v0, -1, 0
	v_and_b32_e32 v2, 63, v2
	s_mul_i32 s6, s6, s7
	v_mbcnt_hi_u32_b32 v0, -1, v0
	v_mul_lo_u32 v44, s19, v94
	s_mul_hi_u32 s6, s7, s6
	v_and_or_b32 v0, v0, 64, v2
	v_cndmask_b32_e64 v84, 0, 1, s[0:1]
	v_or_b32_e32 v86, 0x8000, v85
	s_ashr_i32 s35, s17, 31
	s_mov_b32 s34, s17
	v_or_b32_e32 v89, 16, v32
	v_ashrrev_i32_e32 v35, 31, v34
	v_or_b32_e32 v91, 16, v90
	v_ashrrev_i32_e32 v37, 31, v36
	;; [unrolled: 2-line block ×4, first 2 shown]
	v_ashrrev_i32_e32 v45, 31, v44
	v_mov_b32_e32 v43, 0
	v_or_b32_e32 v96, 0x8000, v95
	s_lshl_b32 s53, s19, 4
	v_mul_lo_u32 v97, s18, v94
	s_ashr_i32 s55, s33, 31
	s_ashr_i32 s57, s48, 31
	s_add_i32 s58, s7, s6
	v_lshlrev_b32_e32 v98, 2, v0
	v_mov_b32_e32 v99, v50
	s_branch .LBB342_7
.LBB342_4:                              ;   in Loop: Header=BB342_7 Depth=1
	s_or_b64 exec, exec, s[10:11]
.LBB342_5:                              ;   in Loop: Header=BB342_7 Depth=1
	s_or_b64 exec, exec, s[8:9]
	v_subrev_u32_e32 v99, s36, v99
.LBB342_6:                              ;   in Loop: Header=BB342_7 Depth=1
	s_or_b64 exec, exec, s[6:7]
	s_add_i32 s49, s49, 1
	v_cmp_ge_i32_e32 vcc, s49, v33
	s_cbranch_vccnz .LBB342_60
.LBB342_7:                              ; =>This Loop Header: Depth=1
                                        ;     Child Loop BB342_13 Depth 2
                                        ;       Child Loop BB342_15 Depth 3
                                        ;       Child Loop BB342_18 Depth 3
	;; [unrolled: 1-line block ×6, first 2 shown]
                                        ;     Child Loop BB342_47 Depth 2
                                        ;       Child Loop BB342_49 Depth 3
                                        ;     Child Loop BB342_57 Depth 2
                                        ;       Child Loop BB342_59 Depth 3
	s_abs_i32 s7, s49
	s_mul_hi_u32 s8, s7, s56
	s_mul_i32 s9, s8, s52
	s_ashr_i32 s6, s49, 31
	s_sub_i32 s7, s7, s9
	s_xor_b32 s6, s6, s55
	s_add_i32 s9, s8, 1
	s_sub_i32 s10, s7, s52
	s_cmp_ge_u32 s7, s52
	s_cselect_b32 s8, s9, s8
	s_cselect_b32 s7, s10, s7
	s_add_i32 s9, s8, 1
	s_cmp_ge_u32 s7, s52
	s_cselect_b32 s7, s9, s8
	s_xor_b32 s7, s7, s6
	s_sub_i32 s6, s7, s6
	s_abs_i32 s8, s6
	s_mul_i32 s7, s6, s33
	s_mul_hi_u32 s9, s8, s58
	s_sub_i32 s7, s49, s7
	s_mul_i32 s10, s9, s54
	s_lshl_b32 s59, s7, 6
	s_ashr_i32 s7, s6, 31
	s_sub_i32 s8, s8, s10
	s_xor_b32 s7, s7, s57
	s_add_i32 s10, s9, 1
	s_sub_i32 s11, s8, s54
	s_cmp_ge_u32 s8, s54
	s_cselect_b32 s9, s10, s9
	s_cselect_b32 s8, s11, s8
	s_add_i32 s10, s9, 1
	s_cmp_ge_u32 s8, s54
	s_cselect_b32 s8, s10, s9
	s_xor_b32 s8, s8, s7
	s_sub_i32 s7, s8, s7
	s_mul_i32 s8, s7, s50
	s_lshl_b32 s60, s8, 7
	s_cmp_eq_u32 s7, s20
	s_cselect_b32 s62, s51, s50
	s_sub_i32 s8, s59, s16
	s_add_i32 s8, s8, 64
	s_max_i32 s61, s8, 0
	s_and_saveexec_b64 s[8:9], s[2:3]
	s_xor_b64 s[36:37], exec, s[8:9]
	s_cbranch_execz .LBB342_53
; %bb.8:                                ;   in Loop: Header=BB342_7 Depth=1
	s_mul_i32 s7, s7, s48
	s_sub_i32 s6, s6, s7
	s_lshl_b32 s6, s6, 5
	s_sub_i32 s14, s6, s17
	s_add_i32 s14, s14, 32
	s_max_i32 s7, s14, 0
	s_sub_i32 s38, s6, s7
	s_and_saveexec_b64 s[6:7], s[0:1]
	s_xor_b64 s[40:41], exec, s[6:7]
	s_cbranch_execz .LBB342_43
; %bb.9:                                ;   in Loop: Header=BB342_7 Depth=1
	s_and_saveexec_b64 s[42:43], s[4:5]
	s_cbranch_execz .LBB342_42
; %bb.10:                               ;   in Loop: Header=BB342_7 Depth=1
	s_waitcnt lgkmcnt(0)
	global_load_dword v100, v43, s[30:31]
	v_mov_b32_e32 v31, 0
	v_cmp_gt_i32_e32 vcc, s62, v99
	v_mov_b32_e32 v30, v31
	v_mov_b32_e32 v29, v31
	;; [unrolled: 1-line block ×31, first 2 shown]
	s_and_saveexec_b64 s[6:7], vcc
	s_cbranch_execz .LBB342_32
; %bb.11:                               ;   in Loop: Header=BB342_7 Depth=1
	v_mov_b32_e32 v4, 0
	s_mov_b64 s[8:9], 0
	v_mov_b32_e32 v5, v4
	v_mov_b32_e32 v6, v4
	;; [unrolled: 1-line block ×31, first 2 shown]
	s_branch .LBB342_13
.LBB342_12:                             ;   in Loop: Header=BB342_13 Depth=2
	s_or_b64 exec, exec, s[10:11]
	v_add_u32_e32 v52, 0x800, v104
	ds_read2_b32 v[50:51], v52 offset1:32
	v_add_u32_e32 v56, 0xc00, v104
	v_add_u32_e32 v99, s23, v99
	s_waitcnt lgkmcnt(0)
	v_mfma_f32_16x16x32_fp8_fp8 v[24:27], v[46:47], v[50:51], v[24:27]
	ds_read2_b32 v[46:47], v52 offset0:128 offset1:160
	ds_read2_b32 v[52:53], v56 offset1:32
	v_mfma_f32_16x16x32_fp8_fp8 v[16:19], v[62:63], v[50:51], v[16:19]
	v_mfma_f32_16x16x32_fp8_fp8 v[8:11], v[70:71], v[50:51], v[8:11]
	;; [unrolled: 1-line block ×3, first 2 shown]
	v_add_u32_e32 v50, s23, v101
	v_cmp_lt_i32_e32 vcc, 3, v50
	s_waitcnt lgkmcnt(1)
	v_mfma_f32_16x16x32_fp8_fp8 v[24:27], v[54:55], v[46:47], v[24:27]
	ds_read2_b32 v[54:55], v56 offset0:128 offset1:160
	;;#ASMSTART
	s_waitcnt lgkmcnt(0)
	;;#ASMEND
	ds_write_b32 v102, v103 offset:49220
	v_mfma_f32_16x16x32_fp8_fp8 v[16:19], v[64:65], v[46:47], v[16:19]
	v_mfma_f32_16x16x32_fp8_fp8 v[8:11], v[72:73], v[46:47], v[8:11]
	v_mfma_f32_16x16x32_fp8_fp8 v[4:7], v[80:81], v[46:47], v[4:7]
	v_add_u32_e32 v46, 2, v84
	v_cndmask_b32_e32 v84, v84, v46, vcc
	v_cmp_le_i32_e32 vcc, s62, v99
	s_waitcnt lgkmcnt(2)
	v_mfma_f32_16x16x32_fp8_fp8 v[24:27], v[58:59], v[52:53], v[24:27]
	s_or_b64 s[8:9], vcc, s[8:9]
	v_mfma_f32_16x16x32_fp8_fp8 v[16:19], v[66:67], v[52:53], v[16:19]
	v_mfma_f32_16x16x32_fp8_fp8 v[8:11], v[74:75], v[52:53], v[8:11]
	;; [unrolled: 1-line block ×3, first 2 shown]
	s_waitcnt lgkmcnt(1)
	v_mfma_f32_16x16x32_fp8_fp8 v[24:27], v[60:61], v[54:55], v[24:27]
	v_mfma_f32_16x16x32_fp8_fp8 v[16:19], v[68:69], v[54:55], v[16:19]
	v_mfma_f32_16x16x32_fp8_fp8 v[8:11], v[76:77], v[54:55], v[8:11]
	v_mfma_f32_16x16x32_fp8_fp8 v[4:7], v[48:49], v[54:55], v[4:7]
	s_andn2_b64 exec, exec, s[8:9]
	s_cbranch_execz .LBB342_31
.LBB342_13:                             ;   Parent Loop BB342_7 Depth=1
                                        ; =>  This Loop Header: Depth=2
                                        ;       Child Loop BB342_15 Depth 3
                                        ;       Child Loop BB342_18 Depth 3
	;; [unrolled: 1-line block ×6, first 2 shown]
	v_cmp_gt_i32_e32 vcc, 4, v50
	s_nop 1
	v_cndmask_b32_e64 v46, -4, 0, vcc
	v_add_u32_e32 v101, v46, v50
	v_lshlrev_b32_e32 v102, 3, v101
	ds_read_b32 v46, v102 offset:49216
	s_waitcnt lgkmcnt(0)
	v_cmp_ne_u32_e32 vcc, v46, v84
	s_and_saveexec_b64 s[10:11], vcc
	s_cbranch_execz .LBB342_16
; %bb.14:                               ;   in Loop: Header=BB342_13 Depth=2
	s_mov_b64 s[12:13], 0
.LBB342_15:                             ;   Parent Loop BB342_7 Depth=1
                                        ;     Parent Loop BB342_13 Depth=2
                                        ; =>    This Inner Loop Header: Depth=3
	;;#ASMSTART
	s_sleep 0
	;;#ASMEND
	ds_read_b32 v46, v102 offset:49216
	s_waitcnt lgkmcnt(0)
	v_cmp_eq_u32_e32 vcc, v46, v84
	s_or_b64 s[12:13], vcc, s[12:13]
	s_andn2_b64 exec, exec, s[12:13]
	s_cbranch_execnz .LBB342_15
.LBB342_16:                             ;   in Loop: Header=BB342_13 Depth=2
	s_or_b64 exec, exec, s[10:11]
	v_lshlrev_b32_e32 v46, 12, v101
	v_add_u32_e32 v104, v86, v46
	v_add_u32_e32 v46, 0x400, v104
	;; [unrolled: 1-line block ×3, first 2 shown]
	ds_read2_b32 v[48:49], v104 offset1:32
	ds_read2_b32 v[50:51], v104 offset0:128 offset1:160
	ds_read2_b32 v[56:57], v46 offset1:32
	ds_read2_b32 v[52:53], v46 offset0:128 offset1:160
	;;#ASMSTART
	s_waitcnt lgkmcnt(0)
	;;#ASMEND
	ds_write_b32 v102, v103 offset:49216
	v_lshlrev_b32_e32 v105, 4, v101
	ds_read_b32 v46, v105 offset:49152
	s_waitcnt lgkmcnt(0)
	v_cmp_ne_u32_e32 vcc, v46, v84
	s_and_saveexec_b64 s[10:11], vcc
	s_cbranch_execz .LBB342_19
; %bb.17:                               ;   in Loop: Header=BB342_13 Depth=2
	s_mov_b64 s[12:13], 0
.LBB342_18:                             ;   Parent Loop BB342_7 Depth=1
                                        ;     Parent Loop BB342_13 Depth=2
                                        ; =>    This Inner Loop Header: Depth=3
	;;#ASMSTART
	s_sleep 0
	;;#ASMEND
	ds_read_b32 v46, v105 offset:49152
	s_waitcnt lgkmcnt(0)
	v_cmp_eq_u32_e32 vcc, v46, v84
	s_or_b64 s[12:13], vcc, s[12:13]
	s_andn2_b64 exec, exec, s[12:13]
	s_cbranch_execnz .LBB342_18
.LBB342_19:                             ;   in Loop: Header=BB342_13 Depth=2
	s_or_b64 exec, exec, s[10:11]
	v_lshlrev_b32_e32 v62, 13, v101
	v_or_b32_e32 v58, v85, v62
	ds_read2_b32 v[46:47], v58 offset1:32
	ds_read2_b32 v[54:55], v58 offset0:128 offset1:160
	v_add_u32_e32 v60, 0x400, v58
	ds_read2_b32 v[58:59], v60 offset1:32
	ds_read2_b32 v[60:61], v60 offset0:128 offset1:160
	ds_read_b32 v63, v105 offset:49156
	ds_write_b32 v105, v103 offset:49152
	s_waitcnt lgkmcnt(5)
	v_mfma_f32_16x16x32_fp8_fp8 v[28:31], v[46:47], v[48:49], v[28:31]
	s_waitcnt lgkmcnt(1)
	v_cmp_ne_u32_e32 vcc, v63, v84
	v_mfma_f32_16x16x32_fp8_fp8 v[28:31], v[54:55], v[50:51], v[28:31]
	v_mfma_f32_16x16x32_fp8_fp8 v[28:31], v[58:59], v[56:57], v[28:31]
	v_mfma_f32_16x16x32_fp8_fp8 v[28:31], v[60:61], v[52:53], v[28:31]
	s_and_saveexec_b64 s[10:11], vcc
	s_cbranch_execz .LBB342_22
; %bb.20:                               ;   in Loop: Header=BB342_13 Depth=2
	s_mov_b64 s[12:13], 0
.LBB342_21:                             ;   Parent Loop BB342_7 Depth=1
                                        ;     Parent Loop BB342_13 Depth=2
                                        ; =>    This Inner Loop Header: Depth=3
	;;#ASMSTART
	s_sleep 0
	;;#ASMEND
	ds_read_b32 v63, v105 offset:49156
	s_waitcnt lgkmcnt(0)
	v_cmp_eq_u32_e32 vcc, v63, v84
	s_or_b64 s[12:13], vcc, s[12:13]
	s_andn2_b64 exec, exec, s[12:13]
	s_cbranch_execnz .LBB342_21
.LBB342_22:                             ;   in Loop: Header=BB342_13 Depth=2
	s_or_b64 exec, exec, s[10:11]
	v_add_u32_e32 v82, v85, v62
	v_add_u32_e32 v64, 0x800, v82
	ds_read2_b32 v[62:63], v64 offset1:32
	ds_read2_b32 v[64:65], v64 offset0:128 offset1:160
	v_add_u32_e32 v68, 0xc00, v82
	ds_read2_b32 v[66:67], v68 offset1:32
	ds_read2_b32 v[68:69], v68 offset0:128 offset1:160
	ds_read_b32 v70, v105 offset:49160
	ds_write_b32 v105, v103 offset:49156
	s_waitcnt lgkmcnt(5)
	v_mfma_f32_16x16x32_fp8_fp8 v[20:23], v[62:63], v[48:49], v[20:23]
	s_waitcnt lgkmcnt(1)
	v_cmp_ne_u32_e32 vcc, v70, v84
	v_mfma_f32_16x16x32_fp8_fp8 v[20:23], v[64:65], v[50:51], v[20:23]
	v_mfma_f32_16x16x32_fp8_fp8 v[20:23], v[66:67], v[56:57], v[20:23]
	;; [unrolled: 1-line block ×3, first 2 shown]
	s_and_saveexec_b64 s[10:11], vcc
	s_cbranch_execz .LBB342_25
; %bb.23:                               ;   in Loop: Header=BB342_13 Depth=2
	s_mov_b64 s[12:13], 0
.LBB342_24:                             ;   Parent Loop BB342_7 Depth=1
                                        ;     Parent Loop BB342_13 Depth=2
                                        ; =>    This Inner Loop Header: Depth=3
	;;#ASMSTART
	s_sleep 0
	;;#ASMEND
	ds_read_b32 v70, v105 offset:49160
	s_waitcnt lgkmcnt(0)
	v_cmp_eq_u32_e32 vcc, v70, v84
	s_or_b64 s[12:13], vcc, s[12:13]
	s_andn2_b64 exec, exec, s[12:13]
	s_cbranch_execnz .LBB342_24
.LBB342_25:                             ;   in Loop: Header=BB342_13 Depth=2
	s_or_b64 exec, exec, s[10:11]
	v_add_u32_e32 v72, 0x1000, v82
	ds_read2_b32 v[70:71], v72 offset1:32
	ds_read2_b32 v[72:73], v72 offset0:128 offset1:160
	v_add_u32_e32 v76, 0x1400, v82
	ds_read2_b32 v[74:75], v76 offset1:32
	ds_read2_b32 v[76:77], v76 offset0:128 offset1:160
	ds_read_b32 v78, v105 offset:49164
	ds_write_b32 v105, v103 offset:49160
	s_waitcnt lgkmcnt(5)
	v_mfma_f32_16x16x32_fp8_fp8 v[12:15], v[70:71], v[48:49], v[12:15]
	s_waitcnt lgkmcnt(1)
	v_cmp_ne_u32_e32 vcc, v78, v84
	v_mfma_f32_16x16x32_fp8_fp8 v[12:15], v[72:73], v[50:51], v[12:15]
	v_mfma_f32_16x16x32_fp8_fp8 v[12:15], v[74:75], v[56:57], v[12:15]
	;; [unrolled: 1-line block ×3, first 2 shown]
	s_and_saveexec_b64 s[10:11], vcc
	s_cbranch_execz .LBB342_28
; %bb.26:                               ;   in Loop: Header=BB342_13 Depth=2
	s_mov_b64 s[12:13], 0
.LBB342_27:                             ;   Parent Loop BB342_7 Depth=1
                                        ;     Parent Loop BB342_13 Depth=2
                                        ; =>    This Inner Loop Header: Depth=3
	;;#ASMSTART
	s_sleep 0
	;;#ASMEND
	ds_read_b32 v78, v105 offset:49164
	s_waitcnt lgkmcnt(0)
	v_cmp_eq_u32_e32 vcc, v78, v84
	s_or_b64 s[12:13], vcc, s[12:13]
	s_andn2_b64 exec, exec, s[12:13]
	s_cbranch_execnz .LBB342_27
.LBB342_28:                             ;   in Loop: Header=BB342_13 Depth=2
	s_or_b64 exec, exec, s[10:11]
	v_add_u32_e32 v80, 0x1800, v82
	ds_read2_b32 v[78:79], v80 offset1:32
	ds_read2_b32 v[80:81], v80 offset0:128 offset1:160
	v_add_u32_e32 v106, 0x1c00, v82
	ds_read2_b32 v[82:83], v106 offset1:32
	ds_write_b32 v105, v103 offset:49164
	s_waitcnt lgkmcnt(3)
	v_mfma_f32_16x16x32_fp8_fp8 v[0:3], v[78:79], v[48:49], v[0:3]
	ds_read2_b32 v[48:49], v106 offset0:128 offset1:160
	s_waitcnt lgkmcnt(3)
	v_mfma_f32_16x16x32_fp8_fp8 v[0:3], v[80:81], v[50:51], v[0:3]
	ds_read_b32 v50, v102 offset:49220
	s_waitcnt lgkmcnt(0)
	v_cmp_ne_u32_e32 vcc, v50, v84
	v_mfma_f32_16x16x32_fp8_fp8 v[0:3], v[82:83], v[56:57], v[0:3]
	v_mfma_f32_16x16x32_fp8_fp8 v[0:3], v[48:49], v[52:53], v[0:3]
	s_and_saveexec_b64 s[10:11], vcc
	s_cbranch_execz .LBB342_12
; %bb.29:                               ;   in Loop: Header=BB342_13 Depth=2
	s_mov_b64 s[12:13], 0
.LBB342_30:                             ;   Parent Loop BB342_7 Depth=1
                                        ;     Parent Loop BB342_13 Depth=2
                                        ; =>    This Inner Loop Header: Depth=3
	;;#ASMSTART
	s_sleep 0
	;;#ASMEND
	ds_read_b32 v50, v102 offset:49220
	s_waitcnt lgkmcnt(0)
	v_cmp_eq_u32_e32 vcc, v50, v84
	s_or_b64 s[12:13], vcc, s[12:13]
	s_andn2_b64 exec, exec, s[12:13]
	s_cbranch_execnz .LBB342_30
	s_branch .LBB342_12
.LBB342_31:                             ;   in Loop: Header=BB342_7 Depth=1
	s_or_b64 exec, exec, s[8:9]
.LBB342_32:                             ;   in Loop: Header=BB342_7 Depth=1
	s_or_b64 exec, exec, s[6:7]
	v_cmp_le_i32_e32 vcc, s14, v32
	v_cmp_eq_u32_e64 s[6:7], 2, v87
	v_cmp_eq_u32_e64 s[8:9], 3, v87
	s_waitcnt vmcnt(0)
	v_cndmask_b32_e32 v46, 0, v100, vcc
	v_pk_mul_f32 v[28:29], v[46:47], v[28:29] op_sel_hi:[0,1]
	v_cmp_eq_u32_e32 vcc, 1, v87
	v_pk_mul_f32 v[48:49], v[46:47], v[30:31] op_sel_hi:[0,1]
	v_cmp_eq_u32_e64 s[10:11], 0, v87
	v_cndmask_b32_e32 v30, v28, v29, vcc
	v_cndmask_b32_e64 v30, v30, v48, s[6:7]
	v_cndmask_b32_e64 v30, v30, v49, s[8:9]
	ds_bpermute_b32 v47, v98, v30
	v_cmp_le_i32_e64 s[14:15], s14, v89
	v_cmp_eq_u32_e64 s[12:13], 1, v88
	v_add_u32_e32 v51, s61, v90
	s_waitcnt lgkmcnt(0)
	v_cndmask_b32_e64 v30, v49, v47, s[8:9]
	v_cndmask_b32_e64 v31, v48, v47, s[6:7]
	v_cndmask_b32_e32 v29, v29, v47, vcc
	v_cndmask_b32_e64 v47, v28, v47, s[10:11]
	v_cndmask_b32_e64 v28, 0, v100, s[14:15]
	v_pk_mul_f32 v[54:55], v[28:29], v[24:25] op_sel_hi:[0,1]
	v_pk_mul_f32 v[52:53], v[28:29], v[26:27] op_sel_hi:[0,1]
	v_cndmask_b32_e32 v24, v54, v55, vcc
	v_cndmask_b32_e64 v24, v24, v52, s[6:7]
	v_cndmask_b32_e64 v24, v24, v53, s[8:9]
	ds_bpermute_b32 v25, v98, v24
	v_cndmask_b32_e64 v48, v47, v29, s[12:13]
	v_cmp_eq_u32_e32 vcc, 2, v88
	v_cmp_eq_u32_e64 s[14:15], 3, v88
	s_waitcnt lgkmcnt(0)
	v_cndmask_b32_e64 v27, v52, v25, s[6:7]
	v_cndmask_b32_e32 v24, v48, v31, vcc
	v_cndmask_b32_e64 v24, v24, v30, s[14:15]
	v_cmp_ne_u32_e64 s[6:7], 0, v87
	ds_bpermute_b32 v48, v98, v24
	v_cndmask_b32_e64 v26, v53, v25, s[8:9]
	v_cndmask_b32_e64 v24, v55, v25, s[6:7]
	;; [unrolled: 1-line block ×4, first 2 shown]
	v_cndmask_b32_e32 v49, v49, v27, vcc
	v_cndmask_b32_e64 v49, v49, v26, s[14:15]
	ds_bpermute_b32 v49, v98, v49
	v_cmp_gt_u32_e32 vcc, 64, v51
	s_and_saveexec_b64 s[44:45], vcc
	s_cbranch_execz .LBB342_41
; %bb.33:                               ;   in Loop: Header=BB342_7 Depth=1
	v_cmp_eq_u32_e64 s[8:9], 1, v88
	v_cmp_eq_u32_e64 s[10:11], 0, v88
	v_cmp_eq_u32_e32 vcc, 3, v88
	s_waitcnt lgkmcnt(1)
	v_cndmask_b32_e64 v29, v29, v48, s[8:9]
	s_waitcnt lgkmcnt(0)
	v_cndmask_b32_e64 v52, v24, v49, s[8:9]
	s_mul_i32 s8, s59, s17
	s_ashr_i32 s9, s8, 31
	s_lshl_b64 s[8:9], s[8:9], 1
	v_cndmask_b32_e64 v47, v47, v48, s[10:11]
	v_cndmask_b32_e64 v53, v25, v49, s[10:11]
	s_add_u32 s10, s28, s8
	s_addc_u32 s11, s29, s9
	s_ashr_i32 s39, s38, 31
	v_cvt_f16_f32_e32 v47, v47
	v_cvt_f16_f32_sdwa v29, v29 dst_sel:WORD_1 dst_unused:UNUSED_PAD src0_sel:DWORD
	s_lshl_b64 s[8:9], s[38:39], 1
	v_cvt_f16_f32_e32 v54, v53
	v_cvt_f16_f32_sdwa v55, v52 dst_sel:WORD_1 dst_unused:UNUSED_PAD src0_sel:DWORD
	s_add_u32 s46, s10, s8
	s_addc_u32 s47, s11, s9
	v_cmp_eq_u32_e64 s[6:7], 2, v88
	v_lshl_add_u64 v[24:25], v[34:35], 1, s[46:47]
	v_or_b32_e32 v29, v29, v47
	v_cmp_gt_u32_e64 s[8:9], 62, v51
	;;#ASMSTART
	global_atomic_pk_add_f16 v[24:25], v29, off
	
	;;#ASMEND
	v_lshl_add_u64 v[52:53], v[24:25], 0, 32
	v_or_b32_e32 v29, v55, v54
	;;#ASMSTART
	global_atomic_pk_add_f16 v[52:53], v29, off
	
	;;#ASMEND
	s_and_b64 exec, exec, s[8:9]
	s_cbranch_execz .LBB342_41
; %bb.34:                               ;   in Loop: Header=BB342_7 Depth=1
	v_mov_b32_e32 v47, v46
	v_cndmask_b32_e32 v30, v30, v48, vcc
	v_cndmask_b32_e64 v31, v31, v48, s[6:7]
	v_cndmask_b32_e32 v48, v26, v49, vcc
	v_cndmask_b32_e64 v49, v27, v49, s[6:7]
	v_mov_b32_e32 v26, v46
	v_mov_b32_e32 v27, v46
	v_pk_mul_f32 v[22:23], v[26:27], v[22:23]
	v_pk_mul_f32 v[26:27], v[46:47], v[20:21]
	v_cmp_eq_u32_e32 vcc, 1, v87
	v_cmp_eq_u32_e64 s[6:7], 2, v87
	v_cmp_eq_u32_e64 s[8:9], 3, v87
	v_cndmask_b32_e32 v20, v26, v27, vcc
	v_cndmask_b32_e64 v20, v20, v22, s[6:7]
	v_cndmask_b32_e64 v20, v20, v23, s[8:9]
	v_cvt_f16_f32_e32 v31, v31
	v_cvt_f16_f32_sdwa v30, v30 dst_sel:WORD_1 dst_unused:UNUSED_PAD src0_sel:DWORD
	ds_bpermute_b32 v51, v98, v20
	v_mov_b32_e32 v29, v28
	v_lshl_add_u64 v[24:25], s[34:35], 2, v[24:25]
	v_or_b32_e32 v30, v30, v31
	v_cmp_eq_u32_e64 s[10:11], 0, v87
	;;#ASMSTART
	global_atomic_pk_add_f16 v[24:25], v30, off
	
	;;#ASMEND
	v_cvt_f16_f32_e32 v52, v49
	v_cvt_f16_f32_sdwa v53, v48 dst_sel:WORD_1 dst_unused:UNUSED_PAD src0_sel:DWORD
	v_lshl_add_u64 v[30:31], v[24:25], 0, 32
	s_waitcnt lgkmcnt(0)
	v_cndmask_b32_e64 v20, v23, v51, s[8:9]
	v_cndmask_b32_e32 v23, v27, v51, vcc
	v_cndmask_b32_e64 v24, v26, v51, s[10:11]
	v_mov_b32_e32 v26, v28
	v_mov_b32_e32 v27, v28
	v_pk_mul_f32 v[48:49], v[28:29], v[16:17]
	v_pk_mul_f32 v[26:27], v[26:27], v[18:19]
	v_cndmask_b32_e32 v16, v48, v49, vcc
	v_cndmask_b32_e64 v16, v16, v26, s[6:7]
	v_cndmask_b32_e64 v16, v16, v27, s[8:9]
	ds_bpermute_b32 v17, v98, v16
	v_cmp_eq_u32_e64 s[12:13], 1, v88
	v_cndmask_b32_e64 v21, v22, v51, s[6:7]
	v_cmp_eq_u32_e32 vcc, 2, v88
	v_cndmask_b32_e64 v22, v24, v23, s[12:13]
	v_cmp_eq_u32_e64 s[14:15], 3, v88
	v_cndmask_b32_e32 v16, v22, v21, vcc
	s_waitcnt lgkmcnt(0)
	v_cndmask_b32_e64 v19, v26, v17, s[6:7]
	v_cndmask_b32_e64 v16, v16, v20, s[14:15]
	v_cmp_ne_u32_e64 s[6:7], 0, v87
	ds_bpermute_b32 v22, v98, v16
	v_cndmask_b32_e64 v18, v27, v17, s[8:9]
	v_cndmask_b32_e64 v16, v49, v17, s[6:7]
	;; [unrolled: 1-line block ×4, first 2 shown]
	v_cndmask_b32_e32 v25, v25, v19, vcc
	v_cndmask_b32_e64 v25, v25, v18, s[14:15]
	ds_bpermute_b32 v25, v98, v25
	v_or_b32_e32 v26, v53, v52
	;;#ASMSTART
	global_atomic_pk_add_f16 v[30:31], v26, off
	
	;;#ASMEND
	v_add_u32_e32 v26, s61, v91
	v_cmp_gt_u32_e32 vcc, 64, v26
	s_and_b64 exec, exec, vcc
	s_cbranch_execz .LBB342_41
; %bb.35:                               ;   in Loop: Header=BB342_7 Depth=1
	v_cmp_eq_u32_e64 s[8:9], 1, v88
	v_cmp_eq_u32_e64 s[10:11], 0, v88
	v_cmp_eq_u32_e32 vcc, 3, v88
	s_waitcnt lgkmcnt(1)
	v_cndmask_b32_e64 v23, v23, v22, s[8:9]
	v_cndmask_b32_e64 v24, v24, v22, s[10:11]
	s_waitcnt lgkmcnt(0)
	v_cndmask_b32_e64 v27, v16, v25, s[8:9]
	v_cndmask_b32_e64 v30, v17, v25, s[10:11]
	v_cvt_f16_f32_e32 v24, v24
	v_cvt_f16_f32_sdwa v23, v23 dst_sel:WORD_1 dst_unused:UNUSED_PAD src0_sel:DWORD
	v_cvt_f16_f32_e32 v48, v30
	v_cvt_f16_f32_sdwa v27, v27 dst_sel:WORD_1 dst_unused:UNUSED_PAD src0_sel:DWORD
	v_cmp_eq_u32_e64 s[6:7], 2, v88
	v_lshl_add_u64 v[16:17], v[36:37], 1, s[46:47]
	v_or_b32_e32 v23, v23, v24
	v_cmp_gt_u32_e64 s[8:9], 62, v26
	;;#ASMSTART
	global_atomic_pk_add_f16 v[16:17], v23, off
	
	;;#ASMEND
	v_lshl_add_u64 v[30:31], v[16:17], 0, 32
	v_or_b32_e32 v23, v27, v48
	;;#ASMSTART
	global_atomic_pk_add_f16 v[30:31], v23, off
	
	;;#ASMEND
	s_and_b64 exec, exec, s[8:9]
	s_cbranch_execz .LBB342_41
; %bb.36:                               ;   in Loop: Header=BB342_7 Depth=1
	v_cndmask_b32_e32 v20, v20, v22, vcc
	v_cndmask_b32_e64 v21, v21, v22, s[6:7]
	v_cndmask_b32_e32 v22, v18, v25, vcc
	v_cndmask_b32_e64 v23, v19, v25, s[6:7]
	v_mov_b32_e32 v18, v46
	v_mov_b32_e32 v19, v46
	v_pk_mul_f32 v[14:15], v[18:19], v[14:15]
	v_pk_mul_f32 v[18:19], v[46:47], v[12:13]
	v_cmp_eq_u32_e32 vcc, 1, v87
	v_cmp_eq_u32_e64 s[6:7], 2, v87
	v_cmp_eq_u32_e64 s[8:9], 3, v87
	v_cndmask_b32_e32 v12, v18, v19, vcc
	v_cndmask_b32_e64 v12, v12, v14, s[6:7]
	v_cndmask_b32_e64 v12, v12, v15, s[8:9]
	v_cvt_f16_f32_e32 v21, v21
	v_cvt_f16_f32_sdwa v20, v20 dst_sel:WORD_1 dst_unused:UNUSED_PAD src0_sel:DWORD
	ds_bpermute_b32 v24, v98, v12
	v_lshl_add_u64 v[16:17], s[34:35], 2, v[16:17]
	v_cmp_eq_u32_e64 s[10:11], 0, v87
	v_or_b32_e32 v20, v20, v21
	;;#ASMSTART
	global_atomic_pk_add_f16 v[16:17], v20, off
	
	;;#ASMEND
	v_cvt_f16_f32_e32 v25, v23
	v_cvt_f16_f32_sdwa v26, v22 dst_sel:WORD_1 dst_unused:UNUSED_PAD src0_sel:DWORD
	v_lshl_add_u64 v[20:21], v[16:17], 0, 32
	s_waitcnt lgkmcnt(0)
	v_cndmask_b32_e64 v12, v15, v24, s[8:9]
	v_cndmask_b32_e32 v15, v19, v24, vcc
	v_cndmask_b32_e64 v16, v18, v24, s[10:11]
	v_mov_b32_e32 v18, v28
	v_mov_b32_e32 v19, v28
	v_pk_mul_f32 v[22:23], v[28:29], v[8:9]
	v_pk_mul_f32 v[18:19], v[18:19], v[10:11]
	v_cndmask_b32_e32 v8, v22, v23, vcc
	v_cndmask_b32_e64 v8, v8, v18, s[6:7]
	v_cndmask_b32_e64 v8, v8, v19, s[8:9]
	ds_bpermute_b32 v9, v98, v8
	v_cmp_eq_u32_e64 s[12:13], 1, v88
	v_cndmask_b32_e64 v13, v14, v24, s[6:7]
	v_cmp_eq_u32_e32 vcc, 2, v88
	v_cndmask_b32_e64 v14, v16, v15, s[12:13]
	v_cmp_eq_u32_e64 s[14:15], 3, v88
	v_cndmask_b32_e32 v8, v14, v13, vcc
	s_waitcnt lgkmcnt(0)
	v_cndmask_b32_e64 v11, v18, v9, s[6:7]
	v_cndmask_b32_e64 v8, v8, v12, s[14:15]
	v_cmp_ne_u32_e64 s[6:7], 0, v87
	ds_bpermute_b32 v14, v98, v8
	v_cndmask_b32_e64 v10, v19, v9, s[8:9]
	v_cndmask_b32_e64 v8, v23, v9, s[6:7]
	;; [unrolled: 1-line block ×4, first 2 shown]
	v_cndmask_b32_e32 v17, v17, v11, vcc
	v_cndmask_b32_e64 v17, v17, v10, s[14:15]
	ds_bpermute_b32 v17, v98, v17
	v_or_b32_e32 v18, v26, v25
	;;#ASMSTART
	global_atomic_pk_add_f16 v[20:21], v18, off
	
	;;#ASMEND
	v_add_u32_e32 v18, s61, v92
	v_cmp_gt_u32_e32 vcc, 64, v18
	s_and_b64 exec, exec, vcc
	s_cbranch_execz .LBB342_41
; %bb.37:                               ;   in Loop: Header=BB342_7 Depth=1
	v_cmp_eq_u32_e64 s[8:9], 1, v88
	v_cmp_eq_u32_e64 s[10:11], 0, v88
	v_cmp_eq_u32_e32 vcc, 3, v88
	s_waitcnt lgkmcnt(1)
	v_cndmask_b32_e64 v15, v15, v14, s[8:9]
	v_cndmask_b32_e64 v16, v16, v14, s[10:11]
	s_waitcnt lgkmcnt(0)
	v_cndmask_b32_e64 v19, v8, v17, s[8:9]
	v_cndmask_b32_e64 v20, v9, v17, s[10:11]
	v_cvt_f16_f32_e32 v16, v16
	v_cvt_f16_f32_sdwa v15, v15 dst_sel:WORD_1 dst_unused:UNUSED_PAD src0_sel:DWORD
	v_cvt_f16_f32_e32 v22, v20
	v_cvt_f16_f32_sdwa v19, v19 dst_sel:WORD_1 dst_unused:UNUSED_PAD src0_sel:DWORD
	v_cmp_eq_u32_e64 s[6:7], 2, v88
	v_lshl_add_u64 v[8:9], v[38:39], 1, s[46:47]
	v_or_b32_e32 v15, v15, v16
	v_cmp_gt_u32_e64 s[8:9], 62, v18
	;;#ASMSTART
	global_atomic_pk_add_f16 v[8:9], v15, off
	
	;;#ASMEND
	v_lshl_add_u64 v[20:21], v[8:9], 0, 32
	v_or_b32_e32 v15, v19, v22
	;;#ASMSTART
	global_atomic_pk_add_f16 v[20:21], v15, off
	
	;;#ASMEND
	s_and_b64 exec, exec, s[8:9]
	s_cbranch_execz .LBB342_41
; %bb.38:                               ;   in Loop: Header=BB342_7 Depth=1
	v_cndmask_b32_e32 v12, v12, v14, vcc
	v_cndmask_b32_e64 v13, v13, v14, s[6:7]
	v_cvt_f16_f32_e32 v13, v13
	v_cvt_f16_f32_sdwa v12, v12 dst_sel:WORD_1 dst_unused:UNUSED_PAD src0_sel:DWORD
	v_cndmask_b32_e32 v14, v10, v17, vcc
	v_cndmask_b32_e64 v15, v11, v17, s[6:7]
	v_mov_b32_e32 v10, v46
	v_or_b32_e32 v16, v12, v13
	v_mov_b32_e32 v11, v46
	v_pk_mul_f32 v[12:13], v[46:47], v[0:1]
	v_cmp_eq_u32_e32 vcc, 1, v87
	v_pk_mul_f32 v[10:11], v[10:11], v[2:3]
	v_cmp_eq_u32_e64 s[6:7], 2, v87
	v_cndmask_b32_e32 v0, v12, v13, vcc
	v_cmp_eq_u32_e64 s[8:9], 3, v87
	v_cndmask_b32_e64 v0, v0, v10, s[6:7]
	v_lshl_add_u64 v[8:9], s[34:35], 2, v[8:9]
	v_cndmask_b32_e64 v0, v0, v11, s[8:9]
	ds_bpermute_b32 v1, v98, v0
	;;#ASMSTART
	global_atomic_pk_add_f16 v[8:9], v16, off
	
	;;#ASMEND
	v_cvt_f16_f32_e32 v16, v15
	v_cvt_f16_f32_sdwa v17, v14 dst_sel:WORD_1 dst_unused:UNUSED_PAD src0_sel:DWORD
	v_lshl_add_u64 v[14:15], v[8:9], 0, 32
	v_mov_b32_e32 v8, v28
	v_mov_b32_e32 v9, v28
	v_pk_mul_f32 v[6:7], v[8:9], v[6:7]
	v_pk_mul_f32 v[8:9], v[28:29], v[4:5]
	s_waitcnt lgkmcnt(0)
	v_cndmask_b32_e64 v2, v11, v1, s[8:9]
	v_cndmask_b32_e32 v4, v8, v9, vcc
	v_cndmask_b32_e64 v4, v4, v6, s[6:7]
	v_cndmask_b32_e64 v4, v4, v7, s[8:9]
	ds_bpermute_b32 v11, v98, v4
	v_cmp_eq_u32_e64 s[10:11], 0, v87
	v_cndmask_b32_e64 v3, v10, v1, s[6:7]
	v_cndmask_b32_e32 v0, v13, v1, vcc
	v_cndmask_b32_e64 v1, v12, v1, s[10:11]
	v_cmp_eq_u32_e64 s[12:13], 1, v88
	v_cmp_eq_u32_e32 vcc, 2, v88
	s_waitcnt lgkmcnt(0)
	v_cndmask_b32_e64 v6, v6, v11, s[6:7]
	v_cndmask_b32_e64 v10, v1, v0, s[12:13]
	v_cmp_ne_u32_e64 s[6:7], 0, v87
	v_cndmask_b32_e32 v4, v10, v3, vcc
	v_cndmask_b32_e64 v10, v8, v11, s[10:11]
	v_cndmask_b32_e64 v9, v9, v11, s[6:7]
	;; [unrolled: 1-line block ×4, first 2 shown]
	v_cmp_eq_u32_e64 s[14:15], 3, v88
	v_cndmask_b32_e32 v7, v7, v6, vcc
	v_or_b32_e32 v8, v17, v16
	v_cndmask_b32_e64 v4, v4, v2, s[14:15]
	v_cndmask_b32_e64 v7, v7, v5, s[14:15]
	ds_bpermute_b32 v4, v98, v4
	ds_bpermute_b32 v7, v98, v7
	;;#ASMSTART
	global_atomic_pk_add_f16 v[14:15], v8, off
	
	;;#ASMEND
	v_add_u32_e32 v8, s61, v93
	v_cmp_gt_u32_e32 vcc, 64, v8
	s_and_b64 exec, exec, vcc
	s_cbranch_execz .LBB342_41
; %bb.39:                               ;   in Loop: Header=BB342_7 Depth=1
	v_cmp_eq_u32_e64 s[8:9], 1, v88
	v_cmp_eq_u32_e64 s[10:11], 0, v88
	v_cmp_eq_u32_e32 vcc, 3, v88
	s_waitcnt lgkmcnt(1)
	v_cndmask_b32_e64 v0, v0, v4, s[8:9]
	v_cndmask_b32_e64 v1, v1, v4, s[10:11]
	s_waitcnt lgkmcnt(0)
	v_cndmask_b32_e64 v9, v9, v7, s[8:9]
	v_cndmask_b32_e64 v10, v10, v7, s[10:11]
	v_cvt_f16_f32_e32 v11, v1
	v_cvt_f16_f32_sdwa v12, v0 dst_sel:WORD_1 dst_unused:UNUSED_PAD src0_sel:DWORD
	v_cvt_f16_f32_e32 v13, v10
	v_cvt_f16_f32_sdwa v9, v9 dst_sel:WORD_1 dst_unused:UNUSED_PAD src0_sel:DWORD
	v_cmp_eq_u32_e64 s[6:7], 2, v88
	v_lshl_add_u64 v[0:1], v[40:41], 1, s[46:47]
	v_or_b32_e32 v10, v12, v11
	v_cmp_gt_u32_e64 s[8:9], 62, v8
	;;#ASMSTART
	global_atomic_pk_add_f16 v[0:1], v10, off
	
	;;#ASMEND
	v_lshl_add_u64 v[10:11], v[0:1], 0, 32
	v_or_b32_e32 v9, v9, v13
	;;#ASMSTART
	global_atomic_pk_add_f16 v[10:11], v9, off
	
	;;#ASMEND
	s_and_b64 exec, exec, s[8:9]
	s_cbranch_execz .LBB342_41
; %bb.40:                               ;   in Loop: Header=BB342_7 Depth=1
	v_cndmask_b32_e32 v2, v2, v4, vcc
	v_cndmask_b32_e64 v3, v3, v4, s[6:7]
	v_cndmask_b32_e32 v4, v5, v7, vcc
	v_cndmask_b32_e64 v5, v6, v7, s[6:7]
	v_cvt_f16_f32_e32 v3, v3
	v_cvt_f16_f32_sdwa v2, v2 dst_sel:WORD_1 dst_unused:UNUSED_PAD src0_sel:DWORD
	v_cvt_f16_f32_e32 v5, v5
	v_cvt_f16_f32_sdwa v4, v4 dst_sel:WORD_1 dst_unused:UNUSED_PAD src0_sel:DWORD
	v_lshl_add_u64 v[0:1], s[34:35], 2, v[0:1]
	v_or_b32_e32 v2, v2, v3
	;;#ASMSTART
	global_atomic_pk_add_f16 v[0:1], v2, off
	
	;;#ASMEND
	v_lshl_add_u64 v[0:1], v[0:1], 0, 32
	v_or_b32_e32 v2, v4, v5
	;;#ASMSTART
	global_atomic_pk_add_f16 v[0:1], v2, off
	
	;;#ASMEND
.LBB342_41:                             ;   in Loop: Header=BB342_7 Depth=1
	s_or_b64 exec, exec, s[44:45]
	v_subrev_u32_e32 v99, s62, v99
.LBB342_42:                             ;   in Loop: Header=BB342_7 Depth=1
	s_or_b64 exec, exec, s[42:43]
.LBB342_43:                             ;   in Loop: Header=BB342_7 Depth=1
	s_andn2_saveexec_b64 s[6:7], s[40:41]
	s_cbranch_execz .LBB342_52
; %bb.44:                               ;   in Loop: Header=BB342_7 Depth=1
	s_lshl_b32 s39, s62, 1
	v_cmp_gt_i32_e32 vcc, s39, v99
	s_and_saveexec_b64 s[8:9], vcc
	s_cbranch_execz .LBB342_51
; %bb.45:                               ;   in Loop: Header=BB342_7 Depth=1
	s_mul_i32 s10, s38, s19
	s_ashr_i32 s11, s10, 31
	s_waitcnt lgkmcnt(0)
	s_add_u32 s10, s26, s10
	s_addc_u32 s11, s27, s11
	s_ashr_i32 s12, s60, 31
	s_add_u32 s10, s10, s60
	s_addc_u32 s11, s11, s12
	v_lshl_add_u64 v[0:1], s[10:11], 0, v[44:45]
	v_lshl_add_u64 v[8:9], v[0:1], 0, v[42:43]
	s_mov_b64 s[10:11], 0
	s_branch .LBB342_47
.LBB342_46:                             ;   in Loop: Header=BB342_47 Depth=2
	s_or_b64 exec, exec, s[12:13]
	v_lshl_add_u32 v12, v10, 11, v96
	;;#ASMSTART
	s_waitcnt vmcnt(1)
	;;#ASMEND
	ds_write2_b32 v12, v4, v5 offset1:32
	ds_write2_b32 v12, v6, v7 offset0:64 offset1:96
	v_add_u32_e32 v4, 0x400, v12
	v_add_u32_e32 v99, s22, v99
	;;#ASMSTART
	s_waitcnt vmcnt(0)
	;;#ASMEND
	ds_write2_b32 v4, v0, v1 offset1:32
	ds_write2_b32 v4, v2, v3 offset0:64 offset1:96
	v_add_u32_e32 v0, 1, v84
	v_add_u32_e32 v50, s22, v10
	v_cmp_le_i32_e32 vcc, s39, v99
	ds_write_b32 v11, v0 offset:64
	v_add_u32_e32 v0, 2, v84
	s_or_b64 s[10:11], vcc, s[10:11]
	v_cmp_lt_i32_e32 vcc, 7, v50
	s_nop 1
	v_cndmask_b32_e32 v84, v84, v0, vcc
	s_andn2_b64 exec, exec, s[10:11]
	s_cbranch_execz .LBB342_50
.LBB342_47:                             ;   Parent Loop BB342_7 Depth=1
                                        ; =>  This Loop Header: Depth=2
                                        ;       Child Loop BB342_49 Depth 3
	v_cmp_gt_i32_e32 vcc, 8, v50
	s_nop 1
	v_cndmask_b32_e64 v0, -8, 0, vcc
	v_add_u32_e32 v10, v0, v50
	v_lshrrev_b32_e32 v0, 31, v99
	v_add_u32_e32 v0, v99, v0
	v_and_b32_e32 v1, -2, v0
	v_lshlrev_b32_e32 v0, 6, v0
	v_sub_u32_e32 v2, v99, v1
	v_and_b32_e32 v0, 0xffffff80, v0
	v_ashrrev_i32_e32 v1, 31, v0
	v_mul_lo_u32 v2, s53, v2
	v_lshl_add_u64 v[0:1], v[8:9], 0, v[0:1]
	v_ashrrev_i32_e32 v3, 31, v2
	v_lshl_add_u64 v[0:1], v[0:1], 0, v[2:3]
	v_lshlrev_b32_e32 v11, 2, v10
	;;#ASMSTART
	global_load_dwordx4 v[4:7], v[0:1], off offset:0   sc0 sc1 nt  
	global_load_dwordx4 v[0:3], v[0:1], off offset:64  sc0 sc1 nt  
	
	;;#ASMEND
	ds_read_b32 v12, v11 offset:49216
	v_add_u32_e32 v11, 0xc000, v11
	s_waitcnt lgkmcnt(0)
	v_cmp_ne_u32_e32 vcc, v12, v84
	s_and_saveexec_b64 s[12:13], vcc
	s_cbranch_execz .LBB342_46
; %bb.48:                               ;   in Loop: Header=BB342_47 Depth=2
	s_mov_b64 s[14:15], 0
.LBB342_49:                             ;   Parent Loop BB342_7 Depth=1
                                        ;     Parent Loop BB342_47 Depth=2
                                        ; =>    This Inner Loop Header: Depth=3
	;;#ASMSTART
	s_sleep 0
	;;#ASMEND
	ds_read_b32 v12, v11 offset:64
	s_waitcnt lgkmcnt(0)
	v_cmp_eq_u32_e32 vcc, v12, v84
	s_or_b64 s[14:15], vcc, s[14:15]
	s_andn2_b64 exec, exec, s[14:15]
	s_cbranch_execnz .LBB342_49
	s_branch .LBB342_46
.LBB342_50:                             ;   in Loop: Header=BB342_7 Depth=1
	s_or_b64 exec, exec, s[10:11]
.LBB342_51:                             ;   in Loop: Header=BB342_7 Depth=1
	s_or_b64 exec, exec, s[8:9]
	v_subrev_u32_e32 v99, s39, v99
.LBB342_52:                             ;   in Loop: Header=BB342_7 Depth=1
	s_or_b64 exec, exec, s[6:7]
.LBB342_53:                             ;   in Loop: Header=BB342_7 Depth=1
	s_andn2_saveexec_b64 s[6:7], s[36:37]
	s_cbranch_execz .LBB342_6
; %bb.54:                               ;   in Loop: Header=BB342_7 Depth=1
	s_lshl_b32 s36, s62, 2
	v_cmp_gt_i32_e32 vcc, s36, v99
	s_and_saveexec_b64 s[8:9], vcc
	s_cbranch_execz .LBB342_5
; %bb.55:                               ;   in Loop: Header=BB342_7 Depth=1
	s_mul_i32 s59, s59, s18
	s_ashr_i32 s10, s59, 31
	s_waitcnt lgkmcnt(0)
	s_add_u32 s11, s24, s59
	v_add_u32_e32 v2, s61, v94
	s_addc_u32 s12, s25, s10
	s_ashr_i32 s13, s60, 31
	v_cmp_gt_u32_e32 vcc, 64, v2
	s_add_u32 s10, s11, s60
	s_addc_u32 s11, s12, s13
	v_cndmask_b32_e32 v0, 0, v97, vcc
	v_ashrrev_i32_e32 v1, 31, v0
	v_lshl_add_u64 v[0:1], s[10:11], 0, v[0:1]
	v_lshl_add_u64 v[8:9], v[0:1], 0, v[42:43]
	v_sub_u32_e32 v10, 63, v2
	s_mov_b64 s[10:11], 0
	s_branch .LBB342_57
.LBB342_56:                             ;   in Loop: Header=BB342_57 Depth=2
	s_or_b64 exec, exec, s[12:13]
	v_lshl_or_b32 v13, v11, 11, v95
	;;#ASMSTART
	s_waitcnt vmcnt(1)
	;;#ASMEND
	ds_write2_b32 v13, v4, v5 offset1:32
	ds_write2_b32 v13, v6, v7 offset0:64 offset1:96
	v_add_u32_e32 v4, 0x400, v13
	v_add_u32_e32 v99, s21, v99
	;;#ASMSTART
	s_waitcnt vmcnt(0)
	;;#ASMEND
	ds_write2_b32 v4, v0, v1 offset1:32
	ds_write2_b32 v4, v2, v3 offset0:64 offset1:96
	v_add_u32_e32 v0, 1, v84
	v_add_u32_e32 v50, s21, v11
	v_cmp_le_i32_e32 vcc, s36, v99
	ds_write_b32 v12, v0
	v_add_u32_e32 v0, 2, v84
	s_or_b64 s[10:11], vcc, s[10:11]
	v_cmp_lt_i32_e32 vcc, 15, v50
	s_nop 1
	v_cndmask_b32_e32 v84, v84, v0, vcc
	s_andn2_b64 exec, exec, s[10:11]
	s_cbranch_execz .LBB342_4
.LBB342_57:                             ;   Parent Loop BB342_7 Depth=1
                                        ; =>  This Loop Header: Depth=2
                                        ;       Child Loop BB342_59 Depth 3
	v_cmp_gt_i32_e32 vcc, 16, v50
	s_nop 1
	v_cndmask_b32_e64 v0, -16, 0, vcc
	v_add_u32_e32 v11, v0, v50
	v_ashrrev_i32_e32 v0, 31, v99
	v_lshrrev_b32_e32 v0, 30, v0
	v_add_u32_e32 v0, v99, v0
	v_and_b32_e32 v1, 0xffffffc, v0
	v_sub_u32_e32 v1, v99, v1
	v_lshlrev_b32_e32 v1, 4, v1
	v_cmp_le_i32_e32 vcc, v1, v10
	v_lshlrev_b32_e32 v0, 5, v0
	v_and_b32_e32 v0, 0xffffff80, v0
	v_cndmask_b32_e32 v2, 0, v1, vcc
	v_ashrrev_i32_e32 v1, 31, v0
	v_mul_lo_u32 v2, v2, s18
	v_lshl_add_u64 v[0:1], v[8:9], 0, v[0:1]
	v_ashrrev_i32_e32 v3, 31, v2
	v_lshl_add_u64 v[0:1], v[0:1], 0, v[2:3]
	v_lshlrev_b32_e32 v12, 2, v11
	;;#ASMSTART
	global_load_dwordx4 v[4:7], v[0:1], off offset:0   
	global_load_dwordx4 v[0:3], v[0:1], off offset:64  
	
	;;#ASMEND
	ds_read_b32 v13, v12 offset:49152
	v_add_u32_e32 v12, 0xc000, v12
	s_waitcnt lgkmcnt(0)
	v_cmp_ne_u32_e32 vcc, v13, v84
	s_and_saveexec_b64 s[12:13], vcc
	s_cbranch_execz .LBB342_56
; %bb.58:                               ;   in Loop: Header=BB342_57 Depth=2
	s_mov_b64 s[14:15], 0
.LBB342_59:                             ;   Parent Loop BB342_7 Depth=1
                                        ;     Parent Loop BB342_57 Depth=2
                                        ; =>    This Inner Loop Header: Depth=3
	;;#ASMSTART
	s_sleep 0
	;;#ASMEND
	ds_read_b32 v13, v12
	s_waitcnt lgkmcnt(0)
	v_cmp_eq_u32_e32 vcc, v13, v84
	s_or_b64 s[14:15], vcc, s[14:15]
	s_andn2_b64 exec, exec, s[14:15]
	s_cbranch_execnz .LBB342_59
	s_branch .LBB342_56
.LBB342_60:
	s_endpgm
	.section	.rodata,"a",@progbits
	.p2align	6, 0x0
	.amdhsa_kernel _Z19_skinny_gemm_kernelILi4ELi2ELi4ELi16ELi4EEvPKhS1_P6__halfPKfiiiiiiii
		.amdhsa_group_segment_fixed_size 49248
		.amdhsa_private_segment_fixed_size 0
		.amdhsa_kernarg_size 64
		.amdhsa_user_sgpr_count 2
		.amdhsa_user_sgpr_dispatch_ptr 0
		.amdhsa_user_sgpr_queue_ptr 0
		.amdhsa_user_sgpr_kernarg_segment_ptr 1
		.amdhsa_user_sgpr_dispatch_id 0
		.amdhsa_user_sgpr_kernarg_preload_length 0
		.amdhsa_user_sgpr_kernarg_preload_offset 0
		.amdhsa_user_sgpr_private_segment_size 0
		.amdhsa_uses_dynamic_stack 0
		.amdhsa_enable_private_segment 0
		.amdhsa_system_sgpr_workgroup_id_x 1
		.amdhsa_system_sgpr_workgroup_id_y 0
		.amdhsa_system_sgpr_workgroup_id_z 0
		.amdhsa_system_sgpr_workgroup_info 0
		.amdhsa_system_vgpr_workitem_id 0
		.amdhsa_next_free_vgpr 107
		.amdhsa_next_free_sgpr 63
		.amdhsa_accum_offset 108
		.amdhsa_reserve_vcc 1
		.amdhsa_float_round_mode_32 0
		.amdhsa_float_round_mode_16_64 0
		.amdhsa_float_denorm_mode_32 3
		.amdhsa_float_denorm_mode_16_64 3
		.amdhsa_dx10_clamp 1
		.amdhsa_ieee_mode 1
		.amdhsa_fp16_overflow 0
		.amdhsa_tg_split 0
		.amdhsa_exception_fp_ieee_invalid_op 0
		.amdhsa_exception_fp_denorm_src 0
		.amdhsa_exception_fp_ieee_div_zero 0
		.amdhsa_exception_fp_ieee_overflow 0
		.amdhsa_exception_fp_ieee_underflow 0
		.amdhsa_exception_fp_ieee_inexact 0
		.amdhsa_exception_int_div_zero 0
	.end_amdhsa_kernel
	.section	.text._Z19_skinny_gemm_kernelILi4ELi2ELi4ELi16ELi4EEvPKhS1_P6__halfPKfiiiiiiii,"axG",@progbits,_Z19_skinny_gemm_kernelILi4ELi2ELi4ELi16ELi4EEvPKhS1_P6__halfPKfiiiiiiii,comdat
.Lfunc_end342:
	.size	_Z19_skinny_gemm_kernelILi4ELi2ELi4ELi16ELi4EEvPKhS1_P6__halfPKfiiiiiiii, .Lfunc_end342-_Z19_skinny_gemm_kernelILi4ELi2ELi4ELi16ELi4EEvPKhS1_P6__halfPKfiiiiiiii
                                        ; -- End function
	.set _Z19_skinny_gemm_kernelILi4ELi2ELi4ELi16ELi4EEvPKhS1_P6__halfPKfiiiiiiii.num_vgpr, 107
	.set _Z19_skinny_gemm_kernelILi4ELi2ELi4ELi16ELi4EEvPKhS1_P6__halfPKfiiiiiiii.num_agpr, 0
	.set _Z19_skinny_gemm_kernelILi4ELi2ELi4ELi16ELi4EEvPKhS1_P6__halfPKfiiiiiiii.numbered_sgpr, 63
	.set _Z19_skinny_gemm_kernelILi4ELi2ELi4ELi16ELi4EEvPKhS1_P6__halfPKfiiiiiiii.num_named_barrier, 0
	.set _Z19_skinny_gemm_kernelILi4ELi2ELi4ELi16ELi4EEvPKhS1_P6__halfPKfiiiiiiii.private_seg_size, 0
	.set _Z19_skinny_gemm_kernelILi4ELi2ELi4ELi16ELi4EEvPKhS1_P6__halfPKfiiiiiiii.uses_vcc, 1
	.set _Z19_skinny_gemm_kernelILi4ELi2ELi4ELi16ELi4EEvPKhS1_P6__halfPKfiiiiiiii.uses_flat_scratch, 0
	.set _Z19_skinny_gemm_kernelILi4ELi2ELi4ELi16ELi4EEvPKhS1_P6__halfPKfiiiiiiii.has_dyn_sized_stack, 0
	.set _Z19_skinny_gemm_kernelILi4ELi2ELi4ELi16ELi4EEvPKhS1_P6__halfPKfiiiiiiii.has_recursion, 0
	.set _Z19_skinny_gemm_kernelILi4ELi2ELi4ELi16ELi4EEvPKhS1_P6__halfPKfiiiiiiii.has_indirect_call, 0
	.section	.AMDGPU.csdata,"",@progbits
; Kernel info:
; codeLenInByte = 5724
; TotalNumSgprs: 69
; NumVgprs: 107
; NumAgprs: 0
; TotalNumVgprs: 107
; ScratchSize: 0
; MemoryBound: 0
; FloatMode: 240
; IeeeMode: 1
; LDSByteSize: 49248 bytes/workgroup (compile time only)
; SGPRBlocks: 8
; VGPRBlocks: 13
; NumSGPRsForWavesPerEU: 69
; NumVGPRsForWavesPerEU: 107
; AccumOffset: 108
; Occupancy: 4
; WaveLimiterHint : 0
; COMPUTE_PGM_RSRC2:SCRATCH_EN: 0
; COMPUTE_PGM_RSRC2:USER_SGPR: 2
; COMPUTE_PGM_RSRC2:TRAP_HANDLER: 0
; COMPUTE_PGM_RSRC2:TGID_X_EN: 1
; COMPUTE_PGM_RSRC2:TGID_Y_EN: 0
; COMPUTE_PGM_RSRC2:TGID_Z_EN: 0
; COMPUTE_PGM_RSRC2:TIDIG_COMP_CNT: 0
; COMPUTE_PGM_RSRC3_GFX90A:ACCUM_OFFSET: 26
; COMPUTE_PGM_RSRC3_GFX90A:TG_SPLIT: 0
	.section	.text._Z19_skinny_gemm_kernelILi4ELi2ELi4ELi32ELi4EEvPKhS1_P6__halfPKfiiiiiiii,"axG",@progbits,_Z19_skinny_gemm_kernelILi4ELi2ELi4ELi32ELi4EEvPKhS1_P6__halfPKfiiiiiiii,comdat
	.protected	_Z19_skinny_gemm_kernelILi4ELi2ELi4ELi32ELi4EEvPKhS1_P6__halfPKfiiiiiiii ; -- Begin function _Z19_skinny_gemm_kernelILi4ELi2ELi4ELi32ELi4EEvPKhS1_P6__halfPKfiiiiiiii
	.globl	_Z19_skinny_gemm_kernelILi4ELi2ELi4ELi32ELi4EEvPKhS1_P6__halfPKfiiiiiiii
	.p2align	8
	.type	_Z19_skinny_gemm_kernelILi4ELi2ELi4ELi32ELi4EEvPKhS1_P6__halfPKfiiiiiiii,@function
_Z19_skinny_gemm_kernelILi4ELi2ELi4ELi32ELi4EEvPKhS1_P6__halfPKfiiiiiiii: ; @_Z19_skinny_gemm_kernelILi4ELi2ELi4ELi32ELi4EEvPKhS1_P6__halfPKfiiiiiiii
; %bb.0:
	v_cmp_gt_u32_e32 vcc, 24, v0
	s_and_saveexec_b64 s[4:5], vcc
; %bb.1:
	v_lshlrev_b32_e32 v1, 2, v0
	v_mov_b32_e32 v2, 0
	ds_write_b32 v1, v2 offset:49152
; %bb.2:
	s_or_b64 exec, exec, s[4:5]
	s_load_dwordx8 s[16:23], s[0:1], 0x20
	s_waitcnt lgkmcnt(0)
	s_barrier
	s_add_i32 s3, s16, 0x7f
	s_ashr_i32 s5, s3, 31
	s_add_i32 s4, s17, 63
	s_lshr_b32 s5, s5, 25
	s_ashr_i32 s6, s4, 31
	s_add_i32 s3, s3, s5
	s_ashr_i32 s38, s3, 7
	s_lshr_b32 s3, s6, 26
	s_add_i32 s4, s4, s3
	s_ashr_i32 s11, s4, 6
	s_mul_i32 s3, s11, s38
	s_mul_i32 s3, s3, s20
	s_add_i32 s4, s3, 0x12f
	s_mul_hi_i32 s4, s4, 0x6bca1af3
	s_lshr_b32 s5, s4, 31
	s_ashr_i32 s4, s4, 7
	s_add_i32 s4, s4, s5
	s_add_i32 s5, s2, 1
	s_mul_i32 s5, s4, s5
	v_cvt_f64_i32_e32 v[2:3], s3
	v_cvt_f64_u32_e32 v[4:5], s5
	v_min_f64 v[2:3], v[2:3], v[4:5]
	v_cvt_i32_f64_e32 v62, v[2:3]
	s_mul_i32 s33, s4, s2
	v_cmp_ge_i32_e32 vcc, s33, v62
	s_cbranch_vccnz .LBB343_51
; %bb.3:
	s_load_dwordx8 s[44:51], s[0:1], 0x0
	v_lshrrev_b32_e32 v1, 6, v0
	s_add_i32 s0, s22, s21
	v_cmp_le_i32_e64 s[12:13], s0, v1
	v_mov_b32_e32 v2, s21
	v_cmp_le_i32_e64 s[14:15], s21, v1
	v_mov_b32_e32 v3, s22
	v_cndmask_b32_e64 v3, 0, v3, s[12:13]
	v_cndmask_b32_e64 v2, 0, v2, s[14:15]
	s_abs_i32 s1, s20
	v_add_u32_e32 v2, v2, v3
	v_cvt_f32_u32_e32 v3, s1
	v_sub_u32_e32 v56, v1, v2
	s_ashr_i32 s2, s18, 31
	s_lshr_b32 s2, s2, 26
	v_rcp_iflag_f32_e32 v2, v3
	s_sub_i32 s5, 0, s1
	s_add_i32 s2, s18, s2
	s_ashr_i32 s2, s2, 6
	v_mul_f32_e32 v2, 0x4f7ffffe, v2
	v_cvt_u32_f32_e32 v2, v2
	s_abs_i32 s4, s2
	s_xor_b32 s3, s2, s20
	s_ashr_i32 s3, s3, 31
	v_readfirstlane_b32 s6, v2
	s_mul_i32 s5, s5, s6
	s_mul_hi_u32 s5, s6, s5
	s_add_i32 s6, s6, s5
	s_mul_hi_u32 s5, s4, s6
	s_mul_i32 s6, s5, s1
	s_sub_i32 s4, s4, s6
	s_add_i32 s6, s5, 1
	s_sub_i32 s7, s4, s1
	s_cmp_ge_u32 s4, s1
	s_cselect_b32 s5, s6, s5
	s_cselect_b32 s4, s7, s4
	s_add_i32 s6, s5, 1
	s_cmp_ge_u32 s4, s1
	s_cselect_b32 s1, s6, s5
	s_add_i32 s0, s0, s23
	v_and_b32_e32 v64, 31, v0
	v_lshrrev_b32_e32 v2, 3, v0
	v_cmp_gt_i32_e64 s[28:29], s0, v1
	v_lshlrev_b32_e32 v1, 2, v64
	v_and_b32_e32 v3, 4, v2
	v_and_b32_e32 v5, 1, v0
	v_lshlrev_b32_e32 v2, 6, v3
	v_or_b32_e32 v4, 0x8000, v1
	v_or_b32_e32 v3, v3, v5
	;; [unrolled: 1-line block ×4, first 2 shown]
	v_lshlrev_b32_e32 v2, 1, v5
	v_or_b32_e32 v5, 2, v3
	v_sub_u32_e32 v77, 32, v5
	v_or_b32_e32 v5, 8, v3
	v_sub_u32_e32 v78, 32, v5
	;; [unrolled: 2-line block ×5, first 2 shown]
	v_mul_lo_u32 v34, s17, v3
	v_sub_u32_e32 v81, 32, v5
	v_or_b32_e32 v5, 24, v3
	v_or_b32_e32 v3, 26, v3
	v_sub_u32_e32 v83, 32, v3
	v_lshrrev_b32_e32 v3, 1, v0
	s_abs_i32 s39, s38
	v_and_b32_e32 v50, 16, v3
	v_cvt_f32_u32_e32 v3, s39
                                        ; implicit-def: $vgpr99 : SGPR spill to VGPR lane
	v_sub_u32_e32 v2, v0, v2
	v_writelane_b32 v99, s11, 0
	v_add_u32_e32 v2, 1, v2
	s_waitcnt lgkmcnt(0)
	v_writelane_b32 v99, s44, 1
	v_and_b32_e32 v6, 63, v2
	v_bitop3_b32 v67, v0, 1, v0 bitop3:0xc
	v_bitop3_b32 v68, v0, 3, 1 bitop3:0x6c
	v_bitop3_b32 v69, v0, 5, 1 bitop3:0x6c
	v_bitop3_b32 v70, v0, 7, 1 bitop3:0x6c
	v_bitop3_b32 v71, v0, 9, 1 bitop3:0x6c
	v_bitop3_b32 v72, v0, 11, 1 bitop3:0x6c
	v_bitop3_b32 v73, v0, 13, 1 bitop3:0x6c
	v_bitop3_b32 v74, v0, 15, 1 bitop3:0x6c
	v_and_b32_e32 v2, 30, v0
	v_lshlrev_b32_e32 v0, 4, v0
	v_writelane_b32 v99, s45, 2
	s_add_i32 s25, s20, -1
	v_and_b32_e32 v0, 0x200, v0
	v_rcp_iflag_f32_e32 v3, v3
	s_abs_i32 s20, s11
	v_writelane_b32 v99, s46, 3
	s_xor_b32 s1, s1, s3
	v_or_b32_e32 v86, v1, v0
	v_cvt_f32_u32_e32 v1, s20
	v_writelane_b32 v99, s47, 4
	s_sub_i32 s24, s1, s3
	v_writelane_b32 v99, s48, 5
	s_mul_i32 s1, s24, s25
	s_lshl_b32 s0, s17, 1
	v_writelane_b32 v99, s49, 6
	s_sub_i32 s26, s2, s1
	v_add_u32_e32 v36, s0, v34
	s_mul_i32 s1, s17, 6
	v_or_b32_e32 v84, v4, v0
	v_mul_f32_e32 v0, 0x4f7ffffe, v3
	v_writelane_b32 v99, s50, 7
	v_add_u32_e32 v38, s1, v36
	v_cvt_u32_f32_e32 v0, v0
	v_rcp_iflag_f32_e32 v1, v1
	v_writelane_b32 v99, s51, 8
	v_cndmask_b32_e64 v63, 0, 1, s[12:13]
	v_add_u32_e32 v40, s0, v38
	v_writelane_b32 v99, s12, 9
	v_add_u32_e32 v42, s1, v40
	v_add_u32_e32 v44, s0, v42
	v_writelane_b32 v99, s13, 10
	v_writelane_b32 v99, s14, 11
	v_add_u32_e32 v46, s1, v44
	v_readfirstlane_b32 s1, v0
	v_mul_f32_e32 v0, 0x4f7ffffe, v1
	v_writelane_b32 v99, s15, 12
	v_cvt_u32_f32_e32 v0, v0
	v_writelane_b32 v99, s24, 13
	v_add_u32_e32 v48, s0, v46
	s_sub_i32 s0, 0, s39
	v_writelane_b32 v99, s25, 14
	s_mul_i32 s0, s0, s1
	v_writelane_b32 v99, s26, 15
	s_mul_hi_u32 s0, s1, s0
	v_writelane_b32 v99, s28, 16
	s_ashr_i32 s27, s38, 31
	s_add_i32 s30, s1, s0
	s_sub_i32 s0, 0, s20
	v_readfirstlane_b32 s1, v0
	v_writelane_b32 v99, s29, 17
	s_mul_i32 s0, s0, s1
	v_writelane_b32 v99, s27, 18
	s_ashr_i32 s31, s11, 31
	s_mul_hi_u32 s0, s1, s0
	v_mbcnt_lo_u32_b32 v0, -1, 0
	v_writelane_b32 v99, s30, 19
	s_add_i32 s34, s1, s0
	v_mbcnt_hi_u32_b32 v0, -1, v0
	v_writelane_b32 v99, s31, 20
	v_mov_b32_e32 v33, 0
	v_mul_lo_u32 v52, s19, v64
	v_and_or_b32 v0, v0, 64, v6
	v_writelane_b32 v99, s34, 21
	v_or_b32_e32 v75, 32, v64
	v_ashrrev_i32_e32 v35, 31, v34
	v_ashrrev_i32_e32 v37, 31, v36
	;; [unrolled: 1-line block ×6, first 2 shown]
	v_sub_u32_e32 v82, 32, v5
	v_ashrrev_i32_e32 v47, 31, v46
	v_ashrrev_i32_e32 v49, 31, v48
	;; [unrolled: 1-line block ×3, first 2 shown]
	v_mov_b32_e32 v51, v33
	s_lshl_b32 s97, s19, 5
	v_mul_lo_u32 v85, s18, v64
	v_lshlrev_b32_e32 v32, 1, v2
	v_lshlrev_b32_e32 v87, 2, v0
	v_mov_b32_e32 v88, v56
	v_writelane_b32 v99, s38, 22
	v_writelane_b32 v99, s39, 23
	s_branch .LBB343_7
.LBB343_4:                              ;   in Loop: Header=BB343_7 Depth=1
	s_or_b64 exec, exec, s[4:5]
.LBB343_5:                              ;   in Loop: Header=BB343_7 Depth=1
	s_or_b64 exec, exec, s[2:3]
	v_subrev_u32_e32 v88, s10, v88
.LBB343_6:                              ;   in Loop: Header=BB343_7 Depth=1
	s_or_b64 exec, exec, s[0:1]
	s_add_i32 s33, s33, 1
	v_cmp_ge_i32_e32 vcc, s33, v62
	s_cbranch_vccnz .LBB343_51
.LBB343_7:                              ; =>This Loop Header: Depth=1
                                        ;     Child Loop BB343_13 Depth 2
                                        ;       Child Loop BB343_15 Depth 3
                                        ;       Child Loop BB343_18 Depth 3
	;; [unrolled: 1-line block ×3, first 2 shown]
                                        ;     Child Loop BB343_38 Depth 2
                                        ;       Child Loop BB343_40 Depth 3
                                        ;     Child Loop BB343_48 Depth 2
                                        ;       Child Loop BB343_50 Depth 3
	s_abs_i32 s1, s33
	s_mul_hi_u32 s2, s1, s30
	s_mul_i32 s3, s2, s39
	s_ashr_i32 s0, s33, 31
	s_sub_i32 s1, s1, s3
	s_xor_b32 s0, s0, s27
	s_add_i32 s3, s2, 1
	s_sub_i32 s4, s1, s39
	s_cmp_ge_u32 s1, s39
	s_cselect_b32 s2, s3, s2
	s_cselect_b32 s1, s4, s1
	s_add_i32 s3, s2, 1
	s_cmp_ge_u32 s1, s39
	s_cselect_b32 s1, s3, s2
	s_xor_b32 s1, s1, s0
	s_sub_i32 s0, s1, s0
	s_abs_i32 s2, s0
	s_mul_i32 s1, s0, s38
	s_mul_hi_u32 s3, s2, s34
	s_sub_i32 s1, s33, s1
	s_mul_i32 s4, s3, s20
	s_lshl_b32 s52, s1, 7
	s_ashr_i32 s1, s0, 31
	s_sub_i32 s2, s2, s4
	s_xor_b32 s1, s1, s31
	s_add_i32 s4, s3, 1
	s_sub_i32 s5, s2, s20
	s_cmp_ge_u32 s2, s20
	s_cselect_b32 s3, s4, s3
	s_cselect_b32 s2, s5, s2
	s_add_i32 s4, s3, 1
	s_cmp_ge_u32 s2, s20
	s_cselect_b32 s2, s4, s3
	s_xor_b32 s2, s2, s1
	s_sub_i32 s1, s2, s1
	s_mul_i32 s2, s1, s24
	s_lshl_b32 s35, s2, 6
	s_cmp_eq_u32 s1, s25
	s_cselect_b32 s96, s26, s24
	s_sub_i32 s2, s52, s16
	s_add_i32 s53, s2, 0x80
	s_and_saveexec_b64 s[2:3], s[14:15]
	s_xor_b64 s[36:37], exec, s[2:3]
	s_cbranch_execz .LBB343_44
; %bb.8:                                ;   in Loop: Header=BB343_7 Depth=1
	s_mul_i32 s1, s1, s11
	s_sub_i32 s0, s0, s1
	s_lshl_b32 s0, s0, 6
	s_sub_i32 s90, s0, s17
	s_add_i32 s90, s90, 64
	s_max_i32 s1, s90, 0
	s_sub_i32 s54, s0, s1
	s_and_saveexec_b64 s[0:1], s[12:13]
	s_xor_b64 s[4:5], exec, s[0:1]
	s_cbranch_execz .LBB343_34
; %bb.9:                                ;   in Loop: Header=BB343_7 Depth=1
	s_and_saveexec_b64 s[2:3], s[28:29]
	s_cbranch_execz .LBB343_33
; %bb.10:                               ;   in Loop: Header=BB343_7 Depth=1
	global_load_dword v89, v33, s[50:51]
	v_writelane_b32 v99, s2, 24
	v_mov_b32_e32 v31, 0
	v_cmp_gt_i32_e32 vcc, s96, v88
	v_writelane_b32 v99, s3, 25
	v_writelane_b32 v99, s4, 26
	v_mov_b32_e32 v30, v31
	v_mov_b32_e32 v29, v31
	;; [unrolled: 1-line block ×12, first 2 shown]
	s_waitcnt lgkmcnt(1)
	v_mov_b32_e32 v18, v31
	v_mov_b32_e32 v17, v31
	;; [unrolled: 1-line block ×19, first 2 shown]
	v_writelane_b32 v99, s5, 27
	s_and_saveexec_b64 s[0:1], vcc
	s_cbranch_execz .LBB343_23
; %bb.11:                               ;   in Loop: Header=BB343_7 Depth=1
	v_mov_b32_e32 v0, 0
	s_mov_b64 s[2:3], 0
	v_mov_b32_e32 v1, v0
	v_mov_b32_e32 v2, v0
	;; [unrolled: 1-line block ×31, first 2 shown]
	s_branch .LBB343_13
.LBB343_12:                             ;   in Loop: Header=BB343_13 Depth=2
	s_or_b64 exec, exec, s[4:5]
	v_add_u32_e32 v96, 0x800, v93
	ds_read2_b32 v[94:95], v96 offset1:32
	v_add_u32_e32 v88, s23, v88
	s_waitcnt lgkmcnt(0)
	v_mfma_f32_32x32x16_fp8_fp8 v[0:15], v[60:61], v[94:95], v[0:15]
	ds_read2_b32 v[60:61], v96 offset0:128 offset1:160
	s_waitcnt lgkmcnt(0)
	v_mfma_f32_32x32x16_fp8_fp8 v[0:15], v[58:59], v[60:61], v[0:15]
	v_add_u32_e32 v60, 0xc00, v93
	ds_read2_b32 v[58:59], v60 offset1:32
	ds_read2_b32 v[60:61], v60 offset0:128 offset1:160
	ds_write_b32 v91, v92 offset:49164
	s_waitcnt lgkmcnt(2)
	v_mfma_f32_32x32x16_fp8_fp8 v[0:15], v[56:57], v[58:59], v[0:15]
	v_add_u32_e32 v56, s23, v90
	v_add_u32_e32 v57, 2, v63
	v_cmp_lt_i32_e32 vcc, 3, v56
	s_nop 1
	v_cndmask_b32_e32 v63, v63, v57, vcc
	v_cmp_le_i32_e32 vcc, s96, v88
	s_waitcnt lgkmcnt(1)
	v_mfma_f32_32x32x16_fp8_fp8 v[0:15], v[54:55], v[60:61], v[0:15]
	s_or_b64 s[2:3], vcc, s[2:3]
	s_andn2_b64 exec, exec, s[2:3]
	s_cbranch_execz .LBB343_22
.LBB343_13:                             ;   Parent Loop BB343_7 Depth=1
                                        ; =>  This Loop Header: Depth=2
                                        ;       Child Loop BB343_15 Depth 3
                                        ;       Child Loop BB343_18 Depth 3
	;; [unrolled: 1-line block ×3, first 2 shown]
	v_cmp_gt_i32_e32 vcc, 4, v56
	s_nop 1
	v_cndmask_b32_e64 v54, -4, 0, vcc
	v_add_u32_e32 v90, v54, v56
	v_lshlrev_b32_e32 v91, 4, v90
	ds_read_b32 v54, v91 offset:49152
	s_waitcnt lgkmcnt(0)
	v_cmp_ne_u32_e32 vcc, v54, v63
	s_and_saveexec_b64 s[4:5], vcc
	s_cbranch_execz .LBB343_16
; %bb.14:                               ;   in Loop: Header=BB343_13 Depth=2
	s_mov_b64 s[6:7], 0
.LBB343_15:                             ;   Parent Loop BB343_7 Depth=1
                                        ;     Parent Loop BB343_13 Depth=2
                                        ; =>    This Inner Loop Header: Depth=3
	;;#ASMSTART
	s_sleep 0
	;;#ASMEND
	ds_read_b32 v54, v91 offset:49152
	s_waitcnt lgkmcnt(0)
	v_cmp_eq_u32_e32 vcc, v54, v63
	s_or_b64 s[6:7], vcc, s[6:7]
	s_andn2_b64 exec, exec, s[6:7]
	s_cbranch_execnz .LBB343_15
.LBB343_16:                             ;   in Loop: Header=BB343_13 Depth=2
	s_or_b64 exec, exec, s[4:5]
	v_lshl_or_b32 v54, v90, 11, v65
	ds_read2_b32 v[60:61], v54 offset1:32
	ds_read2_b32 v[58:59], v54 offset0:128 offset1:160
	v_add_u32_e32 v54, 0x400, v54
	ds_read2_b32 v[56:57], v54 offset1:32
	ds_read_b32 v93, v91 offset:49156
	ds_read2_b32 v[54:55], v54 offset0:128 offset1:160
	v_add_u32_e32 v92, 1, v63
	ds_write_b32 v91, v92 offset:49152
	s_waitcnt lgkmcnt(2)
	v_cmp_ne_u32_e32 vcc, v93, v63
	s_and_saveexec_b64 s[4:5], vcc
	s_cbranch_execz .LBB343_19
; %bb.17:                               ;   in Loop: Header=BB343_13 Depth=2
	s_mov_b64 s[6:7], 0
.LBB343_18:                             ;   Parent Loop BB343_7 Depth=1
                                        ;     Parent Loop BB343_13 Depth=2
                                        ; =>    This Inner Loop Header: Depth=3
	;;#ASMSTART
	s_sleep 0
	;;#ASMEND
	ds_read_b32 v93, v91 offset:49156
	s_waitcnt lgkmcnt(0)
	v_cmp_eq_u32_e32 vcc, v93, v63
	s_or_b64 s[6:7], vcc, s[6:7]
	s_andn2_b64 exec, exec, s[6:7]
	s_cbranch_execnz .LBB343_18
.LBB343_19:                             ;   in Loop: Header=BB343_13 Depth=2
	s_or_b64 exec, exec, s[4:5]
	v_lshlrev_b32_e32 v93, 12, v90
	v_add_u32_e32 v93, v66, v93
	ds_read2_b32 v[94:95], v93 offset1:32
	v_add_u32_e32 v96, 0x400, v93
	ds_write_b32 v91, v92 offset:49156
	s_waitcnt lgkmcnt(1)
	v_mfma_f32_32x32x16_fp8_fp8 v[16:31], v[60:61], v[94:95], v[16:31]
	ds_read2_b32 v[94:95], v93 offset0:128 offset1:160
	s_waitcnt lgkmcnt(0)
	v_mfma_f32_32x32x16_fp8_fp8 v[16:31], v[58:59], v[94:95], v[16:31]
	ds_read2_b32 v[94:95], v96 offset1:32
	s_waitcnt lgkmcnt(0)
	v_mfma_f32_32x32x16_fp8_fp8 v[16:31], v[56:57], v[94:95], v[16:31]
	ds_read2_b32 v[94:95], v96 offset0:128 offset1:160
	ds_read_b32 v96, v91 offset:49164
	s_waitcnt lgkmcnt(0)
	v_cmp_ne_u32_e32 vcc, v96, v63
	v_mfma_f32_32x32x16_fp8_fp8 v[16:31], v[54:55], v[94:95], v[16:31]
	s_and_saveexec_b64 s[4:5], vcc
	s_cbranch_execz .LBB343_12
; %bb.20:                               ;   in Loop: Header=BB343_13 Depth=2
	s_mov_b64 s[6:7], 0
.LBB343_21:                             ;   Parent Loop BB343_7 Depth=1
                                        ;     Parent Loop BB343_13 Depth=2
                                        ; =>    This Inner Loop Header: Depth=3
	;;#ASMSTART
	s_sleep 0
	;;#ASMEND
	ds_read_b32 v94, v91 offset:49164
	s_waitcnt lgkmcnt(0)
	v_cmp_eq_u32_e32 vcc, v94, v63
	s_or_b64 s[6:7], vcc, s[6:7]
	s_andn2_b64 exec, exec, s[6:7]
	s_cbranch_execnz .LBB343_21
	s_branch .LBB343_12
.LBB343_22:                             ;   in Loop: Header=BB343_7 Depth=1
	s_or_b64 exec, exec, s[2:3]
.LBB343_23:                             ;   in Loop: Header=BB343_7 Depth=1
	v_writelane_b32 v99, s54, 28
	s_nop 1
	v_writelane_b32 v99, s55, 29
	v_writelane_b32 v99, s36, 30
	s_nop 1
	v_writelane_b32 v99, s37, 31
	v_writelane_b32 v99, s53, 32
	;; [unrolled: 1-line block ×4, first 2 shown]
	s_or_b64 exec, exec, s[0:1]
	v_cmp_le_i32_e32 vcc, s90, v64
	v_cmp_eq_u32_e64 s[86:87], 1, v67
	v_cmp_eq_u32_e64 s[50:51], 2, v67
	s_waitcnt vmcnt(0)
	v_cndmask_b32_e32 v54, 0, v89, vcc
	v_pk_mul_f32 v[16:17], v[54:55], v[16:17] op_sel_hi:[0,1]
	v_pk_mul_f32 v[30:31], v[54:55], v[30:31] op_sel_hi:[0,1]
	;; [unrolled: 1-line block ×8, first 2 shown]
	v_cndmask_b32_e64 v54, v16, v17, s[86:87]
	v_cndmask_b32_e64 v54, v54, v18, s[50:51]
	v_cmp_eq_u32_e64 s[54:55], 3, v67
	v_cmp_eq_u32_e64 s[56:57], 4, v67
	v_cmp_eq_u32_e64 s[60:61], 5, v67
	v_cndmask_b32_e64 v54, v54, v19, s[54:55]
	v_cndmask_b32_e64 v54, v54, v20, s[56:57]
	v_cndmask_b32_e64 v54, v54, v21, s[60:61]
	v_cmp_eq_u32_e64 s[64:65], 6, v67
	v_cmp_eq_u32_e64 s[68:69], 7, v67
	v_cmp_eq_u32_e64 s[72:73], 8, v67
	v_cndmask_b32_e64 v54, v54, v22, s[64:65]
	;; [unrolled: 6-line block ×5, first 2 shown]
	ds_bpermute_b32 v54, v87, v54
	v_cmp_eq_u32_e64 s[26:27], 2, v68
	v_cmp_eq_u32_e64 s[28:29], 3, v68
	;; [unrolled: 1-line block ×4, first 2 shown]
	s_waitcnt lgkmcnt(0)
	v_cndmask_b32_e64 v17, v17, v54, s[86:87]
	v_cndmask_b32_e64 v16, v16, v54, s[70:71]
	;; [unrolled: 1-line block ×12, first 2 shown]
	v_cmp_eq_u32_e64 s[36:37], 6, v68
	v_cndmask_b32_e64 v57, v23, v54, s[68:69]
	v_cmp_eq_u32_e64 s[38:39], 7, v68
	v_cndmask_b32_e64 v19, v19, v58, s[36:37]
	v_cndmask_b32_e64 v55, v24, v54, s[72:73]
	v_cndmask_b32_e64 v19, v19, v57, s[38:39]
	v_cmp_eq_u32_e64 s[42:43], 8, v68
	v_cndmask_b32_e64 v25, v25, v54, s[76:77]
	v_cmp_eq_u32_e64 s[44:45], 9, v68
	v_cndmask_b32_e64 v19, v19, v55, s[42:43]
	v_cndmask_b32_e64 v26, v26, v54, s[78:79]
	v_cndmask_b32_e64 v19, v19, v25, s[44:45]
	;; [unrolled: 6-line block ×4, first 2 shown]
	v_cmp_eq_u32_e64 s[62:63], 14, v68
	v_cndmask_b32_e64 v31, v31, v54, s[88:89]
	v_cmp_eq_u32_e64 s[66:67], 15, v68
	v_cndmask_b32_e64 v19, v19, v30, s[62:63]
	v_cmp_le_i32_e64 s[90:91], s90, v75
	v_cndmask_b32_e64 v19, v19, v31, s[66:67]
	ds_bpermute_b32 v54, v87, v19
	v_cmp_eq_u32_e64 s[40:41], 0, v68
	v_cmp_eq_u32_e64 s[2:3], 1, v69
	;; [unrolled: 1-line block ×4, first 2 shown]
	s_waitcnt lgkmcnt(0)
	v_cndmask_b32_e64 v22, v28, v54, s[52:53]
	v_cndmask_b32_e64 v28, v58, v54, s[36:37]
	;; [unrolled: 1-line block ×3, first 2 shown]
	v_pk_mul_f32 v[0:1], v[58:59], v[0:1] op_sel_hi:[0,1]
	v_cndmask_b32_e64 v24, v26, v54, s[46:47]
	v_cndmask_b32_e64 v26, v55, v54, s[42:43]
	v_pk_mul_f32 v[2:3], v[58:59], v[2:3] op_sel_hi:[0,1]
	v_cndmask_b32_e64 v55, v0, v1, s[86:87]
	v_cndmask_b32_e64 v55, v55, v2, s[50:51]
	;; [unrolled: 3-line block ×6, first 2 shown]
	v_cndmask_b32_e64 v17, v17, v54, s[24:25]
	v_cndmask_b32_e64 v16, v16, v54, s[40:41]
	v_pk_mul_f32 v[12:13], v[58:59], v[12:13] op_sel_hi:[0,1]
	v_cndmask_b32_e64 v55, v55, v11, s[74:75]
	v_cndmask_b32_e64 v19, v31, v54, s[66:67]
	;; [unrolled: 1-line block ×14, first 2 shown]
	v_pk_mul_f32 v[14:15], v[58:59], v[14:15] op_sel_hi:[0,1]
	v_cndmask_b32_e64 v55, v55, v13, s[82:83]
	v_cndmask_b32_e64 v54, v54, v31, s[98:99]
	v_cmp_eq_u32_e64 s[10:11], 4, v69
	v_cndmask_b32_e64 v55, v55, v14, s[84:85]
	v_cmp_eq_u32_e64 s[12:13], 5, v69
	v_cndmask_b32_e64 v54, v54, v30, s[10:11]
	v_cndmask_b32_e64 v55, v55, v15, s[88:89]
	;; [unrolled: 1-line block ×3, first 2 shown]
	v_cmp_eq_u32_e64 s[14:15], 6, v69
	ds_bpermute_b32 v55, v87, v55
	v_cmp_eq_u32_e64 s[8:9], 7, v69
	v_cndmask_b32_e64 v54, v54, v28, s[14:15]
	v_cmp_eq_u32_e64 s[6:7], 8, v69
	v_cndmask_b32_e64 v54, v54, v27, s[8:9]
	;; [unrolled: 2-line block ×3, first 2 shown]
	v_cmp_eq_u32_e32 vcc, 10, v69
	v_cndmask_b32_e64 v54, v54, v25, s[4:5]
	v_cmp_eq_u32_e64 s[86:87], 11, v69
	v_cndmask_b32_e32 v54, v54, v24, vcc
	s_waitcnt lgkmcnt(0)
	v_cndmask_b32_e64 v2, v2, v55, s[50:51]
	v_cmp_ne_u32_e64 s[50:51], 0, v67
	v_cndmask_b32_e64 v54, v54, v23, s[86:87]
	v_cmp_eq_u32_e64 s[90:91], 12, v69
	v_cndmask_b32_e64 v1, v1, v55, s[50:51]
	v_cndmask_b32_e64 v0, v0, v55, s[70:71]
	;; [unrolled: 1-line block ×4, first 2 shown]
	v_cmp_eq_u32_e64 s[88:89], 13, v69
	v_cndmask_b32_e64 v14, v14, v55, s[84:85]
	v_cndmask_b32_e64 v13, v13, v55, s[82:83]
	;; [unrolled: 1-line block ×14, first 2 shown]
	v_cmp_eq_u32_e64 s[84:85], 14, v69
	v_cndmask_b32_e64 v55, v55, v2, s[26:27]
	v_cmp_eq_u32_e64 s[82:83], 15, v69
	v_cndmask_b32_e64 v54, v54, v20, s[84:85]
	v_cndmask_b32_e64 v55, v55, v3, s[28:29]
	;; [unrolled: 1-line block ×4, first 2 shown]
	ds_bpermute_b32 v54, v87, v54
	v_cndmask_b32_e64 v55, v55, v5, s[34:35]
	v_cndmask_b32_e64 v55, v55, v6, s[36:37]
	;; [unrolled: 1-line block ×4, first 2 shown]
	v_cmp_eq_u32_e64 s[80:81], 0, v69
	v_cndmask_b32_e64 v55, v55, v9, s[44:45]
	s_waitcnt lgkmcnt(0)
	v_cndmask_b32_e64 v17, v17, v54, s[2:3]
	v_cndmask_b32_e64 v16, v16, v54, s[80:81]
	v_cmp_eq_u32_e64 s[74:75], 1, v70
	v_cndmask_b32_e64 v55, v55, v10, s[46:47]
	v_cndmask_b32_e64 v19, v19, v54, s[82:83]
	;; [unrolled: 1-line block ×6, first 2 shown]
	v_cndmask_b32_e32 v24, v24, v54, vcc
	v_cndmask_b32_e64 v25, v25, v54, s[4:5]
	v_cndmask_b32_e64 v26, v26, v54, s[6:7]
	;; [unrolled: 1-line block ×9, first 2 shown]
	v_cmp_eq_u32_e64 s[78:79], 2, v70
	v_cndmask_b32_e64 v55, v55, v11, s[48:49]
	v_cmp_eq_u32_e64 s[76:77], 3, v70
	v_cndmask_b32_e64 v54, v54, v18, s[78:79]
	v_cndmask_b32_e64 v55, v55, v12, s[52:53]
	;; [unrolled: 1-line block ×3, first 2 shown]
	v_cmp_eq_u32_e64 s[72:73], 4, v70
	v_cndmask_b32_e64 v55, v55, v13, s[58:59]
	v_cmp_eq_u32_e64 s[68:69], 5, v70
	v_cndmask_b32_e64 v54, v54, v30, s[72:73]
	v_cndmask_b32_e64 v55, v55, v14, s[62:63]
	;; [unrolled: 1-line block ×3, first 2 shown]
	v_cmp_eq_u32_e64 s[64:65], 6, v70
	v_cndmask_b32_e64 v55, v55, v15, s[66:67]
	v_cmp_eq_u32_e64 s[60:61], 7, v70
	v_cndmask_b32_e64 v54, v54, v28, s[64:65]
	ds_bpermute_b32 v55, v87, v55
	v_cndmask_b32_e64 v54, v54, v27, s[60:61]
	v_cmp_eq_u32_e64 s[56:57], 8, v70
	v_cmp_eq_u32_e64 s[54:55], 9, v70
	;; [unrolled: 1-line block ×3, first 2 shown]
	v_cndmask_b32_e64 v54, v54, v26, s[56:57]
	v_cndmask_b32_e64 v54, v54, v25, s[54:55]
	;; [unrolled: 1-line block ×3, first 2 shown]
	v_cmp_eq_u32_e64 s[70:71], 11, v70
	s_waitcnt lgkmcnt(0)
	v_cndmask_b32_e64 v15, v15, v55, s[66:67]
	v_cmp_eq_u32_e64 s[66:67], 12, v70
	v_cndmask_b32_e64 v54, v54, v23, s[70:71]
	v_cndmask_b32_e64 v14, v14, v55, s[62:63]
	;; [unrolled: 1-line block ×3, first 2 shown]
	v_cmp_eq_u32_e64 s[62:63], 13, v70
	v_cndmask_b32_e64 v1, v1, v55, s[24:25]
	v_cndmask_b32_e64 v0, v0, v55, s[40:41]
	;; [unrolled: 1-line block ×4, first 2 shown]
	v_cmp_eq_u32_e64 s[92:93], 14, v70
	v_cndmask_b32_e64 v12, v12, v55, s[52:53]
	v_cndmask_b32_e64 v11, v11, v55, s[48:49]
	;; [unrolled: 1-line block ×13, first 2 shown]
	v_cmp_eq_u32_e64 s[94:95], 15, v70
	v_cndmask_b32_e64 v55, v55, v2, s[0:1]
	v_cndmask_b32_e64 v55, v55, v3, s[98:99]
	;; [unrolled: 1-line block ×3, first 2 shown]
	ds_bpermute_b32 v54, v87, v54
	v_cndmask_b32_e64 v55, v55, v4, s[10:11]
	v_cndmask_b32_e64 v55, v55, v5, s[12:13]
	;; [unrolled: 1-line block ×3, first 2 shown]
	v_cmp_eq_u32_e64 s[48:49], 0, v70
	v_cndmask_b32_e64 v55, v55, v7, s[8:9]
	v_cndmask_b32_e64 v55, v55, v8, s[6:7]
	v_writelane_b32 v99, s48, 35
	s_waitcnt lgkmcnt(0)
	v_cndmask_b32_e64 v17, v17, v54, s[74:75]
	v_cndmask_b32_e64 v55, v55, v9, s[4:5]
	v_writelane_b32 v99, s49, 36
	v_cndmask_b32_e64 v16, v16, v54, s[48:49]
	v_cmp_eq_u32_e64 s[48:49], 1, v71
	v_cndmask_b32_e64 v19, v19, v54, s[94:95]
	v_cndmask_b32_e64 v20, v20, v54, s[92:93]
	;; [unrolled: 1-line block ×15, first 2 shown]
	v_cmp_eq_u32_e64 s[44:45], 2, v71
	v_cndmask_b32_e32 v55, v55, v10, vcc
	v_cmp_eq_u32_e64 s[46:47], 3, v71
	v_cndmask_b32_e64 v54, v54, v18, s[44:45]
	v_cndmask_b32_e64 v55, v55, v11, s[86:87]
	s_mov_b64 s[52:53], s[44:45]
	v_cndmask_b32_e64 v54, v54, v31, s[46:47]
	v_cmp_eq_u32_e64 s[44:45], 4, v71
	v_cndmask_b32_e64 v55, v55, v12, s[90:91]
	v_cmp_eq_u32_e64 s[42:43], 5, v71
	v_cndmask_b32_e64 v54, v54, v30, s[44:45]
	v_cndmask_b32_e64 v55, v55, v13, s[88:89]
	;; [unrolled: 1-line block ×3, first 2 shown]
	v_cmp_eq_u32_e64 s[38:39], 6, v71
	v_cndmask_b32_e64 v55, v55, v14, s[84:85]
	v_cmp_eq_u32_e64 s[36:37], 7, v71
	v_cndmask_b32_e64 v54, v54, v28, s[38:39]
	v_cndmask_b32_e64 v55, v55, v15, s[82:83]
	;; [unrolled: 1-line block ×3, first 2 shown]
	v_cmp_eq_u32_e64 s[34:35], 8, v71
	ds_bpermute_b32 v55, v87, v55
	v_cmp_eq_u32_e64 s[30:31], 9, v71
	v_cndmask_b32_e64 v54, v54, v26, s[34:35]
	v_cmp_eq_u32_e64 s[26:27], 10, v71
	v_cndmask_b32_e64 v54, v54, v25, s[30:31]
	v_cmp_eq_u32_e64 s[40:41], 11, v71
	v_cndmask_b32_e64 v54, v54, v24, s[26:27]
	v_cmp_eq_u32_e64 s[58:59], 12, v71
	v_cndmask_b32_e64 v54, v54, v23, s[40:41]
	s_waitcnt lgkmcnt(0)
	v_cndmask_b32_e64 v15, v15, v55, s[82:83]
	v_cndmask_b32_e64 v54, v54, v22, s[58:59]
	v_cmp_eq_u32_e64 s[82:83], 13, v71
	v_cndmask_b32_e64 v14, v14, v55, s[84:85]
	v_cmp_eq_u32_e64 s[84:85], 14, v71
	v_cndmask_b32_e64 v54, v54, v21, s[82:83]
	v_cndmask_b32_e64 v12, v12, v55, s[90:91]
	;; [unrolled: 1-line block ×3, first 2 shown]
	v_cmp_eq_u32_e64 s[90:91], 15, v71
	v_cndmask_b32_e64 v1, v1, v55, s[2:3]
	v_cndmask_b32_e64 v0, v0, v55, s[80:81]
	;; [unrolled: 1-line block ×5, first 2 shown]
	v_cndmask_b32_e32 v10, v10, v55, vcc
	v_cndmask_b32_e64 v9, v9, v55, s[4:5]
	v_cndmask_b32_e64 v8, v8, v55, s[6:7]
	v_cndmask_b32_e64 v7, v7, v55, s[8:9]
	v_cndmask_b32_e64 v6, v6, v55, s[14:15]
	v_cndmask_b32_e64 v5, v5, v55, s[12:13]
	v_cndmask_b32_e64 v4, v4, v55, s[10:11]
	v_cndmask_b32_e64 v3, v3, v55, s[98:99]
	v_cndmask_b32_e64 v2, v2, v55, s[0:1]
	v_cndmask_b32_e64 v55, v0, v1, s[74:75]
	ds_bpermute_b32 v54, v87, v54
	v_cndmask_b32_e64 v55, v55, v2, s[78:79]
	v_cndmask_b32_e64 v55, v55, v3, s[76:77]
	;; [unrolled: 1-line block ×4, first 2 shown]
	v_writelane_b32 v99, s52, 37
	v_cndmask_b32_e64 v55, v55, v6, s[64:65]
	v_cndmask_b32_e64 v55, v55, v7, s[60:61]
	v_writelane_b32 v99, s53, 38
	s_waitcnt lgkmcnt(0)
	v_cndmask_b32_e64 v18, v18, v54, s[52:53]
	v_cmp_eq_u32_e64 s[52:53], 0, v71
	v_cndmask_b32_e64 v17, v17, v54, s[48:49]
	v_cmp_eq_u32_e64 s[28:29], 1, v72
	v_writelane_b32 v99, s52, 39
	v_cndmask_b32_e64 v55, v55, v8, s[56:57]
	v_cndmask_b32_e64 v19, v19, v54, s[90:91]
	;; [unrolled: 1-line block ×16, first 2 shown]
	v_cmp_eq_u32_e64 s[24:25], 2, v72
	v_cndmask_b32_e64 v55, v55, v9, s[54:55]
	v_writelane_b32 v99, s53, 40
	v_cndmask_b32_e64 v54, v54, v18, s[24:25]
	v_cmp_eq_u32_e64 s[52:53], 3, v72
	v_cndmask_b32_e64 v55, v55, v10, s[50:51]
	v_cmp_eq_u32_e64 s[4:5], 4, v72
	v_cndmask_b32_e64 v54, v54, v31, s[52:53]
	v_cndmask_b32_e64 v55, v55, v11, s[70:71]
	v_cndmask_b32_e64 v54, v54, v30, s[4:5]
	v_cmp_eq_u32_e64 s[14:15], 5, v72
	v_cndmask_b32_e64 v55, v55, v12, s[66:67]
	v_cmp_eq_u32_e64 s[12:13], 6, v72
	v_cndmask_b32_e64 v54, v54, v29, s[14:15]
	v_cndmask_b32_e64 v55, v55, v13, s[62:63]
	;; [unrolled: 6-line block ×3, first 2 shown]
	v_cndmask_b32_e64 v54, v54, v26, s[8:9]
	v_cmp_eq_u32_e64 s[6:7], 9, v72
	ds_bpermute_b32 v55, v87, v55
	v_cmp_eq_u32_e32 vcc, 10, v72
	v_cndmask_b32_e64 v54, v54, v25, s[6:7]
	v_cmp_eq_u32_e64 s[80:81], 11, v72
	v_cndmask_b32_e32 v54, v54, v24, vcc
	v_cmp_eq_u32_e64 s[86:87], 12, v72
	v_cndmask_b32_e64 v54, v54, v23, s[80:81]
	v_cmp_eq_u32_e64 s[88:89], 13, v72
	v_cndmask_b32_e64 v54, v54, v22, s[86:87]
	s_waitcnt lgkmcnt(0)
	v_cndmask_b32_e64 v13, v13, v55, s[62:63]
	v_cndmask_b32_e64 v54, v54, v21, s[88:89]
	v_cmp_eq_u32_e64 s[62:63], 14, v72
	v_cndmask_b32_e64 v12, v12, v55, s[66:67]
	v_cmp_eq_u32_e64 s[66:67], 15, v72
	v_cndmask_b32_e64 v54, v54, v20, s[62:63]
	v_readlane_b32 s0, v99, 35
	v_cndmask_b32_e64 v54, v54, v19, s[66:67]
	ds_bpermute_b32 v54, v87, v54
	v_cndmask_b32_e64 v14, v14, v55, s[92:93]
	s_mov_b64 s[92:93], s[24:25]
	s_mov_b64 s[2:3], s[28:29]
	v_cndmask_b32_e64 v57, v11, v55, s[70:71]
	v_cmp_eq_u32_e64 s[70:71], 0, v72
	v_readlane_b32 s1, v99, 36
	v_cndmask_b32_e64 v15, v15, v55, s[94:95]
	s_waitcnt lgkmcnt(0)
	v_cndmask_b32_e64 v19, v19, v54, s[66:67]
	v_cndmask_b32_e64 v20, v20, v54, s[62:63]
	;; [unrolled: 1-line block ×5, first 2 shown]
	v_cndmask_b32_e32 v24, v24, v54, vcc
	v_cndmask_b32_e64 v25, v25, v54, s[6:7]
	v_cndmask_b32_e64 v26, v26, v54, s[8:9]
	;; [unrolled: 1-line block ×21, first 2 shown]
	s_mov_b64 s[0:1], s[48:49]
	v_readlane_b32 s94, v99, 37
	v_cndmask_b32_e64 v0, v55, v93, s[0:1]
	v_readlane_b32 s95, v99, 38
	v_cmp_eq_u32_e64 s[50:51], 1, v73
	v_cmp_eq_u32_e64 s[54:55], 2, v73
	v_cndmask_b32_e64 v0, v0, v92, s[94:95]
	v_cndmask_b32_e64 v0, v0, v91, s[46:47]
	v_cndmask_b32_e64 v0, v0, v90, s[44:45]
	v_cndmask_b32_e64 v0, v0, v89, s[42:43]
	v_cndmask_b32_e64 v0, v0, v61, s[38:39]
	v_cndmask_b32_e64 v0, v0, v60, s[36:37]
	v_cndmask_b32_e64 v0, v0, v59, s[34:35]
	v_cndmask_b32_e64 v0, v0, v58, s[30:31]
	v_cndmask_b32_e64 v0, v0, v54, s[26:27]
	v_cndmask_b32_e64 v10, v16, v17, s[50:51]
	v_cndmask_b32_e64 v0, v0, v57, s[40:41]
	v_cndmask_b32_e64 v9, v10, v18, s[54:55]
	v_cmp_eq_u32_e64 s[56:57], 3, v73
	v_cndmask_b32_e64 v0, v0, v12, s[58:59]
	v_cmp_eq_u32_e64 s[60:61], 4, v73
	v_cndmask_b32_e64 v8, v9, v31, s[56:57]
	v_cndmask_b32_e64 v0, v0, v13, s[82:83]
	;; [unrolled: 1-line block ×3, first 2 shown]
	v_cmp_eq_u32_e64 s[64:65], 5, v73
	v_cndmask_b32_e64 v0, v0, v14, s[84:85]
	v_cmp_eq_u32_e64 s[68:69], 6, v73
	v_cndmask_b32_e64 v6, v7, v29, s[64:65]
	v_cndmask_b32_e64 v0, v0, v15, s[90:91]
	;; [unrolled: 1-line block ×3, first 2 shown]
	v_cmp_eq_u32_e64 s[72:73], 7, v73
	ds_bpermute_b32 v94, v87, v0
	v_cmp_eq_u32_e64 s[76:77], 8, v73
	v_cndmask_b32_e64 v4, v5, v27, s[72:73]
	v_cmp_eq_u32_e64 s[78:79], 9, v73
	v_cndmask_b32_e64 v3, v4, v26, s[76:77]
	;; [unrolled: 2-line block ×4, first 2 shown]
	s_waitcnt lgkmcnt(0)
	v_cndmask_b32_e64 v95, v15, v94, s[90:91]
	v_cndmask_b32_e64 v0, v0, v23, s[74:75]
	v_cmp_eq_u32_e64 s[90:91], 12, v73
	v_cndmask_b32_e64 v96, v14, v94, s[84:85]
	v_cmp_eq_u32_e64 s[84:85], 13, v73
	v_cndmask_b32_e64 v0, v0, v22, s[90:91]
	v_cndmask_b32_e64 v97, v13, v94, s[82:83]
	;; [unrolled: 1-line block ×3, first 2 shown]
	v_cmp_eq_u32_e64 s[82:83], 14, v73
	v_cndmask_b32_e64 v98, v12, v94, s[58:59]
	v_cmp_eq_u32_e64 s[58:59], 15, v73
	v_cndmask_b32_e64 v0, v0, v20, s[82:83]
	;; [unrolled: 2-line block ×3, first 2 shown]
	ds_bpermute_b32 v1, v87, v0
	v_cmp_eq_u32_e64 s[28:29], 3, v74
	s_waitcnt lgkmcnt(0)
	v_cndmask_b32_e64 v10, v27, v1, s[72:73]
	v_cndmask_b32_e64 v27, v93, v94, s[0:1]
	v_readlane_b32 s0, v99, 39
	v_readlane_b32 s1, v99, 40
	v_cndmask_b32_e64 v11, v28, v1, s[68:69]
	v_cndmask_b32_e64 v9, v26, v1, s[76:77]
	v_cndmask_b32_e64 v28, v55, v94, s[0:1]
	s_mov_b64 s[0:1], s[2:3]
	v_cndmask_b32_e64 v12, v29, v1, s[64:65]
	v_cndmask_b32_e64 v26, v92, v94, s[94:95]
	v_cndmask_b32_e64 v29, v28, v27, s[0:1]
	s_mov_b64 s[2:3], s[92:93]
	;; [unrolled: 4-line block ×3, first 2 shown]
	v_cndmask_b32_e64 v7, v24, v1, s[48:49]
	v_cndmask_b32_e64 v24, v90, v94, s[44:45]
	;; [unrolled: 1-line block ×18, first 2 shown]
	v_cmp_eq_u32_e64 s[40:41], 0, v73
	v_cndmask_b32_e64 v19, v58, v94, s[30:31]
	v_cndmask_b32_e64 v29, v29, v20, s[8:9]
	;; [unrolled: 1-line block ×8, first 2 shown]
	v_cndmask_b32_e32 v29, v29, v16, vcc
	v_cndmask_b32_e64 v29, v29, v17, s[80:81]
	v_cndmask_b32_e64 v29, v29, v98, s[86:87]
	;; [unrolled: 1-line block ×5, first 2 shown]
	ds_bpermute_b32 v29, v87, v29
	v_cndmask_b32_e64 v18, v1, v0, s[24:25]
	v_cmp_eq_u32_e64 s[26:27], 2, v74
	v_cmp_eq_u32_e64 s[30:31], 4, v74
	;; [unrolled: 1-line block ×3, first 2 shown]
	s_waitcnt lgkmcnt(0)
	v_cndmask_b32_e64 v92, v27, v29, s[0:1]
	v_cndmask_b32_e64 v93, v28, v29, s[70:71]
	;; [unrolled: 1-line block ×18, first 2 shown]
	v_cndmask_b32_e32 v16, v16, v29, vcc
	v_cndmask_b32_e64 v19, v19, v57, s[78:79]
	v_cndmask_b32_e64 v17, v17, v29, s[80:81]
	v_cndmask_b32_e64 v19, v19, v16, s[48:49]
	v_cndmask_b32_e64 v55, v98, v29, s[86:87]
	v_cndmask_b32_e64 v19, v19, v17, s[74:75]
	v_cndmask_b32_e64 v54, v97, v29, s[88:89]
	v_cndmask_b32_e64 v19, v19, v55, s[90:91]
	v_cndmask_b32_e64 v31, v96, v29, s[62:63]
	v_cndmask_b32_e64 v19, v19, v54, s[84:85]
	v_cndmask_b32_e64 v30, v95, v29, s[66:67]
	v_cndmask_b32_e64 v19, v19, v31, s[82:83]
	v_cndmask_b32_e64 v19, v19, v30, s[58:59]
	ds_bpermute_b32 v94, v87, v19
	v_cndmask_b32_e64 v18, v18, v15, s[26:27]
	v_cndmask_b32_e64 v18, v18, v14, s[28:29]
	;; [unrolled: 1-line block ×4, first 2 shown]
	s_waitcnt lgkmcnt(0)
	v_cndmask_b32_e64 v23, v17, v94, s[74:75]
	v_cndmask_b32_e64 v24, v16, v94, s[48:49]
	;; [unrolled: 1-line block ×16, first 2 shown]
	v_cmp_eq_u32_e64 s[36:37], 6, v74
	v_cndmask_b32_e64 v28, v60, v94, s[68:69]
	v_cndmask_b32_e64 v55, v55, v29, s[34:35]
	v_cndmask_b32_e64 v18, v18, v11, s[36:37]
	v_cmp_eq_u32_e64 s[38:39], 7, v74
	v_cndmask_b32_e64 v27, v59, v94, s[72:73]
	v_cndmask_b32_e64 v55, v55, v28, s[36:37]
	v_cndmask_b32_e64 v18, v18, v10, s[38:39]
	v_cmp_eq_u32_e64 s[42:43], 8, v74
	v_cndmask_b32_e64 v26, v58, v94, s[76:77]
	v_cndmask_b32_e64 v55, v55, v27, s[38:39]
	v_cndmask_b32_e64 v18, v18, v9, s[42:43]
	v_cmp_eq_u32_e64 s[44:45], 9, v74
	v_cndmask_b32_e64 v25, v57, v94, s[78:79]
	v_cndmask_b32_e64 v55, v55, v26, s[42:43]
	v_cndmask_b32_e64 v18, v18, v8, s[44:45]
	v_cmp_eq_u32_e64 s[46:47], 10, v74
	v_cndmask_b32_e64 v55, v55, v25, s[44:45]
	v_cmp_eq_u32_e64 s[52:53], 11, v74
	v_cndmask_b32_e64 v18, v18, v7, s[46:47]
	v_cndmask_b32_e64 v55, v55, v24, s[46:47]
	;; [unrolled: 1-line block ×3, first 2 shown]
	v_cmp_eq_u32_e64 s[66:67], 12, v74
	v_cndmask_b32_e64 v55, v55, v23, s[52:53]
	v_cmp_eq_u32_e64 s[62:63], 13, v74
	v_cndmask_b32_e64 v18, v18, v5, s[66:67]
	v_cndmask_b32_e64 v55, v55, v22, s[66:67]
	;; [unrolled: 1-line block ×3, first 2 shown]
	v_cmp_eq_u32_e32 vcc, 14, v74
	v_cndmask_b32_e64 v55, v55, v21, s[62:63]
	v_cmp_eq_u32_e64 s[6:7], 15, v74
	v_cndmask_b32_e32 v18, v18, v3, vcc
	v_cndmask_b32_e32 v55, v55, v20, vcc
	v_cndmask_b32_e64 v18, v18, v2, s[6:7]
	v_cndmask_b32_e64 v55, v55, v19, s[6:7]
	ds_bpermute_b32 v18, v87, v18
	ds_bpermute_b32 v58, v87, v55
	v_readlane_b32 s53, v99, 32
	s_nop 1
	v_cmp_lt_i32_e32 vcc, s53, v76
	s_and_saveexec_b64 s[40:41], vcc
	v_readlane_b32 s44, v99, 1
	v_readlane_b32 s45, v99, 2
	;; [unrolled: 1-line block ×11, first 2 shown]
	s_cbranch_execz .LBB343_32
; %bb.24:                               ;   in Loop: Header=BB343_7 Depth=1
	s_mul_i32 s0, s52, s17
	s_ashr_i32 s1, s0, 31
	s_lshl_b64 s[0:1], s[0:1], 1
	s_add_u32 s2, s48, s0
	v_cmp_eq_u32_e64 s[34:35], 1, v74
	v_cmp_eq_u32_e64 s[36:37], 0, v74
	s_addc_u32 s3, s49, s1
	s_ashr_i32 s55, s54, 31
	s_waitcnt lgkmcnt(1)
	v_cndmask_b32_e64 v55, v0, v18, s[34:35]
	v_cndmask_b32_e64 v57, v1, v18, s[36:37]
	s_lshl_b64 s[0:1], s[54:55], 1
	s_waitcnt lgkmcnt(0)
	v_cndmask_b32_e64 v59, v16, v58, s[34:35]
	v_cndmask_b32_e64 v60, v17, v58, s[36:37]
	v_cvt_f16_f32_e32 v57, v57
	v_cvt_f16_f32_sdwa v55, v55 dst_sel:WORD_1 dst_unused:UNUSED_PAD src0_sel:DWORD
	s_add_u32 s42, s2, s0
	v_cvt_f16_f32_e32 v60, v60
	v_cvt_f16_f32_sdwa v59, v59 dst_sel:WORD_1 dst_unused:UNUSED_PAD src0_sel:DWORD
	s_addc_u32 s43, s3, s1
	v_lshl_add_u64 v[0:1], s[42:43], 0, v[32:33]
	v_cmp_eq_u32_e32 vcc, 15, v74
	v_cmp_eq_u32_e64 s[6:7], 14, v74
	v_cmp_eq_u32_e64 s[8:9], 13, v74
	;; [unrolled: 1-line block ×13, first 2 shown]
	v_lshl_add_u64 v[16:17], v[34:35], 1, v[0:1]
	v_or_b32_e32 v55, v55, v57
	v_cmp_lt_i32_e64 s[34:35], s53, v77
	;;#ASMSTART
	global_atomic_pk_add_f16 v[16:17], v55, off
	
	;;#ASMEND
	v_lshl_add_u64 v[16:17], v[16:17], 0, 64
	v_or_b32_e32 v55, v59, v60
	;;#ASMSTART
	global_atomic_pk_add_f16 v[16:17], v55, off
	
	;;#ASMEND
	s_and_b64 exec, exec, s[34:35]
	s_cbranch_execz .LBB343_32
; %bb.25:                               ;   in Loop: Header=BB343_7 Depth=1
	v_cndmask_b32_e32 v2, v2, v18, vcc
	v_cndmask_b32_e64 v3, v3, v18, s[6:7]
	v_cndmask_b32_e64 v16, v4, v18, s[8:9]
	;; [unrolled: 1-line block ×19, first 2 shown]
	v_cvt_f16_f32_e32 v22, v18
	v_cvt_f16_f32_sdwa v23, v92 dst_sel:WORD_1 dst_unused:UNUSED_PAD src0_sel:DWORD
	v_cvt_f16_f32_e32 v21, v21
	v_cvt_f16_f32_sdwa v20, v20 dst_sel:WORD_1 dst_unused:UNUSED_PAD src0_sel:DWORD
	v_cndmask_b32_e32 v4, v19, v58, vcc
	v_cndmask_b32_e64 v9, v24, v58, s[14:15]
	v_cndmask_b32_e64 v10, v25, v58, s[0:1]
	;; [unrolled: 1-line block ×7, first 2 shown]
	v_lshl_add_u64 v[18:19], v[36:37], 1, v[0:1]
	v_cmp_lt_i32_e32 vcc, s53, v78
	v_or_b32_e32 v22, v23, v22
	;;#ASMSTART
	global_atomic_pk_add_f16 v[18:19], v22, off
	
	;;#ASMEND
	v_lshl_add_u64 v[18:19], v[18:19], 0, 64
	v_or_b32_e32 v20, v20, v21
	;;#ASMSTART
	global_atomic_pk_add_f16 v[18:19], v20, off
	
	;;#ASMEND
	s_and_b64 exec, exec, vcc
	s_cbranch_execz .LBB343_32
; %bb.26:                               ;   in Loop: Header=BB343_7 Depth=1
	v_cvt_f16_f32_e32 v20, v91
	v_cvt_f16_f32_sdwa v21, v90 dst_sel:WORD_1 dst_unused:UNUSED_PAD src0_sel:DWORD
	v_cvt_f16_f32_e32 v22, v15
	v_cvt_f16_f32_sdwa v23, v14 dst_sel:WORD_1 dst_unused:UNUSED_PAD src0_sel:DWORD
	v_lshl_add_u64 v[18:19], v[38:39], 1, v[0:1]
	v_or_b32_e32 v14, v21, v20
	v_cmp_lt_i32_e32 vcc, s53, v79
	;;#ASMSTART
	global_atomic_pk_add_f16 v[18:19], v14, off
	
	;;#ASMEND
	v_lshl_add_u64 v[14:15], v[18:19], 0, 64
	v_or_b32_e32 v18, v23, v22
	;;#ASMSTART
	global_atomic_pk_add_f16 v[14:15], v18, off
	
	;;#ASMEND
	s_and_b64 exec, exec, vcc
	s_cbranch_execz .LBB343_32
; %bb.27:                               ;   in Loop: Header=BB343_7 Depth=1
	v_cvt_f16_f32_e32 v18, v89
	v_cvt_f16_f32_sdwa v19, v61 dst_sel:WORD_1 dst_unused:UNUSED_PAD src0_sel:DWORD
	v_cvt_f16_f32_e32 v20, v13
	v_cvt_f16_f32_sdwa v21, v12 dst_sel:WORD_1 dst_unused:UNUSED_PAD src0_sel:DWORD
	v_lshl_add_u64 v[14:15], v[40:41], 1, v[0:1]
	v_or_b32_e32 v12, v19, v18
	v_cmp_lt_i32_e32 vcc, s53, v80
	;;#ASMSTART
	global_atomic_pk_add_f16 v[14:15], v12, off
	
	;;#ASMEND
	v_lshl_add_u64 v[12:13], v[14:15], 0, 64
	v_or_b32_e32 v14, v21, v20
	;;#ASMSTART
	global_atomic_pk_add_f16 v[12:13], v14, off
	
	;;#ASMEND
	s_and_b64 exec, exec, vcc
	s_cbranch_execz .LBB343_32
; %bb.28:                               ;   in Loop: Header=BB343_7 Depth=1
	v_cvt_f16_f32_e32 v14, v60
	v_cvt_f16_f32_sdwa v15, v59 dst_sel:WORD_1 dst_unused:UNUSED_PAD src0_sel:DWORD
	v_cvt_f16_f32_e32 v18, v11
	v_cvt_f16_f32_sdwa v19, v10 dst_sel:WORD_1 dst_unused:UNUSED_PAD src0_sel:DWORD
	v_lshl_add_u64 v[12:13], v[42:43], 1, v[0:1]
	v_or_b32_e32 v10, v15, v14
	v_cmp_lt_i32_e32 vcc, s53, v81
	;;#ASMSTART
	global_atomic_pk_add_f16 v[12:13], v10, off
	
	;;#ASMEND
	v_lshl_add_u64 v[10:11], v[12:13], 0, 64
	v_or_b32_e32 v12, v19, v18
	;;#ASMSTART
	global_atomic_pk_add_f16 v[10:11], v12, off
	
	;;#ASMEND
	s_and_b64 exec, exec, vcc
	s_cbranch_execz .LBB343_32
; %bb.29:                               ;   in Loop: Header=BB343_7 Depth=1
	v_cvt_f16_f32_e32 v12, v57
	v_cvt_f16_f32_sdwa v13, v55 dst_sel:WORD_1 dst_unused:UNUSED_PAD src0_sel:DWORD
	v_cvt_f16_f32_e32 v14, v9
	v_cvt_f16_f32_sdwa v15, v8 dst_sel:WORD_1 dst_unused:UNUSED_PAD src0_sel:DWORD
	v_lshl_add_u64 v[10:11], v[44:45], 1, v[0:1]
	v_or_b32_e32 v8, v13, v12
	v_cmp_lt_i32_e32 vcc, s53, v82
	;;#ASMSTART
	global_atomic_pk_add_f16 v[10:11], v8, off
	
	;;#ASMEND
	v_lshl_add_u64 v[8:9], v[10:11], 0, 64
	v_or_b32_e32 v10, v15, v14
	;;#ASMSTART
	global_atomic_pk_add_f16 v[8:9], v10, off
	
	;;#ASMEND
	s_and_b64 exec, exec, vcc
	s_cbranch_execz .LBB343_32
; %bb.30:                               ;   in Loop: Header=BB343_7 Depth=1
	v_cvt_f16_f32_e32 v10, v17
	v_cvt_f16_f32_sdwa v11, v16 dst_sel:WORD_1 dst_unused:UNUSED_PAD src0_sel:DWORD
	v_cvt_f16_f32_e32 v12, v7
	v_cvt_f16_f32_sdwa v13, v6 dst_sel:WORD_1 dst_unused:UNUSED_PAD src0_sel:DWORD
	v_lshl_add_u64 v[8:9], v[46:47], 1, v[0:1]
	v_or_b32_e32 v6, v11, v10
	v_cmp_lt_i32_e32 vcc, s53, v83
	;;#ASMSTART
	global_atomic_pk_add_f16 v[8:9], v6, off
	
	;;#ASMEND
	v_lshl_add_u64 v[6:7], v[8:9], 0, 64
	v_or_b32_e32 v8, v13, v12
	;;#ASMSTART
	global_atomic_pk_add_f16 v[6:7], v8, off
	
	;;#ASMEND
	s_and_b64 exec, exec, vcc
	s_cbranch_execz .LBB343_32
; %bb.31:                               ;   in Loop: Header=BB343_7 Depth=1
	v_cvt_f16_f32_e32 v3, v3
	v_cvt_f16_f32_sdwa v2, v2 dst_sel:WORD_1 dst_unused:UNUSED_PAD src0_sel:DWORD
	v_cvt_f16_f32_e32 v5, v5
	v_cvt_f16_f32_sdwa v4, v4 dst_sel:WORD_1 dst_unused:UNUSED_PAD src0_sel:DWORD
	v_lshl_add_u64 v[0:1], v[48:49], 1, v[0:1]
	v_or_b32_e32 v2, v2, v3
	;;#ASMSTART
	global_atomic_pk_add_f16 v[0:1], v2, off
	
	;;#ASMEND
	v_lshl_add_u64 v[0:1], v[0:1], 0, 64
	v_or_b32_e32 v2, v4, v5
	;;#ASMSTART
	global_atomic_pk_add_f16 v[0:1], v2, off
	
	;;#ASMEND
.LBB343_32:                             ;   in Loop: Header=BB343_7 Depth=1
	s_or_b64 exec, exec, s[40:41]
	v_readlane_b32 s12, v99, 9
	v_readlane_b32 s14, v99, 11
	;; [unrolled: 1-line block ×6, first 2 shown]
	v_subrev_u32_e32 v88, s96, v88
	v_readlane_b32 s11, v99, 0
	v_readlane_b32 s13, v99, 10
	;; [unrolled: 1-line block ×17, first 2 shown]
.LBB343_33:                             ;   in Loop: Header=BB343_7 Depth=1
	s_or_b64 exec, exec, s[2:3]
.LBB343_34:                             ;   in Loop: Header=BB343_7 Depth=1
	s_andn2_saveexec_b64 s[0:1], s[4:5]
	s_cbranch_execz .LBB343_43
; %bb.35:                               ;   in Loop: Header=BB343_7 Depth=1
	s_lshl_b32 s10, s96, 1
	v_cmp_gt_i32_e32 vcc, s10, v88
	s_and_saveexec_b64 s[2:3], vcc
	s_cbranch_execz .LBB343_42
; %bb.36:                               ;   in Loop: Header=BB343_7 Depth=1
	s_mul_i32 s4, s54, s19
	s_ashr_i32 s5, s4, 31
	s_add_u32 s4, s46, s4
	s_addc_u32 s5, s47, s5
	s_ashr_i32 s6, s35, 31
	s_add_u32 s4, s4, s35
	s_addc_u32 s5, s5, s6
	v_lshl_add_u64 v[0:1], s[4:5], 0, v[52:53]
	v_lshl_add_u64 v[8:9], v[0:1], 0, v[50:51]
	s_mov_b64 s[4:5], 0
	s_branch .LBB343_38
.LBB343_37:                             ;   in Loop: Header=BB343_38 Depth=2
	s_or_b64 exec, exec, s[6:7]
	v_lshl_add_u32 v12, v10, 11, v84
	;;#ASMSTART
	s_waitcnt vmcnt(1)
	;;#ASMEND
	ds_write2_b32 v12, v4, v5 offset1:32
	ds_write2_b32 v12, v6, v7 offset0:64 offset1:96
	v_add_u32_e32 v4, 0x400, v12
	v_add_u32_e32 v88, s22, v88
	;;#ASMSTART
	s_waitcnt vmcnt(0)
	;;#ASMEND
	ds_write2_b32 v4, v0, v1 offset1:32
	ds_write2_b32 v4, v2, v3 offset0:64 offset1:96
	v_add_u32_e32 v0, 1, v63
	v_add_u32_e32 v56, s22, v10
	v_cmp_le_i32_e32 vcc, s10, v88
	ds_write_b32 v11, v0 offset:64
	v_add_u32_e32 v0, 2, v63
	s_or_b64 s[4:5], vcc, s[4:5]
	v_cmp_lt_i32_e32 vcc, 7, v56
	s_nop 1
	v_cndmask_b32_e32 v63, v63, v0, vcc
	s_andn2_b64 exec, exec, s[4:5]
	s_cbranch_execz .LBB343_41
.LBB343_38:                             ;   Parent Loop BB343_7 Depth=1
                                        ; =>  This Loop Header: Depth=2
                                        ;       Child Loop BB343_40 Depth 3
	v_cmp_gt_i32_e32 vcc, 8, v56
	s_nop 1
	v_cndmask_b32_e64 v0, -8, 0, vcc
	v_add_u32_e32 v10, v0, v56
	v_lshrrev_b32_e32 v0, 31, v88
	v_add_u32_e32 v0, v88, v0
	v_and_b32_e32 v1, -2, v0
	v_lshlrev_b32_e32 v0, 5, v0
	v_sub_u32_e32 v2, v88, v1
	v_and_b32_e32 v0, 0xffffffc0, v0
	v_ashrrev_i32_e32 v1, 31, v0
	v_mul_lo_u32 v2, s97, v2
	v_lshl_add_u64 v[0:1], v[8:9], 0, v[0:1]
	v_ashrrev_i32_e32 v3, 31, v2
	v_lshl_add_u64 v[0:1], v[0:1], 0, v[2:3]
	v_lshlrev_b32_e32 v11, 2, v10
	;;#ASMSTART
	global_load_dwordx4 v[4:7], v[0:1], off offset:0   sc0 sc1 nt  
	global_load_dwordx4 v[0:3], v[0:1], off offset:32  sc0 sc1 nt  
	
	;;#ASMEND
	ds_read_b32 v12, v11 offset:49216
	v_add_u32_e32 v11, 0xc000, v11
	s_waitcnt lgkmcnt(0)
	v_cmp_ne_u32_e32 vcc, v12, v63
	s_and_saveexec_b64 s[6:7], vcc
	s_cbranch_execz .LBB343_37
; %bb.39:                               ;   in Loop: Header=BB343_38 Depth=2
	s_mov_b64 s[8:9], 0
.LBB343_40:                             ;   Parent Loop BB343_7 Depth=1
                                        ;     Parent Loop BB343_38 Depth=2
                                        ; =>    This Inner Loop Header: Depth=3
	;;#ASMSTART
	s_sleep 0
	;;#ASMEND
	ds_read_b32 v12, v11 offset:64
	s_waitcnt lgkmcnt(0)
	v_cmp_eq_u32_e32 vcc, v12, v63
	s_or_b64 s[8:9], vcc, s[8:9]
	s_andn2_b64 exec, exec, s[8:9]
	s_cbranch_execnz .LBB343_40
	s_branch .LBB343_37
.LBB343_41:                             ;   in Loop: Header=BB343_7 Depth=1
	s_or_b64 exec, exec, s[4:5]
.LBB343_42:                             ;   in Loop: Header=BB343_7 Depth=1
	s_or_b64 exec, exec, s[2:3]
	v_subrev_u32_e32 v88, s10, v88
.LBB343_43:                             ;   in Loop: Header=BB343_7 Depth=1
	s_or_b64 exec, exec, s[0:1]
.LBB343_44:                             ;   in Loop: Header=BB343_7 Depth=1
	s_andn2_saveexec_b64 s[0:1], s[36:37]
	s_cbranch_execz .LBB343_6
; %bb.45:                               ;   in Loop: Header=BB343_7 Depth=1
	s_lshl_b32 s10, s96, 2
	v_cmp_gt_i32_e32 vcc, s10, v88
	s_and_saveexec_b64 s[2:3], vcc
	s_cbranch_execz .LBB343_5
; %bb.46:                               ;   in Loop: Header=BB343_7 Depth=1
	s_mul_i32 s4, s52, s18
	s_max_i32 s6, s53, 0
	s_ashr_i32 s5, s4, 31
	s_add_u32 s4, s44, s4
	v_add_u32_e32 v2, s6, v64
	s_movk_i32 s6, 0x80
	s_addc_u32 s5, s45, s5
	s_ashr_i32 s7, s35, 31
	v_cmp_gt_u32_e32 vcc, s6, v2
	s_add_u32 s4, s4, s35
	s_addc_u32 s5, s5, s7
	v_cndmask_b32_e32 v0, 0, v85, vcc
	v_ashrrev_i32_e32 v1, 31, v0
	v_lshl_add_u64 v[0:1], s[4:5], 0, v[0:1]
	v_lshl_add_u64 v[8:9], v[0:1], 0, v[50:51]
	v_sub_u32_e32 v10, 0x7f, v2
	s_mov_b64 s[4:5], 0
	s_branch .LBB343_48
.LBB343_47:                             ;   in Loop: Header=BB343_48 Depth=2
	s_or_b64 exec, exec, s[6:7]
	v_lshl_or_b32 v13, v11, 11, v86
	;;#ASMSTART
	s_waitcnt vmcnt(1)
	;;#ASMEND
	ds_write2_b32 v13, v4, v5 offset1:32
	ds_write2_b32 v13, v6, v7 offset0:64 offset1:96
	v_add_u32_e32 v4, 0x400, v13
	v_add_u32_e32 v88, s21, v88
	;;#ASMSTART
	s_waitcnt vmcnt(0)
	;;#ASMEND
	ds_write2_b32 v4, v0, v1 offset1:32
	ds_write2_b32 v4, v2, v3 offset0:64 offset1:96
	v_add_u32_e32 v0, 1, v63
	v_add_u32_e32 v56, s21, v11
	v_cmp_le_i32_e32 vcc, s10, v88
	ds_write_b32 v12, v0
	v_add_u32_e32 v0, 2, v63
	s_or_b64 s[4:5], vcc, s[4:5]
	v_cmp_lt_i32_e32 vcc, 15, v56
	s_nop 1
	v_cndmask_b32_e32 v63, v63, v0, vcc
	s_andn2_b64 exec, exec, s[4:5]
	s_cbranch_execz .LBB343_4
.LBB343_48:                             ;   Parent Loop BB343_7 Depth=1
                                        ; =>  This Loop Header: Depth=2
                                        ;       Child Loop BB343_50 Depth 3
	v_cmp_gt_i32_e32 vcc, 16, v56
	s_nop 1
	v_cndmask_b32_e64 v0, -16, 0, vcc
	v_add_u32_e32 v11, v0, v56
	v_ashrrev_i32_e32 v0, 31, v88
	v_lshrrev_b32_e32 v0, 30, v0
	v_add_u32_e32 v0, v88, v0
	v_and_b32_e32 v1, 0x7fffffc, v0
	v_sub_u32_e32 v1, v88, v1
	v_lshlrev_b32_e32 v1, 5, v1
	v_cmp_le_i32_e32 vcc, v1, v10
	v_lshlrev_b32_e32 v0, 4, v0
	v_and_b32_e32 v0, 0xffffffc0, v0
	v_cndmask_b32_e32 v2, 0, v1, vcc
	v_ashrrev_i32_e32 v1, 31, v0
	v_mul_lo_u32 v2, v2, s18
	v_lshl_add_u64 v[0:1], v[8:9], 0, v[0:1]
	v_ashrrev_i32_e32 v3, 31, v2
	v_lshl_add_u64 v[0:1], v[0:1], 0, v[2:3]
	v_lshlrev_b32_e32 v12, 2, v11
	;;#ASMSTART
	global_load_dwordx4 v[4:7], v[0:1], off offset:0   
	global_load_dwordx4 v[0:3], v[0:1], off offset:32  
	
	;;#ASMEND
	ds_read_b32 v13, v12 offset:49152
	v_add_u32_e32 v12, 0xc000, v12
	s_waitcnt lgkmcnt(0)
	v_cmp_ne_u32_e32 vcc, v13, v63
	s_and_saveexec_b64 s[6:7], vcc
	s_cbranch_execz .LBB343_47
; %bb.49:                               ;   in Loop: Header=BB343_48 Depth=2
	s_mov_b64 s[8:9], 0
.LBB343_50:                             ;   Parent Loop BB343_7 Depth=1
                                        ;     Parent Loop BB343_48 Depth=2
                                        ; =>    This Inner Loop Header: Depth=3
	;;#ASMSTART
	s_sleep 0
	;;#ASMEND
	ds_read_b32 v13, v12
	s_waitcnt lgkmcnt(0)
	v_cmp_eq_u32_e32 vcc, v13, v63
	s_or_b64 s[8:9], vcc, s[8:9]
	s_andn2_b64 exec, exec, s[8:9]
	s_cbranch_execnz .LBB343_50
	s_branch .LBB343_47
.LBB343_51:
	s_endpgm
	.section	.rodata,"a",@progbits
	.p2align	6, 0x0
	.amdhsa_kernel _Z19_skinny_gemm_kernelILi4ELi2ELi4ELi32ELi4EEvPKhS1_P6__halfPKfiiiiiiii
		.amdhsa_group_segment_fixed_size 49248
		.amdhsa_private_segment_fixed_size 0
		.amdhsa_kernarg_size 64
		.amdhsa_user_sgpr_count 2
		.amdhsa_user_sgpr_dispatch_ptr 0
		.amdhsa_user_sgpr_queue_ptr 0
		.amdhsa_user_sgpr_kernarg_segment_ptr 1
		.amdhsa_user_sgpr_dispatch_id 0
		.amdhsa_user_sgpr_kernarg_preload_length 0
		.amdhsa_user_sgpr_kernarg_preload_offset 0
		.amdhsa_user_sgpr_private_segment_size 0
		.amdhsa_uses_dynamic_stack 0
		.amdhsa_enable_private_segment 0
		.amdhsa_system_sgpr_workgroup_id_x 1
		.amdhsa_system_sgpr_workgroup_id_y 0
		.amdhsa_system_sgpr_workgroup_id_z 0
		.amdhsa_system_sgpr_workgroup_info 0
		.amdhsa_system_vgpr_workitem_id 0
		.amdhsa_next_free_vgpr 100
		.amdhsa_next_free_sgpr 100
		.amdhsa_accum_offset 100
		.amdhsa_reserve_vcc 1
		.amdhsa_float_round_mode_32 0
		.amdhsa_float_round_mode_16_64 0
		.amdhsa_float_denorm_mode_32 3
		.amdhsa_float_denorm_mode_16_64 3
		.amdhsa_dx10_clamp 1
		.amdhsa_ieee_mode 1
		.amdhsa_fp16_overflow 0
		.amdhsa_tg_split 0
		.amdhsa_exception_fp_ieee_invalid_op 0
		.amdhsa_exception_fp_denorm_src 0
		.amdhsa_exception_fp_ieee_div_zero 0
		.amdhsa_exception_fp_ieee_overflow 0
		.amdhsa_exception_fp_ieee_underflow 0
		.amdhsa_exception_fp_ieee_inexact 0
		.amdhsa_exception_int_div_zero 0
	.end_amdhsa_kernel
	.section	.text._Z19_skinny_gemm_kernelILi4ELi2ELi4ELi32ELi4EEvPKhS1_P6__halfPKfiiiiiiii,"axG",@progbits,_Z19_skinny_gemm_kernelILi4ELi2ELi4ELi32ELi4EEvPKhS1_P6__halfPKfiiiiiiii,comdat
.Lfunc_end343:
	.size	_Z19_skinny_gemm_kernelILi4ELi2ELi4ELi32ELi4EEvPKhS1_P6__halfPKfiiiiiiii, .Lfunc_end343-_Z19_skinny_gemm_kernelILi4ELi2ELi4ELi32ELi4EEvPKhS1_P6__halfPKfiiiiiiii
                                        ; -- End function
	.set _Z19_skinny_gemm_kernelILi4ELi2ELi4ELi32ELi4EEvPKhS1_P6__halfPKfiiiiiiii.num_vgpr, 100
	.set _Z19_skinny_gemm_kernelILi4ELi2ELi4ELi32ELi4EEvPKhS1_P6__halfPKfiiiiiiii.num_agpr, 0
	.set _Z19_skinny_gemm_kernelILi4ELi2ELi4ELi32ELi4EEvPKhS1_P6__halfPKfiiiiiiii.numbered_sgpr, 100
	.set _Z19_skinny_gemm_kernelILi4ELi2ELi4ELi32ELi4EEvPKhS1_P6__halfPKfiiiiiiii.num_named_barrier, 0
	.set _Z19_skinny_gemm_kernelILi4ELi2ELi4ELi32ELi4EEvPKhS1_P6__halfPKfiiiiiiii.private_seg_size, 0
	.set _Z19_skinny_gemm_kernelILi4ELi2ELi4ELi32ELi4EEvPKhS1_P6__halfPKfiiiiiiii.uses_vcc, 1
	.set _Z19_skinny_gemm_kernelILi4ELi2ELi4ELi32ELi4EEvPKhS1_P6__halfPKfiiiiiiii.uses_flat_scratch, 0
	.set _Z19_skinny_gemm_kernelILi4ELi2ELi4ELi32ELi4EEvPKhS1_P6__halfPKfiiiiiiii.has_dyn_sized_stack, 0
	.set _Z19_skinny_gemm_kernelILi4ELi2ELi4ELi32ELi4EEvPKhS1_P6__halfPKfiiiiiiii.has_recursion, 0
	.set _Z19_skinny_gemm_kernelILi4ELi2ELi4ELi32ELi4EEvPKhS1_P6__halfPKfiiiiiiii.has_indirect_call, 0
	.section	.AMDGPU.csdata,"",@progbits
; Kernel info:
; codeLenInByte = 9756
; TotalNumSgprs: 106
; NumVgprs: 100
; NumAgprs: 0
; TotalNumVgprs: 100
; ScratchSize: 0
; MemoryBound: 0
; FloatMode: 240
; IeeeMode: 1
; LDSByteSize: 49248 bytes/workgroup (compile time only)
; SGPRBlocks: 13
; VGPRBlocks: 12
; NumSGPRsForWavesPerEU: 106
; NumVGPRsForWavesPerEU: 100
; AccumOffset: 100
; Occupancy: 4
; WaveLimiterHint : 0
; COMPUTE_PGM_RSRC2:SCRATCH_EN: 0
; COMPUTE_PGM_RSRC2:USER_SGPR: 2
; COMPUTE_PGM_RSRC2:TRAP_HANDLER: 0
; COMPUTE_PGM_RSRC2:TGID_X_EN: 1
; COMPUTE_PGM_RSRC2:TGID_Y_EN: 0
; COMPUTE_PGM_RSRC2:TGID_Z_EN: 0
; COMPUTE_PGM_RSRC2:TIDIG_COMP_CNT: 0
; COMPUTE_PGM_RSRC3_GFX90A:ACCUM_OFFSET: 24
; COMPUTE_PGM_RSRC3_GFX90A:TG_SPLIT: 0
	.section	.text._Z19_skinny_gemm_kernelILi4ELi2ELi5ELi16ELi4EEvPKhS1_P6__halfPKfiiiiiiii,"axG",@progbits,_Z19_skinny_gemm_kernelILi4ELi2ELi5ELi16ELi4EEvPKhS1_P6__halfPKfiiiiiiii,comdat
	.protected	_Z19_skinny_gemm_kernelILi4ELi2ELi5ELi16ELi4EEvPKhS1_P6__halfPKfiiiiiiii ; -- Begin function _Z19_skinny_gemm_kernelILi4ELi2ELi5ELi16ELi4EEvPKhS1_P6__halfPKfiiiiiiii
	.globl	_Z19_skinny_gemm_kernelILi4ELi2ELi5ELi16ELi4EEvPKhS1_P6__halfPKfiiiiiiii
	.p2align	8
	.type	_Z19_skinny_gemm_kernelILi4ELi2ELi5ELi16ELi4EEvPKhS1_P6__halfPKfiiiiiiii,@function
_Z19_skinny_gemm_kernelILi4ELi2ELi5ELi16ELi4EEvPKhS1_P6__halfPKfiiiiiiii: ; @_Z19_skinny_gemm_kernelILi4ELi2ELi5ELi16ELi4EEvPKhS1_P6__halfPKfiiiiiiii
; %bb.0:
	v_cmp_gt_u32_e32 vcc, 30, v0
	v_lshlrev_b32_e32 v1, 2, v0
	s_and_saveexec_b64 s[4:5], vcc
; %bb.1:
	v_mov_b32_e32 v2, 0
	ds_write_b32 v1, v2 offset:61440
; %bb.2:
	s_or_b64 exec, exec, s[4:5]
	s_load_dwordx8 s[16:23], s[0:1], 0x20
	s_waitcnt lgkmcnt(0)
	s_barrier
	s_add_i32 s3, s16, 63
	s_ashr_i32 s5, s3, 31
	s_add_i32 s4, s17, 31
	s_lshr_b32 s5, s5, 26
	s_ashr_i32 s6, s4, 31
	s_add_i32 s3, s3, s5
	s_ashr_i32 s33, s3, 6
	s_lshr_b32 s3, s6, 27
	s_add_i32 s4, s4, s3
	s_ashr_i32 s48, s4, 5
	s_mul_i32 s3, s48, s33
	s_mul_i32 s3, s3, s20
	s_add_i32 s4, s3, 0x12f
	s_mul_hi_i32 s4, s4, 0x6bca1af3
	s_lshr_b32 s5, s4, 31
	s_ashr_i32 s4, s4, 7
	s_add_i32 s4, s4, s5
	s_add_i32 s5, s2, 1
	s_mul_i32 s5, s4, s5
	v_cvt_f64_i32_e32 v[2:3], s3
	v_cvt_f64_u32_e32 v[4:5], s5
	v_min_f64 v[2:3], v[2:3], v[4:5]
	v_cvt_i32_f64_e32 v33, v[2:3]
	s_mul_i32 s49, s4, s2
	v_cmp_ge_i32_e32 vcc, s49, v33
	s_cbranch_vccnz .LBB344_60
; %bb.3:
	v_lshrrev_b32_e32 v2, 6, v0
	s_add_i32 s4, s22, s21
	s_load_dwordx8 s[24:31], s[0:1], 0x0
	v_cmp_le_i32_e64 s[0:1], s4, v2
	v_mov_b32_e32 v3, s21
	v_cmp_le_i32_e64 s[2:3], s21, v2
	v_mov_b32_e32 v4, s22
	v_cndmask_b32_e64 v4, 0, v4, s[0:1]
	v_cndmask_b32_e64 v3, 0, v3, s[2:3]
	s_abs_i32 s5, s20
	v_add_u32_e32 v3, v3, v4
	v_cvt_f32_u32_e32 v4, s5
	v_sub_u32_e32 v50, v2, v3
	s_ashr_i32 s6, s18, 31
	s_lshr_b32 s6, s6, 25
	v_rcp_iflag_f32_e32 v3, v4
	s_sub_i32 s9, 0, s5
	s_add_i32 s6, s18, s6
	s_ashr_i32 s6, s6, 7
	v_mul_f32_e32 v3, 0x4f7ffffe, v3
	v_cvt_u32_f32_e32 v3, v3
	s_abs_i32 s8, s6
	s_xor_b32 s7, s6, s20
	s_ashr_i32 s7, s7, 31
	v_readfirstlane_b32 s10, v3
	s_mul_i32 s9, s9, s10
	s_mul_hi_u32 s9, s10, s9
	s_add_i32 s10, s10, s9
	s_mul_hi_u32 s9, s8, s10
	s_mul_i32 s10, s9, s5
	s_sub_i32 s8, s8, s10
	s_add_i32 s10, s9, 1
	s_sub_i32 s11, s8, s5
	s_cmp_ge_u32 s8, s5
	s_cselect_b32 s9, s10, s9
	s_cselect_b32 s8, s11, s8
	s_add_i32 s10, s9, 1
	s_cmp_ge_u32 s8, s5
	s_cselect_b32 s5, s10, s9
	s_xor_b32 s5, s5, s7
	s_sub_i32 s50, s5, s7
	s_add_i32 s20, s20, -1
	s_mul_i32 s5, s50, s20
	s_add_i32 s4, s4, s23
	s_sub_i32 s51, s6, s5
	v_cmp_gt_i32_e64 s[4:5], s4, v2
	v_lshlrev_b32_e32 v2, 1, v0
	v_lshlrev_b32_e32 v3, 4, v0
	v_and_b32_e32 v1, 60, v1
	v_and_b32_e32 v2, 64, v2
	;; [unrolled: 1-line block ×3, first 2 shown]
	v_or3_b32 v85, v1, v2, v4
	v_and_b32_e32 v1, 1, v0
	v_lshrrev_b32_e32 v4, 2, v0
	s_abs_i32 s52, s33
	v_and_or_b32 v90, v4, 12, v1
	v_cvt_f32_u32_e32 v4, s52
	v_lshlrev_b32_e32 v2, 1, v1
	v_and_b32_e32 v32, 14, v0
	v_sub_u32_e32 v2, v0, v2
	v_bitop3_b32 v87, v0, 1, v0 bitop3:0xc
	v_bitop3_b32 v88, v0, 3, 1 bitop3:0x6c
	v_and_b32_e32 v42, 48, v3
	v_bfe_u32 v94, v0, 2, 4
	v_and_b32_e32 v1, 60, v0
	v_lshlrev_b32_e32 v3, 8, v0
	v_lshlrev_b32_e32 v0, 6, v0
	v_and_b32_e32 v3, 0x200, v3
	v_and_b32_e32 v0, 64, v0
	v_or3_b32 v95, v1, v3, v0
	v_rcp_iflag_f32_e32 v0, v4
	s_abs_i32 s54, s48
	v_cvt_f32_u32_e32 v1, s54
	v_mad_u64_u32 v[34:35], s[6:7], s17, v90, v[32:33]
	v_mul_f32_e32 v0, 0x4f7ffffe, v0
	v_cvt_u32_f32_e32 v0, v0
	v_rcp_iflag_f32_e32 v1, v1
	s_lshl_b32 s6, s17, 4
	v_add_u32_e32 v36, s6, v34
	v_readfirstlane_b32 s7, v0
	v_mul_f32_e32 v0, 0x4f7ffffe, v1
	v_add_u32_e32 v38, s6, v36
	v_cvt_u32_f32_e32 v0, v0
	v_add_u32_e32 v40, s6, v38
	s_sub_i32 s6, 0, s52
	s_mul_i32 s6, s6, s7
	s_mul_hi_u32 s6, s7, s6
	v_add_u32_e32 v2, 1, v2
	s_add_i32 s56, s7, s6
	s_sub_i32 s6, 0, s54
	v_readfirstlane_b32 s7, v0
	v_mbcnt_lo_u32_b32 v0, -1, 0
	v_and_b32_e32 v2, 63, v2
	s_mul_i32 s6, s6, s7
	v_mbcnt_hi_u32_b32 v0, -1, v0
	v_mul_lo_u32 v44, s19, v94
	s_mul_hi_u32 s6, s7, s6
	v_and_or_b32 v0, v0, 64, v2
	v_cndmask_b32_e64 v84, 0, 1, s[0:1]
	v_or_b32_e32 v86, 0xa000, v85
	s_ashr_i32 s35, s17, 31
	s_mov_b32 s34, s17
	v_or_b32_e32 v89, 16, v32
	v_ashrrev_i32_e32 v35, 31, v34
	v_or_b32_e32 v91, 16, v90
	v_ashrrev_i32_e32 v37, 31, v36
	;; [unrolled: 2-line block ×4, first 2 shown]
	v_ashrrev_i32_e32 v45, 31, v44
	v_mov_b32_e32 v43, 0
	v_or_b32_e32 v96, 0xa000, v95
	s_lshl_b32 s53, s19, 4
	v_mul_lo_u32 v97, s18, v94
	s_ashr_i32 s55, s33, 31
	s_ashr_i32 s57, s48, 31
	s_add_i32 s58, s7, s6
	v_lshlrev_b32_e32 v98, 2, v0
	v_not_b32_e32 v99, 19
	v_mov_b32_e32 v100, v50
	s_branch .LBB344_7
.LBB344_4:                              ;   in Loop: Header=BB344_7 Depth=1
	s_or_b64 exec, exec, s[10:11]
.LBB344_5:                              ;   in Loop: Header=BB344_7 Depth=1
	s_or_b64 exec, exec, s[8:9]
	v_subrev_u32_e32 v100, s36, v100
.LBB344_6:                              ;   in Loop: Header=BB344_7 Depth=1
	s_or_b64 exec, exec, s[6:7]
	s_add_i32 s49, s49, 1
	v_cmp_ge_i32_e32 vcc, s49, v33
	s_cbranch_vccnz .LBB344_60
.LBB344_7:                              ; =>This Loop Header: Depth=1
                                        ;     Child Loop BB344_13 Depth 2
                                        ;       Child Loop BB344_15 Depth 3
                                        ;       Child Loop BB344_18 Depth 3
                                        ;       Child Loop BB344_21 Depth 3
                                        ;       Child Loop BB344_24 Depth 3
                                        ;       Child Loop BB344_27 Depth 3
                                        ;       Child Loop BB344_30 Depth 3
                                        ;     Child Loop BB344_47 Depth 2
                                        ;       Child Loop BB344_49 Depth 3
                                        ;     Child Loop BB344_57 Depth 2
                                        ;       Child Loop BB344_59 Depth 3
	s_abs_i32 s7, s49
	s_mul_hi_u32 s8, s7, s56
	s_mul_i32 s9, s8, s52
	s_ashr_i32 s6, s49, 31
	s_sub_i32 s7, s7, s9
	s_xor_b32 s6, s6, s55
	s_add_i32 s9, s8, 1
	s_sub_i32 s10, s7, s52
	s_cmp_ge_u32 s7, s52
	s_cselect_b32 s8, s9, s8
	s_cselect_b32 s7, s10, s7
	s_add_i32 s9, s8, 1
	s_cmp_ge_u32 s7, s52
	s_cselect_b32 s7, s9, s8
	s_xor_b32 s7, s7, s6
	s_sub_i32 s6, s7, s6
	s_abs_i32 s8, s6
	s_mul_i32 s7, s6, s33
	s_mul_hi_u32 s9, s8, s58
	s_sub_i32 s7, s49, s7
	s_mul_i32 s10, s9, s54
	s_lshl_b32 s59, s7, 6
	s_ashr_i32 s7, s6, 31
	s_sub_i32 s8, s8, s10
	s_xor_b32 s7, s7, s57
	s_add_i32 s10, s9, 1
	s_sub_i32 s11, s8, s54
	s_cmp_ge_u32 s8, s54
	s_cselect_b32 s9, s10, s9
	s_cselect_b32 s8, s11, s8
	s_add_i32 s10, s9, 1
	s_cmp_ge_u32 s8, s54
	s_cselect_b32 s8, s10, s9
	s_xor_b32 s8, s8, s7
	s_sub_i32 s7, s8, s7
	s_mul_i32 s8, s7, s50
	s_lshl_b32 s60, s8, 7
	s_cmp_eq_u32 s7, s20
	s_cselect_b32 s62, s51, s50
	s_sub_i32 s8, s59, s16
	s_add_i32 s8, s8, 64
	s_max_i32 s61, s8, 0
	s_and_saveexec_b64 s[8:9], s[2:3]
	s_xor_b64 s[36:37], exec, s[8:9]
	s_cbranch_execz .LBB344_53
; %bb.8:                                ;   in Loop: Header=BB344_7 Depth=1
	s_mul_i32 s7, s7, s48
	s_sub_i32 s6, s6, s7
	s_lshl_b32 s6, s6, 5
	s_sub_i32 s14, s6, s17
	s_add_i32 s14, s14, 32
	s_max_i32 s7, s14, 0
	s_sub_i32 s38, s6, s7
	s_and_saveexec_b64 s[6:7], s[0:1]
	s_xor_b64 s[40:41], exec, s[6:7]
	s_cbranch_execz .LBB344_43
; %bb.9:                                ;   in Loop: Header=BB344_7 Depth=1
	s_and_saveexec_b64 s[42:43], s[4:5]
	s_cbranch_execz .LBB344_42
; %bb.10:                               ;   in Loop: Header=BB344_7 Depth=1
	s_waitcnt lgkmcnt(0)
	global_load_dword v101, v43, s[30:31]
	v_mov_b32_e32 v31, 0
	v_cmp_gt_i32_e32 vcc, s62, v100
	v_mov_b32_e32 v30, v31
	v_mov_b32_e32 v29, v31
	;; [unrolled: 1-line block ×31, first 2 shown]
	s_and_saveexec_b64 s[6:7], vcc
	s_cbranch_execz .LBB344_32
; %bb.11:                               ;   in Loop: Header=BB344_7 Depth=1
	v_mov_b32_e32 v4, 0
	s_mov_b64 s[8:9], 0
	v_mov_b32_e32 v5, v4
	v_mov_b32_e32 v6, v4
	;; [unrolled: 1-line block ×31, first 2 shown]
	s_branch .LBB344_13
.LBB344_12:                             ;   in Loop: Header=BB344_13 Depth=2
	s_or_b64 exec, exec, s[10:11]
	v_add_u32_e32 v52, 0x800, v105
	ds_read2_b32 v[50:51], v52 offset1:32
	v_add_u32_e32 v56, 0xc00, v105
	v_add_u32_e32 v100, s23, v100
	s_waitcnt lgkmcnt(0)
	v_mfma_f32_16x16x32_fp8_fp8 v[24:27], v[46:47], v[50:51], v[24:27]
	ds_read2_b32 v[46:47], v52 offset0:128 offset1:160
	ds_read2_b32 v[52:53], v56 offset1:32
	v_mfma_f32_16x16x32_fp8_fp8 v[16:19], v[62:63], v[50:51], v[16:19]
	v_mfma_f32_16x16x32_fp8_fp8 v[8:11], v[70:71], v[50:51], v[8:11]
	;; [unrolled: 1-line block ×3, first 2 shown]
	v_add_u32_e32 v50, s23, v102
	v_cmp_lt_i32_e32 vcc, 4, v50
	s_waitcnt lgkmcnt(1)
	v_mfma_f32_16x16x32_fp8_fp8 v[24:27], v[54:55], v[46:47], v[24:27]
	ds_read2_b32 v[54:55], v56 offset0:128 offset1:160
	;;#ASMSTART
	s_waitcnt lgkmcnt(0)
	;;#ASMEND
	ds_write_b32 v103, v104 offset:61524
	v_mfma_f32_16x16x32_fp8_fp8 v[16:19], v[64:65], v[46:47], v[16:19]
	v_mfma_f32_16x16x32_fp8_fp8 v[8:11], v[72:73], v[46:47], v[8:11]
	;; [unrolled: 1-line block ×3, first 2 shown]
	v_add_u32_e32 v46, 2, v84
	v_cndmask_b32_e32 v84, v84, v46, vcc
	v_cmp_le_i32_e32 vcc, s62, v100
	s_waitcnt lgkmcnt(2)
	v_mfma_f32_16x16x32_fp8_fp8 v[24:27], v[58:59], v[52:53], v[24:27]
	s_or_b64 s[8:9], vcc, s[8:9]
	v_mfma_f32_16x16x32_fp8_fp8 v[16:19], v[66:67], v[52:53], v[16:19]
	v_mfma_f32_16x16x32_fp8_fp8 v[8:11], v[74:75], v[52:53], v[8:11]
	v_mfma_f32_16x16x32_fp8_fp8 v[4:7], v[82:83], v[52:53], v[4:7]
	s_waitcnt lgkmcnt(1)
	v_mfma_f32_16x16x32_fp8_fp8 v[24:27], v[60:61], v[54:55], v[24:27]
	v_mfma_f32_16x16x32_fp8_fp8 v[16:19], v[68:69], v[54:55], v[16:19]
	;; [unrolled: 1-line block ×4, first 2 shown]
	s_andn2_b64 exec, exec, s[8:9]
	s_cbranch_execz .LBB344_31
.LBB344_13:                             ;   Parent Loop BB344_7 Depth=1
                                        ; =>  This Loop Header: Depth=2
                                        ;       Child Loop BB344_15 Depth 3
                                        ;       Child Loop BB344_18 Depth 3
                                        ;       Child Loop BB344_21 Depth 3
                                        ;       Child Loop BB344_24 Depth 3
                                        ;       Child Loop BB344_27 Depth 3
                                        ;       Child Loop BB344_30 Depth 3
	v_cmp_gt_i32_e32 vcc, 5, v50
	s_nop 1
	v_cndmask_b32_e64 v46, -5, 0, vcc
	v_add_u32_e32 v102, v46, v50
	v_lshlrev_b32_e32 v103, 3, v102
	ds_read_b32 v46, v103 offset:61520
	s_waitcnt lgkmcnt(0)
	v_cmp_ne_u32_e32 vcc, v46, v84
	s_and_saveexec_b64 s[10:11], vcc
	s_cbranch_execz .LBB344_16
; %bb.14:                               ;   in Loop: Header=BB344_13 Depth=2
	s_mov_b64 s[12:13], 0
.LBB344_15:                             ;   Parent Loop BB344_7 Depth=1
                                        ;     Parent Loop BB344_13 Depth=2
                                        ; =>    This Inner Loop Header: Depth=3
	;;#ASMSTART
	s_sleep 0
	;;#ASMEND
	ds_read_b32 v46, v103 offset:61520
	s_waitcnt lgkmcnt(0)
	v_cmp_eq_u32_e32 vcc, v46, v84
	s_or_b64 s[12:13], vcc, s[12:13]
	s_andn2_b64 exec, exec, s[12:13]
	s_cbranch_execnz .LBB344_15
.LBB344_16:                             ;   in Loop: Header=BB344_13 Depth=2
	s_or_b64 exec, exec, s[10:11]
	v_lshlrev_b32_e32 v46, 12, v102
	v_add_u32_e32 v105, v86, v46
	v_add_u32_e32 v46, 0x400, v105
	;; [unrolled: 1-line block ×3, first 2 shown]
	ds_read2_b32 v[48:49], v105 offset1:32
	ds_read2_b32 v[50:51], v105 offset0:128 offset1:160
	ds_read2_b32 v[56:57], v46 offset1:32
	ds_read2_b32 v[52:53], v46 offset0:128 offset1:160
	;;#ASMSTART
	s_waitcnt lgkmcnt(0)
	;;#ASMEND
	ds_write_b32 v103, v104 offset:61520
	v_lshlrev_b32_e32 v106, 4, v102
	ds_read_b32 v46, v106 offset:61440
	s_waitcnt lgkmcnt(0)
	v_cmp_ne_u32_e32 vcc, v46, v84
	s_and_saveexec_b64 s[10:11], vcc
	s_cbranch_execz .LBB344_19
; %bb.17:                               ;   in Loop: Header=BB344_13 Depth=2
	s_mov_b64 s[12:13], 0
.LBB344_18:                             ;   Parent Loop BB344_7 Depth=1
                                        ;     Parent Loop BB344_13 Depth=2
                                        ; =>    This Inner Loop Header: Depth=3
	;;#ASMSTART
	s_sleep 0
	;;#ASMEND
	ds_read_b32 v46, v106 offset:61440
	s_waitcnt lgkmcnt(0)
	v_cmp_eq_u32_e32 vcc, v46, v84
	s_or_b64 s[12:13], vcc, s[12:13]
	s_andn2_b64 exec, exec, s[12:13]
	s_cbranch_execnz .LBB344_18
.LBB344_19:                             ;   in Loop: Header=BB344_13 Depth=2
	s_or_b64 exec, exec, s[10:11]
	v_lshlrev_b32_e32 v62, 13, v102
	v_or_b32_e32 v58, v85, v62
	ds_read2_b32 v[46:47], v58 offset1:32
	ds_read2_b32 v[54:55], v58 offset0:128 offset1:160
	v_add_u32_e32 v60, 0x400, v58
	ds_read2_b32 v[58:59], v60 offset1:32
	ds_read2_b32 v[60:61], v60 offset0:128 offset1:160
	ds_read_b32 v63, v106 offset:61444
	ds_write_b32 v106, v104 offset:61440
	s_waitcnt lgkmcnt(5)
	v_mfma_f32_16x16x32_fp8_fp8 v[28:31], v[46:47], v[48:49], v[28:31]
	s_waitcnt lgkmcnt(1)
	v_cmp_ne_u32_e32 vcc, v63, v84
	v_mfma_f32_16x16x32_fp8_fp8 v[28:31], v[54:55], v[50:51], v[28:31]
	v_mfma_f32_16x16x32_fp8_fp8 v[28:31], v[58:59], v[56:57], v[28:31]
	;; [unrolled: 1-line block ×3, first 2 shown]
	s_and_saveexec_b64 s[10:11], vcc
	s_cbranch_execz .LBB344_22
; %bb.20:                               ;   in Loop: Header=BB344_13 Depth=2
	s_mov_b64 s[12:13], 0
.LBB344_21:                             ;   Parent Loop BB344_7 Depth=1
                                        ;     Parent Loop BB344_13 Depth=2
                                        ; =>    This Inner Loop Header: Depth=3
	;;#ASMSTART
	s_sleep 0
	;;#ASMEND
	ds_read_b32 v63, v106 offset:61444
	s_waitcnt lgkmcnt(0)
	v_cmp_eq_u32_e32 vcc, v63, v84
	s_or_b64 s[12:13], vcc, s[12:13]
	s_andn2_b64 exec, exec, s[12:13]
	s_cbranch_execnz .LBB344_21
.LBB344_22:                             ;   in Loop: Header=BB344_13 Depth=2
	s_or_b64 exec, exec, s[10:11]
	v_add_u32_e32 v82, v85, v62
	v_add_u32_e32 v64, 0x800, v82
	ds_read2_b32 v[62:63], v64 offset1:32
	ds_read2_b32 v[64:65], v64 offset0:128 offset1:160
	v_add_u32_e32 v68, 0xc00, v82
	ds_read2_b32 v[66:67], v68 offset1:32
	ds_read2_b32 v[68:69], v68 offset0:128 offset1:160
	ds_read_b32 v70, v106 offset:61448
	ds_write_b32 v106, v104 offset:61444
	s_waitcnt lgkmcnt(5)
	v_mfma_f32_16x16x32_fp8_fp8 v[20:23], v[62:63], v[48:49], v[20:23]
	s_waitcnt lgkmcnt(1)
	v_cmp_ne_u32_e32 vcc, v70, v84
	v_mfma_f32_16x16x32_fp8_fp8 v[20:23], v[64:65], v[50:51], v[20:23]
	v_mfma_f32_16x16x32_fp8_fp8 v[20:23], v[66:67], v[56:57], v[20:23]
	;; [unrolled: 1-line block ×3, first 2 shown]
	s_and_saveexec_b64 s[10:11], vcc
	s_cbranch_execz .LBB344_25
; %bb.23:                               ;   in Loop: Header=BB344_13 Depth=2
	s_mov_b64 s[12:13], 0
.LBB344_24:                             ;   Parent Loop BB344_7 Depth=1
                                        ;     Parent Loop BB344_13 Depth=2
                                        ; =>    This Inner Loop Header: Depth=3
	;;#ASMSTART
	s_sleep 0
	;;#ASMEND
	ds_read_b32 v70, v106 offset:61448
	s_waitcnt lgkmcnt(0)
	v_cmp_eq_u32_e32 vcc, v70, v84
	s_or_b64 s[12:13], vcc, s[12:13]
	s_andn2_b64 exec, exec, s[12:13]
	s_cbranch_execnz .LBB344_24
.LBB344_25:                             ;   in Loop: Header=BB344_13 Depth=2
	s_or_b64 exec, exec, s[10:11]
	v_add_u32_e32 v72, 0x1000, v82
	ds_read2_b32 v[70:71], v72 offset1:32
	ds_read2_b32 v[72:73], v72 offset0:128 offset1:160
	v_add_u32_e32 v76, 0x1400, v82
	ds_read2_b32 v[74:75], v76 offset1:32
	ds_read2_b32 v[76:77], v76 offset0:128 offset1:160
	ds_read_b32 v78, v106 offset:61452
	ds_write_b32 v106, v104 offset:61448
	s_waitcnt lgkmcnt(5)
	v_mfma_f32_16x16x32_fp8_fp8 v[12:15], v[70:71], v[48:49], v[12:15]
	s_waitcnt lgkmcnt(1)
	v_cmp_ne_u32_e32 vcc, v78, v84
	v_mfma_f32_16x16x32_fp8_fp8 v[12:15], v[72:73], v[50:51], v[12:15]
	v_mfma_f32_16x16x32_fp8_fp8 v[12:15], v[74:75], v[56:57], v[12:15]
	;; [unrolled: 1-line block ×3, first 2 shown]
	s_and_saveexec_b64 s[10:11], vcc
	s_cbranch_execz .LBB344_28
; %bb.26:                               ;   in Loop: Header=BB344_13 Depth=2
	s_mov_b64 s[12:13], 0
.LBB344_27:                             ;   Parent Loop BB344_7 Depth=1
                                        ;     Parent Loop BB344_13 Depth=2
                                        ; =>    This Inner Loop Header: Depth=3
	;;#ASMSTART
	s_sleep 0
	;;#ASMEND
	ds_read_b32 v78, v106 offset:61452
	s_waitcnt lgkmcnt(0)
	v_cmp_eq_u32_e32 vcc, v78, v84
	s_or_b64 s[12:13], vcc, s[12:13]
	s_andn2_b64 exec, exec, s[12:13]
	s_cbranch_execnz .LBB344_27
.LBB344_28:                             ;   in Loop: Header=BB344_13 Depth=2
	s_or_b64 exec, exec, s[10:11]
	v_add_u32_e32 v80, 0x1800, v82
	ds_read2_b32 v[78:79], v80 offset1:32
	ds_read2_b32 v[80:81], v80 offset0:128 offset1:160
	v_add_u32_e32 v107, 0x1c00, v82
	ds_read2_b32 v[82:83], v107 offset1:32
	ds_write_b32 v106, v104 offset:61452
	s_waitcnt lgkmcnt(3)
	v_mfma_f32_16x16x32_fp8_fp8 v[0:3], v[78:79], v[48:49], v[0:3]
	ds_read2_b32 v[48:49], v107 offset0:128 offset1:160
	s_waitcnt lgkmcnt(3)
	v_mfma_f32_16x16x32_fp8_fp8 v[0:3], v[80:81], v[50:51], v[0:3]
	ds_read_b32 v50, v103 offset:61524
	s_waitcnt lgkmcnt(0)
	v_cmp_ne_u32_e32 vcc, v50, v84
	v_mfma_f32_16x16x32_fp8_fp8 v[0:3], v[82:83], v[56:57], v[0:3]
	v_mfma_f32_16x16x32_fp8_fp8 v[0:3], v[48:49], v[52:53], v[0:3]
	s_and_saveexec_b64 s[10:11], vcc
	s_cbranch_execz .LBB344_12
; %bb.29:                               ;   in Loop: Header=BB344_13 Depth=2
	s_mov_b64 s[12:13], 0
.LBB344_30:                             ;   Parent Loop BB344_7 Depth=1
                                        ;     Parent Loop BB344_13 Depth=2
                                        ; =>    This Inner Loop Header: Depth=3
	;;#ASMSTART
	s_sleep 0
	;;#ASMEND
	ds_read_b32 v50, v103 offset:61524
	s_waitcnt lgkmcnt(0)
	v_cmp_eq_u32_e32 vcc, v50, v84
	s_or_b64 s[12:13], vcc, s[12:13]
	s_andn2_b64 exec, exec, s[12:13]
	s_cbranch_execnz .LBB344_30
	s_branch .LBB344_12
.LBB344_31:                             ;   in Loop: Header=BB344_7 Depth=1
	s_or_b64 exec, exec, s[8:9]
.LBB344_32:                             ;   in Loop: Header=BB344_7 Depth=1
	s_or_b64 exec, exec, s[6:7]
	v_cmp_le_i32_e32 vcc, s14, v32
	v_cmp_eq_u32_e64 s[6:7], 2, v87
	v_cmp_eq_u32_e64 s[8:9], 3, v87
	s_waitcnt vmcnt(0)
	v_cndmask_b32_e32 v46, 0, v101, vcc
	v_pk_mul_f32 v[28:29], v[46:47], v[28:29] op_sel_hi:[0,1]
	v_cmp_eq_u32_e32 vcc, 1, v87
	v_pk_mul_f32 v[48:49], v[46:47], v[30:31] op_sel_hi:[0,1]
	v_cmp_eq_u32_e64 s[10:11], 0, v87
	v_cndmask_b32_e32 v30, v28, v29, vcc
	v_cndmask_b32_e64 v30, v30, v48, s[6:7]
	v_cndmask_b32_e64 v30, v30, v49, s[8:9]
	ds_bpermute_b32 v47, v98, v30
	v_cmp_le_i32_e64 s[14:15], s14, v89
	v_cmp_eq_u32_e64 s[12:13], 1, v88
	v_add_u32_e32 v51, s61, v90
	s_waitcnt lgkmcnt(0)
	v_cndmask_b32_e64 v30, v49, v47, s[8:9]
	v_cndmask_b32_e64 v31, v48, v47, s[6:7]
	v_cndmask_b32_e32 v29, v29, v47, vcc
	v_cndmask_b32_e64 v47, v28, v47, s[10:11]
	v_cndmask_b32_e64 v28, 0, v101, s[14:15]
	v_pk_mul_f32 v[54:55], v[28:29], v[24:25] op_sel_hi:[0,1]
	v_pk_mul_f32 v[52:53], v[28:29], v[26:27] op_sel_hi:[0,1]
	v_cndmask_b32_e32 v24, v54, v55, vcc
	v_cndmask_b32_e64 v24, v24, v52, s[6:7]
	v_cndmask_b32_e64 v24, v24, v53, s[8:9]
	ds_bpermute_b32 v25, v98, v24
	v_cndmask_b32_e64 v48, v47, v29, s[12:13]
	v_cmp_eq_u32_e32 vcc, 2, v88
	v_cmp_eq_u32_e64 s[14:15], 3, v88
	s_waitcnt lgkmcnt(0)
	v_cndmask_b32_e64 v27, v52, v25, s[6:7]
	v_cndmask_b32_e32 v24, v48, v31, vcc
	v_cndmask_b32_e64 v24, v24, v30, s[14:15]
	v_cmp_ne_u32_e64 s[6:7], 0, v87
	ds_bpermute_b32 v48, v98, v24
	v_cndmask_b32_e64 v26, v53, v25, s[8:9]
	v_cndmask_b32_e64 v24, v55, v25, s[6:7]
	;; [unrolled: 1-line block ×4, first 2 shown]
	v_cndmask_b32_e32 v49, v49, v27, vcc
	v_cndmask_b32_e64 v49, v49, v26, s[14:15]
	ds_bpermute_b32 v49, v98, v49
	v_cmp_gt_u32_e32 vcc, 64, v51
	s_and_saveexec_b64 s[44:45], vcc
	s_cbranch_execz .LBB344_41
; %bb.33:                               ;   in Loop: Header=BB344_7 Depth=1
	v_cmp_eq_u32_e64 s[8:9], 1, v88
	v_cmp_eq_u32_e64 s[10:11], 0, v88
	v_cmp_eq_u32_e32 vcc, 3, v88
	s_waitcnt lgkmcnt(1)
	v_cndmask_b32_e64 v29, v29, v48, s[8:9]
	s_waitcnt lgkmcnt(0)
	v_cndmask_b32_e64 v52, v24, v49, s[8:9]
	s_mul_i32 s8, s59, s17
	s_ashr_i32 s9, s8, 31
	s_lshl_b64 s[8:9], s[8:9], 1
	v_cndmask_b32_e64 v47, v47, v48, s[10:11]
	v_cndmask_b32_e64 v53, v25, v49, s[10:11]
	s_add_u32 s10, s28, s8
	s_addc_u32 s11, s29, s9
	s_ashr_i32 s39, s38, 31
	v_cvt_f16_f32_e32 v47, v47
	v_cvt_f16_f32_sdwa v29, v29 dst_sel:WORD_1 dst_unused:UNUSED_PAD src0_sel:DWORD
	s_lshl_b64 s[8:9], s[38:39], 1
	v_cvt_f16_f32_e32 v54, v53
	v_cvt_f16_f32_sdwa v55, v52 dst_sel:WORD_1 dst_unused:UNUSED_PAD src0_sel:DWORD
	s_add_u32 s46, s10, s8
	s_addc_u32 s47, s11, s9
	v_cmp_eq_u32_e64 s[6:7], 2, v88
	v_lshl_add_u64 v[24:25], v[34:35], 1, s[46:47]
	v_or_b32_e32 v29, v29, v47
	v_cmp_gt_u32_e64 s[8:9], 62, v51
	;;#ASMSTART
	global_atomic_pk_add_f16 v[24:25], v29, off
	
	;;#ASMEND
	v_lshl_add_u64 v[52:53], v[24:25], 0, 32
	v_or_b32_e32 v29, v55, v54
	;;#ASMSTART
	global_atomic_pk_add_f16 v[52:53], v29, off
	
	;;#ASMEND
	s_and_b64 exec, exec, s[8:9]
	s_cbranch_execz .LBB344_41
; %bb.34:                               ;   in Loop: Header=BB344_7 Depth=1
	v_mov_b32_e32 v47, v46
	v_cndmask_b32_e32 v30, v30, v48, vcc
	v_cndmask_b32_e64 v31, v31, v48, s[6:7]
	v_cndmask_b32_e32 v48, v26, v49, vcc
	v_cndmask_b32_e64 v49, v27, v49, s[6:7]
	v_mov_b32_e32 v26, v46
	v_mov_b32_e32 v27, v46
	v_pk_mul_f32 v[22:23], v[26:27], v[22:23]
	v_pk_mul_f32 v[26:27], v[46:47], v[20:21]
	v_cmp_eq_u32_e32 vcc, 1, v87
	v_cmp_eq_u32_e64 s[6:7], 2, v87
	v_cmp_eq_u32_e64 s[8:9], 3, v87
	v_cndmask_b32_e32 v20, v26, v27, vcc
	v_cndmask_b32_e64 v20, v20, v22, s[6:7]
	v_cndmask_b32_e64 v20, v20, v23, s[8:9]
	v_cvt_f16_f32_e32 v31, v31
	v_cvt_f16_f32_sdwa v30, v30 dst_sel:WORD_1 dst_unused:UNUSED_PAD src0_sel:DWORD
	ds_bpermute_b32 v51, v98, v20
	v_mov_b32_e32 v29, v28
	v_lshl_add_u64 v[24:25], s[34:35], 2, v[24:25]
	v_or_b32_e32 v30, v30, v31
	v_cmp_eq_u32_e64 s[10:11], 0, v87
	;;#ASMSTART
	global_atomic_pk_add_f16 v[24:25], v30, off
	
	;;#ASMEND
	v_cvt_f16_f32_e32 v52, v49
	v_cvt_f16_f32_sdwa v53, v48 dst_sel:WORD_1 dst_unused:UNUSED_PAD src0_sel:DWORD
	v_lshl_add_u64 v[30:31], v[24:25], 0, 32
	s_waitcnt lgkmcnt(0)
	v_cndmask_b32_e64 v20, v23, v51, s[8:9]
	v_cndmask_b32_e32 v23, v27, v51, vcc
	v_cndmask_b32_e64 v24, v26, v51, s[10:11]
	v_mov_b32_e32 v26, v28
	v_mov_b32_e32 v27, v28
	v_pk_mul_f32 v[48:49], v[28:29], v[16:17]
	v_pk_mul_f32 v[26:27], v[26:27], v[18:19]
	v_cndmask_b32_e32 v16, v48, v49, vcc
	v_cndmask_b32_e64 v16, v16, v26, s[6:7]
	v_cndmask_b32_e64 v16, v16, v27, s[8:9]
	ds_bpermute_b32 v17, v98, v16
	v_cmp_eq_u32_e64 s[12:13], 1, v88
	v_cndmask_b32_e64 v21, v22, v51, s[6:7]
	v_cmp_eq_u32_e32 vcc, 2, v88
	v_cndmask_b32_e64 v22, v24, v23, s[12:13]
	v_cmp_eq_u32_e64 s[14:15], 3, v88
	v_cndmask_b32_e32 v16, v22, v21, vcc
	s_waitcnt lgkmcnt(0)
	v_cndmask_b32_e64 v19, v26, v17, s[6:7]
	v_cndmask_b32_e64 v16, v16, v20, s[14:15]
	v_cmp_ne_u32_e64 s[6:7], 0, v87
	ds_bpermute_b32 v22, v98, v16
	v_cndmask_b32_e64 v18, v27, v17, s[8:9]
	v_cndmask_b32_e64 v16, v49, v17, s[6:7]
	;; [unrolled: 1-line block ×4, first 2 shown]
	v_cndmask_b32_e32 v25, v25, v19, vcc
	v_cndmask_b32_e64 v25, v25, v18, s[14:15]
	ds_bpermute_b32 v25, v98, v25
	v_or_b32_e32 v26, v53, v52
	;;#ASMSTART
	global_atomic_pk_add_f16 v[30:31], v26, off
	
	;;#ASMEND
	v_add_u32_e32 v26, s61, v91
	v_cmp_gt_u32_e32 vcc, 64, v26
	s_and_b64 exec, exec, vcc
	s_cbranch_execz .LBB344_41
; %bb.35:                               ;   in Loop: Header=BB344_7 Depth=1
	v_cmp_eq_u32_e64 s[8:9], 1, v88
	v_cmp_eq_u32_e64 s[10:11], 0, v88
	v_cmp_eq_u32_e32 vcc, 3, v88
	s_waitcnt lgkmcnt(1)
	v_cndmask_b32_e64 v23, v23, v22, s[8:9]
	v_cndmask_b32_e64 v24, v24, v22, s[10:11]
	s_waitcnt lgkmcnt(0)
	v_cndmask_b32_e64 v27, v16, v25, s[8:9]
	v_cndmask_b32_e64 v30, v17, v25, s[10:11]
	v_cvt_f16_f32_e32 v24, v24
	v_cvt_f16_f32_sdwa v23, v23 dst_sel:WORD_1 dst_unused:UNUSED_PAD src0_sel:DWORD
	v_cvt_f16_f32_e32 v48, v30
	v_cvt_f16_f32_sdwa v27, v27 dst_sel:WORD_1 dst_unused:UNUSED_PAD src0_sel:DWORD
	v_cmp_eq_u32_e64 s[6:7], 2, v88
	v_lshl_add_u64 v[16:17], v[36:37], 1, s[46:47]
	v_or_b32_e32 v23, v23, v24
	v_cmp_gt_u32_e64 s[8:9], 62, v26
	;;#ASMSTART
	global_atomic_pk_add_f16 v[16:17], v23, off
	
	;;#ASMEND
	v_lshl_add_u64 v[30:31], v[16:17], 0, 32
	v_or_b32_e32 v23, v27, v48
	;;#ASMSTART
	global_atomic_pk_add_f16 v[30:31], v23, off
	
	;;#ASMEND
	s_and_b64 exec, exec, s[8:9]
	s_cbranch_execz .LBB344_41
; %bb.36:                               ;   in Loop: Header=BB344_7 Depth=1
	v_cndmask_b32_e32 v20, v20, v22, vcc
	v_cndmask_b32_e64 v21, v21, v22, s[6:7]
	v_cndmask_b32_e32 v22, v18, v25, vcc
	v_cndmask_b32_e64 v23, v19, v25, s[6:7]
	v_mov_b32_e32 v18, v46
	v_mov_b32_e32 v19, v46
	v_pk_mul_f32 v[14:15], v[18:19], v[14:15]
	v_pk_mul_f32 v[18:19], v[46:47], v[12:13]
	v_cmp_eq_u32_e32 vcc, 1, v87
	v_cmp_eq_u32_e64 s[6:7], 2, v87
	v_cmp_eq_u32_e64 s[8:9], 3, v87
	v_cndmask_b32_e32 v12, v18, v19, vcc
	v_cndmask_b32_e64 v12, v12, v14, s[6:7]
	v_cndmask_b32_e64 v12, v12, v15, s[8:9]
	v_cvt_f16_f32_e32 v21, v21
	v_cvt_f16_f32_sdwa v20, v20 dst_sel:WORD_1 dst_unused:UNUSED_PAD src0_sel:DWORD
	ds_bpermute_b32 v24, v98, v12
	v_lshl_add_u64 v[16:17], s[34:35], 2, v[16:17]
	v_cmp_eq_u32_e64 s[10:11], 0, v87
	v_or_b32_e32 v20, v20, v21
	;;#ASMSTART
	global_atomic_pk_add_f16 v[16:17], v20, off
	
	;;#ASMEND
	v_cvt_f16_f32_e32 v25, v23
	v_cvt_f16_f32_sdwa v26, v22 dst_sel:WORD_1 dst_unused:UNUSED_PAD src0_sel:DWORD
	v_lshl_add_u64 v[20:21], v[16:17], 0, 32
	s_waitcnt lgkmcnt(0)
	v_cndmask_b32_e64 v12, v15, v24, s[8:9]
	v_cndmask_b32_e32 v15, v19, v24, vcc
	v_cndmask_b32_e64 v16, v18, v24, s[10:11]
	v_mov_b32_e32 v18, v28
	v_mov_b32_e32 v19, v28
	v_pk_mul_f32 v[22:23], v[28:29], v[8:9]
	v_pk_mul_f32 v[18:19], v[18:19], v[10:11]
	v_cndmask_b32_e32 v8, v22, v23, vcc
	v_cndmask_b32_e64 v8, v8, v18, s[6:7]
	v_cndmask_b32_e64 v8, v8, v19, s[8:9]
	ds_bpermute_b32 v9, v98, v8
	v_cmp_eq_u32_e64 s[12:13], 1, v88
	v_cndmask_b32_e64 v13, v14, v24, s[6:7]
	v_cmp_eq_u32_e32 vcc, 2, v88
	v_cndmask_b32_e64 v14, v16, v15, s[12:13]
	v_cmp_eq_u32_e64 s[14:15], 3, v88
	v_cndmask_b32_e32 v8, v14, v13, vcc
	s_waitcnt lgkmcnt(0)
	v_cndmask_b32_e64 v11, v18, v9, s[6:7]
	v_cndmask_b32_e64 v8, v8, v12, s[14:15]
	v_cmp_ne_u32_e64 s[6:7], 0, v87
	ds_bpermute_b32 v14, v98, v8
	v_cndmask_b32_e64 v10, v19, v9, s[8:9]
	v_cndmask_b32_e64 v8, v23, v9, s[6:7]
	;; [unrolled: 1-line block ×4, first 2 shown]
	v_cndmask_b32_e32 v17, v17, v11, vcc
	v_cndmask_b32_e64 v17, v17, v10, s[14:15]
	ds_bpermute_b32 v17, v98, v17
	v_or_b32_e32 v18, v26, v25
	;;#ASMSTART
	global_atomic_pk_add_f16 v[20:21], v18, off
	
	;;#ASMEND
	v_add_u32_e32 v18, s61, v92
	v_cmp_gt_u32_e32 vcc, 64, v18
	s_and_b64 exec, exec, vcc
	s_cbranch_execz .LBB344_41
; %bb.37:                               ;   in Loop: Header=BB344_7 Depth=1
	v_cmp_eq_u32_e64 s[8:9], 1, v88
	v_cmp_eq_u32_e64 s[10:11], 0, v88
	v_cmp_eq_u32_e32 vcc, 3, v88
	s_waitcnt lgkmcnt(1)
	v_cndmask_b32_e64 v15, v15, v14, s[8:9]
	v_cndmask_b32_e64 v16, v16, v14, s[10:11]
	s_waitcnt lgkmcnt(0)
	v_cndmask_b32_e64 v19, v8, v17, s[8:9]
	v_cndmask_b32_e64 v20, v9, v17, s[10:11]
	v_cvt_f16_f32_e32 v16, v16
	v_cvt_f16_f32_sdwa v15, v15 dst_sel:WORD_1 dst_unused:UNUSED_PAD src0_sel:DWORD
	v_cvt_f16_f32_e32 v22, v20
	v_cvt_f16_f32_sdwa v19, v19 dst_sel:WORD_1 dst_unused:UNUSED_PAD src0_sel:DWORD
	v_cmp_eq_u32_e64 s[6:7], 2, v88
	v_lshl_add_u64 v[8:9], v[38:39], 1, s[46:47]
	v_or_b32_e32 v15, v15, v16
	v_cmp_gt_u32_e64 s[8:9], 62, v18
	;;#ASMSTART
	global_atomic_pk_add_f16 v[8:9], v15, off
	
	;;#ASMEND
	v_lshl_add_u64 v[20:21], v[8:9], 0, 32
	v_or_b32_e32 v15, v19, v22
	;;#ASMSTART
	global_atomic_pk_add_f16 v[20:21], v15, off
	
	;;#ASMEND
	s_and_b64 exec, exec, s[8:9]
	s_cbranch_execz .LBB344_41
; %bb.38:                               ;   in Loop: Header=BB344_7 Depth=1
	v_cndmask_b32_e32 v12, v12, v14, vcc
	v_cndmask_b32_e64 v13, v13, v14, s[6:7]
	v_cvt_f16_f32_e32 v13, v13
	v_cvt_f16_f32_sdwa v12, v12 dst_sel:WORD_1 dst_unused:UNUSED_PAD src0_sel:DWORD
	v_cndmask_b32_e32 v14, v10, v17, vcc
	v_cndmask_b32_e64 v15, v11, v17, s[6:7]
	v_mov_b32_e32 v10, v46
	v_or_b32_e32 v16, v12, v13
	v_mov_b32_e32 v11, v46
	v_pk_mul_f32 v[12:13], v[46:47], v[0:1]
	v_cmp_eq_u32_e32 vcc, 1, v87
	v_pk_mul_f32 v[10:11], v[10:11], v[2:3]
	v_cmp_eq_u32_e64 s[6:7], 2, v87
	v_cndmask_b32_e32 v0, v12, v13, vcc
	v_cmp_eq_u32_e64 s[8:9], 3, v87
	v_cndmask_b32_e64 v0, v0, v10, s[6:7]
	v_lshl_add_u64 v[8:9], s[34:35], 2, v[8:9]
	v_cndmask_b32_e64 v0, v0, v11, s[8:9]
	ds_bpermute_b32 v1, v98, v0
	;;#ASMSTART
	global_atomic_pk_add_f16 v[8:9], v16, off
	
	;;#ASMEND
	v_cvt_f16_f32_e32 v16, v15
	v_cvt_f16_f32_sdwa v17, v14 dst_sel:WORD_1 dst_unused:UNUSED_PAD src0_sel:DWORD
	v_lshl_add_u64 v[14:15], v[8:9], 0, 32
	v_mov_b32_e32 v8, v28
	v_mov_b32_e32 v9, v28
	v_pk_mul_f32 v[6:7], v[8:9], v[6:7]
	v_pk_mul_f32 v[8:9], v[28:29], v[4:5]
	s_waitcnt lgkmcnt(0)
	v_cndmask_b32_e64 v2, v11, v1, s[8:9]
	v_cndmask_b32_e32 v4, v8, v9, vcc
	v_cndmask_b32_e64 v4, v4, v6, s[6:7]
	v_cndmask_b32_e64 v4, v4, v7, s[8:9]
	ds_bpermute_b32 v11, v98, v4
	v_cmp_eq_u32_e64 s[10:11], 0, v87
	v_cndmask_b32_e64 v3, v10, v1, s[6:7]
	v_cndmask_b32_e32 v0, v13, v1, vcc
	v_cndmask_b32_e64 v1, v12, v1, s[10:11]
	v_cmp_eq_u32_e64 s[12:13], 1, v88
	v_cmp_eq_u32_e32 vcc, 2, v88
	s_waitcnt lgkmcnt(0)
	v_cndmask_b32_e64 v6, v6, v11, s[6:7]
	v_cndmask_b32_e64 v10, v1, v0, s[12:13]
	v_cmp_ne_u32_e64 s[6:7], 0, v87
	v_cndmask_b32_e32 v4, v10, v3, vcc
	v_cndmask_b32_e64 v10, v8, v11, s[10:11]
	v_cndmask_b32_e64 v9, v9, v11, s[6:7]
	;; [unrolled: 1-line block ×4, first 2 shown]
	v_cmp_eq_u32_e64 s[14:15], 3, v88
	v_cndmask_b32_e32 v7, v7, v6, vcc
	v_or_b32_e32 v8, v17, v16
	v_cndmask_b32_e64 v4, v4, v2, s[14:15]
	v_cndmask_b32_e64 v7, v7, v5, s[14:15]
	ds_bpermute_b32 v4, v98, v4
	ds_bpermute_b32 v7, v98, v7
	;;#ASMSTART
	global_atomic_pk_add_f16 v[14:15], v8, off
	
	;;#ASMEND
	v_add_u32_e32 v8, s61, v93
	v_cmp_gt_u32_e32 vcc, 64, v8
	s_and_b64 exec, exec, vcc
	s_cbranch_execz .LBB344_41
; %bb.39:                               ;   in Loop: Header=BB344_7 Depth=1
	v_cmp_eq_u32_e64 s[8:9], 1, v88
	v_cmp_eq_u32_e64 s[10:11], 0, v88
	v_cmp_eq_u32_e32 vcc, 3, v88
	s_waitcnt lgkmcnt(1)
	v_cndmask_b32_e64 v0, v0, v4, s[8:9]
	v_cndmask_b32_e64 v1, v1, v4, s[10:11]
	s_waitcnt lgkmcnt(0)
	v_cndmask_b32_e64 v9, v9, v7, s[8:9]
	v_cndmask_b32_e64 v10, v10, v7, s[10:11]
	v_cvt_f16_f32_e32 v11, v1
	v_cvt_f16_f32_sdwa v12, v0 dst_sel:WORD_1 dst_unused:UNUSED_PAD src0_sel:DWORD
	v_cvt_f16_f32_e32 v13, v10
	v_cvt_f16_f32_sdwa v9, v9 dst_sel:WORD_1 dst_unused:UNUSED_PAD src0_sel:DWORD
	v_cmp_eq_u32_e64 s[6:7], 2, v88
	v_lshl_add_u64 v[0:1], v[40:41], 1, s[46:47]
	v_or_b32_e32 v10, v12, v11
	v_cmp_gt_u32_e64 s[8:9], 62, v8
	;;#ASMSTART
	global_atomic_pk_add_f16 v[0:1], v10, off
	
	;;#ASMEND
	v_lshl_add_u64 v[10:11], v[0:1], 0, 32
	v_or_b32_e32 v9, v9, v13
	;;#ASMSTART
	global_atomic_pk_add_f16 v[10:11], v9, off
	
	;;#ASMEND
	s_and_b64 exec, exec, s[8:9]
	s_cbranch_execz .LBB344_41
; %bb.40:                               ;   in Loop: Header=BB344_7 Depth=1
	v_cndmask_b32_e32 v2, v2, v4, vcc
	v_cndmask_b32_e64 v3, v3, v4, s[6:7]
	v_cndmask_b32_e32 v4, v5, v7, vcc
	v_cndmask_b32_e64 v5, v6, v7, s[6:7]
	v_cvt_f16_f32_e32 v3, v3
	v_cvt_f16_f32_sdwa v2, v2 dst_sel:WORD_1 dst_unused:UNUSED_PAD src0_sel:DWORD
	v_cvt_f16_f32_e32 v5, v5
	v_cvt_f16_f32_sdwa v4, v4 dst_sel:WORD_1 dst_unused:UNUSED_PAD src0_sel:DWORD
	v_lshl_add_u64 v[0:1], s[34:35], 2, v[0:1]
	v_or_b32_e32 v2, v2, v3
	;;#ASMSTART
	global_atomic_pk_add_f16 v[0:1], v2, off
	
	;;#ASMEND
	v_lshl_add_u64 v[0:1], v[0:1], 0, 32
	v_or_b32_e32 v2, v4, v5
	;;#ASMSTART
	global_atomic_pk_add_f16 v[0:1], v2, off
	
	;;#ASMEND
.LBB344_41:                             ;   in Loop: Header=BB344_7 Depth=1
	s_or_b64 exec, exec, s[44:45]
	v_subrev_u32_e32 v100, s62, v100
.LBB344_42:                             ;   in Loop: Header=BB344_7 Depth=1
	s_or_b64 exec, exec, s[42:43]
.LBB344_43:                             ;   in Loop: Header=BB344_7 Depth=1
	s_andn2_saveexec_b64 s[6:7], s[40:41]
	s_cbranch_execz .LBB344_52
; %bb.44:                               ;   in Loop: Header=BB344_7 Depth=1
	s_lshl_b32 s39, s62, 1
	v_cmp_gt_i32_e32 vcc, s39, v100
	s_and_saveexec_b64 s[8:9], vcc
	s_cbranch_execz .LBB344_51
; %bb.45:                               ;   in Loop: Header=BB344_7 Depth=1
	s_mul_i32 s10, s38, s19
	s_ashr_i32 s11, s10, 31
	s_waitcnt lgkmcnt(0)
	s_add_u32 s10, s26, s10
	s_addc_u32 s11, s27, s11
	s_ashr_i32 s12, s60, 31
	s_add_u32 s10, s10, s60
	s_addc_u32 s11, s11, s12
	v_lshl_add_u64 v[0:1], s[10:11], 0, v[44:45]
	v_lshl_add_u64 v[8:9], v[0:1], 0, v[42:43]
	s_mov_b64 s[10:11], 0
	s_branch .LBB344_47
.LBB344_46:                             ;   in Loop: Header=BB344_47 Depth=2
	s_or_b64 exec, exec, s[12:13]
	v_lshl_add_u32 v12, v10, 11, v96
	;;#ASMSTART
	s_waitcnt vmcnt(1)
	;;#ASMEND
	ds_write2_b32 v12, v4, v5 offset1:32
	ds_write2_b32 v12, v6, v7 offset0:64 offset1:96
	v_add_u32_e32 v4, 0x400, v12
	v_add_u32_e32 v100, s22, v100
	;;#ASMSTART
	s_waitcnt vmcnt(0)
	;;#ASMEND
	ds_write2_b32 v4, v0, v1 offset1:32
	ds_write2_b32 v4, v2, v3 offset0:64 offset1:96
	v_add_u32_e32 v0, 1, v84
	v_add_u32_e32 v50, s22, v10
	v_cmp_le_i32_e32 vcc, s39, v100
	ds_write_b32 v11, v0 offset:80
	v_add_u32_e32 v0, 2, v84
	s_or_b64 s[10:11], vcc, s[10:11]
	v_cmp_lt_i32_e32 vcc, 9, v50
	s_nop 1
	v_cndmask_b32_e32 v84, v84, v0, vcc
	s_andn2_b64 exec, exec, s[10:11]
	s_cbranch_execz .LBB344_50
.LBB344_47:                             ;   Parent Loop BB344_7 Depth=1
                                        ; =>  This Loop Header: Depth=2
                                        ;       Child Loop BB344_49 Depth 3
	v_cmp_gt_i32_e32 vcc, 10, v50
	s_nop 1
	v_cndmask_b32_e64 v0, -10, 0, vcc
	v_add_u32_e32 v10, v0, v50
	v_lshrrev_b32_e32 v0, 31, v100
	v_add_u32_e32 v0, v100, v0
	v_and_b32_e32 v1, -2, v0
	v_lshlrev_b32_e32 v0, 6, v0
	v_sub_u32_e32 v2, v100, v1
	v_and_b32_e32 v0, 0xffffff80, v0
	v_ashrrev_i32_e32 v1, 31, v0
	v_mul_lo_u32 v2, s53, v2
	v_lshl_add_u64 v[0:1], v[8:9], 0, v[0:1]
	v_ashrrev_i32_e32 v3, 31, v2
	v_lshl_add_u64 v[0:1], v[0:1], 0, v[2:3]
	v_lshlrev_b32_e32 v11, 2, v10
	;;#ASMSTART
	global_load_dwordx4 v[4:7], v[0:1], off offset:0   sc0 sc1 nt  
	global_load_dwordx4 v[0:3], v[0:1], off offset:64  sc0 sc1 nt  
	
	;;#ASMEND
	ds_read_b32 v12, v11 offset:61520
	v_add_u32_e32 v11, 0xf000, v11
	s_waitcnt lgkmcnt(0)
	v_cmp_ne_u32_e32 vcc, v12, v84
	s_and_saveexec_b64 s[12:13], vcc
	s_cbranch_execz .LBB344_46
; %bb.48:                               ;   in Loop: Header=BB344_47 Depth=2
	s_mov_b64 s[14:15], 0
.LBB344_49:                             ;   Parent Loop BB344_7 Depth=1
                                        ;     Parent Loop BB344_47 Depth=2
                                        ; =>    This Inner Loop Header: Depth=3
	;;#ASMSTART
	s_sleep 0
	;;#ASMEND
	ds_read_b32 v12, v11 offset:80
	s_waitcnt lgkmcnt(0)
	v_cmp_eq_u32_e32 vcc, v12, v84
	s_or_b64 s[14:15], vcc, s[14:15]
	s_andn2_b64 exec, exec, s[14:15]
	s_cbranch_execnz .LBB344_49
	s_branch .LBB344_46
.LBB344_50:                             ;   in Loop: Header=BB344_7 Depth=1
	s_or_b64 exec, exec, s[10:11]
.LBB344_51:                             ;   in Loop: Header=BB344_7 Depth=1
	s_or_b64 exec, exec, s[8:9]
	v_subrev_u32_e32 v100, s39, v100
.LBB344_52:                             ;   in Loop: Header=BB344_7 Depth=1
	s_or_b64 exec, exec, s[6:7]
.LBB344_53:                             ;   in Loop: Header=BB344_7 Depth=1
	s_andn2_saveexec_b64 s[6:7], s[36:37]
	s_cbranch_execz .LBB344_6
; %bb.54:                               ;   in Loop: Header=BB344_7 Depth=1
	s_lshl_b32 s36, s62, 2
	v_cmp_gt_i32_e32 vcc, s36, v100
	s_and_saveexec_b64 s[8:9], vcc
	s_cbranch_execz .LBB344_5
; %bb.55:                               ;   in Loop: Header=BB344_7 Depth=1
	s_mul_i32 s59, s59, s18
	s_ashr_i32 s10, s59, 31
	s_waitcnt lgkmcnt(0)
	s_add_u32 s11, s24, s59
	v_add_u32_e32 v2, s61, v94
	s_addc_u32 s12, s25, s10
	s_ashr_i32 s13, s60, 31
	v_cmp_gt_u32_e32 vcc, 64, v2
	s_add_u32 s10, s11, s60
	s_addc_u32 s11, s12, s13
	v_cndmask_b32_e32 v0, 0, v97, vcc
	v_ashrrev_i32_e32 v1, 31, v0
	v_lshl_add_u64 v[0:1], s[10:11], 0, v[0:1]
	v_lshl_add_u64 v[8:9], v[0:1], 0, v[42:43]
	v_sub_u32_e32 v10, 63, v2
	s_mov_b64 s[10:11], 0
	s_branch .LBB344_57
.LBB344_56:                             ;   in Loop: Header=BB344_57 Depth=2
	s_or_b64 exec, exec, s[12:13]
	v_lshl_or_b32 v13, v11, 11, v95
	;;#ASMSTART
	s_waitcnt vmcnt(1)
	;;#ASMEND
	ds_write2_b32 v13, v4, v5 offset1:32
	ds_write2_b32 v13, v6, v7 offset0:64 offset1:96
	v_add_u32_e32 v4, 0x400, v13
	v_add_u32_e32 v100, s21, v100
	;;#ASMSTART
	s_waitcnt vmcnt(0)
	;;#ASMEND
	ds_write2_b32 v4, v0, v1 offset1:32
	ds_write2_b32 v4, v2, v3 offset0:64 offset1:96
	v_add_u32_e32 v0, 1, v84
	v_add_u32_e32 v50, s21, v11
	v_cmp_le_i32_e32 vcc, s36, v100
	ds_write_b32 v12, v0
	v_add_u32_e32 v0, 2, v84
	s_or_b64 s[10:11], vcc, s[10:11]
	v_cmp_lt_i32_e32 vcc, 19, v50
	s_nop 1
	v_cndmask_b32_e32 v84, v84, v0, vcc
	s_andn2_b64 exec, exec, s[10:11]
	s_cbranch_execz .LBB344_4
.LBB344_57:                             ;   Parent Loop BB344_7 Depth=1
                                        ; =>  This Loop Header: Depth=2
                                        ;       Child Loop BB344_59 Depth 3
	v_cmp_gt_i32_e32 vcc, 20, v50
	s_nop 1
	v_cndmask_b32_e64 v0, v99, 0, vcc
	v_add_u32_e32 v11, v0, v50
	v_ashrrev_i32_e32 v0, 31, v100
	v_lshrrev_b32_e32 v0, 30, v0
	v_add_u32_e32 v0, v100, v0
	v_and_b32_e32 v1, 0xffffffc, v0
	v_sub_u32_e32 v1, v100, v1
	v_lshlrev_b32_e32 v1, 4, v1
	v_cmp_le_i32_e32 vcc, v1, v10
	v_lshlrev_b32_e32 v0, 5, v0
	v_and_b32_e32 v0, 0xffffff80, v0
	v_cndmask_b32_e32 v2, 0, v1, vcc
	v_ashrrev_i32_e32 v1, 31, v0
	v_mul_lo_u32 v2, v2, s18
	v_lshl_add_u64 v[0:1], v[8:9], 0, v[0:1]
	v_ashrrev_i32_e32 v3, 31, v2
	v_lshl_add_u64 v[0:1], v[0:1], 0, v[2:3]
	v_lshlrev_b32_e32 v12, 2, v11
	;;#ASMSTART
	global_load_dwordx4 v[4:7], v[0:1], off offset:0   
	global_load_dwordx4 v[0:3], v[0:1], off offset:64  
	
	;;#ASMEND
	ds_read_b32 v13, v12 offset:61440
	v_add_u32_e32 v12, 0xf000, v12
	s_waitcnt lgkmcnt(0)
	v_cmp_ne_u32_e32 vcc, v13, v84
	s_and_saveexec_b64 s[12:13], vcc
	s_cbranch_execz .LBB344_56
; %bb.58:                               ;   in Loop: Header=BB344_57 Depth=2
	s_mov_b64 s[14:15], 0
.LBB344_59:                             ;   Parent Loop BB344_7 Depth=1
                                        ;     Parent Loop BB344_57 Depth=2
                                        ; =>    This Inner Loop Header: Depth=3
	;;#ASMSTART
	s_sleep 0
	;;#ASMEND
	ds_read_b32 v13, v12
	s_waitcnt lgkmcnt(0)
	v_cmp_eq_u32_e32 vcc, v13, v84
	s_or_b64 s[14:15], vcc, s[14:15]
	s_andn2_b64 exec, exec, s[14:15]
	s_cbranch_execnz .LBB344_59
	s_branch .LBB344_56
.LBB344_60:
	s_endpgm
	.section	.rodata,"a",@progbits
	.p2align	6, 0x0
	.amdhsa_kernel _Z19_skinny_gemm_kernelILi4ELi2ELi5ELi16ELi4EEvPKhS1_P6__halfPKfiiiiiiii
		.amdhsa_group_segment_fixed_size 61560
		.amdhsa_private_segment_fixed_size 0
		.amdhsa_kernarg_size 64
		.amdhsa_user_sgpr_count 2
		.amdhsa_user_sgpr_dispatch_ptr 0
		.amdhsa_user_sgpr_queue_ptr 0
		.amdhsa_user_sgpr_kernarg_segment_ptr 1
		.amdhsa_user_sgpr_dispatch_id 0
		.amdhsa_user_sgpr_kernarg_preload_length 0
		.amdhsa_user_sgpr_kernarg_preload_offset 0
		.amdhsa_user_sgpr_private_segment_size 0
		.amdhsa_uses_dynamic_stack 0
		.amdhsa_enable_private_segment 0
		.amdhsa_system_sgpr_workgroup_id_x 1
		.amdhsa_system_sgpr_workgroup_id_y 0
		.amdhsa_system_sgpr_workgroup_id_z 0
		.amdhsa_system_sgpr_workgroup_info 0
		.amdhsa_system_vgpr_workitem_id 0
		.amdhsa_next_free_vgpr 108
		.amdhsa_next_free_sgpr 63
		.amdhsa_accum_offset 108
		.amdhsa_reserve_vcc 1
		.amdhsa_float_round_mode_32 0
		.amdhsa_float_round_mode_16_64 0
		.amdhsa_float_denorm_mode_32 3
		.amdhsa_float_denorm_mode_16_64 3
		.amdhsa_dx10_clamp 1
		.amdhsa_ieee_mode 1
		.amdhsa_fp16_overflow 0
		.amdhsa_tg_split 0
		.amdhsa_exception_fp_ieee_invalid_op 0
		.amdhsa_exception_fp_denorm_src 0
		.amdhsa_exception_fp_ieee_div_zero 0
		.amdhsa_exception_fp_ieee_overflow 0
		.amdhsa_exception_fp_ieee_underflow 0
		.amdhsa_exception_fp_ieee_inexact 0
		.amdhsa_exception_int_div_zero 0
	.end_amdhsa_kernel
	.section	.text._Z19_skinny_gemm_kernelILi4ELi2ELi5ELi16ELi4EEvPKhS1_P6__halfPKfiiiiiiii,"axG",@progbits,_Z19_skinny_gemm_kernelILi4ELi2ELi5ELi16ELi4EEvPKhS1_P6__halfPKfiiiiiiii,comdat
.Lfunc_end344:
	.size	_Z19_skinny_gemm_kernelILi4ELi2ELi5ELi16ELi4EEvPKhS1_P6__halfPKfiiiiiiii, .Lfunc_end344-_Z19_skinny_gemm_kernelILi4ELi2ELi5ELi16ELi4EEvPKhS1_P6__halfPKfiiiiiiii
                                        ; -- End function
	.set _Z19_skinny_gemm_kernelILi4ELi2ELi5ELi16ELi4EEvPKhS1_P6__halfPKfiiiiiiii.num_vgpr, 108
	.set _Z19_skinny_gemm_kernelILi4ELi2ELi5ELi16ELi4EEvPKhS1_P6__halfPKfiiiiiiii.num_agpr, 0
	.set _Z19_skinny_gemm_kernelILi4ELi2ELi5ELi16ELi4EEvPKhS1_P6__halfPKfiiiiiiii.numbered_sgpr, 63
	.set _Z19_skinny_gemm_kernelILi4ELi2ELi5ELi16ELi4EEvPKhS1_P6__halfPKfiiiiiiii.num_named_barrier, 0
	.set _Z19_skinny_gemm_kernelILi4ELi2ELi5ELi16ELi4EEvPKhS1_P6__halfPKfiiiiiiii.private_seg_size, 0
	.set _Z19_skinny_gemm_kernelILi4ELi2ELi5ELi16ELi4EEvPKhS1_P6__halfPKfiiiiiiii.uses_vcc, 1
	.set _Z19_skinny_gemm_kernelILi4ELi2ELi5ELi16ELi4EEvPKhS1_P6__halfPKfiiiiiiii.uses_flat_scratch, 0
	.set _Z19_skinny_gemm_kernelILi4ELi2ELi5ELi16ELi4EEvPKhS1_P6__halfPKfiiiiiiii.has_dyn_sized_stack, 0
	.set _Z19_skinny_gemm_kernelILi4ELi2ELi5ELi16ELi4EEvPKhS1_P6__halfPKfiiiiiiii.has_recursion, 0
	.set _Z19_skinny_gemm_kernelILi4ELi2ELi5ELi16ELi4EEvPKhS1_P6__halfPKfiiiiiiii.has_indirect_call, 0
	.section	.AMDGPU.csdata,"",@progbits
; Kernel info:
; codeLenInByte = 5728
; TotalNumSgprs: 69
; NumVgprs: 108
; NumAgprs: 0
; TotalNumVgprs: 108
; ScratchSize: 0
; MemoryBound: 0
; FloatMode: 240
; IeeeMode: 1
; LDSByteSize: 61560 bytes/workgroup (compile time only)
; SGPRBlocks: 8
; VGPRBlocks: 13
; NumSGPRsForWavesPerEU: 69
; NumVGPRsForWavesPerEU: 108
; AccumOffset: 108
; Occupancy: 4
; WaveLimiterHint : 0
; COMPUTE_PGM_RSRC2:SCRATCH_EN: 0
; COMPUTE_PGM_RSRC2:USER_SGPR: 2
; COMPUTE_PGM_RSRC2:TRAP_HANDLER: 0
; COMPUTE_PGM_RSRC2:TGID_X_EN: 1
; COMPUTE_PGM_RSRC2:TGID_Y_EN: 0
; COMPUTE_PGM_RSRC2:TGID_Z_EN: 0
; COMPUTE_PGM_RSRC2:TIDIG_COMP_CNT: 0
; COMPUTE_PGM_RSRC3_GFX90A:ACCUM_OFFSET: 26
; COMPUTE_PGM_RSRC3_GFX90A:TG_SPLIT: 0
	.section	.text._Z19_skinny_gemm_kernelILi4ELi2ELi5ELi32ELi4EEvPKhS1_P6__halfPKfiiiiiiii,"axG",@progbits,_Z19_skinny_gemm_kernelILi4ELi2ELi5ELi32ELi4EEvPKhS1_P6__halfPKfiiiiiiii,comdat
	.protected	_Z19_skinny_gemm_kernelILi4ELi2ELi5ELi32ELi4EEvPKhS1_P6__halfPKfiiiiiiii ; -- Begin function _Z19_skinny_gemm_kernelILi4ELi2ELi5ELi32ELi4EEvPKhS1_P6__halfPKfiiiiiiii
	.globl	_Z19_skinny_gemm_kernelILi4ELi2ELi5ELi32ELi4EEvPKhS1_P6__halfPKfiiiiiiii
	.p2align	8
	.type	_Z19_skinny_gemm_kernelILi4ELi2ELi5ELi32ELi4EEvPKhS1_P6__halfPKfiiiiiiii,@function
_Z19_skinny_gemm_kernelILi4ELi2ELi5ELi32ELi4EEvPKhS1_P6__halfPKfiiiiiiii: ; @_Z19_skinny_gemm_kernelILi4ELi2ELi5ELi32ELi4EEvPKhS1_P6__halfPKfiiiiiiii
; %bb.0:
	v_cmp_gt_u32_e32 vcc, 30, v0
	s_and_saveexec_b64 s[4:5], vcc
; %bb.1:
	v_lshlrev_b32_e32 v1, 2, v0
	v_mov_b32_e32 v2, 0
	ds_write_b32 v1, v2 offset:61440
; %bb.2:
	s_or_b64 exec, exec, s[4:5]
	s_load_dwordx8 s[16:23], s[0:1], 0x20
	s_waitcnt lgkmcnt(0)
	s_barrier
	s_add_i32 s3, s16, 0x7f
	s_ashr_i32 s5, s3, 31
	s_add_i32 s4, s17, 63
	s_lshr_b32 s5, s5, 25
	s_ashr_i32 s6, s4, 31
	s_add_i32 s3, s3, s5
	s_ashr_i32 s11, s3, 7
	s_lshr_b32 s3, s6, 26
	s_add_i32 s4, s4, s3
	s_ashr_i32 s12, s4, 6
	s_mul_i32 s3, s12, s11
	s_mul_i32 s3, s3, s20
	s_add_i32 s4, s3, 0x12f
	s_mul_hi_i32 s4, s4, 0x6bca1af3
	s_lshr_b32 s5, s4, 31
	s_ashr_i32 s4, s4, 7
	s_add_i32 s4, s4, s5
	s_add_i32 s5, s2, 1
	s_mul_i32 s5, s4, s5
	v_cvt_f64_i32_e32 v[2:3], s3
	v_cvt_f64_u32_e32 v[4:5], s5
	v_min_f64 v[2:3], v[2:3], v[4:5]
	v_cvt_i32_f64_e32 v62, v[2:3]
	s_mul_i32 s33, s4, s2
	v_cmp_ge_i32_e32 vcc, s33, v62
	s_cbranch_vccnz .LBB345_51
; %bb.3:
	s_load_dwordx8 s[44:51], s[0:1], 0x0
	v_lshrrev_b32_e32 v1, 6, v0
	s_add_i32 s0, s22, s21
	v_cmp_le_i32_e64 s[14:15], s0, v1
	v_mov_b32_e32 v2, s21
	v_cmp_le_i32_e64 s[24:25], s21, v1
	v_mov_b32_e32 v3, s22
	v_cndmask_b32_e64 v3, 0, v3, s[14:15]
	v_cndmask_b32_e64 v2, 0, v2, s[24:25]
	s_abs_i32 s1, s20
	v_add_u32_e32 v2, v2, v3
	v_cvt_f32_u32_e32 v3, s1
	v_sub_u32_e32 v56, v1, v2
	s_ashr_i32 s2, s18, 31
	s_lshr_b32 s2, s2, 26
	v_rcp_iflag_f32_e32 v2, v3
	s_sub_i32 s5, 0, s1
	s_add_i32 s2, s18, s2
	s_ashr_i32 s2, s2, 6
	v_mul_f32_e32 v2, 0x4f7ffffe, v2
	v_cvt_u32_f32_e32 v2, v2
	s_abs_i32 s4, s2
	s_xor_b32 s3, s2, s20
	s_ashr_i32 s3, s3, 31
	v_readfirstlane_b32 s6, v2
	s_mul_i32 s5, s5, s6
	s_mul_hi_u32 s5, s6, s5
	s_add_i32 s6, s6, s5
	s_mul_hi_u32 s5, s4, s6
	s_mul_i32 s6, s5, s1
	s_sub_i32 s4, s4, s6
	s_add_i32 s6, s5, 1
	s_sub_i32 s7, s4, s1
	s_cmp_ge_u32 s4, s1
	s_cselect_b32 s5, s6, s5
	s_cselect_b32 s4, s7, s4
	s_add_i32 s6, s5, 1
	s_cmp_ge_u32 s4, s1
	s_cselect_b32 s1, s6, s5
	s_add_i32 s0, s0, s23
	v_and_b32_e32 v64, 31, v0
	v_lshrrev_b32_e32 v2, 3, v0
	v_cmp_gt_i32_e64 s[28:29], s0, v1
	v_lshlrev_b32_e32 v1, 2, v64
	v_and_b32_e32 v3, 4, v2
	v_and_b32_e32 v5, 1, v0
	v_lshlrev_b32_e32 v2, 6, v3
	v_or_b32_e32 v4, 0xa000, v1
	v_or_b32_e32 v3, v3, v5
	;; [unrolled: 1-line block ×4, first 2 shown]
	v_lshlrev_b32_e32 v2, 1, v5
	v_or_b32_e32 v5, 2, v3
	v_sub_u32_e32 v77, 32, v5
	v_or_b32_e32 v5, 8, v3
	v_sub_u32_e32 v78, 32, v5
	;; [unrolled: 2-line block ×5, first 2 shown]
	v_mul_lo_u32 v34, s17, v3
	v_sub_u32_e32 v81, 32, v5
	v_or_b32_e32 v5, 24, v3
	v_or_b32_e32 v3, 26, v3
                                        ; implicit-def: $vgpr100 : SGPR spill to VGPR lane
	s_add_i32 s26, s20, -1
	v_sub_u32_e32 v83, 32, v3
	v_lshrrev_b32_e32 v3, 1, v0
	s_abs_i32 s20, s11
	v_writelane_b32 v100, s11, 0
	v_and_b32_e32 v50, 16, v3
	v_cvt_f32_u32_e32 v3, s20
	v_writelane_b32 v100, s12, 1
	v_sub_u32_e32 v2, v0, v2
	s_waitcnt lgkmcnt(0)
	v_writelane_b32 v100, s44, 2
	v_add_u32_e32 v2, 1, v2
	v_and_b32_e32 v6, 63, v2
	v_writelane_b32 v100, s45, 3
	v_bitop3_b32 v67, v0, 1, v0 bitop3:0xc
	v_bitop3_b32 v68, v0, 3, 1 bitop3:0x6c
	;; [unrolled: 1-line block ×8, first 2 shown]
	v_and_b32_e32 v2, 30, v0
	v_lshlrev_b32_e32 v0, 4, v0
	v_writelane_b32 v100, s46, 4
	v_and_b32_e32 v0, 0x200, v0
	v_rcp_iflag_f32_e32 v3, v3
	s_abs_i32 s99, s12
	v_writelane_b32 v100, s47, 5
	s_xor_b32 s1, s1, s3
	v_or_b32_e32 v86, v1, v0
	v_cvt_f32_u32_e32 v1, s99
	v_writelane_b32 v100, s48, 6
	s_sub_i32 s13, s1, s3
	v_writelane_b32 v100, s49, 7
	s_mul_i32 s1, s13, s26
	s_lshl_b32 s0, s17, 1
	v_writelane_b32 v100, s50, 8
	s_sub_i32 s27, s2, s1
	v_add_u32_e32 v36, s0, v34
	s_mul_i32 s1, s17, 6
	v_or_b32_e32 v84, v4, v0
	v_mul_f32_e32 v0, 0x4f7ffffe, v3
	v_writelane_b32 v100, s51, 9
	v_cndmask_b32_e64 v63, 0, 1, s[14:15]
	v_add_u32_e32 v38, s1, v36
	v_cvt_u32_f32_e32 v0, v0
	v_rcp_iflag_f32_e32 v1, v1
	v_writelane_b32 v100, s14, 10
	v_add_u32_e32 v40, s0, v38
	v_add_u32_e32 v42, s1, v40
	v_writelane_b32 v100, s15, 11
	v_writelane_b32 v100, s24, 12
	v_add_u32_e32 v44, s0, v42
	v_add_u32_e32 v46, s1, v44
	v_writelane_b32 v100, s25, 13
	v_readfirstlane_b32 s1, v0
	v_mul_f32_e32 v0, 0x4f7ffffe, v1
	v_writelane_b32 v100, s13, 14
	v_cvt_u32_f32_e32 v0, v0
	v_writelane_b32 v100, s26, 15
	v_add_u32_e32 v48, s0, v46
	s_sub_i32 s0, 0, s20
	v_writelane_b32 v100, s27, 16
	s_mul_i32 s0, s0, s1
	v_writelane_b32 v100, s28, 17
	s_lshl_b32 s30, s19, 5
	s_mul_hi_u32 s0, s1, s0
	v_writelane_b32 v100, s29, 18
	s_ashr_i32 s31, s11, 31
	s_add_i32 s34, s1, s0
	s_sub_i32 s0, 0, s99
	v_readfirstlane_b32 s1, v0
	v_mbcnt_lo_u32_b32 v0, -1, 0
	v_writelane_b32 v100, s30, 19
	s_mul_i32 s0, s0, s1
	v_mbcnt_hi_u32_b32 v0, -1, v0
	v_writelane_b32 v100, s31, 20
	v_mov_b32_e32 v33, 0
	v_mul_lo_u32 v52, s19, v64
	s_ashr_i32 s35, s12, 31
	s_mul_hi_u32 s0, s1, s0
	v_and_or_b32 v0, v0, 64, v6
	v_writelane_b32 v100, s34, 21
	v_or_b32_e32 v75, 32, v64
	v_ashrrev_i32_e32 v35, 31, v34
	v_ashrrev_i32_e32 v37, 31, v36
	;; [unrolled: 1-line block ×6, first 2 shown]
	v_sub_u32_e32 v82, 32, v5
	v_ashrrev_i32_e32 v47, 31, v46
	v_ashrrev_i32_e32 v49, 31, v48
	;; [unrolled: 1-line block ×3, first 2 shown]
	v_mov_b32_e32 v51, v33
	v_mul_lo_u32 v85, s18, v64
	s_add_i32 s36, s1, s0
	v_lshlrev_b32_e32 v32, 1, v2
	v_lshlrev_b32_e32 v87, 2, v0
	v_not_b32_e32 v88, 19
	v_mov_b32_e32 v89, v56
	v_writelane_b32 v100, s35, 22
	v_writelane_b32 v100, s36, 23
	s_branch .LBB345_7
.LBB345_4:                              ;   in Loop: Header=BB345_7 Depth=1
	s_or_b64 exec, exec, s[4:5]
.LBB345_5:                              ;   in Loop: Header=BB345_7 Depth=1
	s_or_b64 exec, exec, s[2:3]
	v_subrev_u32_e32 v89, s10, v89
.LBB345_6:                              ;   in Loop: Header=BB345_7 Depth=1
	s_or_b64 exec, exec, s[0:1]
	s_add_i32 s33, s33, 1
	v_cmp_ge_i32_e32 vcc, s33, v62
	s_cbranch_vccnz .LBB345_51
.LBB345_7:                              ; =>This Loop Header: Depth=1
                                        ;     Child Loop BB345_13 Depth 2
                                        ;       Child Loop BB345_15 Depth 3
                                        ;       Child Loop BB345_18 Depth 3
	;; [unrolled: 1-line block ×3, first 2 shown]
                                        ;     Child Loop BB345_38 Depth 2
                                        ;       Child Loop BB345_40 Depth 3
                                        ;     Child Loop BB345_48 Depth 2
                                        ;       Child Loop BB345_50 Depth 3
	s_abs_i32 s1, s33
	s_mul_hi_u32 s2, s1, s34
	s_mul_i32 s3, s2, s20
	s_ashr_i32 s0, s33, 31
	s_sub_i32 s1, s1, s3
	s_xor_b32 s0, s0, s31
	s_add_i32 s3, s2, 1
	s_sub_i32 s4, s1, s20
	s_cmp_ge_u32 s1, s20
	s_cselect_b32 s2, s3, s2
	s_cselect_b32 s1, s4, s1
	s_add_i32 s3, s2, 1
	s_cmp_ge_u32 s1, s20
	s_cselect_b32 s1, s3, s2
	s_xor_b32 s1, s1, s0
	s_sub_i32 s0, s1, s0
	s_abs_i32 s2, s0
	s_mul_i32 s1, s0, s11
	s_mul_hi_u32 s3, s2, s36
	s_sub_i32 s1, s33, s1
	s_mul_i32 s4, s3, s99
	s_lshl_b32 s52, s1, 7
	s_ashr_i32 s1, s0, 31
	s_sub_i32 s2, s2, s4
	s_xor_b32 s1, s1, s35
	s_add_i32 s4, s3, 1
	s_sub_i32 s5, s2, s99
	s_cmp_ge_u32 s2, s99
	s_cselect_b32 s3, s4, s3
	s_cselect_b32 s2, s5, s2
	s_add_i32 s4, s3, 1
	s_cmp_ge_u32 s2, s99
	s_cselect_b32 s2, s4, s3
	s_xor_b32 s2, s2, s1
	s_sub_i32 s1, s2, s1
	s_mul_i32 s2, s1, s13
	s_lshl_b32 s37, s2, 6
	s_cmp_eq_u32 s1, s26
	s_cselect_b32 s98, s27, s13
	s_sub_i32 s2, s52, s16
	s_add_i32 s53, s2, 0x80
	s_and_saveexec_b64 s[2:3], s[24:25]
	s_xor_b64 s[38:39], exec, s[2:3]
	s_cbranch_execz .LBB345_44
; %bb.8:                                ;   in Loop: Header=BB345_7 Depth=1
	s_mul_i32 s1, s1, s12
	s_sub_i32 s0, s0, s1
	s_lshl_b32 s0, s0, 6
	s_sub_i32 s90, s0, s17
	s_add_i32 s90, s90, 64
	s_max_i32 s1, s90, 0
	s_sub_i32 s54, s0, s1
	s_and_saveexec_b64 s[0:1], s[14:15]
	s_xor_b64 s[4:5], exec, s[0:1]
	s_cbranch_execz .LBB345_34
; %bb.9:                                ;   in Loop: Header=BB345_7 Depth=1
	s_and_saveexec_b64 s[2:3], s[28:29]
	s_cbranch_execz .LBB345_33
; %bb.10:                               ;   in Loop: Header=BB345_7 Depth=1
	global_load_dword v90, v33, s[50:51]
	v_writelane_b32 v100, s2, 24
	v_mov_b32_e32 v31, 0
	v_cmp_gt_i32_e32 vcc, s98, v89
	v_writelane_b32 v100, s3, 25
	v_writelane_b32 v100, s4, 26
	v_mov_b32_e32 v30, v31
	v_mov_b32_e32 v29, v31
	;; [unrolled: 1-line block ×12, first 2 shown]
	s_waitcnt lgkmcnt(1)
	v_mov_b32_e32 v18, v31
	v_mov_b32_e32 v17, v31
	;; [unrolled: 1-line block ×19, first 2 shown]
	v_writelane_b32 v100, s5, 27
	s_and_saveexec_b64 s[0:1], vcc
	s_cbranch_execz .LBB345_23
; %bb.11:                               ;   in Loop: Header=BB345_7 Depth=1
	v_mov_b32_e32 v0, 0
	s_mov_b64 s[2:3], 0
	v_mov_b32_e32 v1, v0
	v_mov_b32_e32 v2, v0
	;; [unrolled: 1-line block ×31, first 2 shown]
	s_branch .LBB345_13
.LBB345_12:                             ;   in Loop: Header=BB345_13 Depth=2
	s_or_b64 exec, exec, s[4:5]
	v_add_u32_e32 v95, 0x800, v94
	ds_read2_b32 v[96:97], v95 offset1:32
	v_add_u32_e32 v89, s23, v89
	s_waitcnt lgkmcnt(0)
	v_mfma_f32_32x32x16_fp8_fp8 v[0:15], v[60:61], v[96:97], v[0:15]
	ds_read2_b32 v[60:61], v95 offset0:128 offset1:160
	s_waitcnt lgkmcnt(0)
	v_mfma_f32_32x32x16_fp8_fp8 v[0:15], v[58:59], v[60:61], v[0:15]
	v_add_u32_e32 v60, 0xc00, v94
	ds_read2_b32 v[58:59], v60 offset1:32
	ds_read2_b32 v[60:61], v60 offset0:128 offset1:160
	ds_write_b32 v92, v93 offset:61452
	s_waitcnt lgkmcnt(2)
	v_mfma_f32_32x32x16_fp8_fp8 v[0:15], v[56:57], v[58:59], v[0:15]
	v_add_u32_e32 v56, s23, v91
	v_add_u32_e32 v57, 2, v63
	v_cmp_lt_i32_e32 vcc, 4, v56
	s_nop 1
	v_cndmask_b32_e32 v63, v63, v57, vcc
	v_cmp_le_i32_e32 vcc, s98, v89
	s_waitcnt lgkmcnt(1)
	v_mfma_f32_32x32x16_fp8_fp8 v[0:15], v[54:55], v[60:61], v[0:15]
	s_or_b64 s[2:3], vcc, s[2:3]
	s_andn2_b64 exec, exec, s[2:3]
	s_cbranch_execz .LBB345_22
.LBB345_13:                             ;   Parent Loop BB345_7 Depth=1
                                        ; =>  This Loop Header: Depth=2
                                        ;       Child Loop BB345_15 Depth 3
                                        ;       Child Loop BB345_18 Depth 3
	;; [unrolled: 1-line block ×3, first 2 shown]
	v_cmp_gt_i32_e32 vcc, 5, v56
	s_nop 1
	v_cndmask_b32_e64 v54, -5, 0, vcc
	v_add_u32_e32 v91, v54, v56
	v_lshlrev_b32_e32 v92, 4, v91
	ds_read_b32 v54, v92 offset:61440
	s_waitcnt lgkmcnt(0)
	v_cmp_ne_u32_e32 vcc, v54, v63
	s_and_saveexec_b64 s[4:5], vcc
	s_cbranch_execz .LBB345_16
; %bb.14:                               ;   in Loop: Header=BB345_13 Depth=2
	s_mov_b64 s[6:7], 0
.LBB345_15:                             ;   Parent Loop BB345_7 Depth=1
                                        ;     Parent Loop BB345_13 Depth=2
                                        ; =>    This Inner Loop Header: Depth=3
	;;#ASMSTART
	s_sleep 0
	;;#ASMEND
	ds_read_b32 v54, v92 offset:61440
	s_waitcnt lgkmcnt(0)
	v_cmp_eq_u32_e32 vcc, v54, v63
	s_or_b64 s[6:7], vcc, s[6:7]
	s_andn2_b64 exec, exec, s[6:7]
	s_cbranch_execnz .LBB345_15
.LBB345_16:                             ;   in Loop: Header=BB345_13 Depth=2
	s_or_b64 exec, exec, s[4:5]
	v_lshl_or_b32 v54, v91, 11, v65
	ds_read2_b32 v[60:61], v54 offset1:32
	ds_read2_b32 v[58:59], v54 offset0:128 offset1:160
	v_add_u32_e32 v54, 0x400, v54
	ds_read2_b32 v[56:57], v54 offset1:32
	ds_read_b32 v94, v92 offset:61444
	ds_read2_b32 v[54:55], v54 offset0:128 offset1:160
	v_add_u32_e32 v93, 1, v63
	ds_write_b32 v92, v93 offset:61440
	s_waitcnt lgkmcnt(2)
	v_cmp_ne_u32_e32 vcc, v94, v63
	s_and_saveexec_b64 s[4:5], vcc
	s_cbranch_execz .LBB345_19
; %bb.17:                               ;   in Loop: Header=BB345_13 Depth=2
	s_mov_b64 s[6:7], 0
.LBB345_18:                             ;   Parent Loop BB345_7 Depth=1
                                        ;     Parent Loop BB345_13 Depth=2
                                        ; =>    This Inner Loop Header: Depth=3
	;;#ASMSTART
	s_sleep 0
	;;#ASMEND
	ds_read_b32 v94, v92 offset:61444
	s_waitcnt lgkmcnt(0)
	v_cmp_eq_u32_e32 vcc, v94, v63
	s_or_b64 s[6:7], vcc, s[6:7]
	s_andn2_b64 exec, exec, s[6:7]
	s_cbranch_execnz .LBB345_18
.LBB345_19:                             ;   in Loop: Header=BB345_13 Depth=2
	s_or_b64 exec, exec, s[4:5]
	v_lshlrev_b32_e32 v94, 12, v91
	v_add_u32_e32 v94, v66, v94
	ds_read2_b32 v[96:97], v94 offset1:32
	v_add_u32_e32 v95, 0x400, v94
	ds_write_b32 v92, v93 offset:61444
	s_waitcnt lgkmcnt(1)
	v_mfma_f32_32x32x16_fp8_fp8 v[16:31], v[60:61], v[96:97], v[16:31]
	ds_read2_b32 v[96:97], v94 offset0:128 offset1:160
	s_waitcnt lgkmcnt(0)
	v_mfma_f32_32x32x16_fp8_fp8 v[16:31], v[58:59], v[96:97], v[16:31]
	ds_read2_b32 v[96:97], v95 offset1:32
	s_waitcnt lgkmcnt(0)
	v_mfma_f32_32x32x16_fp8_fp8 v[16:31], v[56:57], v[96:97], v[16:31]
	ds_read2_b32 v[96:97], v95 offset0:128 offset1:160
	ds_read_b32 v95, v92 offset:61452
	s_waitcnt lgkmcnt(0)
	v_cmp_ne_u32_e32 vcc, v95, v63
	v_mfma_f32_32x32x16_fp8_fp8 v[16:31], v[54:55], v[96:97], v[16:31]
	s_and_saveexec_b64 s[4:5], vcc
	s_cbranch_execz .LBB345_12
; %bb.20:                               ;   in Loop: Header=BB345_13 Depth=2
	s_mov_b64 s[6:7], 0
.LBB345_21:                             ;   Parent Loop BB345_7 Depth=1
                                        ;     Parent Loop BB345_13 Depth=2
                                        ; =>    This Inner Loop Header: Depth=3
	;;#ASMSTART
	s_sleep 0
	;;#ASMEND
	ds_read_b32 v95, v92 offset:61452
	s_waitcnt lgkmcnt(0)
	v_cmp_eq_u32_e32 vcc, v95, v63
	s_or_b64 s[6:7], vcc, s[6:7]
	s_andn2_b64 exec, exec, s[6:7]
	s_cbranch_execnz .LBB345_21
	s_branch .LBB345_12
.LBB345_22:                             ;   in Loop: Header=BB345_7 Depth=1
	s_or_b64 exec, exec, s[2:3]
.LBB345_23:                             ;   in Loop: Header=BB345_7 Depth=1
	v_writelane_b32 v100, s54, 28
	s_nop 1
	v_writelane_b32 v100, s55, 29
	v_writelane_b32 v100, s38, 30
	s_nop 1
	v_writelane_b32 v100, s39, 31
	v_writelane_b32 v100, s53, 32
	;; [unrolled: 1-line block ×4, first 2 shown]
	s_or_b64 exec, exec, s[0:1]
	v_cmp_le_i32_e32 vcc, s90, v64
	v_cmp_eq_u32_e64 s[86:87], 1, v67
	v_cmp_eq_u32_e64 s[50:51], 2, v67
	s_waitcnt vmcnt(0)
	v_cndmask_b32_e32 v54, 0, v90, vcc
	v_pk_mul_f32 v[16:17], v[54:55], v[16:17] op_sel_hi:[0,1]
	v_pk_mul_f32 v[30:31], v[54:55], v[30:31] op_sel_hi:[0,1]
	;; [unrolled: 1-line block ×8, first 2 shown]
	v_cndmask_b32_e64 v54, v16, v17, s[86:87]
	v_cndmask_b32_e64 v54, v54, v18, s[50:51]
	v_cmp_eq_u32_e64 s[54:55], 3, v67
	v_cmp_eq_u32_e64 s[56:57], 4, v67
	v_cmp_eq_u32_e64 s[60:61], 5, v67
	v_cndmask_b32_e64 v54, v54, v19, s[54:55]
	v_cndmask_b32_e64 v54, v54, v20, s[56:57]
	v_cndmask_b32_e64 v54, v54, v21, s[60:61]
	v_cmp_eq_u32_e64 s[64:65], 6, v67
	v_cmp_eq_u32_e64 s[68:69], 7, v67
	v_cmp_eq_u32_e64 s[72:73], 8, v67
	v_cndmask_b32_e64 v54, v54, v22, s[64:65]
	;; [unrolled: 6-line block ×5, first 2 shown]
	ds_bpermute_b32 v54, v87, v54
	v_cmp_eq_u32_e64 s[26:27], 2, v68
	v_cmp_eq_u32_e64 s[28:29], 3, v68
	;; [unrolled: 1-line block ×4, first 2 shown]
	s_waitcnt lgkmcnt(0)
	v_cndmask_b32_e64 v17, v17, v54, s[86:87]
	v_cndmask_b32_e64 v16, v16, v54, s[70:71]
	;; [unrolled: 1-line block ×12, first 2 shown]
	v_cmp_eq_u32_e64 s[36:37], 6, v68
	v_cndmask_b32_e64 v57, v23, v54, s[68:69]
	v_cmp_eq_u32_e64 s[38:39], 7, v68
	v_cndmask_b32_e64 v18, v18, v58, s[36:37]
	v_cndmask_b32_e64 v55, v24, v54, s[72:73]
	v_cndmask_b32_e64 v18, v18, v57, s[38:39]
	v_cmp_eq_u32_e64 s[42:43], 8, v68
	v_cndmask_b32_e64 v25, v25, v54, s[76:77]
	v_cmp_eq_u32_e64 s[44:45], 9, v68
	v_cndmask_b32_e64 v18, v18, v55, s[42:43]
	v_cndmask_b32_e64 v26, v26, v54, s[78:79]
	v_cndmask_b32_e64 v18, v18, v25, s[44:45]
	;; [unrolled: 6-line block ×4, first 2 shown]
	v_cmp_eq_u32_e64 s[62:63], 14, v68
	v_cndmask_b32_e64 v31, v31, v54, s[88:89]
	v_cmp_eq_u32_e64 s[66:67], 15, v68
	v_cndmask_b32_e64 v18, v18, v30, s[62:63]
	v_cmp_le_i32_e64 s[90:91], s90, v75
	v_cndmask_b32_e64 v18, v18, v31, s[66:67]
	ds_bpermute_b32 v54, v87, v18
	v_cmp_eq_u32_e64 s[40:41], 0, v68
	v_cmp_eq_u32_e64 s[2:3], 1, v69
	;; [unrolled: 1-line block ×4, first 2 shown]
	s_waitcnt lgkmcnt(0)
	v_cndmask_b32_e64 v22, v27, v54, s[48:49]
	v_cndmask_b32_e64 v27, v58, v54, s[36:37]
	;; [unrolled: 1-line block ×3, first 2 shown]
	v_pk_mul_f32 v[0:1], v[58:59], v[0:1] op_sel_hi:[0,1]
	v_cndmask_b32_e64 v24, v25, v54, s[44:45]
	v_cndmask_b32_e64 v25, v55, v54, s[42:43]
	v_pk_mul_f32 v[2:3], v[58:59], v[2:3] op_sel_hi:[0,1]
	v_cndmask_b32_e64 v55, v0, v1, s[86:87]
	v_cndmask_b32_e64 v55, v55, v2, s[50:51]
	;; [unrolled: 3-line block ×6, first 2 shown]
	v_cndmask_b32_e64 v17, v17, v54, s[24:25]
	v_cndmask_b32_e64 v16, v16, v54, s[40:41]
	v_pk_mul_f32 v[12:13], v[58:59], v[12:13] op_sel_hi:[0,1]
	v_cndmask_b32_e64 v55, v55, v11, s[74:75]
	v_cndmask_b32_e64 v18, v31, v54, s[66:67]
	;; [unrolled: 1-line block ×14, first 2 shown]
	v_pk_mul_f32 v[14:15], v[58:59], v[14:15] op_sel_hi:[0,1]
	v_cndmask_b32_e64 v55, v55, v13, s[82:83]
	v_cndmask_b32_e64 v54, v54, v30, s[8:9]
	v_cmp_eq_u32_e64 s[10:11], 4, v69
	v_cndmask_b32_e64 v55, v55, v14, s[84:85]
	v_cmp_eq_u32_e64 s[12:13], 5, v69
	v_cndmask_b32_e64 v54, v54, v29, s[10:11]
	v_cndmask_b32_e64 v55, v55, v15, s[88:89]
	;; [unrolled: 1-line block ×3, first 2 shown]
	v_cmp_eq_u32_e64 s[14:15], 6, v69
	ds_bpermute_b32 v55, v87, v55
	v_cmp_eq_u32_e64 s[96:97], 7, v69
	v_cndmask_b32_e64 v54, v54, v27, s[14:15]
	v_cmp_eq_u32_e64 s[4:5], 8, v69
	v_cndmask_b32_e64 v54, v54, v26, s[96:97]
	v_cmp_eq_u32_e32 vcc, 9, v69
	v_cndmask_b32_e64 v54, v54, v25, s[4:5]
	v_cmp_eq_u32_e64 s[0:1], 10, v69
	v_cndmask_b32_e32 v54, v54, v24, vcc
	v_cmp_eq_u32_e64 s[86:87], 11, v69
	v_cndmask_b32_e64 v54, v54, v23, s[0:1]
	s_waitcnt lgkmcnt(0)
	v_cndmask_b32_e64 v2, v2, v55, s[50:51]
	v_cmp_ne_u32_e64 s[50:51], 0, v67
	v_cndmask_b32_e64 v54, v54, v22, s[86:87]
	v_cmp_eq_u32_e64 s[90:91], 12, v69
	v_cndmask_b32_e64 v1, v1, v55, s[50:51]
	v_cndmask_b32_e64 v0, v0, v55, s[70:71]
	;; [unrolled: 1-line block ×4, first 2 shown]
	v_cmp_eq_u32_e64 s[88:89], 13, v69
	v_cndmask_b32_e64 v14, v14, v55, s[84:85]
	v_cndmask_b32_e64 v13, v13, v55, s[82:83]
	;; [unrolled: 1-line block ×14, first 2 shown]
	v_cmp_eq_u32_e64 s[84:85], 14, v69
	v_cndmask_b32_e64 v55, v55, v2, s[26:27]
	v_cmp_eq_u32_e64 s[82:83], 15, v69
	v_cndmask_b32_e64 v54, v54, v19, s[84:85]
	v_cndmask_b32_e64 v55, v55, v3, s[28:29]
	;; [unrolled: 1-line block ×4, first 2 shown]
	ds_bpermute_b32 v54, v87, v54
	v_cndmask_b32_e64 v55, v55, v5, s[34:35]
	v_cndmask_b32_e64 v55, v55, v6, s[36:37]
	v_cndmask_b32_e64 v55, v55, v7, s[38:39]
	v_cndmask_b32_e64 v55, v55, v8, s[42:43]
	v_cmp_eq_u32_e64 s[80:81], 0, v69
	v_cndmask_b32_e64 v55, v55, v9, s[44:45]
	s_waitcnt lgkmcnt(0)
	v_cndmask_b32_e64 v17, v17, v54, s[2:3]
	v_cndmask_b32_e64 v16, v16, v54, s[80:81]
	v_cmp_eq_u32_e64 s[74:75], 1, v70
	v_cndmask_b32_e64 v55, v55, v10, s[46:47]
	v_cndmask_b32_e64 v18, v18, v54, s[82:83]
	;; [unrolled: 1-line block ×7, first 2 shown]
	v_cndmask_b32_e32 v24, v24, v54, vcc
	v_cndmask_b32_e64 v25, v25, v54, s[4:5]
	v_cndmask_b32_e64 v26, v26, v54, s[96:97]
	;; [unrolled: 1-line block ×8, first 2 shown]
	v_cmp_eq_u32_e64 s[78:79], 2, v70
	v_cndmask_b32_e64 v55, v55, v11, s[48:49]
	v_cmp_eq_u32_e64 s[76:77], 3, v70
	v_cndmask_b32_e64 v54, v54, v31, s[78:79]
	v_cndmask_b32_e64 v55, v55, v12, s[52:53]
	;; [unrolled: 1-line block ×3, first 2 shown]
	v_cmp_eq_u32_e64 s[72:73], 4, v70
	v_cndmask_b32_e64 v55, v55, v13, s[58:59]
	v_cmp_eq_u32_e64 s[68:69], 5, v70
	v_cndmask_b32_e64 v54, v54, v29, s[72:73]
	v_cndmask_b32_e64 v55, v55, v14, s[62:63]
	;; [unrolled: 1-line block ×3, first 2 shown]
	v_cmp_eq_u32_e64 s[64:65], 6, v70
	v_cndmask_b32_e64 v55, v55, v15, s[66:67]
	v_cmp_eq_u32_e64 s[60:61], 7, v70
	v_cndmask_b32_e64 v54, v54, v27, s[64:65]
	ds_bpermute_b32 v55, v87, v55
	v_cndmask_b32_e64 v54, v54, v26, s[60:61]
	v_cmp_eq_u32_e64 s[56:57], 8, v70
	v_cmp_eq_u32_e64 s[54:55], 9, v70
	;; [unrolled: 1-line block ×3, first 2 shown]
	v_cndmask_b32_e64 v54, v54, v25, s[56:57]
	v_cndmask_b32_e64 v54, v54, v24, s[54:55]
	;; [unrolled: 1-line block ×3, first 2 shown]
	v_cmp_eq_u32_e64 s[70:71], 11, v70
	s_waitcnt lgkmcnt(0)
	v_cndmask_b32_e64 v15, v15, v55, s[66:67]
	v_cmp_eq_u32_e64 s[66:67], 12, v70
	v_cndmask_b32_e64 v54, v54, v22, s[70:71]
	v_cndmask_b32_e64 v14, v14, v55, s[62:63]
	;; [unrolled: 1-line block ×3, first 2 shown]
	v_cmp_eq_u32_e64 s[62:63], 13, v70
	v_cndmask_b32_e64 v1, v1, v55, s[24:25]
	v_cndmask_b32_e64 v0, v0, v55, s[40:41]
	;; [unrolled: 1-line block ×4, first 2 shown]
	v_cmp_eq_u32_e64 s[92:93], 14, v70
	v_cndmask_b32_e64 v12, v12, v55, s[52:53]
	v_cndmask_b32_e64 v11, v11, v55, s[48:49]
	;; [unrolled: 1-line block ×13, first 2 shown]
	v_cmp_eq_u32_e64 s[94:95], 15, v70
	v_cndmask_b32_e64 v55, v55, v2, s[6:7]
	v_cndmask_b32_e64 v55, v55, v3, s[8:9]
	;; [unrolled: 1-line block ×3, first 2 shown]
	ds_bpermute_b32 v54, v87, v54
	v_cndmask_b32_e64 v55, v55, v4, s[10:11]
	v_cndmask_b32_e64 v55, v55, v5, s[12:13]
	;; [unrolled: 1-line block ×4, first 2 shown]
	v_cmp_eq_u32_e64 s[48:49], 0, v70
	v_cndmask_b32_e64 v55, v55, v8, s[4:5]
	s_waitcnt lgkmcnt(0)
	v_cndmask_b32_e64 v17, v17, v54, s[74:75]
	v_cndmask_b32_e64 v16, v16, v54, s[48:49]
	v_cmp_eq_u32_e64 s[46:47], 1, v71
	v_cndmask_b32_e32 v55, v55, v9, vcc
	v_cndmask_b32_e64 v18, v18, v54, s[94:95]
	v_cndmask_b32_e64 v19, v19, v54, s[92:93]
	;; [unrolled: 1-line block ×15, first 2 shown]
	v_cmp_eq_u32_e64 s[44:45], 2, v71
	v_cndmask_b32_e64 v55, v55, v10, s[0:1]
	v_cmp_eq_u32_e64 s[42:43], 3, v71
	v_cndmask_b32_e64 v54, v54, v31, s[44:45]
	v_cndmask_b32_e64 v55, v55, v11, s[86:87]
	v_cndmask_b32_e64 v54, v54, v30, s[42:43]
	v_cmp_eq_u32_e64 s[38:39], 4, v71
	v_cndmask_b32_e64 v55, v55, v12, s[90:91]
	v_cmp_eq_u32_e64 s[36:37], 5, v71
	v_cndmask_b32_e64 v54, v54, v29, s[38:39]
	v_cndmask_b32_e64 v55, v55, v13, s[88:89]
	v_cndmask_b32_e64 v54, v54, v28, s[36:37]
	;; [unrolled: 6-line block ×3, first 2 shown]
	v_cmp_eq_u32_e64 s[28:29], 8, v71
	ds_bpermute_b32 v55, v87, v55
	v_cmp_eq_u32_e64 s[26:27], 9, v71
	v_cndmask_b32_e64 v54, v54, v25, s[28:29]
	v_cmp_eq_u32_e64 s[24:25], 10, v71
	v_cndmask_b32_e64 v54, v54, v24, s[26:27]
	;; [unrolled: 2-line block ×4, first 2 shown]
	s_waitcnt lgkmcnt(0)
	v_cndmask_b32_e64 v15, v15, v55, s[82:83]
	v_cndmask_b32_e64 v54, v54, v21, s[58:59]
	v_cmp_eq_u32_e64 s[82:83], 13, v71
	v_cndmask_b32_e64 v14, v14, v55, s[84:85]
	v_cmp_eq_u32_e64 s[84:85], 14, v71
	v_cndmask_b32_e64 v54, v54, v20, s[82:83]
	v_cndmask_b32_e64 v1, v1, v55, s[2:3]
	;; [unrolled: 1-line block ×6, first 2 shown]
	v_cmp_eq_u32_e64 s[90:91], 15, v71
	v_cndmask_b32_e64 v11, v11, v55, s[86:87]
	v_cndmask_b32_e64 v10, v10, v55, s[0:1]
	v_cndmask_b32_e32 v9, v9, v55, vcc
	v_cndmask_b32_e64 v8, v8, v55, s[4:5]
	v_cndmask_b32_e64 v7, v7, v55, s[96:97]
	;; [unrolled: 1-line block ×10, first 2 shown]
	ds_bpermute_b32 v54, v87, v54
	v_cndmask_b32_e64 v55, v55, v3, s[76:77]
	v_cndmask_b32_e64 v55, v55, v4, s[72:73]
	;; [unrolled: 1-line block ×3, first 2 shown]
	v_cmp_eq_u32_e64 s[52:53], 0, v71
	v_cndmask_b32_e64 v55, v55, v6, s[64:65]
	v_cndmask_b32_e64 v55, v55, v7, s[60:61]
	v_writelane_b32 v100, s52, 35
	s_waitcnt lgkmcnt(0)
	v_cndmask_b32_e64 v17, v17, v54, s[46:47]
	v_cndmask_b32_e64 v55, v55, v8, s[56:57]
	v_writelane_b32 v100, s53, 36
	v_cndmask_b32_e64 v16, v16, v54, s[52:53]
	v_cmp_eq_u32_e64 s[52:53], 1, v72
	v_cndmask_b32_e64 v18, v18, v54, s[90:91]
	v_cndmask_b32_e64 v19, v19, v54, s[84:85]
	;; [unrolled: 1-line block ×15, first 2 shown]
	v_cmp_eq_u32_e64 s[0:1], 2, v72
	v_cndmask_b32_e64 v55, v55, v9, s[54:55]
	v_cmp_eq_u32_e64 s[4:5], 3, v72
	v_cndmask_b32_e64 v54, v54, v31, s[0:1]
	v_cndmask_b32_e64 v55, v55, v10, s[50:51]
	v_cndmask_b32_e64 v54, v54, v30, s[4:5]
	v_cmp_eq_u32_e64 s[96:97], 4, v72
	v_cndmask_b32_e64 v55, v55, v11, s[70:71]
	v_cmp_eq_u32_e64 s[14:15], 5, v72
	v_cndmask_b32_e64 v54, v54, v29, s[96:97]
	v_cndmask_b32_e64 v55, v55, v12, s[66:67]
	v_cndmask_b32_e64 v54, v54, v28, s[14:15]
	;; [unrolled: 6-line block ×3, first 2 shown]
	v_cmp_eq_u32_e64 s[8:9], 8, v72
	v_cndmask_b32_e64 v55, v55, v15, s[94:95]
	v_cmp_eq_u32_e64 s[6:7], 9, v72
	v_cndmask_b32_e64 v54, v54, v25, s[8:9]
	ds_bpermute_b32 v55, v87, v55
	v_cndmask_b32_e64 v54, v54, v24, s[6:7]
	v_cmp_eq_u32_e32 vcc, 10, v72
	v_cmp_eq_u32_e64 s[80:81], 11, v72
	v_cmp_eq_u32_e64 s[86:87], 12, v72
	v_cndmask_b32_e32 v54, v54, v23, vcc
	v_cndmask_b32_e64 v54, v54, v22, s[80:81]
	v_cndmask_b32_e64 v54, v54, v21, s[86:87]
	v_cmp_eq_u32_e64 s[88:89], 13, v72
	s_waitcnt lgkmcnt(0)
	v_cndmask_b32_e64 v13, v13, v55, s[62:63]
	v_cmp_eq_u32_e64 s[62:63], 14, v72
	v_cndmask_b32_e64 v54, v54, v20, s[88:89]
	v_cndmask_b32_e64 v12, v12, v55, s[66:67]
	;; [unrolled: 1-line block ×3, first 2 shown]
	v_cmp_eq_u32_e64 s[66:67], 15, v72
	v_cndmask_b32_e64 v57, v11, v55, s[70:71]
	v_cmp_eq_u32_e64 s[70:71], 0, v72
	v_cndmask_b32_e64 v54, v54, v18, s[66:67]
	ds_bpermute_b32 v54, v87, v54
	v_cndmask_b32_e64 v15, v15, v55, s[94:95]
	v_cndmask_b32_e64 v14, v14, v55, s[92:93]
	;; [unrolled: 1-line block ×4, first 2 shown]
	s_waitcnt lgkmcnt(0)
	v_cndmask_b32_e64 v18, v18, v54, s[66:67]
	v_cndmask_b32_e64 v19, v19, v54, s[62:63]
	;; [unrolled: 1-line block ×5, first 2 shown]
	v_cndmask_b32_e32 v23, v23, v54, vcc
	v_cndmask_b32_e64 v24, v24, v54, s[6:7]
	v_cndmask_b32_e64 v25, v25, v54, s[8:9]
	;; [unrolled: 1-line block ×28, first 2 shown]
	v_cmp_eq_u32_e64 s[50:51], 1, v73
	v_cndmask_b32_e64 v0, v0, v54, s[24:25]
	v_cmp_eq_u32_e64 s[54:55], 2, v73
	v_cndmask_b32_e64 v10, v16, v17, s[50:51]
	v_cndmask_b32_e64 v0, v0, v57, s[40:41]
	v_cndmask_b32_e64 v9, v10, v31, s[54:55]
	v_cmp_eq_u32_e64 s[56:57], 3, v73
	v_cndmask_b32_e64 v0, v0, v12, s[58:59]
	v_cmp_eq_u32_e64 s[60:61], 4, v73
	v_cndmask_b32_e64 v8, v9, v30, s[56:57]
	v_cndmask_b32_e64 v0, v0, v13, s[82:83]
	v_cndmask_b32_e64 v7, v8, v29, s[60:61]
	;; [unrolled: 6-line block ×3, first 2 shown]
	v_cmp_eq_u32_e64 s[72:73], 7, v73
	ds_bpermute_b32 v95, v87, v0
	v_cmp_eq_u32_e64 s[76:77], 8, v73
	v_cndmask_b32_e64 v4, v5, v26, s[72:73]
	v_cmp_eq_u32_e64 s[78:79], 9, v73
	v_cndmask_b32_e64 v3, v4, v25, s[76:77]
	;; [unrolled: 2-line block ×4, first 2 shown]
	s_waitcnt lgkmcnt(0)
	v_cndmask_b32_e64 v96, v15, v95, s[90:91]
	v_cndmask_b32_e64 v0, v0, v22, s[74:75]
	v_cmp_eq_u32_e64 s[90:91], 12, v73
	v_cndmask_b32_e64 v97, v14, v95, s[84:85]
	v_cmp_eq_u32_e64 s[84:85], 13, v73
	v_cndmask_b32_e64 v0, v0, v21, s[90:91]
	v_cndmask_b32_e64 v98, v13, v95, s[82:83]
	;; [unrolled: 1-line block ×3, first 2 shown]
	v_cmp_eq_u32_e64 s[82:83], 14, v73
	v_cndmask_b32_e64 v99, v12, v95, s[58:59]
	v_cmp_eq_u32_e64 s[58:59], 15, v73
	v_cndmask_b32_e64 v0, v0, v19, s[82:83]
	v_readlane_b32 s2, v100, 35
	v_cndmask_b32_e64 v0, v0, v18, s[58:59]
	ds_bpermute_b32 v1, v87, v0
	v_readlane_b32 s3, v100, 36
	s_waitcnt lgkmcnt(0)
	v_cndmask_b32_e64 v11, v27, v1, s[68:69]
	v_cndmask_b32_e64 v12, v28, v1, s[64:65]
	;; [unrolled: 1-line block ×4, first 2 shown]
	s_mov_b64 s[2:3], s[52:53]
	v_cndmask_b32_e64 v10, v26, v1, s[72:73]
	v_cndmask_b32_e64 v13, v29, v1, s[60:61]
	;; [unrolled: 1-line block ×25, first 2 shown]
	v_cmp_eq_u32_e64 s[40:41], 0, v73
	v_cndmask_b32_e64 v19, v58, v95, s[26:27]
	v_cndmask_b32_e64 v29, v29, v20, s[8:9]
	;; [unrolled: 1-line block ×8, first 2 shown]
	v_cndmask_b32_e32 v29, v29, v16, vcc
	v_cndmask_b32_e64 v29, v29, v17, s[80:81]
	v_cndmask_b32_e64 v29, v29, v99, s[86:87]
	;; [unrolled: 1-line block ×5, first 2 shown]
	ds_bpermute_b32 v29, v87, v29
	v_cmp_eq_u32_e64 s[24:25], 1, v74
	v_cmp_eq_u32_e64 s[26:27], 2, v74
	;; [unrolled: 1-line block ×3, first 2 shown]
	v_cndmask_b32_e64 v18, v1, v0, s[24:25]
	s_waitcnt lgkmcnt(0)
	v_cndmask_b32_e64 v93, v27, v29, s[2:3]
	v_cndmask_b32_e64 v94, v28, v29, s[70:71]
	;; [unrolled: 1-line block ×18, first 2 shown]
	v_cndmask_b32_e32 v16, v16, v29, vcc
	v_cndmask_b32_e64 v19, v19, v57, s[78:79]
	v_cndmask_b32_e64 v17, v17, v29, s[80:81]
	;; [unrolled: 1-line block ×12, first 2 shown]
	ds_bpermute_b32 v95, v87, v19
	v_cndmask_b32_e64 v18, v18, v15, s[26:27]
	v_cndmask_b32_e64 v18, v18, v14, s[28:29]
	v_cmp_eq_u32_e64 s[30:31], 4, v74
	v_cmp_eq_u32_e64 s[34:35], 5, v74
	s_waitcnt lgkmcnt(0)
	v_cndmask_b32_e64 v23, v17, v95, s[74:75]
	v_cndmask_b32_e64 v24, v16, v95, s[48:49]
	;; [unrolled: 1-line block ×18, first 2 shown]
	v_cmp_eq_u32_e64 s[36:37], 6, v74
	v_cndmask_b32_e64 v28, v60, v95, s[68:69]
	v_cndmask_b32_e64 v55, v55, v29, s[34:35]
	v_cndmask_b32_e64 v18, v18, v11, s[36:37]
	v_cmp_eq_u32_e64 s[38:39], 7, v74
	v_cndmask_b32_e64 v27, v59, v95, s[72:73]
	v_cndmask_b32_e64 v55, v55, v28, s[36:37]
	v_cndmask_b32_e64 v18, v18, v10, s[38:39]
	;; [unrolled: 4-line block ×4, first 2 shown]
	v_cmp_eq_u32_e64 s[46:47], 10, v74
	v_cndmask_b32_e64 v55, v55, v25, s[44:45]
	v_cmp_eq_u32_e64 s[52:53], 11, v74
	v_cndmask_b32_e64 v18, v18, v7, s[46:47]
	v_cndmask_b32_e64 v55, v55, v24, s[46:47]
	;; [unrolled: 1-line block ×3, first 2 shown]
	v_cmp_eq_u32_e64 s[66:67], 12, v74
	v_cndmask_b32_e64 v55, v55, v23, s[52:53]
	v_cmp_eq_u32_e64 s[62:63], 13, v74
	v_cndmask_b32_e64 v18, v18, v5, s[66:67]
	v_cndmask_b32_e64 v55, v55, v22, s[66:67]
	;; [unrolled: 1-line block ×3, first 2 shown]
	v_cmp_eq_u32_e32 vcc, 14, v74
	v_cndmask_b32_e64 v55, v55, v21, s[62:63]
	v_cmp_eq_u32_e64 s[6:7], 15, v74
	v_cndmask_b32_e32 v18, v18, v3, vcc
	v_cndmask_b32_e32 v55, v55, v20, vcc
	v_cndmask_b32_e64 v18, v18, v2, s[6:7]
	v_cndmask_b32_e64 v55, v55, v19, s[6:7]
	ds_bpermute_b32 v18, v87, v18
	ds_bpermute_b32 v58, v87, v55
	v_readlane_b32 s53, v100, 32
	s_nop 1
	v_cmp_lt_i32_e32 vcc, s53, v76
	s_and_saveexec_b64 s[40:41], vcc
	v_readlane_b32 s44, v100, 2
	v_readlane_b32 s45, v100, 3
	v_readlane_b32 s46, v100, 4
	v_readlane_b32 s47, v100, 5
	v_readlane_b32 s48, v100, 6
	v_readlane_b32 s49, v100, 7
	v_readlane_b32 s50, v100, 8
	v_readlane_b32 s51, v100, 9
	v_readlane_b32 s52, v100, 34
	v_readlane_b32 s54, v100, 28
	v_readlane_b32 s55, v100, 29
	s_cbranch_execz .LBB345_32
; %bb.24:                               ;   in Loop: Header=BB345_7 Depth=1
	s_mul_i32 s0, s52, s17
	s_ashr_i32 s1, s0, 31
	s_lshl_b64 s[0:1], s[0:1], 1
	s_add_u32 s2, s48, s0
	v_cmp_eq_u32_e64 s[34:35], 1, v74
	v_cmp_eq_u32_e64 s[36:37], 0, v74
	s_addc_u32 s3, s49, s1
	s_ashr_i32 s55, s54, 31
	s_waitcnt lgkmcnt(1)
	v_cndmask_b32_e64 v55, v0, v18, s[34:35]
	v_cndmask_b32_e64 v57, v1, v18, s[36:37]
	s_lshl_b64 s[0:1], s[54:55], 1
	s_waitcnt lgkmcnt(0)
	v_cndmask_b32_e64 v59, v16, v58, s[34:35]
	v_cndmask_b32_e64 v60, v17, v58, s[36:37]
	v_cvt_f16_f32_e32 v57, v57
	v_cvt_f16_f32_sdwa v55, v55 dst_sel:WORD_1 dst_unused:UNUSED_PAD src0_sel:DWORD
	s_add_u32 s42, s2, s0
	v_cvt_f16_f32_e32 v60, v60
	v_cvt_f16_f32_sdwa v59, v59 dst_sel:WORD_1 dst_unused:UNUSED_PAD src0_sel:DWORD
	s_addc_u32 s43, s3, s1
	v_lshl_add_u64 v[0:1], s[42:43], 0, v[32:33]
	v_cmp_eq_u32_e32 vcc, 15, v74
	v_cmp_eq_u32_e64 s[6:7], 14, v74
	v_cmp_eq_u32_e64 s[8:9], 13, v74
	;; [unrolled: 1-line block ×13, first 2 shown]
	v_lshl_add_u64 v[16:17], v[34:35], 1, v[0:1]
	v_or_b32_e32 v55, v55, v57
	v_cmp_lt_i32_e64 s[34:35], s53, v77
	;;#ASMSTART
	global_atomic_pk_add_f16 v[16:17], v55, off
	
	;;#ASMEND
	v_lshl_add_u64 v[16:17], v[16:17], 0, 64
	v_or_b32_e32 v55, v59, v60
	;;#ASMSTART
	global_atomic_pk_add_f16 v[16:17], v55, off
	
	;;#ASMEND
	s_and_b64 exec, exec, s[34:35]
	s_cbranch_execz .LBB345_32
; %bb.25:                               ;   in Loop: Header=BB345_7 Depth=1
	v_cndmask_b32_e32 v2, v2, v18, vcc
	v_cndmask_b32_e64 v3, v3, v18, s[6:7]
	v_cndmask_b32_e64 v16, v4, v18, s[8:9]
	;; [unrolled: 1-line block ×19, first 2 shown]
	v_cvt_f16_f32_e32 v22, v18
	v_cvt_f16_f32_sdwa v23, v93 dst_sel:WORD_1 dst_unused:UNUSED_PAD src0_sel:DWORD
	v_cvt_f16_f32_e32 v21, v21
	v_cvt_f16_f32_sdwa v20, v20 dst_sel:WORD_1 dst_unused:UNUSED_PAD src0_sel:DWORD
	v_cndmask_b32_e32 v4, v19, v58, vcc
	v_cndmask_b32_e64 v9, v24, v58, s[14:15]
	v_cndmask_b32_e64 v10, v25, v58, s[0:1]
	;; [unrolled: 1-line block ×7, first 2 shown]
	v_lshl_add_u64 v[18:19], v[36:37], 1, v[0:1]
	v_cmp_lt_i32_e32 vcc, s53, v78
	v_or_b32_e32 v22, v23, v22
	;;#ASMSTART
	global_atomic_pk_add_f16 v[18:19], v22, off
	
	;;#ASMEND
	v_lshl_add_u64 v[18:19], v[18:19], 0, 64
	v_or_b32_e32 v20, v20, v21
	;;#ASMSTART
	global_atomic_pk_add_f16 v[18:19], v20, off
	
	;;#ASMEND
	s_and_b64 exec, exec, vcc
	s_cbranch_execz .LBB345_32
; %bb.26:                               ;   in Loop: Header=BB345_7 Depth=1
	v_cvt_f16_f32_e32 v20, v92
	v_cvt_f16_f32_sdwa v21, v91 dst_sel:WORD_1 dst_unused:UNUSED_PAD src0_sel:DWORD
	v_cvt_f16_f32_e32 v22, v15
	v_cvt_f16_f32_sdwa v23, v14 dst_sel:WORD_1 dst_unused:UNUSED_PAD src0_sel:DWORD
	v_lshl_add_u64 v[18:19], v[38:39], 1, v[0:1]
	v_or_b32_e32 v14, v21, v20
	v_cmp_lt_i32_e32 vcc, s53, v79
	;;#ASMSTART
	global_atomic_pk_add_f16 v[18:19], v14, off
	
	;;#ASMEND
	v_lshl_add_u64 v[14:15], v[18:19], 0, 64
	v_or_b32_e32 v18, v23, v22
	;;#ASMSTART
	global_atomic_pk_add_f16 v[14:15], v18, off
	
	;;#ASMEND
	s_and_b64 exec, exec, vcc
	s_cbranch_execz .LBB345_32
; %bb.27:                               ;   in Loop: Header=BB345_7 Depth=1
	v_cvt_f16_f32_e32 v18, v90
	v_cvt_f16_f32_sdwa v19, v61 dst_sel:WORD_1 dst_unused:UNUSED_PAD src0_sel:DWORD
	v_cvt_f16_f32_e32 v20, v13
	v_cvt_f16_f32_sdwa v21, v12 dst_sel:WORD_1 dst_unused:UNUSED_PAD src0_sel:DWORD
	v_lshl_add_u64 v[14:15], v[40:41], 1, v[0:1]
	v_or_b32_e32 v12, v19, v18
	v_cmp_lt_i32_e32 vcc, s53, v80
	;; [unrolled: 20-line block ×5, first 2 shown]
	;;#ASMSTART
	global_atomic_pk_add_f16 v[8:9], v6, off
	
	;;#ASMEND
	v_lshl_add_u64 v[6:7], v[8:9], 0, 64
	v_or_b32_e32 v8, v13, v12
	;;#ASMSTART
	global_atomic_pk_add_f16 v[6:7], v8, off
	
	;;#ASMEND
	s_and_b64 exec, exec, vcc
	s_cbranch_execz .LBB345_32
; %bb.31:                               ;   in Loop: Header=BB345_7 Depth=1
	v_cvt_f16_f32_e32 v3, v3
	v_cvt_f16_f32_sdwa v2, v2 dst_sel:WORD_1 dst_unused:UNUSED_PAD src0_sel:DWORD
	v_cvt_f16_f32_e32 v5, v5
	v_cvt_f16_f32_sdwa v4, v4 dst_sel:WORD_1 dst_unused:UNUSED_PAD src0_sel:DWORD
	v_lshl_add_u64 v[0:1], v[48:49], 1, v[0:1]
	v_or_b32_e32 v2, v2, v3
	;;#ASMSTART
	global_atomic_pk_add_f16 v[0:1], v2, off
	
	;;#ASMEND
	v_lshl_add_u64 v[0:1], v[0:1], 0, 64
	v_or_b32_e32 v2, v4, v5
	;;#ASMSTART
	global_atomic_pk_add_f16 v[0:1], v2, off
	
	;;#ASMEND
.LBB345_32:                             ;   in Loop: Header=BB345_7 Depth=1
	s_or_b64 exec, exec, s[40:41]
	v_readlane_b32 s14, v100, 10
	v_readlane_b32 s24, v100, 12
	;; [unrolled: 1-line block ×6, first 2 shown]
	v_subrev_u32_e32 v89, s98, v89
	v_readlane_b32 s11, v100, 0
	v_readlane_b32 s12, v100, 1
	;; [unrolled: 1-line block ×17, first 2 shown]
.LBB345_33:                             ;   in Loop: Header=BB345_7 Depth=1
	s_or_b64 exec, exec, s[2:3]
.LBB345_34:                             ;   in Loop: Header=BB345_7 Depth=1
	s_andn2_saveexec_b64 s[0:1], s[4:5]
	s_cbranch_execz .LBB345_43
; %bb.35:                               ;   in Loop: Header=BB345_7 Depth=1
	s_lshl_b32 s10, s98, 1
	v_cmp_gt_i32_e32 vcc, s10, v89
	s_and_saveexec_b64 s[2:3], vcc
	s_cbranch_execz .LBB345_42
; %bb.36:                               ;   in Loop: Header=BB345_7 Depth=1
	s_mul_i32 s4, s54, s19
	s_ashr_i32 s5, s4, 31
	s_add_u32 s4, s46, s4
	s_addc_u32 s5, s47, s5
	s_ashr_i32 s6, s37, 31
	s_add_u32 s4, s4, s37
	s_addc_u32 s5, s5, s6
	v_lshl_add_u64 v[0:1], s[4:5], 0, v[52:53]
	v_lshl_add_u64 v[8:9], v[0:1], 0, v[50:51]
	s_mov_b64 s[4:5], 0
	s_branch .LBB345_38
.LBB345_37:                             ;   in Loop: Header=BB345_38 Depth=2
	s_or_b64 exec, exec, s[6:7]
	v_lshl_add_u32 v12, v10, 11, v84
	;;#ASMSTART
	s_waitcnt vmcnt(1)
	;;#ASMEND
	ds_write2_b32 v12, v4, v5 offset1:32
	ds_write2_b32 v12, v6, v7 offset0:64 offset1:96
	v_add_u32_e32 v4, 0x400, v12
	v_add_u32_e32 v89, s22, v89
	;;#ASMSTART
	s_waitcnt vmcnt(0)
	;;#ASMEND
	ds_write2_b32 v4, v0, v1 offset1:32
	ds_write2_b32 v4, v2, v3 offset0:64 offset1:96
	v_add_u32_e32 v0, 1, v63
	v_add_u32_e32 v56, s22, v10
	v_cmp_le_i32_e32 vcc, s10, v89
	ds_write_b32 v11, v0 offset:80
	v_add_u32_e32 v0, 2, v63
	s_or_b64 s[4:5], vcc, s[4:5]
	v_cmp_lt_i32_e32 vcc, 9, v56
	s_nop 1
	v_cndmask_b32_e32 v63, v63, v0, vcc
	s_andn2_b64 exec, exec, s[4:5]
	s_cbranch_execz .LBB345_41
.LBB345_38:                             ;   Parent Loop BB345_7 Depth=1
                                        ; =>  This Loop Header: Depth=2
                                        ;       Child Loop BB345_40 Depth 3
	v_cmp_gt_i32_e32 vcc, 10, v56
	s_nop 1
	v_cndmask_b32_e64 v0, -10, 0, vcc
	v_add_u32_e32 v10, v0, v56
	v_lshrrev_b32_e32 v0, 31, v89
	v_add_u32_e32 v0, v89, v0
	v_and_b32_e32 v1, -2, v0
	v_lshlrev_b32_e32 v0, 5, v0
	v_sub_u32_e32 v2, v89, v1
	v_and_b32_e32 v0, 0xffffffc0, v0
	v_ashrrev_i32_e32 v1, 31, v0
	v_mul_lo_u32 v2, s30, v2
	v_lshl_add_u64 v[0:1], v[8:9], 0, v[0:1]
	v_ashrrev_i32_e32 v3, 31, v2
	v_lshl_add_u64 v[0:1], v[0:1], 0, v[2:3]
	v_lshlrev_b32_e32 v11, 2, v10
	;;#ASMSTART
	global_load_dwordx4 v[4:7], v[0:1], off offset:0   sc0 sc1 nt  
	global_load_dwordx4 v[0:3], v[0:1], off offset:32  sc0 sc1 nt  
	
	;;#ASMEND
	ds_read_b32 v12, v11 offset:61520
	v_add_u32_e32 v11, 0xf000, v11
	s_waitcnt lgkmcnt(0)
	v_cmp_ne_u32_e32 vcc, v12, v63
	s_and_saveexec_b64 s[6:7], vcc
	s_cbranch_execz .LBB345_37
; %bb.39:                               ;   in Loop: Header=BB345_38 Depth=2
	s_mov_b64 s[8:9], 0
.LBB345_40:                             ;   Parent Loop BB345_7 Depth=1
                                        ;     Parent Loop BB345_38 Depth=2
                                        ; =>    This Inner Loop Header: Depth=3
	;;#ASMSTART
	s_sleep 0
	;;#ASMEND
	ds_read_b32 v12, v11 offset:80
	s_waitcnt lgkmcnt(0)
	v_cmp_eq_u32_e32 vcc, v12, v63
	s_or_b64 s[8:9], vcc, s[8:9]
	s_andn2_b64 exec, exec, s[8:9]
	s_cbranch_execnz .LBB345_40
	s_branch .LBB345_37
.LBB345_41:                             ;   in Loop: Header=BB345_7 Depth=1
	s_or_b64 exec, exec, s[4:5]
.LBB345_42:                             ;   in Loop: Header=BB345_7 Depth=1
	s_or_b64 exec, exec, s[2:3]
	v_subrev_u32_e32 v89, s10, v89
.LBB345_43:                             ;   in Loop: Header=BB345_7 Depth=1
	s_or_b64 exec, exec, s[0:1]
.LBB345_44:                             ;   in Loop: Header=BB345_7 Depth=1
	s_andn2_saveexec_b64 s[0:1], s[38:39]
	s_cbranch_execz .LBB345_6
; %bb.45:                               ;   in Loop: Header=BB345_7 Depth=1
	s_lshl_b32 s10, s98, 2
	v_cmp_gt_i32_e32 vcc, s10, v89
	s_and_saveexec_b64 s[2:3], vcc
	s_cbranch_execz .LBB345_5
; %bb.46:                               ;   in Loop: Header=BB345_7 Depth=1
	s_mul_i32 s4, s52, s18
	s_max_i32 s6, s53, 0
	s_ashr_i32 s5, s4, 31
	s_add_u32 s4, s44, s4
	v_add_u32_e32 v2, s6, v64
	s_movk_i32 s6, 0x80
	s_addc_u32 s5, s45, s5
	s_ashr_i32 s7, s37, 31
	v_cmp_gt_u32_e32 vcc, s6, v2
	s_add_u32 s4, s4, s37
	s_addc_u32 s5, s5, s7
	v_cndmask_b32_e32 v0, 0, v85, vcc
	v_ashrrev_i32_e32 v1, 31, v0
	v_lshl_add_u64 v[0:1], s[4:5], 0, v[0:1]
	v_lshl_add_u64 v[8:9], v[0:1], 0, v[50:51]
	v_sub_u32_e32 v10, 0x7f, v2
	s_mov_b64 s[4:5], 0
	s_branch .LBB345_48
.LBB345_47:                             ;   in Loop: Header=BB345_48 Depth=2
	s_or_b64 exec, exec, s[6:7]
	v_lshl_or_b32 v13, v11, 11, v86
	;;#ASMSTART
	s_waitcnt vmcnt(1)
	;;#ASMEND
	ds_write2_b32 v13, v4, v5 offset1:32
	ds_write2_b32 v13, v6, v7 offset0:64 offset1:96
	v_add_u32_e32 v4, 0x400, v13
	v_add_u32_e32 v89, s21, v89
	;;#ASMSTART
	s_waitcnt vmcnt(0)
	;;#ASMEND
	ds_write2_b32 v4, v0, v1 offset1:32
	ds_write2_b32 v4, v2, v3 offset0:64 offset1:96
	v_add_u32_e32 v0, 1, v63
	v_add_u32_e32 v56, s21, v11
	v_cmp_le_i32_e32 vcc, s10, v89
	ds_write_b32 v12, v0
	v_add_u32_e32 v0, 2, v63
	s_or_b64 s[4:5], vcc, s[4:5]
	v_cmp_lt_i32_e32 vcc, 19, v56
	s_nop 1
	v_cndmask_b32_e32 v63, v63, v0, vcc
	s_andn2_b64 exec, exec, s[4:5]
	s_cbranch_execz .LBB345_4
.LBB345_48:                             ;   Parent Loop BB345_7 Depth=1
                                        ; =>  This Loop Header: Depth=2
                                        ;       Child Loop BB345_50 Depth 3
	v_cmp_gt_i32_e32 vcc, 20, v56
	s_nop 1
	v_cndmask_b32_e64 v0, v88, 0, vcc
	v_add_u32_e32 v11, v0, v56
	v_ashrrev_i32_e32 v0, 31, v89
	v_lshrrev_b32_e32 v0, 30, v0
	v_add_u32_e32 v0, v89, v0
	v_and_b32_e32 v1, 0x7fffffc, v0
	v_sub_u32_e32 v1, v89, v1
	v_lshlrev_b32_e32 v1, 5, v1
	v_cmp_le_i32_e32 vcc, v1, v10
	v_lshlrev_b32_e32 v0, 4, v0
	v_and_b32_e32 v0, 0xffffffc0, v0
	v_cndmask_b32_e32 v2, 0, v1, vcc
	v_ashrrev_i32_e32 v1, 31, v0
	v_mul_lo_u32 v2, v2, s18
	v_lshl_add_u64 v[0:1], v[8:9], 0, v[0:1]
	v_ashrrev_i32_e32 v3, 31, v2
	v_lshl_add_u64 v[0:1], v[0:1], 0, v[2:3]
	v_lshlrev_b32_e32 v12, 2, v11
	;;#ASMSTART
	global_load_dwordx4 v[4:7], v[0:1], off offset:0   
	global_load_dwordx4 v[0:3], v[0:1], off offset:32  
	
	;;#ASMEND
	ds_read_b32 v13, v12 offset:61440
	v_add_u32_e32 v12, 0xf000, v12
	s_waitcnt lgkmcnt(0)
	v_cmp_ne_u32_e32 vcc, v13, v63
	s_and_saveexec_b64 s[6:7], vcc
	s_cbranch_execz .LBB345_47
; %bb.49:                               ;   in Loop: Header=BB345_48 Depth=2
	s_mov_b64 s[8:9], 0
.LBB345_50:                             ;   Parent Loop BB345_7 Depth=1
                                        ;     Parent Loop BB345_48 Depth=2
                                        ; =>    This Inner Loop Header: Depth=3
	;;#ASMSTART
	s_sleep 0
	;;#ASMEND
	ds_read_b32 v13, v12
	s_waitcnt lgkmcnt(0)
	v_cmp_eq_u32_e32 vcc, v13, v63
	s_or_b64 s[8:9], vcc, s[8:9]
	s_andn2_b64 exec, exec, s[8:9]
	s_cbranch_execnz .LBB345_50
	s_branch .LBB345_47
.LBB345_51:
	s_endpgm
	.section	.rodata,"a",@progbits
	.p2align	6, 0x0
	.amdhsa_kernel _Z19_skinny_gemm_kernelILi4ELi2ELi5ELi32ELi4EEvPKhS1_P6__halfPKfiiiiiiii
		.amdhsa_group_segment_fixed_size 61560
		.amdhsa_private_segment_fixed_size 0
		.amdhsa_kernarg_size 64
		.amdhsa_user_sgpr_count 2
		.amdhsa_user_sgpr_dispatch_ptr 0
		.amdhsa_user_sgpr_queue_ptr 0
		.amdhsa_user_sgpr_kernarg_segment_ptr 1
		.amdhsa_user_sgpr_dispatch_id 0
		.amdhsa_user_sgpr_kernarg_preload_length 0
		.amdhsa_user_sgpr_kernarg_preload_offset 0
		.amdhsa_user_sgpr_private_segment_size 0
		.amdhsa_uses_dynamic_stack 0
		.amdhsa_enable_private_segment 0
		.amdhsa_system_sgpr_workgroup_id_x 1
		.amdhsa_system_sgpr_workgroup_id_y 0
		.amdhsa_system_sgpr_workgroup_id_z 0
		.amdhsa_system_sgpr_workgroup_info 0
		.amdhsa_system_vgpr_workitem_id 0
		.amdhsa_next_free_vgpr 101
		.amdhsa_next_free_sgpr 100
		.amdhsa_accum_offset 104
		.amdhsa_reserve_vcc 1
		.amdhsa_float_round_mode_32 0
		.amdhsa_float_round_mode_16_64 0
		.amdhsa_float_denorm_mode_32 3
		.amdhsa_float_denorm_mode_16_64 3
		.amdhsa_dx10_clamp 1
		.amdhsa_ieee_mode 1
		.amdhsa_fp16_overflow 0
		.amdhsa_tg_split 0
		.amdhsa_exception_fp_ieee_invalid_op 0
		.amdhsa_exception_fp_denorm_src 0
		.amdhsa_exception_fp_ieee_div_zero 0
		.amdhsa_exception_fp_ieee_overflow 0
		.amdhsa_exception_fp_ieee_underflow 0
		.amdhsa_exception_fp_ieee_inexact 0
		.amdhsa_exception_int_div_zero 0
	.end_amdhsa_kernel
	.section	.text._Z19_skinny_gemm_kernelILi4ELi2ELi5ELi32ELi4EEvPKhS1_P6__halfPKfiiiiiiii,"axG",@progbits,_Z19_skinny_gemm_kernelILi4ELi2ELi5ELi32ELi4EEvPKhS1_P6__halfPKfiiiiiiii,comdat
.Lfunc_end345:
	.size	_Z19_skinny_gemm_kernelILi4ELi2ELi5ELi32ELi4EEvPKhS1_P6__halfPKfiiiiiiii, .Lfunc_end345-_Z19_skinny_gemm_kernelILi4ELi2ELi5ELi32ELi4EEvPKhS1_P6__halfPKfiiiiiiii
                                        ; -- End function
	.set _Z19_skinny_gemm_kernelILi4ELi2ELi5ELi32ELi4EEvPKhS1_P6__halfPKfiiiiiiii.num_vgpr, 101
	.set _Z19_skinny_gemm_kernelILi4ELi2ELi5ELi32ELi4EEvPKhS1_P6__halfPKfiiiiiiii.num_agpr, 0
	.set _Z19_skinny_gemm_kernelILi4ELi2ELi5ELi32ELi4EEvPKhS1_P6__halfPKfiiiiiiii.numbered_sgpr, 100
	.set _Z19_skinny_gemm_kernelILi4ELi2ELi5ELi32ELi4EEvPKhS1_P6__halfPKfiiiiiiii.num_named_barrier, 0
	.set _Z19_skinny_gemm_kernelILi4ELi2ELi5ELi32ELi4EEvPKhS1_P6__halfPKfiiiiiiii.private_seg_size, 0
	.set _Z19_skinny_gemm_kernelILi4ELi2ELi5ELi32ELi4EEvPKhS1_P6__halfPKfiiiiiiii.uses_vcc, 1
	.set _Z19_skinny_gemm_kernelILi4ELi2ELi5ELi32ELi4EEvPKhS1_P6__halfPKfiiiiiiii.uses_flat_scratch, 0
	.set _Z19_skinny_gemm_kernelILi4ELi2ELi5ELi32ELi4EEvPKhS1_P6__halfPKfiiiiiiii.has_dyn_sized_stack, 0
	.set _Z19_skinny_gemm_kernelILi4ELi2ELi5ELi32ELi4EEvPKhS1_P6__halfPKfiiiiiiii.has_recursion, 0
	.set _Z19_skinny_gemm_kernelILi4ELi2ELi5ELi32ELi4EEvPKhS1_P6__halfPKfiiiiiiii.has_indirect_call, 0
	.section	.AMDGPU.csdata,"",@progbits
; Kernel info:
; codeLenInByte = 9672
; TotalNumSgprs: 106
; NumVgprs: 101
; NumAgprs: 0
; TotalNumVgprs: 101
; ScratchSize: 0
; MemoryBound: 0
; FloatMode: 240
; IeeeMode: 1
; LDSByteSize: 61560 bytes/workgroup (compile time only)
; SGPRBlocks: 13
; VGPRBlocks: 12
; NumSGPRsForWavesPerEU: 106
; NumVGPRsForWavesPerEU: 101
; AccumOffset: 104
; Occupancy: 4
; WaveLimiterHint : 0
; COMPUTE_PGM_RSRC2:SCRATCH_EN: 0
; COMPUTE_PGM_RSRC2:USER_SGPR: 2
; COMPUTE_PGM_RSRC2:TRAP_HANDLER: 0
; COMPUTE_PGM_RSRC2:TGID_X_EN: 1
; COMPUTE_PGM_RSRC2:TGID_Y_EN: 0
; COMPUTE_PGM_RSRC2:TGID_Z_EN: 0
; COMPUTE_PGM_RSRC2:TIDIG_COMP_CNT: 0
; COMPUTE_PGM_RSRC3_GFX90A:ACCUM_OFFSET: 25
; COMPUTE_PGM_RSRC3_GFX90A:TG_SPLIT: 0
	.section	.text._Z19_skinny_gemm_kernelILi4ELi3ELi1ELi16ELi4EEvPKhS1_P6__halfPKfiiiiiiii,"axG",@progbits,_Z19_skinny_gemm_kernelILi4ELi3ELi1ELi16ELi4EEvPKhS1_P6__halfPKfiiiiiiii,comdat
	.protected	_Z19_skinny_gemm_kernelILi4ELi3ELi1ELi16ELi4EEvPKhS1_P6__halfPKfiiiiiiii ; -- Begin function _Z19_skinny_gemm_kernelILi4ELi3ELi1ELi16ELi4EEvPKhS1_P6__halfPKfiiiiiiii
	.globl	_Z19_skinny_gemm_kernelILi4ELi3ELi1ELi16ELi4EEvPKhS1_P6__halfPKfiiiiiiii
	.p2align	8
	.type	_Z19_skinny_gemm_kernelILi4ELi3ELi1ELi16ELi4EEvPKhS1_P6__halfPKfiiiiiiii,@function
_Z19_skinny_gemm_kernelILi4ELi3ELi1ELi16ELi4EEvPKhS1_P6__halfPKfiiiiiiii: ; @_Z19_skinny_gemm_kernelILi4ELi3ELi1ELi16ELi4EEvPKhS1_P6__halfPKfiiiiiiii
; %bb.0:
	v_cmp_gt_u32_e32 vcc, 7, v0
	v_lshlrev_b32_e32 v1, 2, v0
	s_and_saveexec_b64 s[4:5], vcc
; %bb.1:
	v_mov_b32_e32 v2, 0
	ds_write_b32 v1, v2 offset:14336
; %bb.2:
	s_or_b64 exec, exec, s[4:5]
	s_load_dwordx8 s[20:27], s[0:1], 0x20
	s_waitcnt lgkmcnt(0)
	s_barrier
	s_add_i32 s3, s20, 63
	s_ashr_i32 s5, s3, 31
	s_add_i32 s4, s21, 47
	s_lshr_b32 s5, s5, 26
	s_mul_hi_i32 s4, s4, 0x2aaaaaab
	s_add_i32 s3, s3, s5
	s_ashr_i32 s33, s3, 6
	s_lshr_b32 s3, s4, 31
	s_ashr_i32 s50, s4, 3
	s_add_i32 s50, s50, s3
	s_mul_i32 s3, s50, s33
	s_mul_i32 s3, s3, s24
	s_add_i32 s4, s3, 0x12f
	s_mul_hi_i32 s4, s4, 0x6bca1af3
	s_lshr_b32 s5, s4, 31
	s_ashr_i32 s4, s4, 7
	s_add_i32 s4, s4, s5
	s_add_i32 s5, s2, 1
	s_mul_i32 s5, s4, s5
	v_cvt_f64_i32_e32 v[2:3], s3
	v_cvt_f64_u32_e32 v[4:5], s5
	v_min_f64 v[2:3], v[2:3], v[4:5]
	v_cvt_i32_f64_e32 v49, v[2:3]
	s_mul_i32 s51, s4, s2
	v_cmp_ge_i32_e32 vcc, s51, v49
	s_cbranch_vccnz .LBB346_63
; %bb.3:
	v_lshrrev_b32_e32 v2, 6, v0
	s_add_i32 s4, s26, s25
	s_load_dwordx8 s[36:43], s[0:1], 0x0
	v_cmp_le_i32_e64 s[0:1], s4, v2
	v_mov_b32_e32 v3, s25
	v_cmp_le_i32_e64 s[2:3], s25, v2
	v_mov_b32_e32 v4, s26
	v_cndmask_b32_e64 v4, 0, v4, s[0:1]
	v_cndmask_b32_e64 v3, 0, v3, s[2:3]
	s_abs_i32 s5, s24
	v_add_u32_e32 v3, v3, v4
	v_cvt_f32_u32_e32 v4, s5
	v_sub_u32_e32 v64, v2, v3
	s_ashr_i32 s6, s22, 31
	s_lshr_b32 s6, s6, 25
	v_rcp_iflag_f32_e32 v3, v4
	s_sub_i32 s9, 0, s5
	s_add_i32 s6, s22, s6
	s_ashr_i32 s6, s6, 7
	v_mul_f32_e32 v3, 0x4f7ffffe, v3
	v_cvt_u32_f32_e32 v3, v3
	s_abs_i32 s8, s6
	s_xor_b32 s7, s6, s24
	s_ashr_i32 s7, s7, 31
	v_readfirstlane_b32 s10, v3
	s_mul_i32 s9, s9, s10
	s_mul_hi_u32 s9, s10, s9
	s_add_i32 s10, s10, s9
	s_mul_hi_u32 s9, s8, s10
	s_mul_i32 s10, s9, s5
	s_sub_i32 s8, s8, s10
	s_add_i32 s10, s9, 1
	s_sub_i32 s11, s8, s5
	s_cmp_ge_u32 s8, s5
	s_cselect_b32 s9, s10, s9
	s_cselect_b32 s8, s11, s8
	s_add_i32 s10, s9, 1
	s_cmp_ge_u32 s8, s5
	s_cselect_b32 s5, s10, s9
	s_xor_b32 s5, s5, s7
	s_sub_i32 s52, s5, s7
	s_add_i32 s24, s24, -1
	s_mul_i32 s5, s52, s24
	s_add_i32 s4, s4, s27
	s_sub_i32 s53, s6, s5
	v_cmp_gt_i32_e64 s[4:5], s4, v2
	v_lshlrev_b32_e32 v2, 1, v0
	v_lshlrev_b32_e32 v3, 4, v0
	v_and_b32_e32 v1, 60, v1
	v_and_b32_e32 v2, 64, v2
	;; [unrolled: 1-line block ×3, first 2 shown]
	v_or3_b32 v101, v1, v2, v4
	v_and_b32_e32 v1, 1, v0
	v_lshrrev_b32_e32 v4, 2, v0
	s_abs_i32 s54, s33
	v_and_or_b32 v107, v4, 12, v1
	v_cvt_f32_u32_e32 v4, s54
	v_lshlrev_b32_e32 v2, 1, v1
	v_and_b32_e32 v48, 14, v0
	v_sub_u32_e32 v2, v0, v2
	v_bitop3_b32 v103, v0, 1, v0 bitop3:0xc
	v_bitop3_b32 v104, v0, 3, 1 bitop3:0x6c
	v_and_b32_e32 v58, 48, v3
	v_bfe_u32 v111, v0, 2, 4
	v_and_b32_e32 v1, 60, v0
	v_lshlrev_b32_e32 v3, 8, v0
	v_lshlrev_b32_e32 v0, 6, v0
	v_and_b32_e32 v3, 0x200, v3
	v_and_b32_e32 v0, 64, v0
	v_or3_b32 v112, v1, v3, v0
	v_rcp_iflag_f32_e32 v0, v4
	s_abs_i32 s56, s50
	v_cvt_f32_u32_e32 v1, s56
	v_mad_u64_u32 v[50:51], s[6:7], s21, v107, v[48:49]
	v_mul_f32_e32 v0, 0x4f7ffffe, v0
	v_cvt_u32_f32_e32 v0, v0
	v_rcp_iflag_f32_e32 v1, v1
	s_lshl_b32 s6, s21, 4
	v_add_u32_e32 v52, s6, v50
	v_readfirstlane_b32 s7, v0
	v_mul_f32_e32 v0, 0x4f7ffffe, v1
	v_add_u32_e32 v54, s6, v52
	v_cvt_u32_f32_e32 v0, v0
	v_add_u32_e32 v56, s6, v54
	s_sub_i32 s6, 0, s54
	s_mul_i32 s6, s6, s7
	s_mul_hi_u32 s6, s7, s6
	v_add_u32_e32 v2, 1, v2
	s_add_i32 s58, s7, s6
	s_sub_i32 s6, 0, s56
	v_readfirstlane_b32 s7, v0
	v_mbcnt_lo_u32_b32 v0, -1, 0
	v_and_b32_e32 v2, 63, v2
	s_mul_i32 s6, s6, s7
	v_mbcnt_hi_u32_b32 v0, -1, v0
	v_mul_lo_u32 v60, s23, v111
	s_mul_hi_u32 s6, s7, s6
	v_and_or_b32 v0, v0, 64, v2
	v_cndmask_b32_e64 v100, 0, 1, s[0:1]
	v_or_b32_e32 v102, 0x2000, v101
	s_ashr_i32 s29, s21, 31
	s_mov_b32 s28, s21
	v_or_b32_e32 v105, 16, v48
	v_or_b32_e32 v106, 32, v48
	v_ashrrev_i32_e32 v51, 31, v50
	v_or_b32_e32 v108, 16, v107
	v_ashrrev_i32_e32 v53, 31, v52
	;; [unrolled: 2-line block ×4, first 2 shown]
	v_ashrrev_i32_e32 v61, 31, v60
	v_mov_b32_e32 v59, 0
	v_or_b32_e32 v113, 0x2000, v112
	s_lshl_b32 s55, s23, 4
	v_mul_lo_u32 v114, s22, v111
	s_ashr_i32 s57, s33, 31
	s_ashr_i32 s59, s50, 31
	s_add_i32 s60, s7, s6
	s_movk_i32 s61, 0x1800
	s_mov_b32 s62, 0x55555556
	v_lshlrev_b32_e32 v115, 2, v0
	v_mov_b32_e32 v116, v64
	s_branch .LBB346_7
.LBB346_4:                              ;   in Loop: Header=BB346_7 Depth=1
	s_or_b64 exec, exec, s[10:11]
.LBB346_5:                              ;   in Loop: Header=BB346_7 Depth=1
	s_or_b64 exec, exec, s[8:9]
	v_subrev_u32_e32 v116, s16, v116
.LBB346_6:                              ;   in Loop: Header=BB346_7 Depth=1
	s_or_b64 exec, exec, s[6:7]
	s_add_i32 s51, s51, 1
	v_cmp_ge_i32_e32 vcc, s51, v49
	s_cbranch_vccnz .LBB346_63
.LBB346_7:                              ; =>This Loop Header: Depth=1
                                        ;     Child Loop BB346_13 Depth 2
                                        ;       Child Loop BB346_15 Depth 3
                                        ;       Child Loop BB346_18 Depth 3
	;; [unrolled: 1-line block ×7, first 2 shown]
                                        ;     Child Loop BB346_50 Depth 2
                                        ;       Child Loop BB346_52 Depth 3
                                        ;     Child Loop BB346_60 Depth 2
                                        ;       Child Loop BB346_62 Depth 3
	s_abs_i32 s7, s51
	s_mul_hi_u32 s8, s7, s58
	s_mul_i32 s9, s8, s54
	s_ashr_i32 s6, s51, 31
	s_sub_i32 s7, s7, s9
	s_xor_b32 s6, s6, s57
	s_add_i32 s9, s8, 1
	s_sub_i32 s10, s7, s54
	s_cmp_ge_u32 s7, s54
	s_cselect_b32 s8, s9, s8
	s_cselect_b32 s7, s10, s7
	s_add_i32 s9, s8, 1
	s_cmp_ge_u32 s7, s54
	s_cselect_b32 s7, s9, s8
	s_xor_b32 s7, s7, s6
	s_sub_i32 s6, s7, s6
	s_abs_i32 s8, s6
	s_mul_i32 s7, s6, s33
	s_mul_hi_u32 s9, s8, s60
	s_sub_i32 s7, s51, s7
	s_mul_i32 s10, s9, s56
	s_lshl_b32 s63, s7, 6
	s_ashr_i32 s7, s6, 31
	s_sub_i32 s8, s8, s10
	s_xor_b32 s7, s7, s59
	s_add_i32 s10, s9, 1
	s_sub_i32 s11, s8, s56
	s_cmp_ge_u32 s8, s56
	s_cselect_b32 s9, s10, s9
	s_cselect_b32 s8, s11, s8
	s_add_i32 s10, s9, 1
	s_cmp_ge_u32 s8, s56
	s_cselect_b32 s8, s10, s9
	s_xor_b32 s8, s8, s7
	s_sub_i32 s7, s8, s7
	s_mul_i32 s8, s7, s52
	s_lshl_b32 s64, s8, 7
	s_cmp_eq_u32 s7, s24
	s_cselect_b32 s66, s53, s52
	s_sub_i32 s8, s63, s20
	s_add_i32 s8, s8, 64
	s_max_i32 s65, s8, 0
	s_and_saveexec_b64 s[8:9], s[2:3]
	s_xor_b64 s[30:31], exec, s[8:9]
	s_cbranch_execz .LBB346_56
; %bb.8:                                ;   in Loop: Header=BB346_7 Depth=1
	s_mul_i32 s7, s7, s50
	s_sub_i32 s6, s6, s7
	s_mul_i32 s6, s6, 48
	s_sub_i32 s18, s6, s21
	s_add_i32 s18, s18, 48
	s_max_i32 s7, s18, 0
	s_sub_i32 s34, s6, s7
	s_and_saveexec_b64 s[6:7], s[0:1]
	s_xor_b64 s[44:45], exec, s[6:7]
	s_cbranch_execz .LBB346_46
; %bb.9:                                ;   in Loop: Header=BB346_7 Depth=1
	s_and_saveexec_b64 s[46:47], s[4:5]
	s_cbranch_execz .LBB346_45
; %bb.10:                               ;   in Loop: Header=BB346_7 Depth=1
	s_waitcnt lgkmcnt(0)
	global_load_dword v117, v59, s[42:43]
	v_mov_b32_e32 v47, 0
	v_cmp_gt_i32_e32 vcc, s66, v116
	v_mov_b32_e32 v46, v47
	v_mov_b32_e32 v45, v47
	v_mov_b32_e32 v44, v47
	v_mov_b32_e32 v43, v47
	v_mov_b32_e32 v42, v47
	v_mov_b32_e32 v41, v47
	v_mov_b32_e32 v40, v47
	v_mov_b32_e32 v39, v47
	v_mov_b32_e32 v38, v47
	v_mov_b32_e32 v37, v47
	v_mov_b32_e32 v36, v47
	v_mov_b32_e32 v35, v47
	v_mov_b32_e32 v34, v47
	v_mov_b32_e32 v33, v47
	v_mov_b32_e32 v32, v47
	v_mov_b32_e32 v31, v47
	v_mov_b32_e32 v30, v47
	v_mov_b32_e32 v29, v47
	v_mov_b32_e32 v28, v47
	v_mov_b32_e32 v27, v47
	v_mov_b32_e32 v26, v47
	v_mov_b32_e32 v25, v47
	v_mov_b32_e32 v24, v47
	v_mov_b32_e32 v23, v47
	v_mov_b32_e32 v22, v47
	v_mov_b32_e32 v21, v47
	v_mov_b32_e32 v20, v47
	v_mov_b32_e32 v19, v47
	v_mov_b32_e32 v18, v47
	v_mov_b32_e32 v17, v47
	v_mov_b32_e32 v16, v47
	v_mov_b32_e32 v15, v47
	v_mov_b32_e32 v14, v47
	v_mov_b32_e32 v13, v47
	v_mov_b32_e32 v12, v47
	v_mov_b32_e32 v11, v47
	v_mov_b32_e32 v10, v47
	v_mov_b32_e32 v9, v47
	v_mov_b32_e32 v8, v47
	v_mov_b32_e32 v3, v47
	v_mov_b32_e32 v2, v47
	v_mov_b32_e32 v1, v47
	v_mov_b32_e32 v0, v47
	v_mov_b32_e32 v7, v47
	v_mov_b32_e32 v6, v47
	v_mov_b32_e32 v5, v47
	v_mov_b32_e32 v4, v47
	s_and_saveexec_b64 s[6:7], vcc
	s_cbranch_execz .LBB346_35
; %bb.11:                               ;   in Loop: Header=BB346_7 Depth=1
	v_mov_b32_e32 v4, 0
	s_mov_b64 s[8:9], 0
	v_mov_b32_e32 v5, v4
	v_mov_b32_e32 v6, v4
	;; [unrolled: 1-line block ×47, first 2 shown]
	s_branch .LBB346_13
.LBB346_12:                             ;   in Loop: Header=BB346_13 Depth=2
	s_or_b64 exec, exec, s[10:11]
	v_add_u32_e32 v82, 0x1000, v121
	ds_read2_b32 v[80:81], v82 offset1:32
	v_add_u32_e32 v84, 0x1400, v121
	v_add_u32_e32 v116, s27, v116
	s_waitcnt lgkmcnt(0)
	v_mfma_f32_16x16x32_fp8_fp8 v[36:39], v[62:63], v[80:81], v[36:39]
	ds_read2_b32 v[62:63], v82 offset0:128 offset1:160
	ds_read2_b32 v[82:83], v84 offset1:32
	v_mfma_f32_16x16x32_fp8_fp8 v[24:27], v[70:71], v[80:81], v[24:27]
	v_mfma_f32_16x16x32_fp8_fp8 v[12:15], v[86:87], v[80:81], v[12:15]
	;; [unrolled: 1-line block ×3, first 2 shown]
	s_waitcnt lgkmcnt(1)
	v_mfma_f32_16x16x32_fp8_fp8 v[36:39], v[64:65], v[62:63], v[36:39]
	v_add_u32_e32 v64, s27, v118
	v_cmp_lt_i32_e32 vcc, 0, v64
	v_mfma_f32_16x16x32_fp8_fp8 v[24:27], v[72:73], v[62:63], v[24:27]
	v_mfma_f32_16x16x32_fp8_fp8 v[12:15], v[88:89], v[62:63], v[12:15]
	;; [unrolled: 1-line block ×3, first 2 shown]
	v_add_u32_e32 v62, 2, v100
	v_cndmask_b32_e32 v100, v100, v62, vcc
	v_cmp_le_i32_e32 vcc, s66, v116
	s_waitcnt lgkmcnt(0)
	v_mfma_f32_16x16x32_fp8_fp8 v[36:39], v[66:67], v[82:83], v[36:39]
	ds_read2_b32 v[66:67], v84 offset0:128 offset1:160
	s_or_b64 s[8:9], vcc, s[8:9]
	;;#ASMSTART
	s_waitcnt lgkmcnt(0)
	;;#ASMEND
	v_mfma_f32_16x16x32_fp8_fp8 v[24:27], v[74:75], v[82:83], v[24:27]
	ds_write_b32 v119, v120 offset:14360
	v_mfma_f32_16x16x32_fp8_fp8 v[12:15], v[90:91], v[82:83], v[12:15]
	v_mfma_f32_16x16x32_fp8_fp8 v[4:7], v[98:99], v[82:83], v[4:7]
	s_waitcnt lgkmcnt(1)
	v_mfma_f32_16x16x32_fp8_fp8 v[36:39], v[68:69], v[66:67], v[36:39]
	v_mfma_f32_16x16x32_fp8_fp8 v[24:27], v[76:77], v[66:67], v[24:27]
	;; [unrolled: 1-line block ×4, first 2 shown]
	s_andn2_b64 exec, exec, s[8:9]
	s_cbranch_execz .LBB346_34
.LBB346_13:                             ;   Parent Loop BB346_7 Depth=1
                                        ; =>  This Loop Header: Depth=2
                                        ;       Child Loop BB346_15 Depth 3
                                        ;       Child Loop BB346_18 Depth 3
	;; [unrolled: 1-line block ×7, first 2 shown]
	v_cmp_lt_i32_e32 vcc, 0, v64
	s_nop 1
	v_subbrev_co_u32_e32 v118, vcc, 0, v64, vcc
	v_mul_lo_u32 v119, v118, 12
	ds_read_b32 v62, v119 offset:14352
	s_waitcnt lgkmcnt(0)
	v_cmp_ne_u32_e32 vcc, v62, v100
	s_and_saveexec_b64 s[10:11], vcc
	s_cbranch_execz .LBB346_16
; %bb.14:                               ;   in Loop: Header=BB346_13 Depth=2
	s_mov_b64 s[12:13], 0
.LBB346_15:                             ;   Parent Loop BB346_7 Depth=1
                                        ;     Parent Loop BB346_13 Depth=2
                                        ; =>    This Inner Loop Header: Depth=3
	;;#ASMSTART
	s_sleep 0
	;;#ASMEND
	ds_read_b32 v62, v119 offset:14352
	s_waitcnt lgkmcnt(0)
	v_cmp_eq_u32_e32 vcc, v62, v100
	s_or_b64 s[12:13], vcc, s[12:13]
	s_andn2_b64 exec, exec, s[12:13]
	s_cbranch_execnz .LBB346_15
.LBB346_16:                             ;   in Loop: Header=BB346_13 Depth=2
	s_or_b64 exec, exec, s[10:11]
	v_mul_lo_u32 v62, v118, s61
	v_add_u32_e32 v121, v102, v62
	v_add_u32_e32 v62, 0x400, v121
	;; [unrolled: 1-line block ×3, first 2 shown]
	ds_read2_b32 v[78:79], v121 offset1:32
	ds_read2_b32 v[80:81], v121 offset0:128 offset1:160
	ds_read2_b32 v[84:85], v62 offset1:32
	ds_read2_b32 v[82:83], v62 offset0:128 offset1:160
	;;#ASMSTART
	s_waitcnt lgkmcnt(0)
	;;#ASMEND
	ds_write_b32 v119, v120 offset:14352
	v_lshlrev_b32_e32 v122, 4, v118
	ds_read_b32 v62, v122 offset:14336
	s_waitcnt lgkmcnt(0)
	v_cmp_ne_u32_e32 vcc, v62, v100
	s_and_saveexec_b64 s[10:11], vcc
	s_cbranch_execz .LBB346_19
; %bb.17:                               ;   in Loop: Header=BB346_13 Depth=2
	s_mov_b64 s[12:13], 0
.LBB346_18:                             ;   Parent Loop BB346_7 Depth=1
                                        ;     Parent Loop BB346_13 Depth=2
                                        ; =>    This Inner Loop Header: Depth=3
	;;#ASMSTART
	s_sleep 0
	;;#ASMEND
	ds_read_b32 v62, v122 offset:14336
	s_waitcnt lgkmcnt(0)
	v_cmp_eq_u32_e32 vcc, v62, v100
	s_or_b64 s[12:13], vcc, s[12:13]
	s_andn2_b64 exec, exec, s[12:13]
	s_cbranch_execnz .LBB346_18
.LBB346_19:                             ;   in Loop: Header=BB346_13 Depth=2
	s_or_b64 exec, exec, s[10:11]
	v_lshlrev_b32_e32 v70, 13, v118
	v_or_b32_e32 v66, v101, v70
	ds_read2_b32 v[62:63], v66 offset1:32
	ds_read2_b32 v[64:65], v66 offset0:128 offset1:160
	v_add_u32_e32 v68, 0x400, v66
	ds_read2_b32 v[66:67], v68 offset1:32
	ds_read2_b32 v[68:69], v68 offset0:128 offset1:160
	ds_read_b32 v71, v122 offset:14340
	ds_write_b32 v122, v120 offset:14336
	s_waitcnt lgkmcnt(5)
	v_mfma_f32_16x16x32_fp8_fp8 v[44:47], v[62:63], v[78:79], v[44:47]
	s_waitcnt lgkmcnt(1)
	v_cmp_ne_u32_e32 vcc, v71, v100
	v_mfma_f32_16x16x32_fp8_fp8 v[44:47], v[64:65], v[80:81], v[44:47]
	v_mfma_f32_16x16x32_fp8_fp8 v[44:47], v[66:67], v[84:85], v[44:47]
	;; [unrolled: 1-line block ×3, first 2 shown]
	s_and_saveexec_b64 s[10:11], vcc
	s_cbranch_execz .LBB346_22
; %bb.20:                               ;   in Loop: Header=BB346_13 Depth=2
	s_mov_b64 s[12:13], 0
.LBB346_21:                             ;   Parent Loop BB346_7 Depth=1
                                        ;     Parent Loop BB346_13 Depth=2
                                        ; =>    This Inner Loop Header: Depth=3
	;;#ASMSTART
	s_sleep 0
	;;#ASMEND
	ds_read_b32 v71, v122 offset:14340
	s_waitcnt lgkmcnt(0)
	v_cmp_eq_u32_e32 vcc, v71, v100
	s_or_b64 s[12:13], vcc, s[12:13]
	s_andn2_b64 exec, exec, s[12:13]
	s_cbranch_execnz .LBB346_21
.LBB346_22:                             ;   in Loop: Header=BB346_13 Depth=2
	s_or_b64 exec, exec, s[10:11]
	v_add_u32_e32 v98, v101, v70
	v_add_u32_e32 v72, 0x800, v98
	ds_read2_b32 v[70:71], v72 offset1:32
	ds_read2_b32 v[72:73], v72 offset0:128 offset1:160
	v_add_u32_e32 v76, 0xc00, v98
	ds_read2_b32 v[74:75], v76 offset1:32
	ds_read2_b32 v[76:77], v76 offset0:128 offset1:160
	ds_read_b32 v86, v122 offset:14344
	ds_write_b32 v122, v120 offset:14340
	s_waitcnt lgkmcnt(5)
	v_mfma_f32_16x16x32_fp8_fp8 v[32:35], v[70:71], v[78:79], v[32:35]
	s_waitcnt lgkmcnt(1)
	v_cmp_ne_u32_e32 vcc, v86, v100
	v_mfma_f32_16x16x32_fp8_fp8 v[32:35], v[72:73], v[80:81], v[32:35]
	v_mfma_f32_16x16x32_fp8_fp8 v[32:35], v[74:75], v[84:85], v[32:35]
	v_mfma_f32_16x16x32_fp8_fp8 v[32:35], v[76:77], v[82:83], v[32:35]
	s_and_saveexec_b64 s[10:11], vcc
	s_cbranch_execz .LBB346_25
; %bb.23:                               ;   in Loop: Header=BB346_13 Depth=2
	s_mov_b64 s[12:13], 0
.LBB346_24:                             ;   Parent Loop BB346_7 Depth=1
                                        ;     Parent Loop BB346_13 Depth=2
                                        ; =>    This Inner Loop Header: Depth=3
	;;#ASMSTART
	s_sleep 0
	;;#ASMEND
	ds_read_b32 v86, v122 offset:14344
	s_waitcnt lgkmcnt(0)
	v_cmp_eq_u32_e32 vcc, v86, v100
	s_or_b64 s[12:13], vcc, s[12:13]
	s_andn2_b64 exec, exec, s[12:13]
	s_cbranch_execnz .LBB346_24
.LBB346_25:                             ;   in Loop: Header=BB346_13 Depth=2
	s_or_b64 exec, exec, s[10:11]
	v_add_u32_e32 v88, 0x1000, v98
	ds_read2_b32 v[86:87], v88 offset1:32
	ds_read2_b32 v[88:89], v88 offset0:128 offset1:160
	v_add_u32_e32 v92, 0x1400, v98
	ds_read2_b32 v[90:91], v92 offset1:32
	ds_read2_b32 v[92:93], v92 offset0:128 offset1:160
	ds_read_b32 v94, v122 offset:14348
	ds_write_b32 v122, v120 offset:14344
	s_waitcnt lgkmcnt(5)
	v_mfma_f32_16x16x32_fp8_fp8 v[20:23], v[86:87], v[78:79], v[20:23]
	s_waitcnt lgkmcnt(1)
	v_cmp_ne_u32_e32 vcc, v94, v100
	v_mfma_f32_16x16x32_fp8_fp8 v[20:23], v[88:89], v[80:81], v[20:23]
	v_mfma_f32_16x16x32_fp8_fp8 v[20:23], v[90:91], v[84:85], v[20:23]
	;; [unrolled: 1-line block ×3, first 2 shown]
	s_and_saveexec_b64 s[10:11], vcc
	s_cbranch_execz .LBB346_28
; %bb.26:                               ;   in Loop: Header=BB346_13 Depth=2
	s_mov_b64 s[12:13], 0
.LBB346_27:                             ;   Parent Loop BB346_7 Depth=1
                                        ;     Parent Loop BB346_13 Depth=2
                                        ; =>    This Inner Loop Header: Depth=3
	;;#ASMSTART
	s_sleep 0
	;;#ASMEND
	ds_read_b32 v94, v122 offset:14348
	s_waitcnt lgkmcnt(0)
	v_cmp_eq_u32_e32 vcc, v94, v100
	s_or_b64 s[12:13], vcc, s[12:13]
	s_andn2_b64 exec, exec, s[12:13]
	s_cbranch_execnz .LBB346_27
.LBB346_28:                             ;   in Loop: Header=BB346_13 Depth=2
	s_or_b64 exec, exec, s[10:11]
	v_add_u32_e32 v96, 0x1800, v98
	ds_read2_b32 v[94:95], v96 offset1:32
	ds_read2_b32 v[96:97], v96 offset0:128 offset1:160
	v_add_u32_e32 v123, 0x1c00, v98
	ds_read2_b32 v[98:99], v123 offset1:32
	ds_write_b32 v122, v120 offset:14348
	s_waitcnt lgkmcnt(3)
	v_mfma_f32_16x16x32_fp8_fp8 v[8:11], v[94:95], v[78:79], v[8:11]
	ds_read2_b32 v[78:79], v123 offset0:128 offset1:160
	s_waitcnt lgkmcnt(3)
	v_mfma_f32_16x16x32_fp8_fp8 v[8:11], v[96:97], v[80:81], v[8:11]
	ds_read_b32 v80, v119 offset:14356
	s_waitcnt lgkmcnt(0)
	v_cmp_ne_u32_e32 vcc, v80, v100
	v_mfma_f32_16x16x32_fp8_fp8 v[8:11], v[98:99], v[84:85], v[8:11]
	v_mfma_f32_16x16x32_fp8_fp8 v[8:11], v[78:79], v[82:83], v[8:11]
	s_and_saveexec_b64 s[10:11], vcc
	s_cbranch_execz .LBB346_31
; %bb.29:                               ;   in Loop: Header=BB346_13 Depth=2
	s_mov_b64 s[12:13], 0
.LBB346_30:                             ;   Parent Loop BB346_7 Depth=1
                                        ;     Parent Loop BB346_13 Depth=2
                                        ; =>    This Inner Loop Header: Depth=3
	;;#ASMSTART
	s_sleep 0
	;;#ASMEND
	ds_read_b32 v80, v119 offset:14356
	s_waitcnt lgkmcnt(0)
	v_cmp_eq_u32_e32 vcc, v80, v100
	s_or_b64 s[12:13], vcc, s[12:13]
	s_andn2_b64 exec, exec, s[12:13]
	s_cbranch_execnz .LBB346_30
.LBB346_31:                             ;   in Loop: Header=BB346_13 Depth=2
	s_or_b64 exec, exec, s[10:11]
	v_add_u32_e32 v82, 0x800, v121
	ds_read2_b32 v[80:81], v82 offset1:32
	ds_read2_b32 v[82:83], v82 offset0:128 offset1:160
	v_add_u32_e32 v122, 0xc00, v121
	ds_read2_b32 v[84:85], v122 offset1:32
	ds_read2_b32 v[122:123], v122 offset0:128 offset1:160
	s_waitcnt lgkmcnt(3)
	v_mfma_f32_16x16x32_fp8_fp8 v[40:43], v[62:63], v[80:81], v[40:43]
	;;#ASMSTART
	s_waitcnt lgkmcnt(0)
	;;#ASMEND
	ds_write_b32 v119, v120 offset:14356
	v_mfma_f32_16x16x32_fp8_fp8 v[28:31], v[70:71], v[80:81], v[28:31]
	v_mfma_f32_16x16x32_fp8_fp8 v[16:19], v[86:87], v[80:81], v[16:19]
	v_mfma_f32_16x16x32_fp8_fp8 v[0:3], v[94:95], v[80:81], v[0:3]
	ds_read_b32 v80, v119 offset:14360
	s_waitcnt lgkmcnt(0)
	v_cmp_ne_u32_e32 vcc, v80, v100
	v_mfma_f32_16x16x32_fp8_fp8 v[40:43], v[64:65], v[82:83], v[40:43]
	v_mfma_f32_16x16x32_fp8_fp8 v[28:31], v[72:73], v[82:83], v[28:31]
	;; [unrolled: 1-line block ×12, first 2 shown]
	s_and_saveexec_b64 s[10:11], vcc
	s_cbranch_execz .LBB346_12
; %bb.32:                               ;   in Loop: Header=BB346_13 Depth=2
	s_mov_b64 s[12:13], 0
.LBB346_33:                             ;   Parent Loop BB346_7 Depth=1
                                        ;     Parent Loop BB346_13 Depth=2
                                        ; =>    This Inner Loop Header: Depth=3
	;;#ASMSTART
	s_sleep 0
	;;#ASMEND
	ds_read_b32 v80, v119 offset:14360
	s_waitcnt lgkmcnt(0)
	v_cmp_eq_u32_e32 vcc, v80, v100
	s_or_b64 s[12:13], vcc, s[12:13]
	s_andn2_b64 exec, exec, s[12:13]
	s_cbranch_execnz .LBB346_33
	s_branch .LBB346_12
.LBB346_34:                             ;   in Loop: Header=BB346_7 Depth=1
	s_or_b64 exec, exec, s[8:9]
.LBB346_35:                             ;   in Loop: Header=BB346_7 Depth=1
	s_or_b64 exec, exec, s[6:7]
	v_cmp_le_i32_e32 vcc, s18, v48
	v_cmp_eq_u32_e64 s[6:7], 2, v103
	v_cmp_eq_u32_e64 s[8:9], 3, v103
	s_waitcnt vmcnt(0)
	v_cndmask_b32_e32 v62, 0, v117, vcc
	v_pk_mul_f32 v[44:45], v[62:63], v[44:45] op_sel_hi:[0,1]
	v_cmp_eq_u32_e32 vcc, 1, v103
	v_pk_mul_f32 v[66:67], v[62:63], v[46:47] op_sel_hi:[0,1]
	v_cmp_eq_u32_e64 s[10:11], 0, v103
	v_cndmask_b32_e32 v46, v44, v45, vcc
	v_cndmask_b32_e64 v46, v46, v66, s[6:7]
	v_cndmask_b32_e64 v46, v46, v67, s[8:9]
	ds_bpermute_b32 v63, v115, v46
	v_cmp_le_i32_e64 s[14:15], s18, v105
	v_cmp_eq_u32_e64 s[12:13], 1, v104
	v_cmp_le_i32_e64 s[18:19], s18, v106
	v_cmp_eq_u32_e64 s[16:17], 3, v104
	s_waitcnt lgkmcnt(0)
	v_cndmask_b32_e64 v46, v67, v63, s[8:9]
	v_cndmask_b32_e64 v47, v66, v63, s[6:7]
	v_cndmask_b32_e32 v45, v45, v63, vcc
	v_cndmask_b32_e64 v63, v44, v63, s[10:11]
	v_cndmask_b32_e64 v44, 0, v117, s[14:15]
	v_pk_mul_f32 v[40:41], v[44:45], v[40:41] op_sel_hi:[0,1]
	v_pk_mul_f32 v[66:67], v[44:45], v[42:43] op_sel_hi:[0,1]
	v_cndmask_b32_e32 v42, v40, v41, vcc
	v_cndmask_b32_e64 v42, v42, v66, s[6:7]
	v_cndmask_b32_e64 v42, v42, v67, s[8:9]
	ds_bpermute_b32 v69, v115, v42
	v_cndmask_b32_e64 v65, v63, v45, s[12:13]
	v_cmp_eq_u32_e64 s[14:15], 2, v104
	s_waitcnt lgkmcnt(0)
	v_cndmask_b32_e64 v43, v67, v69, s[8:9]
	v_cndmask_b32_e64 v42, v65, v47, s[14:15]
	v_cndmask_b32_e64 v65, v66, v69, s[6:7]
	v_cndmask_b32_e32 v68, v41, v69, vcc
	v_cndmask_b32_e64 v69, v40, v69, s[10:11]
	v_cndmask_b32_e64 v40, 0, v117, s[18:19]
	v_pk_mul_f32 v[70:71], v[40:41], v[36:37] op_sel_hi:[0,1]
	v_pk_mul_f32 v[66:67], v[40:41], v[38:39] op_sel_hi:[0,1]
	v_cndmask_b32_e32 v36, v70, v71, vcc
	v_cndmask_b32_e64 v36, v36, v66, s[6:7]
	v_cndmask_b32_e64 v36, v36, v67, s[8:9]
	ds_bpermute_b32 v37, v115, v36
	v_cndmask_b32_e64 v36, v69, v68, s[12:13]
	v_cndmask_b32_e64 v36, v36, v65, s[14:15]
	;; [unrolled: 1-line block ×3, first 2 shown]
	v_cmp_ne_u32_e32 vcc, 0, v103
	ds_bpermute_b32 v38, v115, v36
	s_waitcnt lgkmcnt(1)
	v_cndmask_b32_e64 v39, v67, v37, s[8:9]
	v_cndmask_b32_e64 v66, v66, v37, s[6:7]
	v_cndmask_b32_e32 v36, v71, v37, vcc
	v_cndmask_b32_e64 v37, v70, v37, s[10:11]
	v_cndmask_b32_e64 v41, v37, v36, s[12:13]
	;; [unrolled: 1-line block ×5, first 2 shown]
	ds_bpermute_b32 v42, v115, v42
	ds_bpermute_b32 v67, v115, v41
	v_add_u32_e32 v41, s65, v107
	v_cmp_gt_u32_e32 vcc, 64, v41
	s_and_saveexec_b64 s[18:19], vcc
	s_cbranch_execz .LBB346_44
; %bb.36:                               ;   in Loop: Header=BB346_7 Depth=1
	v_cmp_eq_u32_e64 s[8:9], 1, v104
	v_cmp_eq_u32_e64 s[10:11], 0, v104
	v_cmp_eq_u32_e32 vcc, 3, v104
	s_waitcnt lgkmcnt(1)
	v_cndmask_b32_e64 v45, v45, v42, s[8:9]
	v_cndmask_b32_e64 v68, v68, v38, s[8:9]
	s_waitcnt lgkmcnt(0)
	v_cndmask_b32_e64 v70, v36, v67, s[8:9]
	s_mul_i32 s8, s63, s21
	s_ashr_i32 s9, s8, 31
	v_cndmask_b32_e64 v63, v63, v42, s[10:11]
	s_lshl_b64 s[8:9], s[8:9], 1
	v_cndmask_b32_e64 v69, v69, v38, s[10:11]
	v_cndmask_b32_e64 v71, v37, v67, s[10:11]
	s_add_u32 s10, s40, s8
	v_cvt_f16_f32_e32 v63, v63
	v_cvt_f16_f32_sdwa v45, v45 dst_sel:WORD_1 dst_unused:UNUSED_PAD src0_sel:DWORD
	s_addc_u32 s11, s41, s9
	s_ashr_i32 s35, s34, 31
	s_lshl_b64 s[8:9], s[34:35], 1
	s_add_u32 s48, s10, s8
	s_addc_u32 s49, s11, s9
	v_or_b32_e32 v45, v45, v63
	v_lshl_add_u64 v[36:37], v[50:51], 1, s[48:49]
	;;#ASMSTART
	global_atomic_pk_add_f16 v[36:37], v45, off
	
	;;#ASMEND
	v_cvt_f16_f32_e32 v45, v69
	v_cvt_f16_f32_sdwa v63, v68 dst_sel:WORD_1 dst_unused:UNUSED_PAD src0_sel:DWORD
	v_cvt_f16_f32_e32 v71, v71
	v_cvt_f16_f32_sdwa v70, v70 dst_sel:WORD_1 dst_unused:UNUSED_PAD src0_sel:DWORD
	v_cmp_eq_u32_e64 s[6:7], 2, v104
	v_lshl_add_u64 v[68:69], v[36:37], 0, 32
	v_or_b32_e32 v45, v63, v45
	v_cmp_gt_u32_e64 s[8:9], 62, v41
	;;#ASMSTART
	global_atomic_pk_add_f16 v[68:69], v45, off
	
	;;#ASMEND
	v_lshl_add_u64 v[68:69], v[36:37], 0, 64
	v_or_b32_e32 v45, v70, v71
	;;#ASMSTART
	global_atomic_pk_add_f16 v[68:69], v45, off
	
	;;#ASMEND
	s_and_b64 exec, exec, s[8:9]
	s_cbranch_execz .LBB346_44
; %bb.37:                               ;   in Loop: Header=BB346_7 Depth=1
	v_cndmask_b32_e32 v46, v46, v42, vcc
	v_cndmask_b32_e64 v42, v47, v42, s[6:7]
	v_cndmask_b32_e32 v43, v43, v38, vcc
	v_cndmask_b32_e64 v38, v65, v38, s[6:7]
	v_cndmask_b32_e32 v47, v39, v67, vcc
	v_cvt_f16_f32_e32 v39, v42
	v_cvt_f16_f32_sdwa v42, v46 dst_sel:WORD_1 dst_unused:UNUSED_PAD src0_sel:DWORD
	v_cvt_f16_f32_e32 v46, v38
	v_cvt_f16_f32_sdwa v43, v43 dst_sel:WORD_1 dst_unused:UNUSED_PAD src0_sel:DWORD
	v_mov_b32_e32 v63, v62
	v_or_b32_e32 v38, v42, v39
	v_mov_b32_e32 v42, v62
	v_or_b32_e32 v46, v43, v46
	v_mov_b32_e32 v43, v62
	v_pk_mul_f32 v[34:35], v[42:43], v[34:35]
	v_pk_mul_f32 v[42:43], v[62:63], v[32:33]
	v_cmp_eq_u32_e32 vcc, 1, v103
	v_cndmask_b32_e64 v65, v66, v67, s[6:7]
	v_cmp_eq_u32_e64 s[6:7], 2, v103
	v_cndmask_b32_e32 v32, v42, v43, vcc
	v_lshl_add_u64 v[36:37], s[28:29], 2, v[36:37]
	v_cndmask_b32_e64 v32, v32, v34, s[6:7]
	v_cmp_eq_u32_e64 s[8:9], 3, v103
	;;#ASMSTART
	global_atomic_pk_add_f16 v[36:37], v38, off
	
	;;#ASMEND
	v_lshl_add_u64 v[38:39], v[36:37], 0, 32
	v_mov_b32_e32 v45, v44
	v_cndmask_b32_e64 v32, v32, v35, s[8:9]
	ds_bpermute_b32 v66, v115, v32
	;;#ASMSTART
	global_atomic_pk_add_f16 v[38:39], v46, off
	
	;;#ASMEND
	v_cvt_f16_f32_e32 v39, v65
	v_cvt_f16_f32_sdwa v65, v47 dst_sel:WORD_1 dst_unused:UNUSED_PAD src0_sel:DWORD
	v_lshl_add_u64 v[46:47], v[36:37], 0, 64
	v_mov_b32_e32 v36, v44
	v_mov_b32_e32 v37, v44
	v_pk_mul_f32 v[30:31], v[36:37], v[30:31]
	v_pk_mul_f32 v[36:37], v[44:45], v[28:29]
	v_cmp_eq_u32_e64 s[10:11], 0, v103
	v_cndmask_b32_e32 v28, v36, v37, vcc
	v_cndmask_b32_e64 v28, v28, v30, s[6:7]
	v_cndmask_b32_e64 v28, v28, v31, s[8:9]
	s_waitcnt lgkmcnt(0)
	v_cndmask_b32_e64 v32, v35, v66, s[8:9]
	v_cndmask_b32_e64 v35, v42, v66, s[10:11]
	ds_bpermute_b32 v42, v115, v28
	v_cndmask_b32_e64 v33, v34, v66, s[6:7]
	v_cndmask_b32_e32 v34, v43, v66, vcc
	v_cmp_eq_u32_e64 s[12:13], 1, v104
	v_mov_b32_e32 v41, v40
	v_cmp_eq_u32_e64 s[14:15], 2, v104
	v_cndmask_b32_e64 v38, v35, v34, s[12:13]
	s_waitcnt lgkmcnt(0)
	v_cndmask_b32_e64 v29, v31, v42, s[8:9]
	v_cndmask_b32_e64 v28, v38, v33, s[14:15]
	;; [unrolled: 1-line block ×3, first 2 shown]
	v_cndmask_b32_e32 v37, v37, v42, vcc
	v_cndmask_b32_e64 v38, v36, v42, s[10:11]
	v_mov_b32_e32 v42, v40
	v_mov_b32_e32 v43, v40
	v_pk_mul_f32 v[66:67], v[40:41], v[24:25]
	v_pk_mul_f32 v[42:43], v[42:43], v[26:27]
	v_cndmask_b32_e32 v24, v66, v67, vcc
	v_cndmask_b32_e64 v24, v24, v42, s[6:7]
	v_cndmask_b32_e64 v24, v24, v43, s[8:9]
	ds_bpermute_b32 v25, v115, v24
	v_cndmask_b32_e64 v24, v38, v37, s[12:13]
	v_cmp_eq_u32_e64 s[16:17], 3, v104
	v_cndmask_b32_e64 v24, v24, v30, s[14:15]
	v_cmp_ne_u32_e32 vcc, 0, v103
	v_cndmask_b32_e64 v24, v24, v29, s[16:17]
	ds_bpermute_b32 v26, v115, v24
	s_waitcnt lgkmcnt(1)
	v_cndmask_b32_e64 v27, v43, v25, s[8:9]
	v_cndmask_b32_e64 v31, v42, v25, s[6:7]
	v_cndmask_b32_e32 v24, v67, v25, vcc
	v_cndmask_b32_e64 v25, v66, v25, s[10:11]
	v_cndmask_b32_e64 v36, v25, v24, s[12:13]
	;; [unrolled: 1-line block ×5, first 2 shown]
	ds_bpermute_b32 v28, v115, v28
	ds_bpermute_b32 v36, v115, v36
	v_or_b32_e32 v39, v65, v39
	;;#ASMSTART
	global_atomic_pk_add_f16 v[46:47], v39, off
	
	;;#ASMEND
	v_add_u32_e32 v39, s65, v108
	v_cmp_gt_u32_e32 vcc, 64, v39
	s_and_b64 exec, exec, vcc
	s_cbranch_execz .LBB346_44
; %bb.38:                               ;   in Loop: Header=BB346_7 Depth=1
	v_cmp_eq_u32_e64 s[8:9], 1, v104
	v_cmp_eq_u32_e64 s[10:11], 0, v104
	v_cmp_eq_u32_e32 vcc, 3, v104
	s_waitcnt lgkmcnt(1)
	v_cndmask_b32_e64 v34, v34, v28, s[8:9]
	v_cndmask_b32_e64 v35, v35, v28, s[10:11]
	;; [unrolled: 1-line block ×4, first 2 shown]
	v_cvt_f16_f32_e32 v35, v35
	v_cvt_f16_f32_sdwa v34, v34 dst_sel:WORD_1 dst_unused:UNUSED_PAD src0_sel:DWORD
	s_waitcnt lgkmcnt(0)
	v_cndmask_b32_e64 v42, v24, v36, s[8:9]
	v_cndmask_b32_e64 v43, v25, v36, s[10:11]
	v_cvt_f16_f32_e32 v38, v38
	v_cvt_f16_f32_sdwa v37, v37 dst_sel:WORD_1 dst_unused:UNUSED_PAD src0_sel:DWORD
	v_cvt_f16_f32_e32 v43, v43
	v_cvt_f16_f32_sdwa v42, v42 dst_sel:WORD_1 dst_unused:UNUSED_PAD src0_sel:DWORD
	v_lshl_add_u64 v[24:25], v[52:53], 1, s[48:49]
	v_or_b32_e32 v34, v34, v35
	v_cmp_eq_u32_e64 s[6:7], 2, v104
	;;#ASMSTART
	global_atomic_pk_add_f16 v[24:25], v34, off
	
	;;#ASMEND
	v_lshl_add_u64 v[34:35], v[24:25], 0, 32
	v_or_b32_e32 v37, v37, v38
	v_cmp_gt_u32_e64 s[8:9], 62, v39
	;;#ASMSTART
	global_atomic_pk_add_f16 v[34:35], v37, off
	
	;;#ASMEND
	v_lshl_add_u64 v[34:35], v[24:25], 0, 64
	v_or_b32_e32 v37, v42, v43
	;;#ASMSTART
	global_atomic_pk_add_f16 v[34:35], v37, off
	
	;;#ASMEND
	s_and_b64 exec, exec, s[8:9]
	s_cbranch_execz .LBB346_44
; %bb.39:                               ;   in Loop: Header=BB346_7 Depth=1
	v_cndmask_b32_e32 v32, v32, v28, vcc
	v_cndmask_b32_e64 v28, v33, v28, s[6:7]
	v_cndmask_b32_e32 v29, v29, v26, vcc
	v_cndmask_b32_e64 v26, v30, v26, s[6:7]
	v_cndmask_b32_e32 v30, v27, v36, vcc
	v_cvt_f16_f32_e32 v27, v28
	v_cvt_f16_f32_sdwa v28, v32 dst_sel:WORD_1 dst_unused:UNUSED_PAD src0_sel:DWORD
	v_cvt_f16_f32_e32 v32, v26
	v_cvt_f16_f32_sdwa v29, v29 dst_sel:WORD_1 dst_unused:UNUSED_PAD src0_sel:DWORD
	v_cmp_eq_u32_e32 vcc, 1, v103
	v_or_b32_e32 v26, v28, v27
	v_mov_b32_e32 v28, v62
	v_or_b32_e32 v32, v29, v32
	v_mov_b32_e32 v29, v62
	v_pk_mul_f32 v[22:23], v[28:29], v[22:23]
	v_pk_mul_f32 v[28:29], v[62:63], v[20:21]
	v_cndmask_b32_e64 v31, v31, v36, s[6:7]
	v_cndmask_b32_e32 v20, v28, v29, vcc
	v_cmp_eq_u32_e64 s[6:7], 2, v103
	v_lshl_add_u64 v[24:25], s[28:29], 2, v[24:25]
	v_cmp_eq_u32_e64 s[8:9], 3, v103
	v_cndmask_b32_e64 v20, v20, v22, s[6:7]
	;;#ASMSTART
	global_atomic_pk_add_f16 v[24:25], v26, off
	
	;;#ASMEND
	v_lshl_add_u64 v[26:27], v[24:25], 0, 32
	v_cndmask_b32_e64 v20, v20, v23, s[8:9]
	ds_bpermute_b32 v33, v115, v20
	;;#ASMSTART
	global_atomic_pk_add_f16 v[26:27], v32, off
	
	;;#ASMEND
	v_cvt_f16_f32_e32 v27, v31
	v_cvt_f16_f32_sdwa v34, v30 dst_sel:WORD_1 dst_unused:UNUSED_PAD src0_sel:DWORD
	v_lshl_add_u64 v[30:31], v[24:25], 0, 64
	v_mov_b32_e32 v24, v44
	v_mov_b32_e32 v25, v44
	v_pk_mul_f32 v[18:19], v[24:25], v[18:19]
	v_pk_mul_f32 v[24:25], v[44:45], v[16:17]
	v_cmp_eq_u32_e64 s[10:11], 0, v103
	v_cndmask_b32_e32 v16, v24, v25, vcc
	v_cndmask_b32_e64 v16, v16, v18, s[6:7]
	v_cndmask_b32_e64 v16, v16, v19, s[8:9]
	s_waitcnt lgkmcnt(0)
	v_cndmask_b32_e64 v20, v23, v33, s[8:9]
	v_cndmask_b32_e64 v23, v28, v33, s[10:11]
	ds_bpermute_b32 v28, v115, v16
	v_cndmask_b32_e64 v21, v22, v33, s[6:7]
	v_cndmask_b32_e32 v22, v29, v33, vcc
	v_cmp_eq_u32_e64 s[12:13], 1, v104
	v_cmp_eq_u32_e64 s[14:15], 2, v104
	s_waitcnt lgkmcnt(0)
	v_cndmask_b32_e64 v17, v19, v28, s[8:9]
	v_cndmask_b32_e64 v26, v23, v22, s[12:13]
	;; [unrolled: 1-line block ×4, first 2 shown]
	v_cndmask_b32_e32 v25, v25, v28, vcc
	v_cndmask_b32_e64 v26, v24, v28, s[10:11]
	v_mov_b32_e32 v28, v40
	v_mov_b32_e32 v29, v40
	v_pk_mul_f32 v[32:33], v[40:41], v[12:13]
	v_pk_mul_f32 v[28:29], v[28:29], v[14:15]
	v_cndmask_b32_e32 v12, v32, v33, vcc
	v_cndmask_b32_e64 v12, v12, v28, s[6:7]
	v_cndmask_b32_e64 v12, v12, v29, s[8:9]
	ds_bpermute_b32 v13, v115, v12
	v_cndmask_b32_e64 v12, v26, v25, s[12:13]
	v_cmp_eq_u32_e64 s[16:17], 3, v104
	v_cndmask_b32_e64 v12, v12, v18, s[14:15]
	v_cmp_ne_u32_e32 vcc, 0, v103
	v_cndmask_b32_e64 v12, v12, v17, s[16:17]
	ds_bpermute_b32 v14, v115, v12
	s_waitcnt lgkmcnt(1)
	v_cndmask_b32_e64 v15, v29, v13, s[8:9]
	v_cndmask_b32_e64 v19, v28, v13, s[6:7]
	v_cndmask_b32_e32 v12, v33, v13, vcc
	v_cndmask_b32_e64 v13, v32, v13, s[10:11]
	v_cndmask_b32_e64 v24, v13, v12, s[12:13]
	;; [unrolled: 1-line block ×5, first 2 shown]
	ds_bpermute_b32 v16, v115, v16
	ds_bpermute_b32 v24, v115, v24
	v_or_b32_e32 v27, v34, v27
	;;#ASMSTART
	global_atomic_pk_add_f16 v[30:31], v27, off
	
	;;#ASMEND
	v_add_u32_e32 v27, s65, v109
	v_cmp_gt_u32_e32 vcc, 64, v27
	s_and_b64 exec, exec, vcc
	s_cbranch_execz .LBB346_44
; %bb.40:                               ;   in Loop: Header=BB346_7 Depth=1
	v_cmp_eq_u32_e64 s[8:9], 1, v104
	v_cmp_eq_u32_e64 s[10:11], 0, v104
	v_cmp_eq_u32_e32 vcc, 3, v104
	s_waitcnt lgkmcnt(1)
	v_cndmask_b32_e64 v22, v22, v16, s[8:9]
	v_cndmask_b32_e64 v23, v23, v16, s[10:11]
	;; [unrolled: 1-line block ×4, first 2 shown]
	v_cvt_f16_f32_e32 v23, v23
	v_cvt_f16_f32_sdwa v22, v22 dst_sel:WORD_1 dst_unused:UNUSED_PAD src0_sel:DWORD
	s_waitcnt lgkmcnt(0)
	v_cndmask_b32_e64 v28, v12, v24, s[8:9]
	v_cndmask_b32_e64 v29, v13, v24, s[10:11]
	v_cvt_f16_f32_e32 v26, v26
	v_cvt_f16_f32_sdwa v25, v25 dst_sel:WORD_1 dst_unused:UNUSED_PAD src0_sel:DWORD
	v_cvt_f16_f32_e32 v29, v29
	v_cvt_f16_f32_sdwa v28, v28 dst_sel:WORD_1 dst_unused:UNUSED_PAD src0_sel:DWORD
	v_lshl_add_u64 v[12:13], v[54:55], 1, s[48:49]
	v_or_b32_e32 v22, v22, v23
	v_cmp_eq_u32_e64 s[6:7], 2, v104
	;;#ASMSTART
	global_atomic_pk_add_f16 v[12:13], v22, off
	
	;;#ASMEND
	v_lshl_add_u64 v[22:23], v[12:13], 0, 32
	v_or_b32_e32 v25, v25, v26
	v_cmp_gt_u32_e64 s[8:9], 62, v27
	;;#ASMSTART
	global_atomic_pk_add_f16 v[22:23], v25, off
	
	;;#ASMEND
	v_lshl_add_u64 v[22:23], v[12:13], 0, 64
	v_or_b32_e32 v25, v28, v29
	;;#ASMSTART
	global_atomic_pk_add_f16 v[22:23], v25, off
	
	;;#ASMEND
	s_and_b64 exec, exec, s[8:9]
	s_cbranch_execz .LBB346_44
; %bb.41:                               ;   in Loop: Header=BB346_7 Depth=1
	v_cndmask_b32_e32 v20, v20, v16, vcc
	v_cndmask_b32_e64 v16, v21, v16, s[6:7]
	v_cndmask_b32_e32 v17, v17, v14, vcc
	v_cndmask_b32_e64 v14, v18, v14, s[6:7]
	v_cndmask_b32_e32 v18, v15, v24, vcc
	v_cvt_f16_f32_e32 v15, v16
	v_cvt_f16_f32_sdwa v16, v20 dst_sel:WORD_1 dst_unused:UNUSED_PAD src0_sel:DWORD
	v_cvt_f16_f32_e32 v20, v14
	v_cvt_f16_f32_sdwa v17, v17 dst_sel:WORD_1 dst_unused:UNUSED_PAD src0_sel:DWORD
	v_cmp_eq_u32_e32 vcc, 1, v103
	v_or_b32_e32 v14, v16, v15
	v_mov_b32_e32 v16, v62
	v_or_b32_e32 v20, v17, v20
	v_mov_b32_e32 v17, v62
	v_pk_mul_f32 v[10:11], v[16:17], v[10:11]
	v_pk_mul_f32 v[16:17], v[62:63], v[8:9]
	v_cndmask_b32_e64 v19, v19, v24, s[6:7]
	v_cndmask_b32_e32 v8, v16, v17, vcc
	v_cmp_eq_u32_e64 s[6:7], 2, v103
	v_cmp_eq_u32_e64 s[8:9], 3, v103
	v_lshl_add_u64 v[12:13], s[28:29], 2, v[12:13]
	v_cndmask_b32_e64 v8, v8, v10, s[6:7]
	v_cndmask_b32_e64 v8, v8, v11, s[8:9]
	ds_bpermute_b32 v21, v115, v8
	;;#ASMSTART
	global_atomic_pk_add_f16 v[12:13], v14, off
	
	;;#ASMEND
	v_lshl_add_u64 v[14:15], v[12:13], 0, 32
	v_cmp_eq_u32_e64 s[10:11], 0, v103
	;;#ASMSTART
	global_atomic_pk_add_f16 v[14:15], v20, off
	
	;;#ASMEND
	v_cvt_f16_f32_e32 v20, v19
	v_cvt_f16_f32_sdwa v22, v18 dst_sel:WORD_1 dst_unused:UNUSED_PAD src0_sel:DWORD
	v_lshl_add_u64 v[18:19], v[12:13], 0, 64
	s_waitcnt lgkmcnt(0)
	v_cndmask_b32_e64 v8, v11, v21, s[8:9]
	v_cndmask_b32_e32 v11, v17, v21, vcc
	v_cndmask_b32_e64 v12, v16, v21, s[10:11]
	v_mov_b32_e32 v14, v44
	v_mov_b32_e32 v15, v44
	v_pk_mul_f32 v[16:17], v[44:45], v[0:1]
	v_pk_mul_f32 v[14:15], v[14:15], v[2:3]
	v_cndmask_b32_e32 v0, v16, v17, vcc
	v_cndmask_b32_e64 v0, v0, v14, s[6:7]
	v_cndmask_b32_e64 v0, v0, v15, s[8:9]
	ds_bpermute_b32 v1, v115, v0
	v_cmp_eq_u32_e64 s[12:13], 1, v104
	v_cndmask_b32_e64 v9, v10, v21, s[6:7]
	v_cmp_eq_u32_e64 s[14:15], 2, v104
	v_cndmask_b32_e64 v10, v12, v11, s[12:13]
	;; [unrolled: 2-line block ×3, first 2 shown]
	s_waitcnt lgkmcnt(0)
	v_cndmask_b32_e64 v3, v15, v1, s[8:9]
	v_cndmask_b32_e64 v0, v0, v8, s[16:17]
	ds_bpermute_b32 v2, v115, v0
	v_cndmask_b32_e64 v10, v14, v1, s[6:7]
	v_cndmask_b32_e32 v0, v17, v1, vcc
	v_cndmask_b32_e64 v1, v16, v1, s[10:11]
	v_mov_b32_e32 v14, v40
	v_mov_b32_e32 v15, v40
	v_pk_mul_f32 v[16:17], v[40:41], v[4:5]
	v_pk_mul_f32 v[14:15], v[14:15], v[6:7]
	v_cndmask_b32_e32 v4, v16, v17, vcc
	v_cndmask_b32_e64 v4, v4, v14, s[6:7]
	v_cndmask_b32_e64 v4, v4, v15, s[8:9]
	ds_bpermute_b32 v7, v115, v4
	v_cndmask_b32_e64 v4, v1, v0, s[12:13]
	v_cndmask_b32_e64 v4, v4, v10, s[14:15]
	;; [unrolled: 1-line block ×3, first 2 shown]
	v_cmp_ne_u32_e32 vcc, 0, v103
	ds_bpermute_b32 v6, v115, v4
	s_waitcnt lgkmcnt(1)
	v_cndmask_b32_e64 v4, v15, v7, s[8:9]
	v_cndmask_b32_e64 v5, v14, v7, s[6:7]
	v_cndmask_b32_e32 v14, v17, v7, vcc
	v_cndmask_b32_e64 v15, v16, v7, s[10:11]
	v_cndmask_b32_e64 v7, v15, v14, s[12:13]
	;; [unrolled: 1-line block ×4, first 2 shown]
	ds_bpermute_b32 v7, v115, v7
	v_or_b32_e32 v13, v22, v20
	;;#ASMSTART
	global_atomic_pk_add_f16 v[18:19], v13, off
	
	;;#ASMEND
	v_add_u32_e32 v13, s65, v110
	v_cmp_gt_u32_e32 vcc, 64, v13
	s_and_b64 exec, exec, vcc
	s_cbranch_execz .LBB346_44
; %bb.42:                               ;   in Loop: Header=BB346_7 Depth=1
	v_cmp_eq_u32_e64 s[8:9], 1, v104
	v_cmp_eq_u32_e64 s[10:11], 0, v104
	v_cmp_eq_u32_e32 vcc, 3, v104
	v_cndmask_b32_e64 v11, v11, v2, s[8:9]
	v_cndmask_b32_e64 v12, v12, v2, s[10:11]
	v_cvt_f16_f32_e32 v12, v12
	v_cvt_f16_f32_sdwa v11, v11 dst_sel:WORD_1 dst_unused:UNUSED_PAD src0_sel:DWORD
	s_waitcnt lgkmcnt(1)
	v_cndmask_b32_e64 v16, v0, v6, s[8:9]
	v_cndmask_b32_e64 v17, v1, v6, s[10:11]
	s_waitcnt lgkmcnt(0)
	v_cndmask_b32_e64 v18, v14, v7, s[8:9]
	v_or_b32_e32 v11, v11, v12
	v_cndmask_b32_e64 v19, v15, v7, s[10:11]
	v_lshl_add_u64 v[0:1], v[56:57], 1, s[48:49]
	;;#ASMSTART
	global_atomic_pk_add_f16 v[0:1], v11, off
	
	;;#ASMEND
	v_cvt_f16_f32_e32 v11, v17
	v_cvt_f16_f32_sdwa v12, v16 dst_sel:WORD_1 dst_unused:UNUSED_PAD src0_sel:DWORD
	v_cvt_f16_f32_e32 v16, v19
	v_cvt_f16_f32_sdwa v17, v18 dst_sel:WORD_1 dst_unused:UNUSED_PAD src0_sel:DWORD
	v_cmp_eq_u32_e64 s[6:7], 2, v104
	v_lshl_add_u64 v[14:15], v[0:1], 0, 32
	v_or_b32_e32 v11, v12, v11
	v_cmp_gt_u32_e64 s[8:9], 62, v13
	;;#ASMSTART
	global_atomic_pk_add_f16 v[14:15], v11, off
	
	;;#ASMEND
	v_lshl_add_u64 v[14:15], v[0:1], 0, 64
	v_or_b32_e32 v11, v17, v16
	;;#ASMSTART
	global_atomic_pk_add_f16 v[14:15], v11, off
	
	;;#ASMEND
	s_and_b64 exec, exec, s[8:9]
	s_cbranch_execz .LBB346_44
; %bb.43:                               ;   in Loop: Header=BB346_7 Depth=1
	v_cndmask_b32_e32 v8, v8, v2, vcc
	v_cndmask_b32_e64 v2, v9, v2, s[6:7]
	v_cvt_f16_f32_e32 v2, v2
	v_cvt_f16_f32_sdwa v8, v8 dst_sel:WORD_1 dst_unused:UNUSED_PAD src0_sel:DWORD
	v_cndmask_b32_e32 v3, v3, v6, vcc
	v_cndmask_b32_e64 v6, v10, v6, s[6:7]
	v_cndmask_b32_e32 v4, v4, v7, vcc
	v_cndmask_b32_e64 v5, v5, v7, s[6:7]
	v_cvt_f16_f32_e32 v6, v6
	v_cvt_f16_f32_sdwa v7, v3 dst_sel:WORD_1 dst_unused:UNUSED_PAD src0_sel:DWORD
	v_cvt_f16_f32_e32 v5, v5
	v_cvt_f16_f32_sdwa v4, v4 dst_sel:WORD_1 dst_unused:UNUSED_PAD src0_sel:DWORD
	v_lshl_add_u64 v[0:1], s[28:29], 2, v[0:1]
	v_or_b32_e32 v2, v8, v2
	;;#ASMSTART
	global_atomic_pk_add_f16 v[0:1], v2, off
	
	;;#ASMEND
	v_lshl_add_u64 v[2:3], v[0:1], 0, 32
	v_or_b32_e32 v6, v7, v6
	;;#ASMSTART
	global_atomic_pk_add_f16 v[2:3], v6, off
	
	;;#ASMEND
	;; [unrolled: 6-line block ×3, first 2 shown]
.LBB346_44:                             ;   in Loop: Header=BB346_7 Depth=1
	s_or_b64 exec, exec, s[18:19]
	v_subrev_u32_e32 v116, s66, v116
.LBB346_45:                             ;   in Loop: Header=BB346_7 Depth=1
	s_or_b64 exec, exec, s[46:47]
.LBB346_46:                             ;   in Loop: Header=BB346_7 Depth=1
	s_andn2_saveexec_b64 s[6:7], s[44:45]
	s_cbranch_execz .LBB346_55
; %bb.47:                               ;   in Loop: Header=BB346_7 Depth=1
	s_mul_i32 s16, s66, 3
	v_cmp_gt_i32_e32 vcc, s16, v116
	s_and_saveexec_b64 s[8:9], vcc
	s_cbranch_execz .LBB346_54
; %bb.48:                               ;   in Loop: Header=BB346_7 Depth=1
	s_mul_i32 s10, s34, s23
	s_ashr_i32 s11, s10, 31
	s_waitcnt lgkmcnt(0)
	s_add_u32 s10, s38, s10
	s_addc_u32 s11, s39, s11
	s_ashr_i32 s12, s64, 31
	s_add_u32 s10, s10, s64
	s_addc_u32 s11, s11, s12
	v_lshl_add_u64 v[0:1], s[10:11], 0, v[60:61]
	v_lshl_add_u64 v[8:9], v[0:1], 0, v[58:59]
	s_mov_b64 s[10:11], 0
	s_branch .LBB346_50
.LBB346_49:                             ;   in Loop: Header=BB346_50 Depth=2
	s_or_b64 exec, exec, s[12:13]
	v_lshl_add_u32 v12, v10, 11, v113
	;;#ASMSTART
	s_waitcnt vmcnt(1)
	;;#ASMEND
	ds_write2_b32 v12, v4, v5 offset1:32
	ds_write2_b32 v12, v6, v7 offset0:64 offset1:96
	v_add_u32_e32 v4, 0x400, v12
	v_add_u32_e32 v116, s26, v116
	;;#ASMSTART
	s_waitcnt vmcnt(0)
	;;#ASMEND
	ds_write2_b32 v4, v0, v1 offset1:32
	ds_write2_b32 v4, v2, v3 offset0:64 offset1:96
	v_add_u32_e32 v0, 1, v100
	v_add_u32_e32 v64, s26, v10
	v_cmp_le_i32_e32 vcc, s16, v116
	ds_write_b32 v11, v0 offset:16
	v_add_u32_e32 v0, 2, v100
	s_or_b64 s[10:11], vcc, s[10:11]
	v_cmp_lt_i32_e32 vcc, 2, v64
	s_nop 1
	v_cndmask_b32_e32 v100, v100, v0, vcc
	s_andn2_b64 exec, exec, s[10:11]
	s_cbranch_execz .LBB346_53
.LBB346_50:                             ;   Parent Loop BB346_7 Depth=1
                                        ; =>  This Loop Header: Depth=2
                                        ;       Child Loop BB346_52 Depth 3
	v_cmp_gt_i32_e32 vcc, 3, v64
	s_nop 1
	v_cndmask_b32_e64 v0, -3, 0, vcc
	v_add_u32_e32 v10, v0, v64
	v_mul_hi_i32 v0, v116, s62
	v_lshrrev_b32_e32 v1, 31, v0
	v_add_u32_e32 v0, v0, v1
	v_lshl_add_u32 v1, v0, 1, v0
	v_sub_u32_e32 v2, v116, v1
	v_lshlrev_b32_e32 v0, 7, v0
	v_ashrrev_i32_e32 v1, 31, v0
	v_mul_lo_u32 v2, s55, v2
	v_lshl_add_u64 v[0:1], v[8:9], 0, v[0:1]
	v_ashrrev_i32_e32 v3, 31, v2
	v_lshl_add_u64 v[0:1], v[0:1], 0, v[2:3]
	v_lshlrev_b32_e32 v11, 2, v10
	;;#ASMSTART
	global_load_dwordx4 v[4:7], v[0:1], off offset:0   sc0 sc1 nt  
	global_load_dwordx4 v[0:3], v[0:1], off offset:64  sc0 sc1 nt  
	
	;;#ASMEND
	ds_read_b32 v12, v11 offset:14352
	v_add_u32_e32 v11, 0x3800, v11
	s_waitcnt lgkmcnt(0)
	v_cmp_ne_u32_e32 vcc, v12, v100
	s_and_saveexec_b64 s[12:13], vcc
	s_cbranch_execz .LBB346_49
; %bb.51:                               ;   in Loop: Header=BB346_50 Depth=2
	s_mov_b64 s[14:15], 0
.LBB346_52:                             ;   Parent Loop BB346_7 Depth=1
                                        ;     Parent Loop BB346_50 Depth=2
                                        ; =>    This Inner Loop Header: Depth=3
	;;#ASMSTART
	s_sleep 0
	;;#ASMEND
	ds_read_b32 v12, v11 offset:16
	s_waitcnt lgkmcnt(0)
	v_cmp_eq_u32_e32 vcc, v12, v100
	s_or_b64 s[14:15], vcc, s[14:15]
	s_andn2_b64 exec, exec, s[14:15]
	s_cbranch_execnz .LBB346_52
	s_branch .LBB346_49
.LBB346_53:                             ;   in Loop: Header=BB346_7 Depth=1
	s_or_b64 exec, exec, s[10:11]
.LBB346_54:                             ;   in Loop: Header=BB346_7 Depth=1
	s_or_b64 exec, exec, s[8:9]
	v_subrev_u32_e32 v116, s16, v116
.LBB346_55:                             ;   in Loop: Header=BB346_7 Depth=1
	s_or_b64 exec, exec, s[6:7]
.LBB346_56:                             ;   in Loop: Header=BB346_7 Depth=1
	s_andn2_saveexec_b64 s[6:7], s[30:31]
	s_cbranch_execz .LBB346_6
; %bb.57:                               ;   in Loop: Header=BB346_7 Depth=1
	s_lshl_b32 s16, s66, 2
	v_cmp_gt_i32_e32 vcc, s16, v116
	s_and_saveexec_b64 s[8:9], vcc
	s_cbranch_execz .LBB346_5
; %bb.58:                               ;   in Loop: Header=BB346_7 Depth=1
	s_mul_i32 s63, s63, s22
	s_ashr_i32 s10, s63, 31
	s_waitcnt lgkmcnt(0)
	s_add_u32 s11, s36, s63
	v_add_u32_e32 v2, s65, v111
	s_addc_u32 s12, s37, s10
	s_ashr_i32 s13, s64, 31
	v_cmp_gt_u32_e32 vcc, 64, v2
	s_add_u32 s10, s11, s64
	s_addc_u32 s11, s12, s13
	v_cndmask_b32_e32 v0, 0, v114, vcc
	v_ashrrev_i32_e32 v1, 31, v0
	v_lshl_add_u64 v[0:1], s[10:11], 0, v[0:1]
	v_lshl_add_u64 v[8:9], v[0:1], 0, v[58:59]
	v_sub_u32_e32 v10, 63, v2
	s_mov_b64 s[10:11], 0
	s_branch .LBB346_60
.LBB346_59:                             ;   in Loop: Header=BB346_60 Depth=2
	s_or_b64 exec, exec, s[12:13]
	v_lshl_or_b32 v13, v11, 11, v112
	;;#ASMSTART
	s_waitcnt vmcnt(1)
	;;#ASMEND
	ds_write2_b32 v13, v4, v5 offset1:32
	ds_write2_b32 v13, v6, v7 offset0:64 offset1:96
	v_add_u32_e32 v4, 0x400, v13
	v_add_u32_e32 v116, s25, v116
	;;#ASMSTART
	s_waitcnt vmcnt(0)
	;;#ASMEND
	ds_write2_b32 v4, v0, v1 offset1:32
	ds_write2_b32 v4, v2, v3 offset0:64 offset1:96
	v_add_u32_e32 v0, 1, v100
	v_add_u32_e32 v64, s25, v11
	v_cmp_le_i32_e32 vcc, s16, v116
	ds_write_b32 v12, v0
	v_add_u32_e32 v0, 2, v100
	s_or_b64 s[10:11], vcc, s[10:11]
	v_cmp_lt_i32_e32 vcc, 3, v64
	s_nop 1
	v_cndmask_b32_e32 v100, v100, v0, vcc
	s_andn2_b64 exec, exec, s[10:11]
	s_cbranch_execz .LBB346_4
.LBB346_60:                             ;   Parent Loop BB346_7 Depth=1
                                        ; =>  This Loop Header: Depth=2
                                        ;       Child Loop BB346_62 Depth 3
	v_cmp_gt_i32_e32 vcc, 4, v64
	s_nop 1
	v_cndmask_b32_e64 v0, -4, 0, vcc
	v_add_u32_e32 v11, v0, v64
	v_ashrrev_i32_e32 v0, 31, v116
	v_lshrrev_b32_e32 v0, 30, v0
	v_add_u32_e32 v0, v116, v0
	v_and_b32_e32 v1, 0xffffffc, v0
	v_sub_u32_e32 v1, v116, v1
	v_lshlrev_b32_e32 v1, 4, v1
	v_cmp_le_i32_e32 vcc, v1, v10
	v_lshlrev_b32_e32 v0, 5, v0
	v_and_b32_e32 v0, 0xffffff80, v0
	v_cndmask_b32_e32 v2, 0, v1, vcc
	v_ashrrev_i32_e32 v1, 31, v0
	v_mul_lo_u32 v2, v2, s22
	v_lshl_add_u64 v[0:1], v[8:9], 0, v[0:1]
	v_ashrrev_i32_e32 v3, 31, v2
	v_lshl_add_u64 v[0:1], v[0:1], 0, v[2:3]
	v_lshlrev_b32_e32 v12, 2, v11
	;;#ASMSTART
	global_load_dwordx4 v[4:7], v[0:1], off offset:0   
	global_load_dwordx4 v[0:3], v[0:1], off offset:64  
	
	;;#ASMEND
	ds_read_b32 v13, v12 offset:14336
	v_add_u32_e32 v12, 0x3800, v12
	s_waitcnt lgkmcnt(0)
	v_cmp_ne_u32_e32 vcc, v13, v100
	s_and_saveexec_b64 s[12:13], vcc
	s_cbranch_execz .LBB346_59
; %bb.61:                               ;   in Loop: Header=BB346_60 Depth=2
	s_mov_b64 s[14:15], 0
.LBB346_62:                             ;   Parent Loop BB346_7 Depth=1
                                        ;     Parent Loop BB346_60 Depth=2
                                        ; =>    This Inner Loop Header: Depth=3
	;;#ASMSTART
	s_sleep 0
	;;#ASMEND
	ds_read_b32 v13, v12
	s_waitcnt lgkmcnt(0)
	v_cmp_eq_u32_e32 vcc, v13, v100
	s_or_b64 s[14:15], vcc, s[14:15]
	s_andn2_b64 exec, exec, s[14:15]
	s_cbranch_execnz .LBB346_62
	s_branch .LBB346_59
.LBB346_63:
	s_endpgm
	.section	.rodata,"a",@progbits
	.p2align	6, 0x0
	.amdhsa_kernel _Z19_skinny_gemm_kernelILi4ELi3ELi1ELi16ELi4EEvPKhS1_P6__halfPKfiiiiiiii
		.amdhsa_group_segment_fixed_size 14364
		.amdhsa_private_segment_fixed_size 0
		.amdhsa_kernarg_size 64
		.amdhsa_user_sgpr_count 2
		.amdhsa_user_sgpr_dispatch_ptr 0
		.amdhsa_user_sgpr_queue_ptr 0
		.amdhsa_user_sgpr_kernarg_segment_ptr 1
		.amdhsa_user_sgpr_dispatch_id 0
		.amdhsa_user_sgpr_kernarg_preload_length 0
		.amdhsa_user_sgpr_kernarg_preload_offset 0
		.amdhsa_user_sgpr_private_segment_size 0
		.amdhsa_uses_dynamic_stack 0
		.amdhsa_enable_private_segment 0
		.amdhsa_system_sgpr_workgroup_id_x 1
		.amdhsa_system_sgpr_workgroup_id_y 0
		.amdhsa_system_sgpr_workgroup_id_z 0
		.amdhsa_system_sgpr_workgroup_info 0
		.amdhsa_system_vgpr_workitem_id 0
		.amdhsa_next_free_vgpr 124
		.amdhsa_next_free_sgpr 67
		.amdhsa_accum_offset 124
		.amdhsa_reserve_vcc 1
		.amdhsa_float_round_mode_32 0
		.amdhsa_float_round_mode_16_64 0
		.amdhsa_float_denorm_mode_32 3
		.amdhsa_float_denorm_mode_16_64 3
		.amdhsa_dx10_clamp 1
		.amdhsa_ieee_mode 1
		.amdhsa_fp16_overflow 0
		.amdhsa_tg_split 0
		.amdhsa_exception_fp_ieee_invalid_op 0
		.amdhsa_exception_fp_denorm_src 0
		.amdhsa_exception_fp_ieee_div_zero 0
		.amdhsa_exception_fp_ieee_overflow 0
		.amdhsa_exception_fp_ieee_underflow 0
		.amdhsa_exception_fp_ieee_inexact 0
		.amdhsa_exception_int_div_zero 0
	.end_amdhsa_kernel
	.section	.text._Z19_skinny_gemm_kernelILi4ELi3ELi1ELi16ELi4EEvPKhS1_P6__halfPKfiiiiiiii,"axG",@progbits,_Z19_skinny_gemm_kernelILi4ELi3ELi1ELi16ELi4EEvPKhS1_P6__halfPKfiiiiiiii,comdat
.Lfunc_end346:
	.size	_Z19_skinny_gemm_kernelILi4ELi3ELi1ELi16ELi4EEvPKhS1_P6__halfPKfiiiiiiii, .Lfunc_end346-_Z19_skinny_gemm_kernelILi4ELi3ELi1ELi16ELi4EEvPKhS1_P6__halfPKfiiiiiiii
                                        ; -- End function
	.set _Z19_skinny_gemm_kernelILi4ELi3ELi1ELi16ELi4EEvPKhS1_P6__halfPKfiiiiiiii.num_vgpr, 124
	.set _Z19_skinny_gemm_kernelILi4ELi3ELi1ELi16ELi4EEvPKhS1_P6__halfPKfiiiiiiii.num_agpr, 0
	.set _Z19_skinny_gemm_kernelILi4ELi3ELi1ELi16ELi4EEvPKhS1_P6__halfPKfiiiiiiii.numbered_sgpr, 67
	.set _Z19_skinny_gemm_kernelILi4ELi3ELi1ELi16ELi4EEvPKhS1_P6__halfPKfiiiiiiii.num_named_barrier, 0
	.set _Z19_skinny_gemm_kernelILi4ELi3ELi1ELi16ELi4EEvPKhS1_P6__halfPKfiiiiiiii.private_seg_size, 0
	.set _Z19_skinny_gemm_kernelILi4ELi3ELi1ELi16ELi4EEvPKhS1_P6__halfPKfiiiiiiii.uses_vcc, 1
	.set _Z19_skinny_gemm_kernelILi4ELi3ELi1ELi16ELi4EEvPKhS1_P6__halfPKfiiiiiiii.uses_flat_scratch, 0
	.set _Z19_skinny_gemm_kernelILi4ELi3ELi1ELi16ELi4EEvPKhS1_P6__halfPKfiiiiiiii.has_dyn_sized_stack, 0
	.set _Z19_skinny_gemm_kernelILi4ELi3ELi1ELi16ELi4EEvPKhS1_P6__halfPKfiiiiiiii.has_recursion, 0
	.set _Z19_skinny_gemm_kernelILi4ELi3ELi1ELi16ELi4EEvPKhS1_P6__halfPKfiiiiiiii.has_indirect_call, 0
	.section	.AMDGPU.csdata,"",@progbits
; Kernel info:
; codeLenInByte = 7080
; TotalNumSgprs: 73
; NumVgprs: 124
; NumAgprs: 0
; TotalNumVgprs: 124
; ScratchSize: 0
; MemoryBound: 0
; FloatMode: 240
; IeeeMode: 1
; LDSByteSize: 14364 bytes/workgroup (compile time only)
; SGPRBlocks: 9
; VGPRBlocks: 15
; NumSGPRsForWavesPerEU: 73
; NumVGPRsForWavesPerEU: 124
; AccumOffset: 124
; Occupancy: 4
; WaveLimiterHint : 0
; COMPUTE_PGM_RSRC2:SCRATCH_EN: 0
; COMPUTE_PGM_RSRC2:USER_SGPR: 2
; COMPUTE_PGM_RSRC2:TRAP_HANDLER: 0
; COMPUTE_PGM_RSRC2:TGID_X_EN: 1
; COMPUTE_PGM_RSRC2:TGID_Y_EN: 0
; COMPUTE_PGM_RSRC2:TGID_Z_EN: 0
; COMPUTE_PGM_RSRC2:TIDIG_COMP_CNT: 0
; COMPUTE_PGM_RSRC3_GFX90A:ACCUM_OFFSET: 30
; COMPUTE_PGM_RSRC3_GFX90A:TG_SPLIT: 0
	.section	.text._Z19_skinny_gemm_kernelILi4ELi3ELi1ELi16ELi8EEvPKhS1_P6__halfPKfiiiiiiii,"axG",@progbits,_Z19_skinny_gemm_kernelILi4ELi3ELi1ELi16ELi8EEvPKhS1_P6__halfPKfiiiiiiii,comdat
	.protected	_Z19_skinny_gemm_kernelILi4ELi3ELi1ELi16ELi8EEvPKhS1_P6__halfPKfiiiiiiii ; -- Begin function _Z19_skinny_gemm_kernelILi4ELi3ELi1ELi16ELi8EEvPKhS1_P6__halfPKfiiiiiiii
	.globl	_Z19_skinny_gemm_kernelILi4ELi3ELi1ELi16ELi8EEvPKhS1_P6__halfPKfiiiiiiii
	.p2align	8
	.type	_Z19_skinny_gemm_kernelILi4ELi3ELi1ELi16ELi8EEvPKhS1_P6__halfPKfiiiiiiii,@function
_Z19_skinny_gemm_kernelILi4ELi3ELi1ELi16ELi8EEvPKhS1_P6__halfPKfiiiiiiii: ; @_Z19_skinny_gemm_kernelILi4ELi3ELi1ELi16ELi8EEvPKhS1_P6__halfPKfiiiiiiii
; %bb.0:
	v_cmp_gt_u32_e32 vcc, 7, v0
	v_lshlrev_b32_e32 v1, 2, v0
	s_and_saveexec_b64 s[4:5], vcc
; %bb.1:
	v_mov_b32_e32 v2, 0
	ds_write_b32 v1, v2 offset:28672
; %bb.2:
	s_or_b64 exec, exec, s[4:5]
	s_load_dwordx8 s[20:27], s[0:1], 0x20
	s_waitcnt lgkmcnt(0)
	s_barrier
	s_add_i32 s3, s20, 63
	s_ashr_i32 s5, s3, 31
	s_add_i32 s4, s21, 47
	s_lshr_b32 s5, s5, 26
	s_mul_hi_i32 s4, s4, 0x2aaaaaab
	s_add_i32 s3, s3, s5
	s_ashr_i32 s33, s3, 6
	s_lshr_b32 s3, s4, 31
	s_ashr_i32 s50, s4, 3
	s_add_i32 s50, s50, s3
	s_mul_i32 s3, s50, s33
	s_mul_i32 s3, s3, s24
	s_add_i32 s4, s3, 0x12f
	s_mul_hi_i32 s4, s4, 0x6bca1af3
	s_lshr_b32 s5, s4, 31
	s_ashr_i32 s4, s4, 7
	s_add_i32 s4, s4, s5
	s_add_i32 s5, s2, 1
	s_mul_i32 s5, s4, s5
	v_cvt_f64_i32_e32 v[2:3], s3
	v_cvt_f64_u32_e32 v[4:5], s5
	v_min_f64 v[2:3], v[2:3], v[4:5]
	v_cvt_i32_f64_e32 v53, v[2:3]
	s_mul_i32 s51, s4, s2
	v_cmp_ge_i32_e32 vcc, s51, v53
	s_cbranch_vccnz .LBB347_63
; %bb.3:
	v_lshrrev_b32_e32 v2, 6, v0
	s_add_i32 s4, s26, s25
	s_load_dwordx8 s[36:43], s[0:1], 0x0
	v_cmp_le_i32_e64 s[0:1], s4, v2
	v_mov_b32_e32 v3, s25
	v_cmp_le_i32_e64 s[2:3], s25, v2
	v_mov_b32_e32 v4, s26
	v_cndmask_b32_e64 v4, 0, v4, s[0:1]
	v_cndmask_b32_e64 v3, 0, v3, s[2:3]
	s_abs_i32 s5, s24
	v_add_u32_e32 v3, v3, v4
	v_cvt_f32_u32_e32 v4, s5
	v_sub_u32_e32 v52, v2, v3
	s_ashr_i32 s6, s22, 31
	s_lshr_b32 s6, s6, 24
	v_rcp_iflag_f32_e32 v3, v4
	s_sub_i32 s9, 0, s5
	s_add_i32 s6, s22, s6
	s_ashr_i32 s6, s6, 8
	v_mul_f32_e32 v3, 0x4f7ffffe, v3
	v_cvt_u32_f32_e32 v3, v3
	s_abs_i32 s8, s6
	s_xor_b32 s7, s6, s24
	s_ashr_i32 s7, s7, 31
	v_readfirstlane_b32 s10, v3
	s_mul_i32 s9, s9, s10
	s_mul_hi_u32 s9, s10, s9
	s_add_i32 s10, s10, s9
	s_mul_hi_u32 s9, s8, s10
	s_mul_i32 s10, s9, s5
	s_sub_i32 s8, s8, s10
	s_add_i32 s10, s9, 1
	s_sub_i32 s11, s8, s5
	s_cmp_ge_u32 s8, s5
	s_cselect_b32 s9, s10, s9
	s_cselect_b32 s8, s11, s8
	s_add_i32 s10, s9, 1
	s_cmp_ge_u32 s8, s5
	s_cselect_b32 s5, s10, s9
	s_xor_b32 s5, s5, s7
	s_sub_i32 s52, s5, s7
	s_add_i32 s24, s24, -1
	s_mul_i32 s5, s52, s24
	s_add_i32 s4, s4, s27
	s_sub_i32 s53, s6, s5
	v_cmp_gt_i32_e64 s[4:5], s4, v2
	v_lshlrev_b32_e32 v2, 1, v0
	v_lshlrev_b32_e32 v3, 4, v0
	v_and_b32_e32 v1, 60, v1
	v_and_b32_e32 v2, 64, v2
	;; [unrolled: 1-line block ×3, first 2 shown]
	v_or3_b32 v54, v1, v2, v4
	v_and_b32_e32 v1, 1, v0
	v_lshrrev_b32_e32 v4, 2, v0
	v_and_b32_e32 v56, 14, v0
	v_bitop3_b32 v57, v0, 3, 1 bitop3:0x6c
	v_and_or_b32 v58, v4, 12, v1
	v_mad_u64_u32 v[4:5], s[6:7], s21, v58, v[56:57]
	v_ashrrev_i32_e32 v5, 31, v4
	s_lshl_b32 s6, s21, 4
	scratch_store_dwordx2 off, v[4:5], off offset:108 ; 8-byte Folded Spill
	v_add_u32_e32 v4, s6, v4
	v_ashrrev_i32_e32 v5, 31, v4
	scratch_store_dwordx2 off, v[4:5], off offset:124 ; 8-byte Folded Spill
	v_add_u32_e32 v4, s6, v4
	v_ashrrev_i32_e32 v5, 31, v4
	scratch_store_dwordx2 off, v[4:5], off offset:132 ; 8-byte Folded Spill
	v_add_u32_e32 v4, s6, v4
	s_abs_i32 s54, s33
	v_ashrrev_i32_e32 v5, 31, v4
	v_and_b32_e32 v60, 48, v3
	v_bfe_u32 v22, v0, 2, 4
	v_cvt_f32_u32_e32 v3, s54
	scratch_store_dwordx2 off, v[4:5], off offset:140 ; 8-byte Folded Spill
	v_mul_lo_u32 v4, s23, v22
	v_lshlrev_b32_e32 v2, 1, v1
	v_ashrrev_i32_e32 v5, 31, v4
	v_sub_u32_e32 v2, v0, v2
	v_bitop3_b32 v55, v0, 1, v0 bitop3:0xc
	scratch_store_dwordx2 off, v[4:5], off offset:76 ; 8-byte Folded Spill
	v_and_b32_e32 v1, 60, v0
	v_lshlrev_b32_e32 v4, 8, v0
	v_lshlrev_b32_e32 v0, 6, v0
	v_and_b32_e32 v4, 0x200, v4
	v_rcp_iflag_f32_e32 v3, v3
	v_and_b32_e32 v0, 64, v0
	s_abs_i32 s56, s50
	v_or3_b32 v48, v1, v4, v0
	v_cvt_f32_u32_e32 v1, s56
	v_mul_f32_e32 v0, 0x4f7ffffe, v3
	v_cvt_u32_f32_e32 v0, v0
	s_sub_i32 s6, 0, s54
	v_rcp_iflag_f32_e32 v1, v1
	v_add_u32_e32 v2, 1, v2
	v_readfirstlane_b32 s7, v0
	s_mul_i32 s6, s6, s7
	v_mul_f32_e32 v0, 0x4f7ffffe, v1
	v_cvt_u32_f32_e32 v0, v0
	s_mul_hi_u32 s6, s7, s6
	s_add_i32 s58, s7, s6
	s_sub_i32 s6, 0, s56
	v_readfirstlane_b32 s7, v0
	v_mbcnt_lo_u32_b32 v0, -1, 0
	v_and_b32_e32 v2, 63, v2
	s_mul_i32 s6, s6, s7
	v_mbcnt_hi_u32_b32 v0, -1, v0
	s_mul_hi_u32 s6, s7, s6
	v_and_or_b32 v0, v0, 64, v2
	v_cndmask_b32_e64 v50, 0, 1, s[0:1]
	s_ashr_i32 s29, s21, 31
	s_mov_b32 s28, s21
	v_mov_b32_e32 v61, 0
	s_lshl_b32 s55, s23, 4
	s_ashr_i32 s57, s33, 31
	s_ashr_i32 s59, s50, 31
	s_add_i32 s60, s7, s6
	s_movk_i32 s61, 0x3000
	s_mov_b32 s62, 0x55555556
	v_lshlrev_b32_e32 v0, 2, v0
	v_mov_b32_e32 v59, v52
	scratch_store_dword off, v0, off offset:68 ; 4-byte Folded Spill
	scratch_store_dword off, v53, off offset:84 ; 4-byte Folded Spill
	scratch_store_dwordx2 off, v[56:57], off offset:88 ; 8-byte Folded Spill
	scratch_store_dword off, v55, off offset:96 ; 4-byte Folded Spill
	scratch_store_dword off, v57, off offset:100 ; 4-byte Folded Spill
	scratch_store_dword off, v58, off offset:104 ; 4-byte Folded Spill
	scratch_store_dwordx2 off, v[60:61], off offset:116 ; 8-byte Folded Spill
	scratch_store_dword off, v22, off offset:72 ; 4-byte Folded Spill
	s_branch .LBB347_7
.LBB347_4:                              ;   in Loop: Header=BB347_7 Depth=1
	s_or_b64 exec, exec, s[10:11]
.LBB347_5:                              ;   in Loop: Header=BB347_7 Depth=1
	s_or_b64 exec, exec, s[8:9]
	v_subrev_u32_e32 v59, s16, v59
.LBB347_6:                              ;   in Loop: Header=BB347_7 Depth=1
	s_or_b64 exec, exec, s[6:7]
	s_add_i32 s51, s51, 1
	v_cmp_ge_i32_e32 vcc, s51, v53
	s_cbranch_vccnz .LBB347_63
.LBB347_7:                              ; =>This Loop Header: Depth=1
                                        ;     Child Loop BB347_13 Depth 2
                                        ;       Child Loop BB347_15 Depth 3
                                        ;       Child Loop BB347_18 Depth 3
	;; [unrolled: 1-line block ×7, first 2 shown]
                                        ;     Child Loop BB347_50 Depth 2
                                        ;       Child Loop BB347_52 Depth 3
                                        ;     Child Loop BB347_60 Depth 2
                                        ;       Child Loop BB347_62 Depth 3
	s_abs_i32 s7, s51
	s_mul_hi_u32 s8, s7, s58
	s_mul_i32 s9, s8, s54
	s_ashr_i32 s6, s51, 31
	s_sub_i32 s7, s7, s9
	s_xor_b32 s6, s6, s57
	s_add_i32 s9, s8, 1
	s_sub_i32 s10, s7, s54
	s_cmp_ge_u32 s7, s54
	s_cselect_b32 s8, s9, s8
	s_cselect_b32 s7, s10, s7
	s_add_i32 s9, s8, 1
	s_cmp_ge_u32 s7, s54
	s_cselect_b32 s7, s9, s8
	s_xor_b32 s7, s7, s6
	s_sub_i32 s6, s7, s6
	s_abs_i32 s8, s6
	s_mul_i32 s7, s6, s33
	s_mul_hi_u32 s9, s8, s60
	s_sub_i32 s7, s51, s7
	s_mul_i32 s10, s9, s56
	s_lshl_b32 s63, s7, 6
	s_ashr_i32 s7, s6, 31
	s_sub_i32 s8, s8, s10
	s_xor_b32 s7, s7, s59
	s_add_i32 s10, s9, 1
	s_sub_i32 s11, s8, s56
	s_cmp_ge_u32 s8, s56
	s_cselect_b32 s9, s10, s9
	s_cselect_b32 s8, s11, s8
	s_add_i32 s10, s9, 1
	s_cmp_ge_u32 s8, s56
	s_cselect_b32 s8, s10, s9
	s_xor_b32 s8, s8, s7
	s_sub_i32 s7, s8, s7
	s_mul_i32 s8, s7, s52
	s_lshl_b32 s64, s8, 8
	s_cmp_eq_u32 s7, s24
	s_cselect_b32 s66, s53, s52
	s_sub_i32 s8, s63, s20
	s_add_i32 s8, s8, 64
	s_max_i32 s65, s8, 0
	s_and_saveexec_b64 s[8:9], s[2:3]
	s_xor_b64 s[30:31], exec, s[8:9]
	s_cbranch_execz .LBB347_56
; %bb.8:                                ;   in Loop: Header=BB347_7 Depth=1
	s_mul_i32 s7, s7, s50
	s_sub_i32 s6, s6, s7
	s_mul_i32 s6, s6, 48
	s_sub_i32 s18, s6, s21
	s_add_i32 s18, s18, 48
	s_max_i32 s7, s18, 0
	s_sub_i32 s34, s6, s7
	s_and_saveexec_b64 s[6:7], s[0:1]
	s_xor_b64 s[44:45], exec, s[6:7]
	s_cbranch_execz .LBB347_46
; %bb.9:                                ;   in Loop: Header=BB347_7 Depth=1
	s_and_saveexec_b64 s[46:47], s[4:5]
	s_cbranch_execz .LBB347_45
; %bb.10:                               ;   in Loop: Header=BB347_7 Depth=1
	s_waitcnt lgkmcnt(0)
	global_load_dword v0, v61, s[42:43]
	v_mov_b32_e32 v47, 0
	v_cmp_gt_i32_e32 vcc, s66, v59
	v_mov_b32_e32 v46, v47
	v_mov_b32_e32 v45, v47
	;; [unrolled: 1-line block ×11, first 2 shown]
	s_waitcnt vmcnt(1)
	v_mov_b32_e32 v22, v47
	v_mov_b32_e32 v21, v47
	;; [unrolled: 1-line block ×27, first 2 shown]
	s_waitcnt vmcnt(0)
	scratch_store_dword off, v0, off offset:64 ; 4-byte Folded Spill
	v_mov_b32_e32 v0, v47
	scratch_store_dwordx4 off, v[0:3], off  ; 16-byte Folded Spill
	scratch_store_dwordx4 off, v[0:3], off offset:16 ; 16-byte Folded Spill
	scratch_store_dwordx4 off, v[0:3], off offset:32 ; 16-byte Folded Spill
	s_and_saveexec_b64 s[6:7], vcc
	s_cbranch_execz .LBB347_35
; %bb.11:                               ;   in Loop: Header=BB347_7 Depth=1
	v_mov_b32_e32 v4, 0
	s_mov_b64 s[8:9], 0
	v_mov_b32_e32 v5, v4
	v_mov_b32_e32 v6, v4
	;; [unrolled: 1-line block ×39, first 2 shown]
	scratch_store_dwordx4 off, v[0:3], off offset:32 ; 16-byte Folded Spill
	scratch_store_dwordx4 off, v[0:3], off offset:16 ; 16-byte Folded Spill
	scratch_store_dwordx4 off, v[0:3], off  ; 16-byte Folded Spill
	s_branch .LBB347_13
.LBB347_12:                             ;   in Loop: Header=BB347_13 Depth=2
	s_or_b64 exec, exec, s[10:11]
	v_add_u32_e32 v10, 0x2000, v49
	ds_read2_b32 v[8:9], v10 offset1:32
	ds_read2_b32 v[10:11], v10 offset0:128 offset1:160
	v_add_u32_e32 v18, 0x2400, v49
	ds_read2_b32 v[16:17], v18 offset1:32
	ds_read2_b32 v[18:19], v18 offset0:128 offset1:160
	s_waitcnt lgkmcnt(3)
	v_mfma_f32_16x16x32_fp8_fp8 v[0:3], v[62:63], v[8:9], v[36:39]
	v_add_u32_e32 v59, s27, v59
	s_waitcnt lgkmcnt(2)
	v_mfma_f32_16x16x32_fp8_fp8 v[0:3], v[64:65], v[10:11], v[0:3]
	v_add_u32_e32 v36, 0x2800, v49
	ds_read2_b32 v[62:63], v36 offset1:32
	ds_read2_b32 v[64:65], v36 offset0:128 offset1:160
	s_waitcnt lgkmcnt(3)
	v_mfma_f32_16x16x32_fp8_fp8 v[0:3], v[70:71], v[16:17], v[0:3]
	v_add_u32_e32 v36, 0x2c00, v49
	s_waitcnt lgkmcnt(2)
	v_mfma_f32_16x16x32_fp8_fp8 v[0:3], v[66:67], v[18:19], v[0:3]
	ds_read2_b32 v[66:67], v36 offset1:32
	s_waitcnt lgkmcnt(2)
	v_mfma_f32_16x16x32_fp8_fp8 v[0:3], v[72:73], v[62:63], v[0:3]
	s_waitcnt lgkmcnt(1)
	v_mfma_f32_16x16x32_fp8_fp8 v[0:3], v[68:69], v[64:65], v[0:3]
	ds_read2_b32 v[68:69], v36 offset0:128 offset1:160
	;;#ASMSTART
	s_waitcnt lgkmcnt(0)
	;;#ASMEND
	ds_write_b32 v60, v58 offset:28696
	s_waitcnt lgkmcnt(2)
	v_mfma_f32_16x16x32_fp8_fp8 v[0:3], v[74:75], v[66:67], v[0:3]
	s_waitcnt lgkmcnt(1)
	v_mfma_f32_16x16x32_fp8_fp8 v[36:39], v[76:77], v[68:69], v[0:3]
	v_mfma_f32_16x16x32_fp8_fp8 v[0:3], v[78:79], v[8:9], v[24:27]
	;; [unrolled: 1-line block ×19, first 2 shown]
	s_nop 1
	v_add_u32_e32 v4, 2, v50
	v_mov_b64_e32 v[8:9], v[32:33]
	v_mov_b64_e32 v[10:11], v[34:35]
	v_mfma_f32_16x16x32_fp8_fp8 v[0:3], v[54:55], v[16:17], v[0:3]
	v_mov_b32_e32 v54, v20
	v_mov_b64_e32 v[20:21], v[28:29]
	v_mov_b64_e32 v[22:23], v[30:31]
	v_mfma_f32_16x16x32_fp8_fp8 v[0:3], v[52:53], v[18:19], v[0:3]
	v_add_u32_e32 v52, s27, v61
	v_cmp_lt_i32_e32 vcc, 0, v52
	v_mfma_f32_16x16x32_fp8_fp8 v[0:3], v[98:99], v[62:63], v[0:3]
	s_nop 0
	v_cndmask_b32_e32 v50, v50, v4, vcc
	v_cmp_le_i32_e32 vcc, s66, v59
	s_or_b64 s[8:9], vcc, s[8:9]
	v_mfma_f32_16x16x32_fp8_fp8 v[0:3], v[100:101], v[64:65], v[0:3]
	v_mfma_f32_16x16x32_fp8_fp8 v[0:3], v[96:97], v[66:67], v[0:3]
	;; [unrolled: 1-line block ×3, first 2 shown]
	s_andn2_b64 exec, exec, s[8:9]
	s_cbranch_execz .LBB347_34
.LBB347_13:                             ;   Parent Loop BB347_7 Depth=1
                                        ; =>  This Loop Header: Depth=2
                                        ;       Child Loop BB347_15 Depth 3
                                        ;       Child Loop BB347_18 Depth 3
	;; [unrolled: 1-line block ×7, first 2 shown]
	v_cmp_lt_i32_e32 vcc, 0, v52
	s_nop 1
	v_subbrev_co_u32_e32 v61, vcc, 0, v52, vcc
	v_mul_lo_u32 v60, v61, 12
	ds_read_b32 v0, v60 offset:28688
	s_waitcnt lgkmcnt(0)
	v_cmp_ne_u32_e32 vcc, v0, v50
	s_and_saveexec_b64 s[10:11], vcc
	s_cbranch_execz .LBB347_16
; %bb.14:                               ;   in Loop: Header=BB347_13 Depth=2
	s_mov_b64 s[12:13], 0
.LBB347_15:                             ;   Parent Loop BB347_7 Depth=1
                                        ;     Parent Loop BB347_13 Depth=2
                                        ; =>    This Inner Loop Header: Depth=3
	;;#ASMSTART
	s_sleep 0
	;;#ASMEND
	ds_read_b32 v0, v60 offset:28688
	s_waitcnt lgkmcnt(0)
	v_cmp_eq_u32_e32 vcc, v0, v50
	s_or_b64 s[12:13], vcc, s[12:13]
	s_andn2_b64 exec, exec, s[12:13]
	s_cbranch_execnz .LBB347_15
.LBB347_16:                             ;   in Loop: Header=BB347_13 Depth=2
	s_or_b64 exec, exec, s[10:11]
	v_mul_lo_u32 v0, v61, s61
	v_or_b32_e32 v1, 0x4000, v54
	v_add_u32_e32 v49, v1, v0
	scratch_store_dwordx4 off, v[102:105], off offset:48 ; 16-byte Folded Spill
	v_add_u32_e32 v0, 0x400, v49
	ds_read2_b32 v[94:95], v49 offset1:32
	ds_read2_b32 v[96:97], v49 offset0:128 offset1:160
	ds_read2_b32 v[98:99], v0 offset1:32
	ds_read2_b32 v[100:101], v0 offset0:128 offset1:160
	v_add_u32_e32 v0, 0x800, v49
	ds_read2_b32 v[102:103], v0 offset1:32
	ds_read2_b32 v[104:105], v0 offset0:128 offset1:160
	v_add_u32_e32 v0, 0xc00, v49
	v_add_u32_e32 v58, 1, v50
	ds_read2_b32 v[108:109], v0 offset1:32
	ds_read2_b32 v[106:107], v0 offset0:128 offset1:160
	;;#ASMSTART
	s_waitcnt lgkmcnt(0)
	;;#ASMEND
	ds_write_b32 v60, v58 offset:28688
	v_lshlrev_b32_e32 v51, 4, v61
	ds_read_b32 v0, v51 offset:28672
	s_waitcnt lgkmcnt(0)
	v_cmp_ne_u32_e32 vcc, v0, v50
	s_and_saveexec_b64 s[10:11], vcc
	s_cbranch_execz .LBB347_19
; %bb.17:                               ;   in Loop: Header=BB347_13 Depth=2
	s_mov_b64 s[12:13], 0
.LBB347_18:                             ;   Parent Loop BB347_7 Depth=1
                                        ;     Parent Loop BB347_13 Depth=2
                                        ; =>    This Inner Loop Header: Depth=3
	;;#ASMSTART
	s_sleep 0
	;;#ASMEND
	ds_read_b32 v0, v51 offset:28672
	s_waitcnt lgkmcnt(0)
	v_cmp_eq_u32_e32 vcc, v0, v50
	s_or_b64 s[12:13], vcc, s[12:13]
	s_andn2_b64 exec, exec, s[12:13]
	s_cbranch_execnz .LBB347_18
.LBB347_19:                             ;   in Loop: Header=BB347_13 Depth=2
	s_or_b64 exec, exec, s[10:11]
	v_lshl_or_b32 v0, v61, 14, v54
	ds_read2_b32 v[62:63], v0 offset1:32
	ds_read2_b32 v[64:65], v0 offset0:128 offset1:160
	v_add_u32_e32 v1, 0x400, v0
	ds_read2_b32 v[70:71], v1 offset1:32
	ds_read2_b32 v[66:67], v1 offset0:128 offset1:160
	v_add_u32_e32 v1, 0x800, v0
	;; [unrolled: 3-line block ×3, first 2 shown]
	s_waitcnt lgkmcnt(5)
	v_mfma_f32_16x16x32_fp8_fp8 v[44:47], v[62:63], v[94:95], v[44:47]
	ds_read2_b32 v[74:75], v1 offset1:32
	ds_read2_b32 v[76:77], v1 offset0:128 offset1:160
	ds_read_b32 v1, v51 offset:28676
	ds_write_b32 v51, v58 offset:28672
	s_waitcnt lgkmcnt(8)
	v_mfma_f32_16x16x32_fp8_fp8 v[44:47], v[64:65], v[96:97], v[44:47]
	s_waitcnt lgkmcnt(1)
	v_cmp_ne_u32_e32 vcc, v1, v50
	v_mfma_f32_16x16x32_fp8_fp8 v[44:47], v[70:71], v[98:99], v[44:47]
	v_mfma_f32_16x16x32_fp8_fp8 v[44:47], v[66:67], v[100:101], v[44:47]
	;; [unrolled: 1-line block ×6, first 2 shown]
	s_and_saveexec_b64 s[10:11], vcc
	s_cbranch_execz .LBB347_22
; %bb.20:                               ;   in Loop: Header=BB347_13 Depth=2
	s_mov_b64 s[12:13], 0
.LBB347_21:                             ;   Parent Loop BB347_7 Depth=1
                                        ;     Parent Loop BB347_13 Depth=2
                                        ; =>    This Inner Loop Header: Depth=3
	;;#ASMSTART
	s_sleep 0
	;;#ASMEND
	ds_read_b32 v1, v51 offset:28676
	s_waitcnt lgkmcnt(0)
	v_cmp_eq_u32_e32 vcc, v1, v50
	s_or_b64 s[12:13], vcc, s[12:13]
	s_andn2_b64 exec, exec, s[12:13]
	s_cbranch_execnz .LBB347_21
.LBB347_22:                             ;   in Loop: Header=BB347_13 Depth=2
	s_or_b64 exec, exec, s[10:11]
	v_add_u32_e32 v1, 0x1000, v0
	ds_read2_b32 v[78:79], v1 offset1:32
	ds_read2_b32 v[80:81], v1 offset0:128 offset1:160
	v_add_u32_e32 v1, 0x1400, v0
	ds_read2_b32 v[82:83], v1 offset1:32
	ds_read2_b32 v[84:85], v1 offset0:128 offset1:160
	v_add_u32_e32 v1, 0x1800, v0
	s_waitcnt lgkmcnt(3)
	v_mfma_f32_16x16x32_fp8_fp8 v[32:35], v[78:79], v[94:95], v[20:23]
	ds_read2_b32 v[86:87], v1 offset1:32
	ds_read2_b32 v[88:89], v1 offset0:128 offset1:160
	v_add_u32_e32 v1, 0x1c00, v0
	ds_read2_b32 v[90:91], v1 offset1:32
	ds_read2_b32 v[92:93], v1 offset0:128 offset1:160
	s_waitcnt lgkmcnt(6)
	v_mfma_f32_16x16x32_fp8_fp8 v[32:35], v[80:81], v[96:97], v[32:35]
	ds_read_b32 v1, v51 offset:28680
	ds_write_b32 v51, v58 offset:28676
	s_waitcnt lgkmcnt(1)
	v_cmp_ne_u32_e32 vcc, v1, v50
	v_mfma_f32_16x16x32_fp8_fp8 v[32:35], v[82:83], v[98:99], v[32:35]
	v_mfma_f32_16x16x32_fp8_fp8 v[32:35], v[84:85], v[100:101], v[32:35]
	v_mfma_f32_16x16x32_fp8_fp8 v[32:35], v[86:87], v[102:103], v[32:35]
	v_mfma_f32_16x16x32_fp8_fp8 v[32:35], v[88:89], v[104:105], v[32:35]
	v_mfma_f32_16x16x32_fp8_fp8 v[32:35], v[90:91], v[108:109], v[32:35]
	v_mfma_f32_16x16x32_fp8_fp8 v[28:31], v[92:93], v[106:107], v[32:35]
	s_and_saveexec_b64 s[10:11], vcc
	s_cbranch_execz .LBB347_25
; %bb.23:                               ;   in Loop: Header=BB347_13 Depth=2
	s_mov_b64 s[12:13], 0
.LBB347_24:                             ;   Parent Loop BB347_7 Depth=1
                                        ;     Parent Loop BB347_13 Depth=2
                                        ; =>    This Inner Loop Header: Depth=3
	;;#ASMSTART
	s_sleep 0
	;;#ASMEND
	ds_read_b32 v1, v51 offset:28680
	s_waitcnt lgkmcnt(0)
	v_cmp_eq_u32_e32 vcc, v1, v50
	s_or_b64 s[12:13], vcc, s[12:13]
	s_andn2_b64 exec, exec, s[12:13]
	s_cbranch_execnz .LBB347_24
.LBB347_25:                             ;   in Loop: Header=BB347_13 Depth=2
	s_or_b64 exec, exec, s[10:11]
	v_add_u32_e32 v1, 0x2000, v0
	ds_read2_b32 v[110:111], v1 offset1:32
	ds_read2_b32 v[112:113], v1 offset0:128 offset1:160
	v_add_u32_e32 v1, 0x2400, v0
	ds_read2_b32 v[114:115], v1 offset1:32
	ds_read2_b32 v[116:117], v1 offset0:128 offset1:160
	v_add_u32_e32 v1, 0x2800, v0
	s_waitcnt lgkmcnt(3)
	v_mfma_f32_16x16x32_fp8_fp8 v[20:23], v[110:111], v[94:95], v[40:43]
	ds_read2_b32 v[118:119], v1 offset1:32
	ds_read2_b32 v[120:121], v1 offset0:128 offset1:160
	v_add_u32_e32 v1, 0x2c00, v0
	ds_read2_b32 v[122:123], v1 offset1:32
	ds_read2_b32 v[124:125], v1 offset0:128 offset1:160
	s_waitcnt lgkmcnt(6)
	v_mfma_f32_16x16x32_fp8_fp8 v[20:23], v[112:113], v[96:97], v[20:23]
	ds_read_b32 v1, v51 offset:28684
	ds_write_b32 v51, v58 offset:28680
	s_waitcnt lgkmcnt(1)
	v_cmp_ne_u32_e32 vcc, v1, v50
	v_mfma_f32_16x16x32_fp8_fp8 v[20:23], v[114:115], v[98:99], v[20:23]
	v_mfma_f32_16x16x32_fp8_fp8 v[20:23], v[116:117], v[100:101], v[20:23]
	;; [unrolled: 1-line block ×6, first 2 shown]
	s_and_saveexec_b64 s[10:11], vcc
	s_cbranch_execz .LBB347_28
; %bb.26:                               ;   in Loop: Header=BB347_13 Depth=2
	s_mov_b64 s[12:13], 0
.LBB347_27:                             ;   Parent Loop BB347_7 Depth=1
                                        ;     Parent Loop BB347_13 Depth=2
                                        ; =>    This Inner Loop Header: Depth=3
	;;#ASMSTART
	s_sleep 0
	;;#ASMEND
	ds_read_b32 v1, v51 offset:28684
	s_waitcnt lgkmcnt(0)
	v_cmp_eq_u32_e32 vcc, v1, v50
	s_or_b64 s[12:13], vcc, s[12:13]
	s_andn2_b64 exec, exec, s[12:13]
	s_cbranch_execnz .LBB347_27
.LBB347_28:                             ;   in Loop: Header=BB347_13 Depth=2
	s_or_b64 exec, exec, s[10:11]
	v_add_u32_e32 v1, 0x3000, v0
	ds_read2_b32 v[126:127], v1 offset1:32
	ds_read2_b32 v[56:57], v1 offset0:128 offset1:160
	v_add_u32_e32 v1, 0x3400, v0
	v_mov_b32_e32 v20, v54
	ds_read2_b32 v[54:55], v1 offset1:32
	s_waitcnt lgkmcnt(2)
	v_mfma_f32_16x16x32_fp8_fp8 v[8:11], v[126:127], v[94:95], v[8:11]
	ds_read2_b32 v[52:53], v1 offset0:128 offset1:160
	v_add_u32_e32 v1, 0x3800, v0
	v_add_u32_e32 v16, 0x3c00, v0
	s_waitcnt lgkmcnt(2)
	v_mfma_f32_16x16x32_fp8_fp8 v[8:11], v[56:57], v[96:97], v[8:11]
	ds_read2_b32 v[96:97], v16 offset1:32
	ds_read2_b32 v[94:95], v16 offset0:128 offset1:160
	ds_write_b32 v51, v58 offset:28684
	s_waitcnt lgkmcnt(4)
	v_mfma_f32_16x16x32_fp8_fp8 v[8:11], v[54:55], v[98:99], v[8:11]
	ds_read2_b32 v[98:99], v1 offset1:32
	s_waitcnt lgkmcnt(4)
	v_mfma_f32_16x16x32_fp8_fp8 v[8:11], v[52:53], v[100:101], v[8:11]
	ds_read2_b32 v[100:101], v1 offset0:128 offset1:160
	s_waitcnt lgkmcnt(1)
	v_mfma_f32_16x16x32_fp8_fp8 v[0:3], v[98:99], v[102:103], v[8:11]
	s_nop 4
	ds_read_b32 v8, v60 offset:28692
	s_waitcnt lgkmcnt(1)
	v_mfma_f32_16x16x32_fp8_fp8 v[0:3], v[100:101], v[104:105], v[0:3]
	s_waitcnt lgkmcnt(0)
	v_cmp_ne_u32_e32 vcc, v8, v50
	v_mfma_f32_16x16x32_fp8_fp8 v[0:3], v[96:97], v[108:109], v[0:3]
	v_mfma_f32_16x16x32_fp8_fp8 v[32:35], v[94:95], v[106:107], v[0:3]
	s_and_saveexec_b64 s[10:11], vcc
	s_cbranch_execz .LBB347_31
; %bb.29:                               ;   in Loop: Header=BB347_13 Depth=2
	s_mov_b64 s[12:13], 0
.LBB347_30:                             ;   Parent Loop BB347_7 Depth=1
                                        ;     Parent Loop BB347_13 Depth=2
                                        ; =>    This Inner Loop Header: Depth=3
	;;#ASMSTART
	s_sleep 0
	;;#ASMEND
	s_nop 3
	ds_read_b32 v0, v60 offset:28692
	s_waitcnt lgkmcnt(0)
	v_cmp_eq_u32_e32 vcc, v0, v50
	s_or_b64 s[12:13], vcc, s[12:13]
	s_andn2_b64 exec, exec, s[12:13]
	s_cbranch_execnz .LBB347_30
.LBB347_31:                             ;   in Loop: Header=BB347_13 Depth=2
	s_or_b64 exec, exec, s[10:11]
	scratch_load_dwordx4 v[0:3], off, off   ; 16-byte Folded Reload
	v_add_u32_e32 v8, 0x1000, v49
	ds_read2_b32 v[102:103], v8 offset1:32
	ds_read2_b32 v[104:105], v8 offset0:128 offset1:160
	v_add_u32_e32 v8, 0x1400, v49
	ds_read2_b32 v[106:107], v8 offset1:32
	ds_read2_b32 v[108:109], v8 offset0:128 offset1:160
	;; [unrolled: 3-line block ×4, first 2 shown]
	s_waitcnt vmcnt(0) lgkmcnt(7)
	v_mfma_f32_16x16x32_fp8_fp8 v[0:3], v[62:63], v[102:103], v[0:3]
	s_waitcnt lgkmcnt(6)
	v_mfma_f32_16x16x32_fp8_fp8 v[0:3], v[64:65], v[104:105], v[0:3]
	s_waitcnt lgkmcnt(5)
	;; [unrolled: 2-line block ×7, first 2 shown]
	v_mfma_f32_16x16x32_fp8_fp8 v[0:3], v[76:77], v[18:19], v[0:3]
	s_nop 7
	scratch_store_dwordx4 off, v[0:3], off  ; 16-byte Folded Spill
	scratch_load_dwordx4 v[0:3], off, off offset:16 ; 16-byte Folded Reload
	s_waitcnt vmcnt(0)
	v_mfma_f32_16x16x32_fp8_fp8 v[0:3], v[78:79], v[102:103], v[0:3]
	v_mfma_f32_16x16x32_fp8_fp8 v[0:3], v[80:81], v[104:105], v[0:3]
	;; [unrolled: 1-line block ×8, first 2 shown]
	s_nop 7
	scratch_store_dwordx4 off, v[0:3], off offset:16 ; 16-byte Folded Spill
	scratch_load_dwordx4 v[0:3], off, off offset:32 ; 16-byte Folded Reload
	s_waitcnt vmcnt(0)
	v_mfma_f32_16x16x32_fp8_fp8 v[0:3], v[110:111], v[102:103], v[0:3]
	v_mfma_f32_16x16x32_fp8_fp8 v[0:3], v[112:113], v[104:105], v[0:3]
	v_mfma_f32_16x16x32_fp8_fp8 v[0:3], v[114:115], v[106:107], v[0:3]
	v_mfma_f32_16x16x32_fp8_fp8 v[0:3], v[116:117], v[108:109], v[0:3]
	v_mfma_f32_16x16x32_fp8_fp8 v[0:3], v[118:119], v[8:9], v[0:3]
	v_mfma_f32_16x16x32_fp8_fp8 v[0:3], v[120:121], v[10:11], v[0:3]
	v_mfma_f32_16x16x32_fp8_fp8 v[0:3], v[122:123], v[16:17], v[0:3]
	v_mfma_f32_16x16x32_fp8_fp8 v[0:3], v[124:125], v[18:19], v[0:3]
	s_nop 7
	scratch_store_dwordx4 off, v[0:3], off offset:32 ; 16-byte Folded Spill
	scratch_load_dwordx4 v[0:3], off, off offset:48 ; 16-byte Folded Reload
	;;#ASMSTART
	s_waitcnt lgkmcnt(0)
	;;#ASMEND
	ds_write_b32 v60, v58 offset:28692
	s_waitcnt vmcnt(0)
	v_mfma_f32_16x16x32_fp8_fp8 v[0:3], v[126:127], v[102:103], v[0:3]
	v_mfma_f32_16x16x32_fp8_fp8 v[0:3], v[56:57], v[104:105], v[0:3]
	;; [unrolled: 1-line block ×5, first 2 shown]
	ds_read_b32 v8, v60 offset:28696
	s_waitcnt lgkmcnt(0)
	v_cmp_ne_u32_e32 vcc, v8, v50
	v_mfma_f32_16x16x32_fp8_fp8 v[0:3], v[100:101], v[10:11], v[0:3]
	v_mfma_f32_16x16x32_fp8_fp8 v[0:3], v[96:97], v[16:17], v[0:3]
	;; [unrolled: 1-line block ×3, first 2 shown]
	s_and_saveexec_b64 s[10:11], vcc
	s_cbranch_execz .LBB347_12
; %bb.32:                               ;   in Loop: Header=BB347_13 Depth=2
	s_mov_b64 s[12:13], 0
.LBB347_33:                             ;   Parent Loop BB347_7 Depth=1
                                        ;     Parent Loop BB347_13 Depth=2
                                        ; =>    This Inner Loop Header: Depth=3
	;;#ASMSTART
	s_sleep 0
	;;#ASMEND
	s_nop 3
	ds_read_b32 v0, v60 offset:28696
	s_waitcnt lgkmcnt(0)
	v_cmp_eq_u32_e32 vcc, v0, v50
	s_or_b64 s[12:13], vcc, s[12:13]
	s_andn2_b64 exec, exec, s[12:13]
	s_cbranch_execnz .LBB347_33
	s_branch .LBB347_12
.LBB347_34:                             ;   in Loop: Header=BB347_7 Depth=1
	s_or_b64 exec, exec, s[8:9]
	scratch_load_dword v53, off, off offset:84 ; 4-byte Folded Reload
	scratch_load_dwordx2 v[56:57], off, off offset:88 ; 8-byte Folded Reload
	scratch_load_dword v55, off, off offset:96 ; 4-byte Folded Reload
	scratch_load_dword v57, off, off offset:100 ; 4-byte Folded Reload
	scratch_load_dword v58, off, off offset:104 ; 4-byte Folded Reload
	scratch_load_dwordx2 v[60:61], off, off offset:116 ; 8-byte Folded Reload
.LBB347_35:                             ;   in Loop: Header=BB347_7 Depth=1
	s_or_b64 exec, exec, s[6:7]
	scratch_load_dword v17, off, off offset:64 ; 4-byte Folded Reload
	scratch_load_dword v18, off, off offset:68 ; 4-byte Folded Reload
	scratch_load_dwordx4 v[28:31], off, off ; 16-byte Folded Reload
	s_waitcnt vmcnt(7)
	v_cmp_le_i32_e32 vcc, s18, v56
	v_mov_b64_e32 v[66:67], v[10:11]
	v_mov_b64_e32 v[64:65], v[8:9]
	s_waitcnt vmcnt(6)
	v_cmp_eq_u32_e64 s[6:7], 2, v55
	v_cmp_eq_u32_e64 s[8:9], 3, v55
	v_cmp_eq_u32_e64 s[10:11], 0, v55
	v_mov_b64_e32 v[70:71], v[42:43]
	v_mov_b64_e32 v[68:69], v[40:41]
	s_waitcnt vmcnt(5)
	v_cmp_eq_u32_e64 s[12:13], 1, v57
	v_cmp_eq_u32_e64 s[16:17], 3, v57
	s_waitcnt vmcnt(2)
	v_cndmask_b32_e32 v62, 0, v17, vcc
	v_pk_mul_f32 v[8:9], v[62:63], v[44:45] op_sel_hi:[0,1]
	v_cmp_eq_u32_e32 vcc, 1, v55
	v_pk_mul_f32 v[2:3], v[62:63], v[46:47] op_sel_hi:[0,1]
	s_nop 0
	v_cndmask_b32_e32 v0, v8, v9, vcc
	v_cndmask_b32_e64 v0, v0, v2, s[6:7]
	v_cndmask_b32_e64 v0, v0, v3, s[8:9]
	s_waitcnt vmcnt(1)
	ds_bpermute_b32 v10, v18, v0
	s_waitcnt lgkmcnt(0)
	v_cndmask_b32_e64 v0, v3, v10, s[8:9]
	v_or_b32_e32 v3, 16, v56
	v_cmp_le_i32_e64 s[14:15], s18, v3
	v_cndmask_b32_e32 v45, v9, v10, vcc
	v_cndmask_b32_e64 v1, v2, v10, s[6:7]
	v_cndmask_b32_e64 v44, 0, v17, s[14:15]
	;; [unrolled: 1-line block ×3, first 2 shown]
	s_waitcnt vmcnt(0)
	v_pk_mul_f32 v[10:11], v[44:45], v[28:29] op_sel_hi:[0,1]
	v_pk_mul_f32 v[8:9], v[44:45], v[30:31] op_sel_hi:[0,1]
	v_cndmask_b32_e32 v3, v10, v11, vcc
	v_cndmask_b32_e64 v3, v3, v8, s[6:7]
	v_cndmask_b32_e64 v3, v3, v9, s[8:9]
	ds_bpermute_b32 v16, v18, v3
	v_cndmask_b32_e64 v2, v46, v45, s[12:13]
	v_cmp_eq_u32_e64 s[14:15], 2, v57
	s_waitcnt lgkmcnt(0)
	v_cndmask_b32_e64 v42, v8, v16, s[6:7]
	v_or_b32_e32 v8, 32, v56
	v_cmp_le_i32_e64 s[18:19], s18, v8
	v_cndmask_b32_e32 v49, v11, v16, vcc
	v_cndmask_b32_e64 v51, v10, v16, s[10:11]
	v_cndmask_b32_e64 v40, 0, v17, s[18:19]
	v_pk_mul_f32 v[10:11], v[40:41], v[36:37] op_sel_hi:[0,1]
	v_cndmask_b32_e64 v3, v9, v16, s[8:9]
	v_pk_mul_f32 v[8:9], v[40:41], v[38:39] op_sel_hi:[0,1]
	v_cndmask_b32_e32 v16, v10, v11, vcc
	v_cndmask_b32_e64 v16, v16, v8, s[6:7]
	v_cndmask_b32_e64 v16, v16, v9, s[8:9]
	ds_bpermute_b32 v16, v18, v16
	v_cmp_ne_u32_e32 vcc, 0, v55
	v_cndmask_b32_e64 v17, v51, v49, s[12:13]
	v_cndmask_b32_e64 v2, v2, v1, s[14:15]
	;; [unrolled: 1-line block ×3, first 2 shown]
	s_waitcnt lgkmcnt(0)
	v_cndmask_b32_e32 v36, v11, v16, vcc
	v_cndmask_b32_e64 v37, v10, v16, s[10:11]
	v_cndmask_b32_e64 v43, v8, v16, s[6:7]
	;; [unrolled: 1-line block ×8, first 2 shown]
	ds_bpermute_b32 v2, v18, v2
	ds_bpermute_b32 v38, v18, v17
	;; [unrolled: 1-line block ×3, first 2 shown]
	v_add_u32_e32 v41, s65, v58
	v_cmp_gt_u32_e32 vcc, 64, v41
	s_and_saveexec_b64 s[18:19], vcc
	s_cbranch_execz .LBB347_44
; %bb.36:                               ;   in Loop: Header=BB347_7 Depth=1
	scratch_load_dwordx2 v[18:19], off, off offset:108 ; 8-byte Folded Reload
	v_cmp_eq_u32_e64 s[8:9], 1, v57
	v_cmp_eq_u32_e64 s[10:11], 0, v57
	v_cmp_eq_u32_e32 vcc, 3, v57
	s_waitcnt lgkmcnt(2)
	v_cndmask_b32_e64 v8, v45, v2, s[8:9]
	s_waitcnt lgkmcnt(1)
	v_cndmask_b32_e64 v10, v49, v38, s[8:9]
	;; [unrolled: 2-line block ×3, first 2 shown]
	s_mul_i32 s8, s63, s21
	s_ashr_i32 s9, s8, 31
	s_lshl_b64 s[8:9], s[8:9], 1
	v_cndmask_b32_e64 v9, v46, v2, s[10:11]
	v_cndmask_b32_e64 v11, v51, v38, s[10:11]
	;; [unrolled: 1-line block ×3, first 2 shown]
	s_add_u32 s10, s40, s8
	s_addc_u32 s11, s41, s9
	s_ashr_i32 s35, s34, 31
	v_cvt_f16_f32_e32 v9, v9
	v_cvt_f16_f32_sdwa v8, v8 dst_sel:WORD_1 dst_unused:UNUSED_PAD src0_sel:DWORD
	s_lshl_b64 s[8:9], s[34:35], 1
	v_cvt_f16_f32_e32 v11, v11
	v_cvt_f16_f32_sdwa v10, v10 dst_sel:WORD_1 dst_unused:UNUSED_PAD src0_sel:DWORD
	s_add_u32 s48, s10, s8
	v_cvt_f16_f32_e32 v17, v17
	v_cvt_f16_f32_sdwa v16, v16 dst_sel:WORD_1 dst_unused:UNUSED_PAD src0_sel:DWORD
	s_addc_u32 s49, s11, s9
	v_or_b32_e32 v8, v8, v9
	v_cmp_eq_u32_e64 s[6:7], 2, v57
	v_or_b32_e32 v10, v10, v11
	v_cmp_gt_u32_e64 s[8:9], 62, v41
	s_waitcnt vmcnt(0)
	v_lshl_add_u64 v[36:37], v[18:19], 1, s[48:49]
	;;#ASMSTART
	global_atomic_pk_add_f16 v[36:37], v8, off
	
	;;#ASMEND
	v_lshl_add_u64 v[8:9], v[36:37], 0, 32
	;;#ASMSTART
	global_atomic_pk_add_f16 v[8:9], v10, off
	
	;;#ASMEND
	v_lshl_add_u64 v[8:9], v[36:37], 0, 64
	v_or_b32_e32 v10, v16, v17
	;;#ASMSTART
	global_atomic_pk_add_f16 v[8:9], v10, off
	
	;;#ASMEND
	s_and_b64 exec, exec, s[8:9]
	s_cbranch_execz .LBB347_44
; %bb.37:                               ;   in Loop: Header=BB347_7 Depth=1
	v_cndmask_b32_e32 v0, v0, v2, vcc
	v_cndmask_b32_e64 v1, v1, v2, s[6:7]
	v_cndmask_b32_e32 v2, v3, v38, vcc
	v_cndmask_b32_e64 v3, v42, v38, s[6:7]
	v_cvt_f16_f32_e32 v8, v1
	v_cvt_f16_f32_sdwa v9, v0 dst_sel:WORD_1 dst_unused:UNUSED_PAD src0_sel:DWORD
	v_cvt_f16_f32_e32 v10, v3
	v_cvt_f16_f32_sdwa v11, v2 dst_sel:WORD_1 dst_unused:UNUSED_PAD src0_sel:DWORD
	v_mov_b32_e32 v63, v62
	v_lshl_add_u64 v[0:1], s[28:29], 2, v[36:37]
	v_or_b32_e32 v2, v9, v8
	;;#ASMSTART
	global_atomic_pk_add_f16 v[0:1], v2, off
	
	;;#ASMEND
	v_or_b32_e32 v18, v11, v10
	v_pk_mul_f32 v[10:11], v[62:63], v[20:21]
	scratch_load_dword v20, off, off offset:68 ; 4-byte Folded Reload
	v_lshl_add_u64 v[2:3], v[0:1], 0, 32
	;;#ASMSTART
	global_atomic_pk_add_f16 v[2:3], v18, off
	
	;;#ASMEND
	scratch_load_dwordx4 v[28:31], off, off offset:16 ; 16-byte Folded Reload
	v_cndmask_b32_e32 v16, v39, v47, vcc
	v_mov_b32_e32 v8, v62
	v_mov_b32_e32 v9, v62
	v_cmp_eq_u32_e32 vcc, 1, v55
	v_cndmask_b32_e64 v17, v43, v47, s[6:7]
	v_pk_mul_f32 v[8:9], v[8:9], v[22:23]
	v_cndmask_b32_e32 v19, v10, v11, vcc
	v_cmp_eq_u32_e64 s[6:7], 2, v55
	v_cmp_eq_u32_e64 s[8:9], 3, v55
	v_mov_b32_e32 v45, v44
	v_cndmask_b32_e64 v19, v19, v8, s[6:7]
	v_cndmask_b32_e64 v19, v19, v9, s[8:9]
	v_cmp_eq_u32_e64 s[10:11], 0, v55
	v_mov_b32_e32 v2, v44
	v_mov_b32_e32 v3, v44
	v_cvt_f16_f32_e32 v18, v17
	v_cvt_f16_f32_sdwa v35, v16 dst_sel:WORD_1 dst_unused:UNUSED_PAD src0_sel:DWORD
	v_lshl_add_u64 v[16:17], v[0:1], 0, 64
	v_mov_b32_e32 v41, v40
	v_cmp_eq_u32_e64 s[12:13], 1, v57
	v_cmp_eq_u32_e64 s[14:15], 2, v57
	;; [unrolled: 1-line block ×3, first 2 shown]
	s_waitcnt vmcnt(1)
	ds_bpermute_b32 v19, v20, v19
	s_waitcnt lgkmcnt(0)
	v_cndmask_b32_e32 v32, v11, v19, vcc
	v_cndmask_b32_e64 v33, v10, v19, s[10:11]
	s_waitcnt vmcnt(0)
	v_pk_mul_f32 v[10:11], v[44:45], v[28:29]
	v_cndmask_b32_e64 v0, v9, v19, s[8:9]
	v_cndmask_b32_e64 v1, v8, v19, s[6:7]
	v_pk_mul_f32 v[8:9], v[2:3], v[30:31]
	v_cndmask_b32_e32 v2, v10, v11, vcc
	v_cndmask_b32_e64 v2, v2, v8, s[6:7]
	v_cndmask_b32_e64 v2, v2, v9, s[8:9]
	ds_bpermute_b32 v29, v20, v2
	v_cndmask_b32_e64 v19, v33, v32, s[12:13]
	v_cndmask_b32_e64 v2, v19, v1, s[14:15]
	;; [unrolled: 1-line block ×3, first 2 shown]
	ds_bpermute_b32 v2, v20, v2
	s_waitcnt lgkmcnt(1)
	v_cndmask_b32_e64 v3, v9, v29, s[8:9]
	v_cndmask_b32_e64 v28, v8, v29, s[6:7]
	v_cndmask_b32_e32 v31, v11, v29, vcc
	v_cndmask_b32_e64 v34, v10, v29, s[10:11]
	v_mov_b32_e32 v8, v40
	v_mov_b32_e32 v9, v40
	v_pk_mul_f32 v[10:11], v[40:41], v[24:25]
	v_pk_mul_f32 v[8:9], v[8:9], v[26:27]
	v_cndmask_b32_e32 v19, v10, v11, vcc
	v_cndmask_b32_e64 v19, v19, v8, s[6:7]
	v_cndmask_b32_e64 v19, v19, v9, s[8:9]
	ds_bpermute_b32 v19, v20, v19
	v_cndmask_b32_e64 v24, v34, v31, s[12:13]
	v_cndmask_b32_e64 v24, v24, v28, s[14:15]
	;; [unrolled: 1-line block ×3, first 2 shown]
	v_cmp_ne_u32_e32 vcc, 0, v55
	ds_bpermute_b32 v26, v20, v24
	s_waitcnt lgkmcnt(1)
	v_cndmask_b32_e64 v25, v10, v19, s[10:11]
	v_cndmask_b32_e32 v24, v11, v19, vcc
	v_cndmask_b32_e64 v29, v8, v19, s[6:7]
	v_cndmask_b32_e64 v8, v25, v24, s[12:13]
	;; [unrolled: 1-line block ×5, first 2 shown]
	ds_bpermute_b32 v30, v20, v8
	v_or_b32_e32 v8, v35, v18
	;;#ASMSTART
	global_atomic_pk_add_f16 v[16:17], v8, off
	
	;;#ASMEND
	v_or_b32_e32 v8, 16, v58
	v_add_u32_e32 v35, s65, v8
	v_cmp_gt_u32_e32 vcc, 64, v35
	s_and_b64 exec, exec, vcc
	s_cbranch_execz .LBB347_44
; %bb.38:                               ;   in Loop: Header=BB347_7 Depth=1
	scratch_load_dwordx2 v[18:19], off, off offset:124 ; 8-byte Folded Reload
	v_cmp_eq_u32_e64 s[8:9], 1, v57
	v_cmp_eq_u32_e64 s[10:11], 0, v57
	v_cmp_eq_u32_e32 vcc, 3, v57
	v_cndmask_b32_e64 v8, v32, v2, s[8:9]
	v_cndmask_b32_e64 v9, v33, v2, s[10:11]
	s_waitcnt lgkmcnt(1)
	v_cndmask_b32_e64 v10, v31, v26, s[8:9]
	v_cndmask_b32_e64 v11, v34, v26, s[10:11]
	v_cvt_f16_f32_e32 v9, v9
	v_cvt_f16_f32_sdwa v8, v8 dst_sel:WORD_1 dst_unused:UNUSED_PAD src0_sel:DWORD
	s_waitcnt lgkmcnt(0)
	v_cndmask_b32_e64 v16, v24, v30, s[8:9]
	v_cndmask_b32_e64 v17, v25, v30, s[10:11]
	v_cvt_f16_f32_e32 v11, v11
	v_cvt_f16_f32_sdwa v10, v10 dst_sel:WORD_1 dst_unused:UNUSED_PAD src0_sel:DWORD
	v_cvt_f16_f32_e32 v17, v17
	v_cvt_f16_f32_sdwa v16, v16 dst_sel:WORD_1 dst_unused:UNUSED_PAD src0_sel:DWORD
	v_or_b32_e32 v8, v8, v9
	v_cmp_eq_u32_e64 s[6:7], 2, v57
	v_or_b32_e32 v10, v10, v11
	v_cmp_gt_u32_e64 s[8:9], 62, v35
	s_waitcnt vmcnt(0)
	v_lshl_add_u64 v[24:25], v[18:19], 1, s[48:49]
	;;#ASMSTART
	global_atomic_pk_add_f16 v[24:25], v8, off
	
	;;#ASMEND
	v_lshl_add_u64 v[8:9], v[24:25], 0, 32
	;;#ASMSTART
	global_atomic_pk_add_f16 v[8:9], v10, off
	
	;;#ASMEND
	v_lshl_add_u64 v[8:9], v[24:25], 0, 64
	v_or_b32_e32 v10, v16, v17
	;;#ASMSTART
	global_atomic_pk_add_f16 v[8:9], v10, off
	
	;;#ASMEND
	s_and_b64 exec, exec, s[8:9]
	s_cbranch_execz .LBB347_44
; %bb.39:                               ;   in Loop: Header=BB347_7 Depth=1
	v_cndmask_b32_e32 v0, v0, v2, vcc
	v_cndmask_b32_e64 v1, v1, v2, s[6:7]
	v_cvt_f16_f32_e32 v8, v1
	v_cvt_f16_f32_sdwa v9, v0 dst_sel:WORD_1 dst_unused:UNUSED_PAD src0_sel:DWORD
	v_cndmask_b32_e32 v2, v3, v26, vcc
	v_cndmask_b32_e64 v3, v28, v26, s[6:7]
	v_cndmask_b32_e32 v16, v27, v30, vcc
	v_lshl_add_u64 v[0:1], s[28:29], 2, v[24:25]
	v_cvt_f16_f32_sdwa v11, v2 dst_sel:WORD_1 dst_unused:UNUSED_PAD src0_sel:DWORD
	v_or_b32_e32 v2, v9, v8
	;;#ASMSTART
	global_atomic_pk_add_f16 v[0:1], v2, off
	
	;;#ASMEND
	scratch_load_dword v27, off, off offset:68 ; 4-byte Folded Reload
	v_cvt_f16_f32_e32 v10, v3
	v_cndmask_b32_e64 v17, v29, v30, s[6:7]
	v_lshl_add_u64 v[2:3], v[0:1], 0, 32
	v_mov_b32_e32 v8, v62
	v_or_b32_e32 v18, v11, v10
	;;#ASMSTART
	global_atomic_pk_add_f16 v[2:3], v18, off
	
	;;#ASMEND
	scratch_load_dwordx4 v[28:31], off, off offset:32 ; 16-byte Folded Reload
	v_mov_b32_e32 v9, v62
	v_pk_mul_f32 v[10:11], v[62:63], v[68:69]
	v_cmp_eq_u32_e32 vcc, 1, v55
	v_pk_mul_f32 v[8:9], v[8:9], v[70:71]
	v_cmp_eq_u32_e64 s[6:7], 2, v55
	v_cndmask_b32_e32 v19, v10, v11, vcc
	v_cmp_eq_u32_e64 s[8:9], 3, v55
	v_cndmask_b32_e64 v19, v19, v8, s[6:7]
	v_cmp_eq_u32_e64 s[10:11], 0, v55
	v_cndmask_b32_e64 v19, v19, v9, s[8:9]
	v_mov_b32_e32 v2, v44
	v_mov_b32_e32 v3, v44
	v_lshl_add_u64 v[24:25], v[0:1], 0, 64
	v_cvt_f16_f32_e32 v23, v17
	v_cmp_eq_u32_e64 s[12:13], 1, v57
	v_cvt_f16_f32_sdwa v26, v16 dst_sel:WORD_1 dst_unused:UNUSED_PAD src0_sel:DWORD
	v_cmp_eq_u32_e64 s[14:15], 2, v57
	v_cmp_eq_u32_e64 s[16:17], 3, v57
	s_waitcnt vmcnt(1)
	ds_bpermute_b32 v19, v27, v19
	s_waitcnt lgkmcnt(0)
	v_cndmask_b32_e32 v20, v11, v19, vcc
	v_cndmask_b32_e64 v21, v10, v19, s[10:11]
	s_waitcnt vmcnt(0)
	v_pk_mul_f32 v[10:11], v[44:45], v[28:29]
	v_cndmask_b32_e64 v0, v9, v19, s[8:9]
	v_cndmask_b32_e64 v1, v8, v19, s[6:7]
	v_pk_mul_f32 v[8:9], v[2:3], v[30:31]
	v_cndmask_b32_e32 v2, v10, v11, vcc
	v_cndmask_b32_e64 v2, v2, v8, s[6:7]
	v_cndmask_b32_e64 v2, v2, v9, s[8:9]
	ds_bpermute_b32 v17, v27, v2
	v_cndmask_b32_e64 v16, v21, v20, s[12:13]
	v_cndmask_b32_e64 v2, v16, v1, s[14:15]
	;; [unrolled: 1-line block ×3, first 2 shown]
	ds_bpermute_b32 v2, v27, v2
	s_waitcnt lgkmcnt(1)
	v_cndmask_b32_e64 v3, v9, v17, s[8:9]
	v_cndmask_b32_e64 v16, v8, v17, s[6:7]
	v_cndmask_b32_e32 v19, v11, v17, vcc
	v_cndmask_b32_e64 v22, v10, v17, s[10:11]
	v_mov_b32_e32 v8, v40
	v_mov_b32_e32 v9, v40
	v_pk_mul_f32 v[10:11], v[40:41], v[12:13]
	v_pk_mul_f32 v[8:9], v[8:9], v[14:15]
	v_cndmask_b32_e32 v12, v10, v11, vcc
	v_cndmask_b32_e64 v12, v12, v8, s[6:7]
	v_cndmask_b32_e64 v12, v12, v9, s[8:9]
	ds_bpermute_b32 v13, v27, v12
	v_cndmask_b32_e64 v12, v22, v19, s[12:13]
	v_cndmask_b32_e64 v12, v12, v16, s[14:15]
	;; [unrolled: 1-line block ×3, first 2 shown]
	v_cmp_ne_u32_e32 vcc, 0, v55
	ds_bpermute_b32 v14, v27, v12
	s_waitcnt lgkmcnt(1)
	v_cndmask_b32_e64 v15, v9, v13, s[8:9]
	v_cndmask_b32_e64 v17, v8, v13, s[6:7]
	v_cndmask_b32_e32 v12, v11, v13, vcc
	v_cndmask_b32_e64 v13, v10, v13, s[10:11]
	v_cndmask_b32_e64 v8, v13, v12, s[12:13]
	;; [unrolled: 1-line block ×4, first 2 shown]
	ds_bpermute_b32 v18, v27, v8
	v_or_b32_e32 v8, v26, v23
	;;#ASMSTART
	global_atomic_pk_add_f16 v[24:25], v8, off
	
	;;#ASMEND
	v_or_b32_e32 v8, 32, v58
	v_add_u32_e32 v23, s65, v8
	v_cmp_gt_u32_e32 vcc, 64, v23
	s_and_b64 exec, exec, vcc
	s_cbranch_execz .LBB347_44
; %bb.40:                               ;   in Loop: Header=BB347_7 Depth=1
	v_cmp_eq_u32_e64 s[8:9], 1, v57
	v_cmp_eq_u32_e64 s[10:11], 0, v57
	v_cmp_eq_u32_e32 vcc, 3, v57
	v_cndmask_b32_e64 v8, v20, v2, s[8:9]
	s_waitcnt lgkmcnt(1)
	v_cndmask_b32_e64 v10, v19, v14, s[8:9]
	s_waitcnt lgkmcnt(0)
	v_cndmask_b32_e64 v19, v12, v18, s[8:9]
	v_cndmask_b32_e64 v20, v13, v18, s[10:11]
	scratch_load_dwordx2 v[12:13], off, off offset:132 ; 8-byte Folded Reload
	v_cndmask_b32_e64 v9, v21, v2, s[10:11]
	v_cndmask_b32_e64 v11, v22, v14, s[10:11]
	v_cvt_f16_f32_e32 v9, v9
	v_cvt_f16_f32_sdwa v8, v8 dst_sel:WORD_1 dst_unused:UNUSED_PAD src0_sel:DWORD
	v_cvt_f16_f32_e32 v11, v11
	v_cvt_f16_f32_sdwa v10, v10 dst_sel:WORD_1 dst_unused:UNUSED_PAD src0_sel:DWORD
	v_cvt_f16_f32_e32 v20, v20
	v_cvt_f16_f32_sdwa v19, v19 dst_sel:WORD_1 dst_unused:UNUSED_PAD src0_sel:DWORD
	v_or_b32_e32 v8, v8, v9
	v_cmp_eq_u32_e64 s[6:7], 2, v57
	v_or_b32_e32 v10, v10, v11
	v_cmp_gt_u32_e64 s[8:9], 62, v23
	s_waitcnt vmcnt(0)
	v_lshl_add_u64 v[12:13], v[12:13], 1, s[48:49]
	;;#ASMSTART
	global_atomic_pk_add_f16 v[12:13], v8, off
	
	;;#ASMEND
	v_lshl_add_u64 v[8:9], v[12:13], 0, 32
	;;#ASMSTART
	global_atomic_pk_add_f16 v[8:9], v10, off
	
	;;#ASMEND
	v_lshl_add_u64 v[8:9], v[12:13], 0, 64
	v_or_b32_e32 v10, v19, v20
	;;#ASMSTART
	global_atomic_pk_add_f16 v[8:9], v10, off
	
	;;#ASMEND
	s_and_b64 exec, exec, s[8:9]
	s_cbranch_execz .LBB347_44
; %bb.41:                               ;   in Loop: Header=BB347_7 Depth=1
	v_cndmask_b32_e32 v0, v0, v2, vcc
	v_cndmask_b32_e64 v1, v1, v2, s[6:7]
	v_cvt_f16_f32_e32 v8, v1
	v_cvt_f16_f32_sdwa v9, v0 dst_sel:WORD_1 dst_unused:UNUSED_PAD src0_sel:DWORD
	v_cndmask_b32_e32 v2, v3, v14, vcc
	v_lshl_add_u64 v[0:1], s[28:29], 2, v[12:13]
	v_cvt_f16_f32_sdwa v11, v2 dst_sel:WORD_1 dst_unused:UNUSED_PAD src0_sel:DWORD
	v_or_b32_e32 v2, v9, v8
	;;#ASMSTART
	global_atomic_pk_add_f16 v[0:1], v2, off
	
	;;#ASMEND
	scratch_load_dword v22, off, off offset:68 ; 4-byte Folded Reload
	v_cndmask_b32_e64 v3, v16, v14, s[6:7]
	v_cvt_f16_f32_e32 v10, v3
	v_cndmask_b32_e32 v14, v15, v18, vcc
	v_mov_b32_e32 v8, v62
	v_mov_b32_e32 v9, v62
	v_or_b32_e32 v12, v11, v10
	v_pk_mul_f32 v[10:11], v[62:63], v[64:65]
	v_cmp_eq_u32_e32 vcc, 1, v55
	v_cndmask_b32_e64 v15, v17, v18, s[6:7]
	v_pk_mul_f32 v[8:9], v[8:9], v[66:67]
	v_cndmask_b32_e32 v13, v10, v11, vcc
	v_cmp_eq_u32_e64 s[6:7], 2, v55
	v_cmp_eq_u32_e64 s[8:9], 3, v55
	v_lshl_add_u64 v[2:3], v[0:1], 0, 32
	v_cndmask_b32_e64 v13, v13, v8, s[6:7]
	v_cndmask_b32_e64 v13, v13, v9, s[8:9]
	v_cmp_eq_u32_e64 s[10:11], 0, v55
	;;#ASMSTART
	global_atomic_pk_add_f16 v[2:3], v12, off
	
	;;#ASMEND
	v_lshl_add_u64 v[16:17], v[0:1], 0, 64
	v_cvt_f16_f32_e32 v20, v15
	v_cmp_eq_u32_e64 s[12:13], 1, v57
	v_cvt_f16_f32_sdwa v21, v14 dst_sel:WORD_1 dst_unused:UNUSED_PAD src0_sel:DWORD
	v_cmp_eq_u32_e64 s[14:15], 2, v57
	v_pk_mul_f32 v[18:19], v[40:41], v[4:5]
	v_cmp_eq_u32_e64 s[16:17], 3, v57
	v_cndmask_b32_e32 v4, v18, v19, vcc
	s_waitcnt vmcnt(0)
	ds_bpermute_b32 v13, v22, v13
	s_waitcnt lgkmcnt(0)
	v_cndmask_b32_e64 v2, v9, v13, s[8:9]
	v_cndmask_b32_e64 v3, v8, v13, s[6:7]
	v_cndmask_b32_e32 v0, v11, v13, vcc
	v_cndmask_b32_e64 v1, v10, v13, s[10:11]
	v_mov_b32_e32 v8, v44
	v_mov_b32_e32 v9, v44
	v_pk_mul_f32 v[12:13], v[44:45], v[102:103]
	v_pk_mul_f32 v[10:11], v[8:9], v[104:105]
	v_cndmask_b32_e32 v8, v12, v13, vcc
	v_cndmask_b32_e64 v8, v8, v10, s[6:7]
	v_cndmask_b32_e64 v8, v8, v11, s[8:9]
	ds_bpermute_b32 v15, v22, v8
	v_cndmask_b32_e64 v14, v1, v0, s[12:13]
	v_cndmask_b32_e64 v8, v14, v3, s[14:15]
	v_mov_b32_e32 v14, v40
	v_cndmask_b32_e64 v8, v8, v2, s[16:17]
	s_waitcnt lgkmcnt(0)
	v_cndmask_b32_e64 v9, v11, v15, s[8:9]
	v_cndmask_b32_e64 v10, v10, v15, s[6:7]
	v_cndmask_b32_e32 v11, v13, v15, vcc
	v_cndmask_b32_e64 v12, v12, v15, s[10:11]
	v_mov_b32_e32 v15, v40
	v_pk_mul_f32 v[14:15], v[14:15], v[6:7]
	v_cmp_ne_u32_e32 vcc, 0, v55
	v_cndmask_b32_e64 v4, v4, v14, s[6:7]
	v_cndmask_b32_e64 v4, v4, v15, s[8:9]
	ds_bpermute_b32 v7, v22, v4
	v_cndmask_b32_e64 v4, v12, v11, s[12:13]
	v_cndmask_b32_e64 v4, v4, v10, s[14:15]
	;; [unrolled: 1-line block ×3, first 2 shown]
	ds_bpermute_b32 v6, v22, v4
	s_waitcnt lgkmcnt(1)
	v_cndmask_b32_e64 v4, v15, v7, s[8:9]
	v_cndmask_b32_e64 v5, v14, v7, s[6:7]
	v_cndmask_b32_e32 v14, v19, v7, vcc
	v_cndmask_b32_e64 v15, v18, v7, s[10:11]
	v_cndmask_b32_e64 v7, v15, v14, s[12:13]
	;; [unrolled: 1-line block ×4, first 2 shown]
	ds_bpermute_b32 v8, v22, v8
	ds_bpermute_b32 v7, v22, v7
	v_or_b32_e32 v13, v21, v20
	;;#ASMSTART
	global_atomic_pk_add_f16 v[16:17], v13, off
	
	;;#ASMEND
	v_or_b32_e32 v13, 48, v58
	v_add_u32_e32 v13, s65, v13
	v_cmp_gt_u32_e32 vcc, 64, v13
	s_and_b64 exec, exec, vcc
	s_cbranch_execz .LBB347_44
; %bb.42:                               ;   in Loop: Header=BB347_7 Depth=1
	v_cmp_eq_u32_e64 s[8:9], 1, v57
	v_cmp_eq_u32_e64 s[10:11], 0, v57
	v_cmp_eq_u32_e32 vcc, 3, v57
	s_waitcnt lgkmcnt(1)
	v_cndmask_b32_e64 v0, v0, v8, s[8:9]
	v_cndmask_b32_e64 v1, v1, v8, s[10:11]
	v_cvt_f16_f32_e32 v16, v1
	v_cvt_f16_f32_sdwa v17, v0 dst_sel:WORD_1 dst_unused:UNUSED_PAD src0_sel:DWORD
	scratch_load_dwordx2 v[0:1], off, off offset:140 ; 8-byte Folded Reload
	v_cndmask_b32_e64 v11, v11, v6, s[8:9]
	v_cndmask_b32_e64 v12, v12, v6, s[10:11]
	s_waitcnt lgkmcnt(0)
	v_cndmask_b32_e64 v18, v14, v7, s[8:9]
	v_cndmask_b32_e64 v19, v15, v7, s[10:11]
	v_cvt_f16_f32_e32 v12, v12
	v_cvt_f16_f32_sdwa v11, v11 dst_sel:WORD_1 dst_unused:UNUSED_PAD src0_sel:DWORD
	v_or_b32_e32 v14, v17, v16
	v_cvt_f16_f32_e32 v16, v19
	v_cvt_f16_f32_sdwa v17, v18 dst_sel:WORD_1 dst_unused:UNUSED_PAD src0_sel:DWORD
	v_cmp_eq_u32_e64 s[6:7], 2, v57
	v_or_b32_e32 v11, v11, v12
	v_cmp_gt_u32_e64 s[8:9], 62, v13
	s_waitcnt vmcnt(0)
	v_lshl_add_u64 v[0:1], v[0:1], 1, s[48:49]
	;;#ASMSTART
	global_atomic_pk_add_f16 v[0:1], v14, off
	
	;;#ASMEND
	v_lshl_add_u64 v[14:15], v[0:1], 0, 32
	;;#ASMSTART
	global_atomic_pk_add_f16 v[14:15], v11, off
	
	;;#ASMEND
	v_lshl_add_u64 v[14:15], v[0:1], 0, 64
	v_or_b32_e32 v11, v17, v16
	;;#ASMSTART
	global_atomic_pk_add_f16 v[14:15], v11, off
	
	;;#ASMEND
	s_and_b64 exec, exec, s[8:9]
	s_cbranch_execz .LBB347_44
; %bb.43:                               ;   in Loop: Header=BB347_7 Depth=1
	v_cndmask_b32_e32 v2, v2, v8, vcc
	v_cndmask_b32_e64 v3, v3, v8, s[6:7]
	v_cvt_f16_f32_e32 v3, v3
	v_cvt_f16_f32_sdwa v2, v2 dst_sel:WORD_1 dst_unused:UNUSED_PAD src0_sel:DWORD
	v_cndmask_b32_e32 v8, v9, v6, vcc
	v_cndmask_b32_e64 v6, v10, v6, s[6:7]
	v_cndmask_b32_e32 v4, v4, v7, vcc
	v_cndmask_b32_e64 v5, v5, v7, s[6:7]
	v_cvt_f16_f32_e32 v6, v6
	v_cvt_f16_f32_sdwa v7, v8 dst_sel:WORD_1 dst_unused:UNUSED_PAD src0_sel:DWORD
	v_cvt_f16_f32_e32 v5, v5
	v_cvt_f16_f32_sdwa v4, v4 dst_sel:WORD_1 dst_unused:UNUSED_PAD src0_sel:DWORD
	v_lshl_add_u64 v[0:1], s[28:29], 2, v[0:1]
	v_or_b32_e32 v2, v2, v3
	;;#ASMSTART
	global_atomic_pk_add_f16 v[0:1], v2, off
	
	;;#ASMEND
	v_lshl_add_u64 v[2:3], v[0:1], 0, 32
	v_or_b32_e32 v6, v7, v6
	;;#ASMSTART
	global_atomic_pk_add_f16 v[2:3], v6, off
	
	;;#ASMEND
	;; [unrolled: 6-line block ×3, first 2 shown]
.LBB347_44:                             ;   in Loop: Header=BB347_7 Depth=1
	s_or_b64 exec, exec, s[18:19]
	scratch_load_dword v22, off, off offset:72 ; 4-byte Folded Reload
	v_subrev_u32_e32 v59, s66, v59
.LBB347_45:                             ;   in Loop: Header=BB347_7 Depth=1
	s_or_b64 exec, exec, s[46:47]
.LBB347_46:                             ;   in Loop: Header=BB347_7 Depth=1
	s_andn2_saveexec_b64 s[6:7], s[44:45]
	s_cbranch_execz .LBB347_55
; %bb.47:                               ;   in Loop: Header=BB347_7 Depth=1
	s_mul_i32 s16, s66, 3
	v_cmp_gt_i32_e32 vcc, s16, v59
	s_and_saveexec_b64 s[8:9], vcc
	s_cbranch_execz .LBB347_54
; %bb.48:                               ;   in Loop: Header=BB347_7 Depth=1
	scratch_load_dwordx2 v[0:1], off, off offset:76 ; 8-byte Folded Reload
	s_mul_i32 s10, s34, s23
	s_ashr_i32 s11, s10, 31
	s_waitcnt lgkmcnt(0)
	s_add_u32 s10, s38, s10
	s_addc_u32 s11, s39, s11
	s_ashr_i32 s12, s64, 31
	s_add_u32 s10, s10, s64
	s_addc_u32 s11, s11, s12
	s_waitcnt vmcnt(0)
	v_lshl_add_u64 v[0:1], s[10:11], 0, v[0:1]
	v_lshl_add_u64 v[16:17], v[0:1], 0, v[60:61]
	s_mov_b64 s[10:11], 0
	s_branch .LBB347_50
.LBB347_49:                             ;   in Loop: Header=BB347_50 Depth=2
	s_or_b64 exec, exec, s[12:13]
	v_or_b32_e32 v20, 0x4000, v48
	v_lshl_add_u32 v20, v18, 12, v20
	;;#ASMSTART
	s_waitcnt vmcnt(3)
	;;#ASMEND
	ds_write2_b32 v20, v12, v13 offset1:32
	ds_write2_b32 v20, v14, v15 offset0:64 offset1:96
	v_add_u32_e32 v12, 0x400, v20
	;;#ASMSTART
	s_waitcnt vmcnt(2)
	;;#ASMEND
	ds_write2_b32 v12, v8, v9 offset1:32
	ds_write2_b32 v12, v10, v11 offset0:64 offset1:96
	v_add_u32_e32 v8, 0x800, v20
	;; [unrolled: 6-line block ×3, first 2 shown]
	v_add_u32_e32 v59, s26, v59
	;;#ASMSTART
	s_waitcnt vmcnt(0)
	;;#ASMEND
	ds_write2_b32 v4, v0, v1 offset1:32
	ds_write2_b32 v4, v2, v3 offset0:64 offset1:96
	v_add_u32_e32 v0, 1, v50
	v_add_u32_e32 v52, s26, v18
	v_cmp_le_i32_e32 vcc, s16, v59
	ds_write_b32 v19, v0 offset:16
	v_add_u32_e32 v0, 2, v50
	s_or_b64 s[10:11], vcc, s[10:11]
	v_cmp_lt_i32_e32 vcc, 2, v52
	s_nop 1
	v_cndmask_b32_e32 v50, v50, v0, vcc
	s_andn2_b64 exec, exec, s[10:11]
	s_cbranch_execz .LBB347_53
.LBB347_50:                             ;   Parent Loop BB347_7 Depth=1
                                        ; =>  This Loop Header: Depth=2
                                        ;       Child Loop BB347_52 Depth 3
	v_cmp_gt_i32_e32 vcc, 3, v52
	s_nop 1
	v_cndmask_b32_e64 v0, -3, 0, vcc
	v_add_u32_e32 v18, v0, v52
	v_mul_hi_i32 v0, v59, s62
	v_lshrrev_b32_e32 v1, 31, v0
	v_add_u32_e32 v0, v0, v1
	v_lshl_add_u32 v1, v0, 1, v0
	v_sub_u32_e32 v2, v59, v1
	v_lshlrev_b32_e32 v0, 8, v0
	v_ashrrev_i32_e32 v1, 31, v0
	v_mul_lo_u32 v2, s55, v2
	v_lshl_add_u64 v[0:1], v[16:17], 0, v[0:1]
	v_ashrrev_i32_e32 v3, 31, v2
	v_lshl_add_u64 v[0:1], v[0:1], 0, v[2:3]
	v_lshlrev_b32_e32 v19, 2, v18
	;;#ASMSTART
	global_load_dwordx4 v[12:15], v[0:1], off offset:0    sc0 sc1 nt  
	global_load_dwordx4 v[8:11], v[0:1], off offset:64   sc0 sc1 nt  
	global_load_dwordx4 v[4:7], v[0:1], off offset:128  sc0 sc1 nt  
	global_load_dwordx4 v[0:3], v[0:1], off offset:192  sc0 sc1 nt  
	
	;;#ASMEND
	ds_read_b32 v20, v19 offset:28688
	v_add_u32_e32 v19, 0x7000, v19
	s_waitcnt lgkmcnt(0)
	v_cmp_ne_u32_e32 vcc, v20, v50
	s_and_saveexec_b64 s[12:13], vcc
	s_cbranch_execz .LBB347_49
; %bb.51:                               ;   in Loop: Header=BB347_50 Depth=2
	s_mov_b64 s[14:15], 0
.LBB347_52:                             ;   Parent Loop BB347_7 Depth=1
                                        ;     Parent Loop BB347_50 Depth=2
                                        ; =>    This Inner Loop Header: Depth=3
	;;#ASMSTART
	s_sleep 0
	;;#ASMEND
	ds_read_b32 v20, v19 offset:16
	s_waitcnt lgkmcnt(0)
	v_cmp_eq_u32_e32 vcc, v20, v50
	s_or_b64 s[14:15], vcc, s[14:15]
	s_andn2_b64 exec, exec, s[14:15]
	s_cbranch_execnz .LBB347_52
	s_branch .LBB347_49
.LBB347_53:                             ;   in Loop: Header=BB347_7 Depth=1
	s_or_b64 exec, exec, s[10:11]
.LBB347_54:                             ;   in Loop: Header=BB347_7 Depth=1
	s_or_b64 exec, exec, s[8:9]
	v_subrev_u32_e32 v59, s16, v59
.LBB347_55:                             ;   in Loop: Header=BB347_7 Depth=1
	s_or_b64 exec, exec, s[6:7]
.LBB347_56:                             ;   in Loop: Header=BB347_7 Depth=1
	s_andn2_saveexec_b64 s[6:7], s[30:31]
	s_cbranch_execz .LBB347_6
; %bb.57:                               ;   in Loop: Header=BB347_7 Depth=1
	s_lshl_b32 s16, s66, 2
	v_cmp_gt_i32_e32 vcc, s16, v59
	s_and_saveexec_b64 s[8:9], vcc
	s_cbranch_execz .LBB347_5
; %bb.58:                               ;   in Loop: Header=BB347_7 Depth=1
	s_mul_i32 s63, s63, s22
	s_ashr_i32 s10, s63, 31
	s_waitcnt lgkmcnt(0)
	s_add_u32 s11, s36, s63
	s_waitcnt vmcnt(0)
	v_add_u32_e32 v2, s65, v22
	s_addc_u32 s12, s37, s10
	s_ashr_i32 s13, s64, 31
	v_mul_lo_u32 v0, s22, v22
	v_cmp_gt_u32_e32 vcc, 64, v2
	s_add_u32 s10, s11, s64
	s_addc_u32 s11, s12, s13
	v_cndmask_b32_e32 v0, 0, v0, vcc
	v_ashrrev_i32_e32 v1, 31, v0
	v_lshl_add_u64 v[0:1], s[10:11], 0, v[0:1]
	v_lshl_add_u64 v[16:17], v[0:1], 0, v[60:61]
	v_sub_u32_e32 v18, 63, v2
	s_mov_b64 s[10:11], 0
	s_branch .LBB347_60
.LBB347_59:                             ;   in Loop: Header=BB347_60 Depth=2
	s_or_b64 exec, exec, s[12:13]
	v_lshl_or_b32 v21, v19, 12, v48
	;;#ASMSTART
	s_waitcnt vmcnt(3)
	;;#ASMEND
	ds_write2_b32 v21, v12, v13 offset1:32
	ds_write2_b32 v21, v14, v15 offset0:64 offset1:96
	v_add_u32_e32 v12, 0x400, v21
	;;#ASMSTART
	s_waitcnt vmcnt(2)
	;;#ASMEND
	ds_write2_b32 v12, v8, v9 offset1:32
	ds_write2_b32 v12, v10, v11 offset0:64 offset1:96
	v_add_u32_e32 v8, 0x800, v21
	;; [unrolled: 6-line block ×3, first 2 shown]
	v_add_u32_e32 v59, s25, v59
	;;#ASMSTART
	s_waitcnt vmcnt(0)
	;;#ASMEND
	ds_write2_b32 v4, v0, v1 offset1:32
	ds_write2_b32 v4, v2, v3 offset0:64 offset1:96
	v_add_u32_e32 v0, 1, v50
	v_add_u32_e32 v52, s25, v19
	v_cmp_le_i32_e32 vcc, s16, v59
	ds_write_b32 v20, v0
	v_add_u32_e32 v0, 2, v50
	s_or_b64 s[10:11], vcc, s[10:11]
	v_cmp_lt_i32_e32 vcc, 3, v52
	s_nop 1
	v_cndmask_b32_e32 v50, v50, v0, vcc
	s_andn2_b64 exec, exec, s[10:11]
	s_cbranch_execz .LBB347_4
.LBB347_60:                             ;   Parent Loop BB347_7 Depth=1
                                        ; =>  This Loop Header: Depth=2
                                        ;       Child Loop BB347_62 Depth 3
	v_cmp_gt_i32_e32 vcc, 4, v52
	s_nop 1
	v_cndmask_b32_e64 v0, -4, 0, vcc
	v_add_u32_e32 v19, v0, v52
	v_ashrrev_i32_e32 v0, 31, v59
	v_lshrrev_b32_e32 v0, 30, v0
	v_add_u32_e32 v0, v59, v0
	v_and_b32_e32 v1, 0xffffffc, v0
	v_sub_u32_e32 v1, v59, v1
	v_lshlrev_b32_e32 v1, 4, v1
	v_cmp_le_i32_e32 vcc, v1, v18
	v_lshlrev_b32_e32 v0, 6, v0
	v_and_b32_e32 v0, 0xffffff00, v0
	v_cndmask_b32_e32 v2, 0, v1, vcc
	v_ashrrev_i32_e32 v1, 31, v0
	v_mul_lo_u32 v2, v2, s22
	v_lshl_add_u64 v[0:1], v[16:17], 0, v[0:1]
	v_ashrrev_i32_e32 v3, 31, v2
	v_lshl_add_u64 v[0:1], v[0:1], 0, v[2:3]
	v_lshlrev_b32_e32 v20, 2, v19
	;;#ASMSTART
	global_load_dwordx4 v[12:15], v[0:1], off offset:0    
	global_load_dwordx4 v[8:11], v[0:1], off offset:64   
	;; [unrolled: 1-line block ×4, first 2 shown]
	
	;;#ASMEND
	ds_read_b32 v21, v20 offset:28672
	v_add_u32_e32 v20, 0x7000, v20
	s_waitcnt lgkmcnt(0)
	v_cmp_ne_u32_e32 vcc, v21, v50
	s_and_saveexec_b64 s[12:13], vcc
	s_cbranch_execz .LBB347_59
; %bb.61:                               ;   in Loop: Header=BB347_60 Depth=2
	s_mov_b64 s[14:15], 0
.LBB347_62:                             ;   Parent Loop BB347_7 Depth=1
                                        ;     Parent Loop BB347_60 Depth=2
                                        ; =>    This Inner Loop Header: Depth=3
	;;#ASMSTART
	s_sleep 0
	;;#ASMEND
	ds_read_b32 v21, v20
	s_waitcnt lgkmcnt(0)
	v_cmp_eq_u32_e32 vcc, v21, v50
	s_or_b64 s[14:15], vcc, s[14:15]
	s_andn2_b64 exec, exec, s[14:15]
	s_cbranch_execnz .LBB347_62
	s_branch .LBB347_59
.LBB347_63:
	s_endpgm
	.section	.rodata,"a",@progbits
	.p2align	6, 0x0
	.amdhsa_kernel _Z19_skinny_gemm_kernelILi4ELi3ELi1ELi16ELi8EEvPKhS1_P6__halfPKfiiiiiiii
		.amdhsa_group_segment_fixed_size 28700
		.amdhsa_private_segment_fixed_size 152
		.amdhsa_kernarg_size 64
		.amdhsa_user_sgpr_count 2
		.amdhsa_user_sgpr_dispatch_ptr 0
		.amdhsa_user_sgpr_queue_ptr 0
		.amdhsa_user_sgpr_kernarg_segment_ptr 1
		.amdhsa_user_sgpr_dispatch_id 0
		.amdhsa_user_sgpr_kernarg_preload_length 0
		.amdhsa_user_sgpr_kernarg_preload_offset 0
		.amdhsa_user_sgpr_private_segment_size 0
		.amdhsa_uses_dynamic_stack 0
		.amdhsa_enable_private_segment 1
		.amdhsa_system_sgpr_workgroup_id_x 1
		.amdhsa_system_sgpr_workgroup_id_y 0
		.amdhsa_system_sgpr_workgroup_id_z 0
		.amdhsa_system_sgpr_workgroup_info 0
		.amdhsa_system_vgpr_workitem_id 0
		.amdhsa_next_free_vgpr 128
		.amdhsa_next_free_sgpr 67
		.amdhsa_accum_offset 128
		.amdhsa_reserve_vcc 1
		.amdhsa_float_round_mode_32 0
		.amdhsa_float_round_mode_16_64 0
		.amdhsa_float_denorm_mode_32 3
		.amdhsa_float_denorm_mode_16_64 3
		.amdhsa_dx10_clamp 1
		.amdhsa_ieee_mode 1
		.amdhsa_fp16_overflow 0
		.amdhsa_tg_split 0
		.amdhsa_exception_fp_ieee_invalid_op 0
		.amdhsa_exception_fp_denorm_src 0
		.amdhsa_exception_fp_ieee_div_zero 0
		.amdhsa_exception_fp_ieee_overflow 0
		.amdhsa_exception_fp_ieee_underflow 0
		.amdhsa_exception_fp_ieee_inexact 0
		.amdhsa_exception_int_div_zero 0
	.end_amdhsa_kernel
	.section	.text._Z19_skinny_gemm_kernelILi4ELi3ELi1ELi16ELi8EEvPKhS1_P6__halfPKfiiiiiiii,"axG",@progbits,_Z19_skinny_gemm_kernelILi4ELi3ELi1ELi16ELi8EEvPKhS1_P6__halfPKfiiiiiiii,comdat
.Lfunc_end347:
	.size	_Z19_skinny_gemm_kernelILi4ELi3ELi1ELi16ELi8EEvPKhS1_P6__halfPKfiiiiiiii, .Lfunc_end347-_Z19_skinny_gemm_kernelILi4ELi3ELi1ELi16ELi8EEvPKhS1_P6__halfPKfiiiiiiii
                                        ; -- End function
	.set _Z19_skinny_gemm_kernelILi4ELi3ELi1ELi16ELi8EEvPKhS1_P6__halfPKfiiiiiiii.num_vgpr, 128
	.set _Z19_skinny_gemm_kernelILi4ELi3ELi1ELi16ELi8EEvPKhS1_P6__halfPKfiiiiiiii.num_agpr, 0
	.set _Z19_skinny_gemm_kernelILi4ELi3ELi1ELi16ELi8EEvPKhS1_P6__halfPKfiiiiiiii.numbered_sgpr, 67
	.set _Z19_skinny_gemm_kernelILi4ELi3ELi1ELi16ELi8EEvPKhS1_P6__halfPKfiiiiiiii.num_named_barrier, 0
	.set _Z19_skinny_gemm_kernelILi4ELi3ELi1ELi16ELi8EEvPKhS1_P6__halfPKfiiiiiiii.private_seg_size, 152
	.set _Z19_skinny_gemm_kernelILi4ELi3ELi1ELi16ELi8EEvPKhS1_P6__halfPKfiiiiiiii.uses_vcc, 1
	.set _Z19_skinny_gemm_kernelILi4ELi3ELi1ELi16ELi8EEvPKhS1_P6__halfPKfiiiiiiii.uses_flat_scratch, 0
	.set _Z19_skinny_gemm_kernelILi4ELi3ELi1ELi16ELi8EEvPKhS1_P6__halfPKfiiiiiiii.has_dyn_sized_stack, 0
	.set _Z19_skinny_gemm_kernelILi4ELi3ELi1ELi16ELi8EEvPKhS1_P6__halfPKfiiiiiiii.has_recursion, 0
	.set _Z19_skinny_gemm_kernelILi4ELi3ELi1ELi16ELi8EEvPKhS1_P6__halfPKfiiiiiiii.has_indirect_call, 0
	.section	.AMDGPU.csdata,"",@progbits
; Kernel info:
; codeLenInByte = 8576
; TotalNumSgprs: 73
; NumVgprs: 128
; NumAgprs: 0
; TotalNumVgprs: 128
; ScratchSize: 152
; MemoryBound: 0
; FloatMode: 240
; IeeeMode: 1
; LDSByteSize: 28700 bytes/workgroup (compile time only)
; SGPRBlocks: 9
; VGPRBlocks: 15
; NumSGPRsForWavesPerEU: 73
; NumVGPRsForWavesPerEU: 128
; AccumOffset: 128
; Occupancy: 4
; WaveLimiterHint : 0
; COMPUTE_PGM_RSRC2:SCRATCH_EN: 1
; COMPUTE_PGM_RSRC2:USER_SGPR: 2
; COMPUTE_PGM_RSRC2:TRAP_HANDLER: 0
; COMPUTE_PGM_RSRC2:TGID_X_EN: 1
; COMPUTE_PGM_RSRC2:TGID_Y_EN: 0
; COMPUTE_PGM_RSRC2:TGID_Z_EN: 0
; COMPUTE_PGM_RSRC2:TIDIG_COMP_CNT: 0
; COMPUTE_PGM_RSRC3_GFX90A:ACCUM_OFFSET: 31
; COMPUTE_PGM_RSRC3_GFX90A:TG_SPLIT: 0
	.section	.text._Z19_skinny_gemm_kernelILi4ELi3ELi1ELi32ELi4EEvPKhS1_P6__halfPKfiiiiiiii,"axG",@progbits,_Z19_skinny_gemm_kernelILi4ELi3ELi1ELi32ELi4EEvPKhS1_P6__halfPKfiiiiiiii,comdat
	.protected	_Z19_skinny_gemm_kernelILi4ELi3ELi1ELi32ELi4EEvPKhS1_P6__halfPKfiiiiiiii ; -- Begin function _Z19_skinny_gemm_kernelILi4ELi3ELi1ELi32ELi4EEvPKhS1_P6__halfPKfiiiiiiii
	.globl	_Z19_skinny_gemm_kernelILi4ELi3ELi1ELi32ELi4EEvPKhS1_P6__halfPKfiiiiiiii
	.p2align	8
	.type	_Z19_skinny_gemm_kernelILi4ELi3ELi1ELi32ELi4EEvPKhS1_P6__halfPKfiiiiiiii,@function
_Z19_skinny_gemm_kernelILi4ELi3ELi1ELi32ELi4EEvPKhS1_P6__halfPKfiiiiiiii: ; @_Z19_skinny_gemm_kernelILi4ELi3ELi1ELi32ELi4EEvPKhS1_P6__halfPKfiiiiiiii
; %bb.0:
	v_cmp_gt_u32_e32 vcc, 7, v0
	s_and_saveexec_b64 s[4:5], vcc
; %bb.1:
	v_lshlrev_b32_e32 v1, 2, v0
	v_mov_b32_e32 v2, 0
	ds_write_b32 v1, v2 offset:14336
; %bb.2:
	s_or_b64 exec, exec, s[4:5]
	s_load_dwordx8 s[92:99], s[0:1], 0x20
	s_waitcnt lgkmcnt(0)
	s_barrier
	s_add_i32 s3, s92, 0x7f
	s_ashr_i32 s5, s3, 31
	s_add_i32 s4, s93, 0x5f
	s_lshr_b32 s5, s5, 25
	s_mul_hi_i32 s4, s4, 0x2aaaaaab
	s_add_i32 s3, s3, s5
	s_ashr_i32 s14, s3, 7
	s_lshr_b32 s3, s4, 31
	s_ashr_i32 s4, s4, 4
	s_add_i32 s15, s4, s3
	s_mul_i32 s3, s15, s14
	s_mul_i32 s3, s3, s96
	s_add_i32 s4, s3, 0x12f
	s_mul_hi_i32 s4, s4, 0x6bca1af3
	s_lshr_b32 s5, s4, 31
	s_ashr_i32 s4, s4, 7
	s_add_i32 s4, s4, s5
	s_add_i32 s5, s2, 1
	s_mul_i32 s5, s4, s5
	v_cvt_f64_i32_e32 v[2:3], s3
	v_cvt_f64_u32_e32 v[4:5], s5
	v_min_f64 v[2:3], v[2:3], v[4:5]
	v_cvt_i32_f64_e32 v62, v[2:3]
	s_mul_i32 s33, s4, s2
	v_cmp_ge_i32_e32 vcc, s33, v62
	s_cbranch_vccnz .LBB348_51
; %bb.3:
	s_load_dwordx8 s[16:23], s[0:1], 0x0
	v_lshrrev_b32_e32 v1, 6, v0
	s_add_i32 s0, s98, s97
	v_cmp_le_i32_e64 s[24:25], s0, v1
	v_mov_b32_e32 v2, s97
	v_cmp_le_i32_e64 s[26:27], s97, v1
	v_mov_b32_e32 v3, s98
	v_cndmask_b32_e64 v3, 0, v3, s[24:25]
	v_cndmask_b32_e64 v2, 0, v2, s[26:27]
	s_abs_i32 s1, s96
	v_add_u32_e32 v2, v2, v3
	v_cvt_f32_u32_e32 v3, s1
	v_sub_u32_e32 v56, v1, v2
	s_ashr_i32 s2, s94, 31
	s_lshr_b32 s2, s2, 26
	v_rcp_iflag_f32_e32 v2, v3
	s_sub_i32 s5, 0, s1
	s_add_i32 s2, s94, s2
	s_ashr_i32 s2, s2, 6
	v_mul_f32_e32 v2, 0x4f7ffffe, v2
	v_cvt_u32_f32_e32 v2, v2
	s_abs_i32 s4, s2
	s_xor_b32 s3, s2, s96
	s_ashr_i32 s3, s3, 31
	v_readfirstlane_b32 s6, v2
	s_mul_i32 s5, s5, s6
	s_mul_hi_u32 s5, s6, s5
	s_add_i32 s6, s6, s5
	s_mul_hi_u32 s5, s4, s6
	s_mul_i32 s6, s5, s1
	s_sub_i32 s4, s4, s6
	s_add_i32 s6, s5, 1
	s_sub_i32 s7, s4, s1
	s_cmp_ge_u32 s4, s1
	s_cselect_b32 s5, s6, s5
	s_cselect_b32 s4, s7, s4
	s_add_i32 s6, s5, 1
	s_cmp_ge_u32 s4, s1
	s_cselect_b32 s1, s6, s5
	s_add_i32 s0, s0, s99
	v_and_b32_e32 v64, 31, v0
	v_lshrrev_b32_e32 v2, 3, v0
	v_cmp_gt_i32_e64 s[34:35], s0, v1
	v_lshlrev_b32_e32 v1, 2, v64
	v_and_b32_e32 v3, 4, v2
	v_lshlrev_b32_e32 v2, 6, v3
	v_or_b32_e32 v4, 0x2000, v1
	v_and_b32_e32 v5, 1, v0
	s_add_i32 s29, s96, -1
	v_or_b32_e32 v65, v1, v2
	v_or_b32_e32 v66, v4, v2
	v_lshlrev_b32_e32 v2, 1, v5
	v_lshrrev_b32_e32 v7, 1, v0
	s_abs_i32 s96, s14
                                        ; implicit-def: $vgpr93 : SGPR spill to VGPR lane
	v_sub_u32_e32 v2, v0, v2
	v_and_b32_e32 v50, 16, v7
	v_cvt_f32_u32_e32 v7, s96
	v_writelane_b32 v93, s14, 0
	v_add_u32_e32 v2, 1, v2
	v_writelane_b32 v93, s15, 1
	v_and_b32_e32 v6, 63, v2
	v_bitop3_b32 v67, v0, 1, v0 bitop3:0xc
	v_bitop3_b32 v68, v0, 3, 1 bitop3:0x6c
	;; [unrolled: 1-line block ×8, first 2 shown]
	v_and_b32_e32 v2, 30, v0
	v_lshlrev_b32_e32 v0, 4, v0
	s_waitcnt lgkmcnt(0)
	v_writelane_b32 v93, s16, 2
	v_and_b32_e32 v0, 0x200, v0
	v_or_b32_e32 v77, v4, v0
	v_writelane_b32 v93, s17, 3
	v_rcp_iflag_f32_e32 v4, v7
	s_abs_i32 s90, s15
	v_writelane_b32 v93, s18, 4
	v_or_b32_e32 v79, v1, v0
	v_cvt_f32_u32_e32 v1, s90
	v_writelane_b32 v93, s19, 5
	v_writelane_b32 v93, s20, 6
	v_writelane_b32 v93, s21, 7
	v_mul_f32_e32 v0, 0x4f7ffffe, v4
	v_writelane_b32 v93, s22, 8
	v_cvt_u32_f32_e32 v0, v0
	v_rcp_iflag_f32_e32 v1, v1
	v_writelane_b32 v93, s23, 9
	v_cndmask_b32_e64 v63, 0, 1, s[24:25]
	s_xor_b32 s1, s1, s3
	v_writelane_b32 v93, s24, 10
	s_sub_i32 s28, s1, s3
	s_mul_i32 s1, s28, s29
	v_writelane_b32 v93, s25, 11
	v_writelane_b32 v93, s26, 12
	s_sub_i32 s30, s2, s1
	v_readfirstlane_b32 s1, v0
	v_mul_f32_e32 v0, 0x4f7ffffe, v1
	v_writelane_b32 v93, s27, 13
	v_cvt_u32_f32_e32 v0, v0
	v_writelane_b32 v93, s28, 14
	s_sub_i32 s0, 0, s96
	v_writelane_b32 v93, s29, 15
	s_mul_i32 s0, s0, s1
	v_writelane_b32 v93, s30, 16
	s_mul_hi_u32 s0, s1, s0
	v_writelane_b32 v93, s34, 17
	s_ashr_i32 s31, s14, 31
	s_add_i32 s36, s1, s0
	s_sub_i32 s0, 0, s90
	v_readfirstlane_b32 s1, v0
	v_mbcnt_lo_u32_b32 v0, -1, 0
	v_writelane_b32 v93, s35, 18
	s_mul_i32 s0, s0, s1
	v_mbcnt_hi_u32_b32 v0, -1, v0
	v_writelane_b32 v93, s31, 19
	v_mov_b32_e32 v49, 0
	v_mul_lo_u32 v52, s95, v64
	v_or_b32_e32 v80, v5, v3
	s_ashr_i32 s37, s15, 31
	s_mul_hi_u32 s0, s1, s0
	v_and_or_b32 v0, v0, 64, v6
	v_writelane_b32 v93, s36, 20
	v_or_b32_e32 v75, 32, v64
	v_or_b32_e32 v76, 64, v64
	v_ashrrev_i32_e32 v53, 31, v52
	v_mov_b32_e32 v51, v49
	s_lshl_b32 s91, s95, 5
	v_mul_lo_u32 v78, s94, v64
	v_or_b32_e32 v81, 2, v80
	s_add_i32 s38, s1, s0
	v_lshlrev_b32_e32 v48, 1, v2
	v_lshlrev_b32_e32 v82, 2, v0
	v_mov_b32_e32 v83, v56
	v_writelane_b32 v93, s37, 21
	v_writelane_b32 v93, s38, 22
	s_branch .LBB348_7
.LBB348_4:                              ;   in Loop: Header=BB348_7 Depth=1
	s_or_b64 exec, exec, s[4:5]
.LBB348_5:                              ;   in Loop: Header=BB348_7 Depth=1
	s_or_b64 exec, exec, s[2:3]
	v_subrev_u32_e32 v83, s10, v83
.LBB348_6:                              ;   in Loop: Header=BB348_7 Depth=1
	s_or_b64 exec, exec, s[0:1]
	s_add_i32 s33, s33, 1
	v_cmp_ge_i32_e32 vcc, s33, v62
	s_cbranch_vccnz .LBB348_51
.LBB348_7:                              ; =>This Loop Header: Depth=1
                                        ;     Child Loop BB348_13 Depth 2
                                        ;       Child Loop BB348_15 Depth 3
                                        ;       Child Loop BB348_18 Depth 3
	;; [unrolled: 1-line block ×4, first 2 shown]
                                        ;     Child Loop BB348_29 Depth 2
                                        ;     Child Loop BB348_38 Depth 2
                                        ;       Child Loop BB348_40 Depth 3
                                        ;     Child Loop BB348_48 Depth 2
                                        ;       Child Loop BB348_50 Depth 3
	s_abs_i32 s1, s33
	s_mul_hi_u32 s2, s1, s36
	s_mul_i32 s3, s2, s96
	s_ashr_i32 s0, s33, 31
	s_sub_i32 s1, s1, s3
	s_xor_b32 s0, s0, s31
	s_add_i32 s3, s2, 1
	s_sub_i32 s4, s1, s96
	s_cmp_ge_u32 s1, s96
	s_cselect_b32 s2, s3, s2
	s_cselect_b32 s1, s4, s1
	s_add_i32 s3, s2, 1
	s_cmp_ge_u32 s1, s96
	s_cselect_b32 s1, s3, s2
	s_xor_b32 s1, s1, s0
	s_sub_i32 s0, s1, s0
	s_abs_i32 s2, s0
	s_mul_i32 s1, s0, s14
	s_mul_hi_u32 s3, s2, s38
	s_sub_i32 s1, s33, s1
	s_mul_i32 s4, s3, s90
	s_lshl_b32 s39, s1, 7
	s_ashr_i32 s1, s0, 31
	s_sub_i32 s2, s2, s4
	s_xor_b32 s1, s1, s37
	s_add_i32 s4, s3, 1
	s_sub_i32 s5, s2, s90
	s_cmp_ge_u32 s2, s90
	s_cselect_b32 s3, s4, s3
	s_cselect_b32 s2, s5, s2
	s_add_i32 s4, s3, 1
	s_cmp_ge_u32 s2, s90
	s_cselect_b32 s2, s4, s3
	s_xor_b32 s2, s2, s1
	s_sub_i32 s1, s2, s1
	s_mul_i32 s2, s1, s28
	s_lshl_b32 s13, s2, 6
	s_cmp_eq_u32 s1, s29
	s_cselect_b32 s4, s30, s28
	s_sub_i32 s2, s39, s92
	s_addk_i32 s2, 0x80
	s_max_i32 s5, s2, 0
	s_and_saveexec_b64 s[2:3], s[26:27]
	s_xor_b64 s[2:3], exec, s[2:3]
	v_writelane_b32 v93, s2, 23
	s_nop 1
	v_writelane_b32 v93, s3, 24
	s_cbranch_execz .LBB348_44
; %bb.8:                                ;   in Loop: Header=BB348_7 Depth=1
	s_mul_i32 s1, s1, s15
	s_sub_i32 s0, s0, s1
	s_mulk_i32 s0, 0x60
	s_sub_i32 s70, s0, s93
	s_addk_i32 s70, 0x60
	s_max_i32 s1, s70, 0
	s_sub_i32 s0, s0, s1
	v_writelane_b32 v93, s13, 25
	s_and_saveexec_b64 s[2:3], s[24:25]
	s_xor_b64 s[2:3], exec, s[2:3]
	s_cbranch_execz .LBB348_34
; %bb.9:                                ;   in Loop: Header=BB348_7 Depth=1
	s_mov_b64 s[6:7], exec
	v_writelane_b32 v93, s6, 26
	s_nop 1
	v_writelane_b32 v93, s7, 27
	s_and_b64 s[6:7], s[6:7], s[34:35]
	s_mov_b64 exec, s[6:7]
	s_cbranch_execz .LBB348_33
; %bb.10:                               ;   in Loop: Header=BB348_7 Depth=1
	global_load_dword v84, v49, s[22:23]
	v_mov_b32_e32 v47, 0
	v_cmp_gt_i32_e32 vcc, s4, v83
	v_mov_b32_e32 v46, v47
	v_mov_b32_e32 v45, v47
	;; [unrolled: 1-line block ×47, first 2 shown]
	s_and_saveexec_b64 s[6:7], vcc
	s_cbranch_execz .LBB348_26
; %bb.11:                               ;   in Loop: Header=BB348_7 Depth=1
	v_mov_b32_e32 v0, 0
	s_mov_b64 s[8:9], 0
	v_mov_b32_e32 v1, v0
	v_mov_b32_e32 v2, v0
	;; [unrolled: 1-line block ×47, first 2 shown]
	s_branch .LBB348_13
.LBB348_12:                             ;   in Loop: Header=BB348_13 Depth=2
	s_or_b64 exec, exec, s[10:11]
	v_add_u32_e32 v89, 0x1000, v88
	ds_read2_b32 v[90:91], v89 offset1:32
	v_add_u32_e32 v83, s99, v83
	s_waitcnt lgkmcnt(0)
	v_mfma_f32_32x32x16_fp8_fp8 v[0:15], v[60:61], v[90:91], v[0:15]
	ds_read2_b32 v[60:61], v89 offset0:128 offset1:160
	s_waitcnt lgkmcnt(0)
	v_mfma_f32_32x32x16_fp8_fp8 v[0:15], v[58:59], v[60:61], v[0:15]
	v_add_u32_e32 v60, 0x1400, v88
	ds_read2_b32 v[58:59], v60 offset1:32
	ds_read2_b32 v[60:61], v60 offset0:128 offset1:160
	ds_write_b32 v86, v87 offset:14356
	s_waitcnt lgkmcnt(2)
	v_mfma_f32_32x32x16_fp8_fp8 v[0:15], v[56:57], v[58:59], v[0:15]
	v_add_u32_e32 v56, s99, v85
	v_add_u32_e32 v57, 2, v63
	v_cmp_lt_i32_e32 vcc, 0, v56
	s_nop 1
	v_cndmask_b32_e32 v63, v63, v57, vcc
	v_cmp_le_i32_e32 vcc, s4, v83
	s_waitcnt lgkmcnt(1)
	v_mfma_f32_32x32x16_fp8_fp8 v[0:15], v[54:55], v[60:61], v[0:15]
	s_or_b64 s[8:9], vcc, s[8:9]
	s_andn2_b64 exec, exec, s[8:9]
	s_cbranch_execz .LBB348_25
.LBB348_13:                             ;   Parent Loop BB348_7 Depth=1
                                        ; =>  This Loop Header: Depth=2
                                        ;       Child Loop BB348_15 Depth 3
                                        ;       Child Loop BB348_18 Depth 3
	;; [unrolled: 1-line block ×4, first 2 shown]
	v_cmp_lt_i32_e32 vcc, 0, v56
	s_nop 1
	v_subbrev_co_u32_e32 v85, vcc, 0, v56, vcc
	v_mul_lo_u32 v86, v85, 24
	ds_read_b32 v54, v86 offset:14336
	s_waitcnt lgkmcnt(0)
	v_cmp_ne_u32_e32 vcc, v54, v63
	s_and_saveexec_b64 s[10:11], vcc
	s_cbranch_execz .LBB348_16
; %bb.14:                               ;   in Loop: Header=BB348_13 Depth=2
	s_mov_b64 s[12:13], 0
.LBB348_15:                             ;   Parent Loop BB348_7 Depth=1
                                        ;     Parent Loop BB348_13 Depth=2
                                        ; =>    This Inner Loop Header: Depth=3
	;;#ASMSTART
	s_sleep 0
	;;#ASMEND
	ds_read_b32 v54, v86 offset:14336
	s_waitcnt lgkmcnt(0)
	v_cmp_eq_u32_e32 vcc, v54, v63
	s_or_b64 s[12:13], vcc, s[12:13]
	s_andn2_b64 exec, exec, s[12:13]
	s_cbranch_execnz .LBB348_15
.LBB348_16:                             ;   in Loop: Header=BB348_13 Depth=2
	s_or_b64 exec, exec, s[10:11]
	v_lshl_or_b32 v54, v85, 11, v65
	ds_read2_b32 v[60:61], v54 offset1:32
	ds_read2_b32 v[58:59], v54 offset0:128 offset1:160
	v_add_u32_e32 v54, 0x400, v54
	ds_read2_b32 v[56:57], v54 offset1:32
	ds_read_b32 v88, v86 offset:14340
	ds_read2_b32 v[54:55], v54 offset0:128 offset1:160
	v_add_u32_e32 v87, 1, v63
	ds_write_b32 v86, v87 offset:14336
	s_waitcnt lgkmcnt(2)
	v_cmp_ne_u32_e32 vcc, v88, v63
	s_and_saveexec_b64 s[10:11], vcc
	s_cbranch_execz .LBB348_19
; %bb.17:                               ;   in Loop: Header=BB348_13 Depth=2
	s_mov_b64 s[12:13], 0
.LBB348_18:                             ;   Parent Loop BB348_7 Depth=1
                                        ;     Parent Loop BB348_13 Depth=2
                                        ; =>    This Inner Loop Header: Depth=3
	;;#ASMSTART
	s_sleep 0
	;;#ASMEND
	ds_read_b32 v88, v86 offset:14340
	s_waitcnt lgkmcnt(0)
	v_cmp_eq_u32_e32 vcc, v88, v63
	s_or_b64 s[12:13], vcc, s[12:13]
	s_andn2_b64 exec, exec, s[12:13]
	s_cbranch_execnz .LBB348_18
.LBB348_19:                             ;   in Loop: Header=BB348_13 Depth=2
	s_or_b64 exec, exec, s[10:11]
	s_movk_i32 s1, 0x1800
	v_mul_lo_u32 v88, v85, s1
	v_add_u32_e32 v88, v66, v88
	ds_read2_b32 v[90:91], v88 offset1:32
	v_add_u32_e32 v89, 0x400, v88
	ds_write_b32 v86, v87 offset:14340
	s_waitcnt lgkmcnt(1)
	v_mfma_f32_32x32x16_fp8_fp8 v[32:47], v[60:61], v[90:91], v[32:47]
	ds_read2_b32 v[90:91], v88 offset0:128 offset1:160
	s_waitcnt lgkmcnt(0)
	v_mfma_f32_32x32x16_fp8_fp8 v[32:47], v[58:59], v[90:91], v[32:47]
	ds_read2_b32 v[90:91], v89 offset1:32
	s_waitcnt lgkmcnt(0)
	v_mfma_f32_32x32x16_fp8_fp8 v[32:47], v[56:57], v[90:91], v[32:47]
	ds_read2_b32 v[90:91], v89 offset0:128 offset1:160
	ds_read_b32 v89, v86 offset:14348
	s_waitcnt lgkmcnt(0)
	v_cmp_ne_u32_e32 vcc, v89, v63
	v_mfma_f32_32x32x16_fp8_fp8 v[32:47], v[54:55], v[90:91], v[32:47]
	s_and_saveexec_b64 s[10:11], vcc
	s_cbranch_execz .LBB348_22
; %bb.20:                               ;   in Loop: Header=BB348_13 Depth=2
	s_mov_b64 s[12:13], 0
.LBB348_21:                             ;   Parent Loop BB348_7 Depth=1
                                        ;     Parent Loop BB348_13 Depth=2
                                        ; =>    This Inner Loop Header: Depth=3
	;;#ASMSTART
	s_sleep 0
	;;#ASMEND
	ds_read_b32 v89, v86 offset:14348
	s_waitcnt lgkmcnt(0)
	v_cmp_eq_u32_e32 vcc, v89, v63
	s_or_b64 s[12:13], vcc, s[12:13]
	s_andn2_b64 exec, exec, s[12:13]
	s_cbranch_execnz .LBB348_21
.LBB348_22:                             ;   in Loop: Header=BB348_13 Depth=2
	s_or_b64 exec, exec, s[10:11]
	v_add_u32_e32 v89, 0x800, v88
	ds_read2_b32 v[90:91], v89 offset1:32
	s_waitcnt lgkmcnt(0)
	v_mfma_f32_32x32x16_fp8_fp8 v[16:31], v[60:61], v[90:91], v[16:31]
	ds_read2_b32 v[90:91], v89 offset0:128 offset1:160
	v_add_u32_e32 v89, 0xc00, v88
	s_waitcnt lgkmcnt(0)
	v_mfma_f32_32x32x16_fp8_fp8 v[16:31], v[58:59], v[90:91], v[16:31]
	ds_read2_b32 v[90:91], v89 offset1:32
	s_waitcnt lgkmcnt(0)
	v_mfma_f32_32x32x16_fp8_fp8 v[16:31], v[56:57], v[90:91], v[16:31]
	ds_read_b32 v92, v86 offset:14356
	ds_read2_b32 v[90:91], v89 offset0:128 offset1:160
	ds_write_b32 v86, v87 offset:14348
	s_waitcnt lgkmcnt(2)
	v_cmp_ne_u32_e32 vcc, v92, v63
	s_waitcnt lgkmcnt(1)
	v_mfma_f32_32x32x16_fp8_fp8 v[16:31], v[54:55], v[90:91], v[16:31]
	s_and_saveexec_b64 s[10:11], vcc
	s_cbranch_execz .LBB348_12
; %bb.23:                               ;   in Loop: Header=BB348_13 Depth=2
	s_mov_b64 s[12:13], 0
.LBB348_24:                             ;   Parent Loop BB348_7 Depth=1
                                        ;     Parent Loop BB348_13 Depth=2
                                        ; =>    This Inner Loop Header: Depth=3
	;;#ASMSTART
	s_sleep 0
	;;#ASMEND
	ds_read_b32 v89, v86 offset:14356
	s_waitcnt lgkmcnt(0)
	v_cmp_eq_u32_e32 vcc, v89, v63
	s_or_b64 s[12:13], vcc, s[12:13]
	s_andn2_b64 exec, exec, s[12:13]
	s_cbranch_execnz .LBB348_24
	s_branch .LBB348_12
.LBB348_25:                             ;   in Loop: Header=BB348_7 Depth=1
	s_or_b64 exec, exec, s[8:9]
.LBB348_26:                             ;   in Loop: Header=BB348_7 Depth=1
	s_or_b64 exec, exec, s[6:7]
	v_cmp_le_i32_e32 vcc, s70, v64
	v_cmp_eq_u32_e64 s[60:61], 1, v67
	v_cmp_eq_u32_e64 s[26:27], 2, v67
	s_waitcnt vmcnt(0)
	v_cndmask_b32_e32 v54, 0, v84, vcc
	v_pk_mul_f32 v[32:33], v[54:55], v[32:33] op_sel_hi:[0,1]
	v_pk_mul_f32 v[46:47], v[54:55], v[46:47] op_sel_hi:[0,1]
	v_pk_mul_f32 v[44:45], v[54:55], v[44:45] op_sel_hi:[0,1]
	v_pk_mul_f32 v[42:43], v[54:55], v[42:43] op_sel_hi:[0,1]
	v_pk_mul_f32 v[40:41], v[54:55], v[40:41] op_sel_hi:[0,1]
	v_pk_mul_f32 v[38:39], v[54:55], v[38:39] op_sel_hi:[0,1]
	v_pk_mul_f32 v[36:37], v[54:55], v[36:37] op_sel_hi:[0,1]
	v_pk_mul_f32 v[34:35], v[54:55], v[34:35] op_sel_hi:[0,1]
	v_cndmask_b32_e64 v54, v32, v33, s[60:61]
	v_cndmask_b32_e64 v54, v54, v34, s[26:27]
	v_cmp_eq_u32_e64 s[40:41], 3, v67
	v_cmp_eq_u32_e64 s[42:43], 4, v67
	v_cmp_eq_u32_e64 s[44:45], 5, v67
	v_cndmask_b32_e64 v54, v54, v35, s[40:41]
	v_cndmask_b32_e64 v54, v54, v36, s[42:43]
	v_cndmask_b32_e64 v54, v54, v37, s[44:45]
	v_cmp_eq_u32_e64 s[46:47], 6, v67
	v_cmp_eq_u32_e64 s[48:49], 7, v67
	v_cmp_eq_u32_e64 s[50:51], 8, v67
	v_cndmask_b32_e64 v54, v54, v38, s[46:47]
	;; [unrolled: 6-line block ×4, first 2 shown]
	v_cndmask_b32_e64 v54, v54, v45, s[62:63]
	v_cndmask_b32_e64 v54, v54, v46, s[64:65]
	v_cmp_eq_u32_e64 s[66:67], 15, v67
	s_mul_i32 s6, s39, s93
	s_ashr_i32 s7, s6, 31
	v_cndmask_b32_e64 v54, v54, v47, s[66:67]
	ds_bpermute_b32 v54, v82, v54
	s_lshl_b64 s[6:7], s[6:7], 1
	v_cmp_eq_u32_e64 s[36:37], 0, v67
	s_add_u32 s71, s20, s6
	v_cmp_eq_u32_e32 vcc, 1, v68
	s_waitcnt lgkmcnt(0)
	v_cndmask_b32_e64 v47, v47, v54, s[66:67]
	v_cndmask_b32_e64 v46, v46, v54, s[64:65]
	;; [unrolled: 1-line block ×16, first 2 shown]
	s_addc_u32 s72, s21, s7
	v_cndmask_b32_e32 v32, v54, v86, vcc
	v_cmp_eq_u32_e64 s[6:7], 2, v68
	v_cmp_eq_u32_e64 s[8:9], 3, v68
	v_cmp_eq_u32_e64 s[10:11], 4, v68
	v_cndmask_b32_e64 v32, v32, v85, s[6:7]
	v_cndmask_b32_e64 v32, v32, v61, s[8:9]
	v_cndmask_b32_e64 v32, v32, v60, s[10:11]
	v_cmp_eq_u32_e64 s[12:13], 5, v68
	v_cmp_eq_u32_e64 s[14:15], 6, v68
	v_cmp_eq_u32_e64 s[16:17], 7, v68
	v_cndmask_b32_e64 v32, v32, v59, s[12:13]
	v_cndmask_b32_e64 v32, v32, v58, s[14:15]
	v_cndmask_b32_e64 v32, v32, v57, s[16:17]
	;; [unrolled: 6-line block ×4, first 2 shown]
	v_cmp_eq_u32_e64 s[34:35], 14, v68
	v_writelane_b32 v93, s39, 28
	v_cmp_eq_u32_e64 s[38:39], 15, v68
	v_cndmask_b32_e64 v32, v32, v46, s[34:35]
	s_ashr_i32 s1, s0, 31
	v_cndmask_b32_e64 v32, v32, v47, s[38:39]
	ds_bpermute_b32 v55, v82, v32
	s_lshl_b64 s[68:69], s[0:1], 1
	s_add_u32 s68, s71, s68
	s_addc_u32 s69, s72, s69
	v_writelane_b32 v93, s68, 29
	s_waitcnt lgkmcnt(0)
	v_cndmask_b32_e64 v33, v47, v55, s[38:39]
	v_cndmask_b32_e64 v38, v42, v55, s[22:23]
	v_writelane_b32 v93, s69, 30
	v_cmp_le_i32_e64 s[68:69], s70, v75
	v_cmp_le_i32_e64 s[70:71], s70, v76
	v_cndmask_b32_e64 v42, v58, v55, s[14:15]
	v_cndmask_b32_e64 v32, 0, v84, s[68:69]
	;; [unrolled: 1-line block ×3, first 2 shown]
	v_pk_mul_f32 v[16:17], v[32:33], v[16:17] op_sel_hi:[0,1]
	v_pk_mul_f32 v[0:1], v[58:59], v[0:1] op_sel_hi:[0,1]
	v_cndmask_b32_e64 v35, v45, v55, s[30:31]
	v_cndmask_b32_e64 v36, v44, v55, s[28:29]
	v_cndmask_b32_e64 v44, v60, v55, s[10:11]
	v_cndmask_b32_e64 v45, v61, v55, s[8:9]
	v_pk_mul_f32 v[30:31], v[32:33], v[30:31] op_sel_hi:[0,1]
	v_pk_mul_f32 v[28:29], v[32:33], v[28:29] op_sel_hi:[0,1]
	;; [unrolled: 1-line block ×7, first 2 shown]
	v_cndmask_b32_e64 v32, v16, v17, s[60:61]
	v_pk_mul_f32 v[60:61], v[58:59], v[4:5] op_sel_hi:[0,1]
	v_pk_mul_f32 v[2:3], v[58:59], v[2:3] op_sel_hi:[0,1]
	v_cndmask_b32_e64 v4, v0, v1, s[60:61]
	v_cndmask_b32_e64 v32, v32, v18, s[26:27]
	;; [unrolled: 1-line block ×8, first 2 shown]
	v_pk_mul_f32 v[6:7], v[58:59], v[6:7] op_sel_hi:[0,1]
	v_cndmask_b32_e64 v4, v4, v61, s[44:45]
	v_cndmask_b32_e64 v32, v32, v22, s[46:47]
	v_cndmask_b32_e64 v4, v4, v6, s[46:47]
	v_cndmask_b32_e64 v32, v32, v23, s[48:49]
	v_pk_mul_f32 v[8:9], v[58:59], v[8:9] op_sel_hi:[0,1]
	v_cndmask_b32_e64 v4, v4, v7, s[48:49]
	v_cndmask_b32_e64 v32, v32, v24, s[50:51]
	v_cndmask_b32_e64 v4, v4, v8, s[50:51]
	v_cndmask_b32_e64 v32, v32, v25, s[52:53]
	;; [unrolled: 5-line block ×5, first 2 shown]
	v_cndmask_b32_e64 v4, v4, v15, s[66:67]
	ds_bpermute_b32 v32, v82, v32
	ds_bpermute_b32 v5, v82, v4
	v_cmp_eq_u32_e64 s[68:69], 0, v68
	v_cndmask_b32_e32 v47, v86, v55, vcc
	v_cmp_eq_u32_e64 s[70:71], 1, v69
	v_cndmask_b32_e64 v54, v54, v55, s[68:69]
	v_cndmask_b32_e64 v34, v46, v55, s[34:35]
	;; [unrolled: 1-line block ×9, first 2 shown]
	s_waitcnt lgkmcnt(1)
	v_cndmask_b32_e64 v4, v17, v32, s[60:61]
	v_cmp_eq_u32_e64 s[60:61], 2, v69
	v_cndmask_b32_e64 v18, v18, v32, s[26:27]
	s_waitcnt lgkmcnt(0)
	v_cndmask_b32_e64 v2, v2, v5, s[26:27]
	v_cmp_ne_u32_e64 s[26:27], 0, v67
	v_cndmask_b32_e64 v17, v55, v46, s[60:61]
	v_cndmask_b32_e64 v31, v31, v32, s[66:67]
	v_cndmask_b32_e64 v15, v15, v5, s[66:67]
	v_cmp_eq_u32_e64 s[66:67], 3, v69
	v_cndmask_b32_e64 v1, v1, v5, s[26:27]
	v_cndmask_b32_e64 v16, v16, v32, s[36:37]
	;; [unrolled: 1-line block ×6, first 2 shown]
	v_cmp_eq_u32_e64 s[64:65], 4, v69
	v_cndmask_b32_e64 v29, v29, v32, s[62:63]
	v_cndmask_b32_e64 v13, v13, v5, s[62:63]
	;; [unrolled: 1-line block ×22, first 2 shown]
	v_cndmask_b32_e32 v32, v16, v4, vcc
	v_cndmask_b32_e32 v5, v0, v1, vcc
	v_cndmask_b32_e64 v17, v17, v44, s[64:65]
	v_cmp_eq_u32_e64 s[62:63], 5, v69
	v_cndmask_b32_e64 v32, v32, v18, s[6:7]
	v_cndmask_b32_e64 v5, v5, v2, s[6:7]
	v_cndmask_b32_e64 v17, v17, v43, s[62:63]
	v_cmp_eq_u32_e64 s[58:59], 6, v69
	v_cndmask_b32_e64 v32, v32, v19, s[8:9]
	v_cndmask_b32_e64 v5, v5, v3, s[8:9]
	;; [unrolled: 4-line block ×11, first 2 shown]
	v_cndmask_b32_e64 v17, v17, v33, s[82:83]
	v_cndmask_b32_e64 v32, v32, v29, s[30:31]
	;; [unrolled: 1-line block ×3, first 2 shown]
	ds_bpermute_b32 v17, v82, v17
	v_cndmask_b32_e64 v32, v32, v30, s[34:35]
	v_cndmask_b32_e64 v5, v5, v14, s[34:35]
	;; [unrolled: 1-line block ×4, first 2 shown]
	ds_bpermute_b32 v32, v82, v32
	ds_bpermute_b32 v5, v82, v5
	v_cmp_eq_u32_e64 s[42:43], 0, v69
	s_waitcnt lgkmcnt(2)
	v_cndmask_b32_e64 v33, v33, v17, s[82:83]
	v_cndmask_b32_e64 v34, v34, v17, s[76:77]
	;; [unrolled: 1-line block ×16, first 2 shown]
	v_cmp_eq_u32_e64 s[26:27], 1, v70
	v_cmp_eq_u32_e64 s[36:37], 2, v70
	s_waitcnt lgkmcnt(1)
	v_cndmask_b32_e64 v30, v30, v32, s[34:35]
	v_cndmask_b32_e64 v54, v17, v47, s[26:27]
	;; [unrolled: 1-line block ×3, first 2 shown]
	s_waitcnt lgkmcnt(0)
	v_cndmask_b32_e64 v14, v14, v5, s[34:35]
	v_cmp_eq_u32_e64 s[34:35], 3, v70
	v_cndmask_b32_e32 v4, v4, v32, vcc
	v_cndmask_b32_e32 v1, v1, v5, vcc
	v_cndmask_b32_e64 v16, v16, v32, s[68:69]
	v_cndmask_b32_e64 v0, v0, v5, s[68:69]
	v_cndmask_b32_e64 v31, v31, v32, s[38:39]
	v_cndmask_b32_e64 v15, v15, v5, s[38:39]
	v_cndmask_b32_e64 v54, v54, v45, s[34:35]
	v_cndmask_b32_e64 v29, v29, v32, s[30:31]
	v_cndmask_b32_e64 v13, v13, v5, s[30:31]
	v_cmp_eq_u32_e64 s[30:31], 4, v70
	v_cndmask_b32_e64 v28, v28, v32, s[28:29]
	v_cndmask_b32_e64 v12, v12, v5, s[28:29]
	;; [unrolled: 1-line block ×25, first 2 shown]
	v_cmp_eq_u32_e64 s[38:39], 5, v70
	v_cndmask_b32_e64 v32, v32, v18, s[60:61]
	v_cndmask_b32_e64 v5, v5, v2, s[60:61]
	v_cndmask_b32_e64 v54, v54, v43, s[38:39]
	v_cmp_eq_u32_e64 s[24:25], 6, v70
	v_cndmask_b32_e64 v32, v32, v19, s[66:67]
	v_cndmask_b32_e64 v5, v5, v3, s[66:67]
	v_cndmask_b32_e64 v54, v54, v42, s[24:25]
	;; [unrolled: 4-line block ×11, first 2 shown]
	v_cndmask_b32_e64 v32, v32, v29, s[44:45]
	v_cndmask_b32_e64 v5, v5, v13, s[44:45]
	ds_bpermute_b32 v54, v82, v54
	v_cndmask_b32_e64 v32, v32, v30, s[76:77]
	v_cndmask_b32_e64 v5, v5, v14, s[76:77]
	;; [unrolled: 1-line block ×4, first 2 shown]
	ds_bpermute_b32 v32, v82, v32
	ds_bpermute_b32 v5, v82, v5
	v_cmp_eq_u32_e64 s[16:17], 0, v70
	s_waitcnt lgkmcnt(2)
	v_cndmask_b32_e64 v47, v47, v54, s[26:27]
	v_cmp_eq_u32_e64 s[8:9], 1, v71
	v_cndmask_b32_e64 v17, v17, v54, s[16:17]
	v_cndmask_b32_e64 v33, v33, v54, s[86:87]
	;; [unrolled: 1-line block ×16, first 2 shown]
	v_cmp_eq_u32_e64 s[14:15], 2, v71
	v_cmp_eq_u32_e64 s[18:19], 3, v71
	s_waitcnt lgkmcnt(1)
	v_cndmask_b32_e64 v4, v4, v32, s[70:71]
	v_cndmask_b32_e64 v54, v54, v46, s[14:15]
	s_waitcnt lgkmcnt(0)
	v_cndmask_b32_e64 v1, v1, v5, s[70:71]
	v_cndmask_b32_e64 v16, v16, v32, s[42:43]
	;; [unrolled: 1-line block ×10, first 2 shown]
	v_cmp_eq_u32_e64 s[28:29], 4, v71
	v_cndmask_b32_e64 v28, v28, v32, s[46:47]
	v_cndmask_b32_e64 v12, v12, v5, s[46:47]
	;; [unrolled: 1-line block ×25, first 2 shown]
	v_cmp_eq_u32_e64 s[40:41], 5, v71
	v_cndmask_b32_e64 v32, v32, v18, s[36:37]
	v_cndmask_b32_e64 v5, v5, v2, s[36:37]
	v_cndmask_b32_e64 v54, v54, v43, s[40:41]
	v_cmp_eq_u32_e64 s[48:49], 6, v71
	v_cndmask_b32_e64 v32, v32, v19, s[34:35]
	v_cndmask_b32_e64 v5, v5, v3, s[34:35]
	v_cndmask_b32_e64 v54, v54, v42, s[48:49]
	v_cmp_eq_u32_e64 s[46:47], 7, v71
	v_cndmask_b32_e64 v32, v32, v20, s[30:31]
	v_cndmask_b32_e64 v5, v5, v57, s[30:31]
	v_cndmask_b32_e64 v54, v54, v41, s[46:47]
	v_cmp_eq_u32_e64 s[44:45], 8, v71
	v_cndmask_b32_e64 v32, v32, v21, s[38:39]
	v_cndmask_b32_e64 v5, v5, v55, s[38:39]
	v_cndmask_b32_e64 v54, v54, v40, s[44:45]
	v_cmp_eq_u32_e64 s[68:69], 9, v71
	v_cndmask_b32_e64 v32, v32, v22, s[24:25]
	v_cndmask_b32_e64 v5, v5, v6, s[24:25]
	v_cndmask_b32_e64 v54, v54, v39, s[68:69]
	v_cmp_eq_u32_e64 s[76:77], 10, v71
	v_cndmask_b32_e64 v32, v32, v23, s[22:23]
	v_cndmask_b32_e64 v5, v5, v7, s[22:23]
	v_cndmask_b32_e64 v54, v54, v38, s[76:77]
	v_cmp_eq_u32_e64 s[58:59], 11, v71
	v_cndmask_b32_e64 v32, v32, v24, s[20:21]
	v_cndmask_b32_e64 v5, v5, v8, s[20:21]
	v_cndmask_b32_e64 v54, v54, v37, s[58:59]
	v_cmp_eq_u32_e64 s[82:83], 12, v71
	v_cndmask_b32_e64 v32, v32, v25, s[72:73]
	v_cndmask_b32_e64 v5, v5, v9, s[72:73]
	v_cndmask_b32_e64 v54, v54, v36, s[82:83]
	v_cmp_eq_u32_e64 s[64:65], 13, v71
	v_cndmask_b32_e64 v32, v32, v26, s[74:75]
	v_cndmask_b32_e64 v5, v5, v10, s[74:75]
	v_cndmask_b32_e64 v54, v54, v35, s[64:65]
	v_cmp_eq_u32_e64 s[84:85], 14, v71
	v_cndmask_b32_e64 v32, v32, v27, s[78:79]
	v_cndmask_b32_e64 v5, v5, v11, s[78:79]
	v_cndmask_b32_e64 v54, v54, v34, s[84:85]
	v_cmp_eq_u32_e64 s[88:89], 15, v71
	v_cndmask_b32_e64 v32, v32, v28, s[80:81]
	v_cndmask_b32_e64 v5, v5, v12, s[80:81]
	v_cndmask_b32_e64 v54, v54, v33, s[88:89]
	v_cndmask_b32_e64 v32, v32, v29, s[12:13]
	v_cndmask_b32_e64 v5, v5, v13, s[12:13]
	ds_bpermute_b32 v54, v82, v54
	v_cndmask_b32_e64 v32, v32, v30, s[10:11]
	v_cndmask_b32_e64 v5, v5, v14, s[10:11]
	;; [unrolled: 1-line block ×4, first 2 shown]
	ds_bpermute_b32 v32, v82, v32
	ds_bpermute_b32 v5, v82, v5
	v_cmp_eq_u32_e64 s[60:61], 0, v71
	s_waitcnt lgkmcnt(2)
	v_cndmask_b32_e64 v47, v47, v54, s[8:9]
	v_cmp_eq_u32_e32 vcc, 1, v72
	v_cndmask_b32_e64 v17, v17, v54, s[60:61]
	v_cndmask_b32_e64 v33, v33, v54, s[88:89]
	;; [unrolled: 1-line block ×15, first 2 shown]
	v_cndmask_b32_e32 v54, v17, v47, vcc
	v_cmp_eq_u32_e64 s[6:7], 2, v72
	s_waitcnt lgkmcnt(1)
	v_cndmask_b32_e64 v30, v30, v32, s[10:11]
	s_waitcnt lgkmcnt(0)
	v_cndmask_b32_e64 v14, v14, v5, s[10:11]
	v_cndmask_b32_e64 v54, v54, v46, s[6:7]
	v_cmp_eq_u32_e64 s[10:11], 3, v72
	v_cndmask_b32_e64 v29, v29, v32, s[12:13]
	v_cndmask_b32_e64 v13, v13, v5, s[12:13]
	;; [unrolled: 1-line block ×3, first 2 shown]
	v_cmp_eq_u32_e64 s[12:13], 4, v72
	v_cmp_eq_u32_e64 s[42:43], 5, v72
	;; [unrolled: 1-line block ×3, first 2 shown]
	v_cndmask_b32_e64 v54, v54, v44, s[12:13]
	v_cndmask_b32_e64 v54, v54, v43, s[42:43]
	;; [unrolled: 1-line block ×7, first 2 shown]
	v_cmp_eq_u32_e64 s[52:53], 7, v72
	v_cndmask_b32_e64 v9, v9, v5, s[72:73]
	v_cndmask_b32_e64 v8, v8, v5, s[20:21]
	;; [unrolled: 1-line block ×11, first 2 shown]
	v_cmp_eq_u32_e64 s[54:55], 8, v72
	v_cndmask_b32_e64 v0, v5, v58, s[8:9]
	v_cndmask_b32_e64 v31, v31, v32, s[86:87]
	;; [unrolled: 1-line block ×8, first 2 shown]
	v_cmp_eq_u32_e64 s[56:57], 9, v72
	v_cndmask_b32_e64 v23, v23, v32, s[22:23]
	v_cndmask_b32_e64 v22, v22, v32, s[24:25]
	;; [unrolled: 1-line block ×10, first 2 shown]
	v_cmp_eq_u32_e64 s[62:63], 10, v72
	v_cndmask_b32_e64 v1, v32, v4, s[8:9]
	v_cndmask_b32_e64 v0, v0, v3, s[18:19]
	v_cndmask_b32_e64 v54, v54, v38, s[62:63]
	v_cmp_eq_u32_e64 s[66:67], 11, v72
	v_cndmask_b32_e64 v1, v1, v18, s[14:15]
	v_cndmask_b32_e64 v0, v0, v57, s[28:29]
	v_cndmask_b32_e64 v54, v54, v37, s[66:67]
	;; [unrolled: 4-line block ×6, first 2 shown]
	v_cndmask_b32_e64 v1, v1, v23, s[46:47]
	v_cndmask_b32_e64 v0, v0, v9, s[68:69]
	ds_bpermute_b32 v54, v82, v54
	v_cndmask_b32_e64 v1, v1, v24, s[44:45]
	v_cndmask_b32_e64 v0, v0, v10, s[76:77]
	v_cndmask_b32_e64 v1, v1, v25, s[68:69]
	v_cndmask_b32_e64 v0, v0, v11, s[58:59]
	v_cndmask_b32_e64 v1, v1, v26, s[76:77]
	v_cndmask_b32_e64 v0, v0, v12, s[82:83]
	v_cndmask_b32_e64 v1, v1, v27, s[58:59]
	v_cndmask_b32_e64 v0, v0, v13, s[64:65]
	v_cndmask_b32_e64 v1, v1, v28, s[82:83]
	v_cndmask_b32_e64 v0, v0, v14, s[84:85]
	v_cmp_eq_u32_e64 s[34:35], 0, v72
	s_waitcnt lgkmcnt(0)
	v_cndmask_b32_e32 v47, v47, v54, vcc
	v_cndmask_b32_e64 v1, v1, v29, s[64:65]
	v_cndmask_b32_e64 v0, v0, v15, s[88:89]
	;; [unrolled: 1-line block ×3, first 2 shown]
	v_cmp_eq_u32_e64 s[16:17], 1, v73
	v_cndmask_b32_e64 v46, v46, v54, s[6:7]
	v_cndmask_b32_e64 v1, v1, v30, s[84:85]
	ds_bpermute_b32 v60, v82, v0
	v_cndmask_b32_e64 v0, v17, v47, s[16:17]
	v_cmp_eq_u32_e64 s[20:21], 2, v73
	v_cndmask_b32_e64 v45, v45, v54, s[10:11]
	v_cndmask_b32_e64 v1, v1, v31, s[88:89]
	;; [unrolled: 1-line block ×3, first 2 shown]
	v_cmp_eq_u32_e64 s[22:23], 3, v73
	v_cndmask_b32_e64 v44, v44, v54, s[12:13]
	ds_bpermute_b32 v59, v82, v1
	v_cndmask_b32_e64 v0, v0, v45, s[22:23]
	v_cmp_eq_u32_e64 s[24:25], 4, v73
	v_cndmask_b32_e64 v43, v43, v54, s[42:43]
	v_cmp_eq_u32_e64 s[26:27], 5, v73
	v_cndmask_b32_e64 v0, v0, v44, s[24:25]
	v_cndmask_b32_e64 v42, v42, v54, s[50:51]
	;; [unrolled: 1-line block ×3, first 2 shown]
	v_cmp_eq_u32_e64 s[30:31], 6, v73
	v_cndmask_b32_e64 v41, v41, v54, s[52:53]
	v_cmp_eq_u32_e64 s[36:37], 7, v73
	v_cndmask_b32_e64 v0, v0, v42, s[30:31]
	v_cndmask_b32_e64 v40, v40, v54, s[54:55]
	;; [unrolled: 1-line block ×3, first 2 shown]
	v_cmp_eq_u32_e64 s[38:39], 8, v73
	v_cndmask_b32_e64 v39, v39, v54, s[56:57]
	s_waitcnt lgkmcnt(0)
	v_cndmask_b32_e64 v24, v24, v59, s[44:45]
	v_cndmask_b32_e64 v0, v0, v40, s[38:39]
	v_cndmask_b32_e64 v8, v8, v60, s[44:45]
	v_cmp_eq_u32_e64 s[44:45], 9, v73
	v_cndmask_b32_e64 v38, v38, v54, s[62:63]
	v_cndmask_b32_e64 v23, v23, v59, s[46:47]
	v_cndmask_b32_e64 v0, v0, v39, s[44:45]
	v_cndmask_b32_e64 v7, v7, v60, s[46:47]
	v_cmp_eq_u32_e64 s[46:47], 10, v73
	v_cndmask_b32_e64 v37, v37, v54, s[66:67]
	;; [unrolled: 5-line block ×3, first 2 shown]
	v_cndmask_b32_e64 v34, v34, v54, s[74:75]
	v_cndmask_b32_e64 v35, v35, v54, s[72:73]
	;; [unrolled: 1-line block ×6, first 2 shown]
	v_cmp_eq_u32_e64 s[40:41], 12, v73
	v_cndmask_b32_e64 v20, v20, v59, s[28:29]
	v_cndmask_b32_e64 v55, v57, v60, s[28:29]
	v_cndmask_b32_e64 v0, v0, v36, s[40:41]
	v_cmp_eq_u32_e64 s[28:29], 13, v73
	v_cndmask_b32_e64 v27, v27, v59, s[58:59]
	v_cndmask_b32_e64 v11, v11, v60, s[58:59]
	v_cndmask_b32_e64 v0, v0, v35, s[28:29]
	;; [unrolled: 4-line block ×4, first 2 shown]
	ds_bpermute_b32 v57, v82, v0
	v_cndmask_b32_e64 v32, v32, v59, s[60:61]
	v_cndmask_b32_e64 v18, v18, v59, s[14:15]
	;; [unrolled: 1-line block ×4, first 2 shown]
	s_waitcnt lgkmcnt(0)
	v_cndmask_b32_e64 v1, v43, v57, s[26:27]
	v_cndmask_b32_e64 v3, v45, v57, s[22:23]
	;; [unrolled: 1-line block ×5, first 2 shown]
	v_cndmask_b32_e32 v44, v32, v4, vcc
	v_cndmask_b32_e32 v5, v45, v43, vcc
	v_cndmask_b32_e64 v44, v44, v18, s[6:7]
	v_cndmask_b32_e64 v5, v5, v84, s[6:7]
	;; [unrolled: 1-line block ×38, first 2 shown]
	v_cmp_eq_u32_e64 s[76:77], 0, v73
	v_cndmask_b32_e64 v16, v46, v57, s[20:21]
	v_cndmask_b32_e64 v0, v47, v57, s[16:17]
	ds_bpermute_b32 v44, v82, v44
	ds_bpermute_b32 v46, v82, v5
	v_cndmask_b32_e64 v47, v17, v57, s[76:77]
	v_cmp_eq_u32_e64 s[8:9], 1, v74
	v_cmp_eq_u32_e64 s[14:15], 2, v74
	;; [unrolled: 1-line block ×3, first 2 shown]
	v_cndmask_b32_e64 v5, v47, v0, s[8:9]
	v_cndmask_b32_e64 v5, v5, v16, s[14:15]
	;; [unrolled: 1-line block ×3, first 2 shown]
	v_cmp_eq_u32_e64 s[60:61], 4, v74
	v_cmp_eq_u32_e64 s[68:69], 5, v74
	v_cndmask_b32_e64 v42, v42, v57, s[30:31]
	v_cndmask_b32_e64 v5, v5, v2, s[60:61]
	;; [unrolled: 1-line block ×3, first 2 shown]
	s_waitcnt lgkmcnt(1)
	v_cndmask_b32_e64 v27, v27, v44, s[66:67]
	s_waitcnt lgkmcnt(0)
	v_cndmask_b32_e64 v60, v11, v46, s[66:67]
	v_cmp_eq_u32_e64 s[66:67], 6, v74
	v_cndmask_b32_e32 v91, v4, v44, vcc
	v_cndmask_b32_e64 v32, v32, v44, s[34:35]
	v_cndmask_b32_e64 v41, v41, v57, s[36:37]
	v_cndmask_b32_e64 v5, v5, v42, s[66:67]
	v_cndmask_b32_e64 v26, v26, v44, s[62:63]
	v_cndmask_b32_e64 v85, v10, v46, s[62:63]
	v_cmp_eq_u32_e64 s[62:63], 7, v74
	v_cndmask_b32_e64 v18, v18, v44, s[6:7]
	v_cndmask_b32_e64 v4, v32, v91, s[16:17]
	v_cndmask_b32_e64 v40, v40, v57, s[38:39]
	v_cndmask_b32_e64 v5, v5, v41, s[62:63]
	v_cndmask_b32_e64 v25, v25, v44, s[56:57]
	v_cndmask_b32_e64 v86, v9, v46, s[56:57]
	v_cmp_eq_u32_e64 s[56:57], 8, v74
	v_cndmask_b32_e64 v19, v19, v44, s[10:11]
	;; [unrolled: 7-line block ×5, first 2 shown]
	v_cndmask_b32_e64 v36, v36, v57, s[40:41]
	v_cndmask_b32_e64 v5, v5, v37, s[50:51]
	v_cndmask_b32_e64 v54, v54, v46, s[42:43]
	v_cmp_eq_u32_e64 s[42:43], 12, v74
	v_cndmask_b32_e64 v4, v4, v22, s[30:31]
	v_cndmask_b32_e64 v35, v35, v57, s[28:29]
	v_cndmask_b32_e64 v5, v5, v36, s[42:43]
	v_cndmask_b32_e64 v55, v55, v46, s[12:13]
	v_cmp_eq_u32_e64 s[12:13], 13, v74
	v_cndmask_b32_e64 v4, v4, v23, s[36:37]
	;; [unrolled: 5-line block ×4, first 2 shown]
	v_cndmask_b32_e64 v4, v4, v26, s[46:47]
	v_cndmask_b32_e64 v5, v5, v33, s[6:7]
	;; [unrolled: 1-line block ×3, first 2 shown]
	ds_bpermute_b32 v90, v82, v5
	v_cndmask_b32_e64 v4, v4, v27, s[48:49]
	v_cndmask_b32_e64 v29, v29, v44, s[72:73]
	;; [unrolled: 1-line block ×9, first 2 shown]
	s_waitcnt lgkmcnt(0)
	v_cndmask_b32_e64 v15, v33, v90, s[6:7]
	ds_bpermute_b32 v33, v82, v4
	v_cndmask_b32_e64 v57, v14, v46, s[74:75]
	v_cndmask_b32_e64 v14, v34, v90, s[10:11]
	;; [unrolled: 1-line block ×4, first 2 shown]
	s_waitcnt lgkmcnt(0)
	v_cndmask_b32_e64 v34, v91, v33, s[16:17]
	v_cndmask_b32_e64 v32, v32, v33, s[76:77]
	v_cndmask_b32_e64 v18, v18, v33, s[20:21]
	v_cndmask_b32_e64 v1, v32, v34, s[8:9]
	v_cndmask_b32_e64 v19, v19, v33, s[22:23]
	v_cndmask_b32_e64 v1, v1, v18, s[14:15]
	v_cndmask_b32_e64 v20, v20, v33, s[24:25]
	v_cndmask_b32_e64 v1, v1, v19, s[18:19]
	v_cndmask_b32_e64 v21, v21, v33, s[26:27]
	v_cndmask_b32_e64 v1, v1, v20, s[60:61]
	v_cndmask_b32_e64 v22, v22, v33, s[30:31]
	v_cndmask_b32_e64 v1, v1, v21, s[68:69]
	v_cndmask_b32_e64 v23, v23, v33, s[36:37]
	v_cndmask_b32_e64 v1, v1, v22, s[66:67]
	v_cndmask_b32_e64 v24, v24, v33, s[38:39]
	v_cndmask_b32_e64 v1, v1, v23, s[62:63]
	v_cndmask_b32_e64 v25, v25, v33, s[44:45]
	v_cndmask_b32_e64 v1, v1, v24, s[56:57]
	v_cndmask_b32_e64 v26, v26, v33, s[46:47]
	v_cndmask_b32_e64 v1, v1, v25, s[54:55]
	v_cndmask_b32_e64 v27, v27, v33, s[48:49]
	v_cndmask_b32_e64 v1, v1, v26, s[52:53]
	v_cndmask_b32_e64 v28, v28, v33, s[40:41]
	v_cndmask_b32_e64 v1, v1, v27, s[50:51]
	v_cndmask_b32_e64 v29, v29, v33, s[28:29]
	v_cndmask_b32_e64 v1, v1, v28, s[42:43]
	v_cndmask_b32_e64 v30, v30, v33, s[58:59]
	v_cndmask_b32_e64 v1, v1, v29, s[12:13]
	v_cndmask_b32_e64 v2, v16, v90, s[14:15]
	v_cndmask_b32_e64 v16, v31, v33, s[64:65]
	v_cndmask_b32_e64 v1, v1, v30, s[10:11]
	v_cndmask_b32_e64 v1, v1, v16, s[6:7]
	ds_bpermute_b32 v33, v82, v1
	v_cndmask_b32_e64 v58, v13, v46, s[72:73]
	v_cndmask_b32_e32 v43, v43, v46, vcc
	v_cndmask_b32_e64 v13, v35, v90, s[12:13]
	v_cndmask_b32_e64 v35, v45, v46, s[34:35]
	s_waitcnt lgkmcnt(0)
	v_cndmask_b32_e64 v31, v16, v33, s[6:7]
	v_cndmask_b32_e64 v16, v35, v43, s[16:17]
	;; [unrolled: 1-line block ×17, first 2 shown]
	ds_bpermute_b32 v16, v82, v16
	v_cndmask_b32_e64 v11, v37, v90, s[50:51]
	v_cndmask_b32_e64 v7, v41, v90, s[62:63]
	;; [unrolled: 1-line block ×4, first 2 shown]
	s_waitcnt lgkmcnt(0)
	v_cndmask_b32_e64 v37, v57, v16, s[58:59]
	v_cndmask_b32_e64 v41, v85, v16, s[46:47]
	;; [unrolled: 1-line block ×33, first 2 shown]
	ds_bpermute_b32 v87, v82, v16
	v_cmp_eq_u32_e32 vcc, 0, v74
	v_cndmask_b32_e64 v1, v0, v90, s[8:9]
	v_readlane_b32 s24, v93, 10
	v_cndmask_b32_e32 v0, v47, v90, vcc
	s_waitcnt lgkmcnt(0)
	v_cndmask_b32_e64 v47, v36, v87, s[6:7]
	v_readlane_b32 s6, v93, 29
	v_readlane_b32 s7, v93, 30
	v_readlane_b32 s26, v93, 12
	v_readlane_b32 s34, v93, 17
	v_subrev_u32_e32 v83, s4, v83
	s_mov_b32 s1, 0
	v_cndmask_b32_e64 v6, v42, v90, s[66:67]
	v_cndmask_b32_e64 v3, v3, v90, s[18:19]
	;; [unrolled: 1-line block ×16, first 2 shown]
	v_cndmask_b32_e32 v16, v32, v33, vcc
	v_cndmask_b32_e64 v46, v37, v87, s[10:11]
	v_cndmask_b32_e64 v45, v38, v87, s[12:13]
	;; [unrolled: 1-line block ×14, first 2 shown]
	v_cndmask_b32_e32 v32, v86, v87, vcc
	v_lshl_add_u64 v[54:55], s[6:7], 0, v[48:49]
	s_mov_b64 s[6:7], 0
	s_mov_b32 s16, 0
	v_readlane_b32 s25, v93, 11
	v_readlane_b32 s27, v93, 13
	;; [unrolled: 1-line block ×10, first 2 shown]
	s_mov_b64 s[20:21], 0x80
                                        ; implicit-def: $sgpr8_sgpr9
	s_branch .LBB348_29
.LBB348_27:                             ;   in Loop: Header=BB348_29 Depth=2
	s_or_b64 exec, exec, s[12:13]
	s_andn2_b64 s[8:9], s[8:9], exec
	s_and_b64 s[12:13], s[14:15], exec
	s_or_b64 s[8:9], s[8:9], s[12:13]
.LBB348_28:                             ;   in Loop: Header=BB348_29 Depth=2
	s_or_b64 exec, exec, s[10:11]
	s_and_b64 s[10:11], exec, s[8:9]
	s_or_b64 s[6:7], s[10:11], s[6:7]
	s_andn2_b64 exec, exec, s[6:7]
	s_cbranch_execz .LBB348_32
.LBB348_29:                             ;   Parent Loop BB348_7 Depth=1
                                        ; =>  This Inner Loop Header: Depth=2
	s_and_b32 s12, s1, 24
	v_or_b32_e32 v57, s12, v80
	v_add_u32_e32 v58, s5, v57
	v_cmp_gt_u32_e32 vcc, 32, v58
	s_or_b64 s[8:9], s[8:9], exec
	s_and_saveexec_b64 s[10:11], vcc
	s_cbranch_execz .LBB348_28
; %bb.30:                               ;   in Loop: Header=BB348_29 Depth=2
	s_add_i32 s13, s16, 1
	s_set_gpr_idx_on s16, gpr_idx(SRC0)
	v_mov_b32_e32 v58, v0
	s_set_gpr_idx_off
	v_cvt_f16_f32_e32 v60, v58
	s_set_gpr_idx_on s13, gpr_idx(SRC0)
	v_mov_b32_e32 v58, v0
	s_set_gpr_idx_off
	v_cvt_f16_f32_sdwa v61, v58 dst_sel:WORD_1 dst_unused:UNUSED_PAD src0_sel:DWORD
	v_mul_lo_u32 v58, v57, s93
	v_ashrrev_i32_e32 v59, 31, v58
	v_lshl_add_u64 v[58:59], v[58:59], 1, v[54:55]
	v_or_b32_e32 v57, v61, v60
	;;#ASMSTART
	global_atomic_pk_add_f16 v[58:59], v57, off
	
	;;#ASMEND
	s_set_gpr_idx_on s16, gpr_idx(SRC0)
	v_mov_b32_e32 v57, v16
	s_set_gpr_idx_off
	v_cvt_f16_f32_e32 v57, v57
	s_set_gpr_idx_on s13, gpr_idx(SRC0)
	v_mov_b32_e32 v60, v16
	s_set_gpr_idx_off
	v_cvt_f16_f32_sdwa v84, v60 dst_sel:WORD_1 dst_unused:UNUSED_PAD src0_sel:DWORD
	v_lshl_add_u64 v[60:61], v[58:59], 0, 64
	v_lshl_add_u64 v[58:59], v[58:59], 0, s[20:21]
	s_mov_b64 s[14:15], -1
	v_or_b32_e32 v57, v84, v57
	;;#ASMSTART
	global_atomic_pk_add_f16 v[60:61], v57, off
	
	;;#ASMEND
	s_set_gpr_idx_on s16, gpr_idx(SRC0)
	v_mov_b32_e32 v57, v32
	s_set_gpr_idx_off
	v_cvt_f16_f32_e32 v57, v57
	s_set_gpr_idx_on s13, gpr_idx(SRC0)
	v_mov_b32_e32 v60, v32
	s_set_gpr_idx_off
	v_cvt_f16_f32_sdwa v60, v60 dst_sel:WORD_1 dst_unused:UNUSED_PAD src0_sel:DWORD
	s_nop 0
	v_or_b32_e32 v57, v60, v57
	;;#ASMSTART
	global_atomic_pk_add_f16 v[58:59], v57, off
	
	;;#ASMEND
	v_or_b32_e32 v57, s12, v81
	v_add_u32_e32 v58, s5, v57
	v_cmp_gt_u32_e32 vcc, 32, v58
	s_and_saveexec_b64 s[12:13], vcc
	s_cbranch_execz .LBB348_27
; %bb.31:                               ;   in Loop: Header=BB348_29 Depth=2
	s_add_i32 s14, s16, 2
	s_add_i32 s15, s16, 3
	s_set_gpr_idx_on s14, gpr_idx(SRC0)
	v_mov_b32_e32 v58, v0
	s_set_gpr_idx_off
	v_cvt_f16_f32_e32 v60, v58
	s_set_gpr_idx_on s15, gpr_idx(SRC0)
	v_mov_b32_e32 v58, v0
	s_set_gpr_idx_off
	v_cvt_f16_f32_sdwa v61, v58 dst_sel:WORD_1 dst_unused:UNUSED_PAD src0_sel:DWORD
	v_mul_lo_u32 v58, v57, s93
	v_ashrrev_i32_e32 v59, 31, v58
	v_lshl_add_u64 v[58:59], v[58:59], 1, v[54:55]
	v_or_b32_e32 v57, v61, v60
	;;#ASMSTART
	global_atomic_pk_add_f16 v[58:59], v57, off
	
	;;#ASMEND
	s_set_gpr_idx_on s14, gpr_idx(SRC0)
	v_mov_b32_e32 v57, v16
	s_set_gpr_idx_off
	v_cvt_f16_f32_e32 v57, v57
	s_set_gpr_idx_on s15, gpr_idx(SRC0)
	v_mov_b32_e32 v60, v16
	s_set_gpr_idx_off
	v_cvt_f16_f32_sdwa v84, v60 dst_sel:WORD_1 dst_unused:UNUSED_PAD src0_sel:DWORD
	v_lshl_add_u64 v[60:61], v[58:59], 0, 64
	s_add_i32 s16, s16, 4
	s_add_i32 s1, s1, 8
	v_or_b32_e32 v57, v84, v57
	;;#ASMSTART
	global_atomic_pk_add_f16 v[60:61], v57, off
	
	;;#ASMEND
	s_set_gpr_idx_on s14, gpr_idx(SRC0)
	v_mov_b32_e32 v57, v32
	s_set_gpr_idx_off
	v_cvt_f16_f32_e32 v57, v57
	s_set_gpr_idx_on s15, gpr_idx(SRC0)
	v_mov_b32_e32 v60, v32
	s_set_gpr_idx_off
	v_cvt_f16_f32_sdwa v60, v60 dst_sel:WORD_1 dst_unused:UNUSED_PAD src0_sel:DWORD
	s_cmp_eq_u32 s16, 16
	s_cselect_b64 s[14:15], -1, 0
	s_orn2_b64 s[14:15], s[14:15], exec
	v_lshl_add_u64 v[58:59], v[58:59], 0, s[20:21]
	v_or_b32_e32 v57, v60, v57
	;;#ASMSTART
	global_atomic_pk_add_f16 v[58:59], v57, off
	
	;;#ASMEND
	s_branch .LBB348_27
.LBB348_32:                             ;   in Loop: Header=BB348_7 Depth=1
	s_or_b64 exec, exec, s[6:7]
	v_readlane_b32 s16, v93, 2
	v_readlane_b32 s14, v93, 0
	;; [unrolled: 1-line block ×11, first 2 shown]
.LBB348_33:                             ;   in Loop: Header=BB348_7 Depth=1
	v_readlane_b32 s6, v93, 26
	v_readlane_b32 s7, v93, 27
	s_or_b64 exec, exec, s[6:7]
.LBB348_34:                             ;   in Loop: Header=BB348_7 Depth=1
	s_or_saveexec_b64 s[2:3], s[2:3]
	v_readlane_b32 s13, v93, 25
	s_xor_b64 exec, exec, s[2:3]
	s_cbranch_execz .LBB348_43
; %bb.35:                               ;   in Loop: Header=BB348_7 Depth=1
	s_mul_i32 s12, s4, 3
	v_cmp_gt_i32_e32 vcc, s12, v83
	s_and_saveexec_b64 s[6:7], vcc
	s_cbranch_execz .LBB348_42
; %bb.36:                               ;   in Loop: Header=BB348_7 Depth=1
	s_mul_i32 s0, s0, s95
	s_ashr_i32 s1, s0, 31
	s_add_u32 s0, s18, s0
	s_addc_u32 s1, s19, s1
	s_ashr_i32 s8, s13, 31
	s_add_u32 s0, s0, s13
	s_addc_u32 s1, s1, s8
	v_lshl_add_u64 v[0:1], s[0:1], 0, v[52:53]
	v_lshl_add_u64 v[8:9], v[0:1], 0, v[50:51]
	s_mov_b64 s[0:1], 0
	s_branch .LBB348_38
.LBB348_37:                             ;   in Loop: Header=BB348_38 Depth=2
	s_or_b64 exec, exec, s[8:9]
	v_lshl_add_u32 v12, v10, 11, v77
	;;#ASMSTART
	s_waitcnt vmcnt(1)
	;;#ASMEND
	ds_write2_b32 v12, v4, v5 offset1:32
	ds_write2_b32 v12, v6, v7 offset0:64 offset1:96
	v_add_u32_e32 v4, 0x400, v12
	v_add_u32_e32 v83, s98, v83
	;;#ASMSTART
	s_waitcnt vmcnt(0)
	;;#ASMEND
	ds_write2_b32 v4, v0, v1 offset1:32
	ds_write2_b32 v4, v2, v3 offset0:64 offset1:96
	v_add_u32_e32 v0, 1, v63
	v_add_u32_e32 v56, s98, v10
	v_cmp_le_i32_e32 vcc, s12, v83
	ds_write_b32 v11, v0 offset:16
	v_add_u32_e32 v0, 2, v63
	s_or_b64 s[0:1], vcc, s[0:1]
	v_cmp_lt_i32_e32 vcc, 2, v56
	s_nop 1
	v_cndmask_b32_e32 v63, v63, v0, vcc
	s_andn2_b64 exec, exec, s[0:1]
	s_cbranch_execz .LBB348_41
.LBB348_38:                             ;   Parent Loop BB348_7 Depth=1
                                        ; =>  This Loop Header: Depth=2
                                        ;       Child Loop BB348_40 Depth 3
	v_cmp_gt_i32_e32 vcc, 3, v56
	s_mov_b32 s8, 0x55555556
	s_nop 0
	v_cndmask_b32_e64 v0, -3, 0, vcc
	v_add_u32_e32 v10, v0, v56
	v_mul_hi_i32 v0, v83, s8
	v_lshrrev_b32_e32 v1, 31, v0
	v_add_u32_e32 v0, v0, v1
	v_lshl_add_u32 v1, v0, 1, v0
	v_sub_u32_e32 v2, v83, v1
	v_lshlrev_b32_e32 v0, 6, v0
	v_ashrrev_i32_e32 v1, 31, v0
	v_mul_lo_u32 v2, s91, v2
	v_lshl_add_u64 v[0:1], v[8:9], 0, v[0:1]
	v_ashrrev_i32_e32 v3, 31, v2
	v_lshl_add_u64 v[0:1], v[0:1], 0, v[2:3]
	v_lshlrev_b32_e32 v11, 2, v10
	;;#ASMSTART
	global_load_dwordx4 v[4:7], v[0:1], off offset:0   sc0 sc1 nt  
	global_load_dwordx4 v[0:3], v[0:1], off offset:32  sc0 sc1 nt  
	
	;;#ASMEND
	ds_read_b32 v12, v11 offset:14352
	v_add_u32_e32 v11, 0x3800, v11
	s_waitcnt lgkmcnt(0)
	v_cmp_ne_u32_e32 vcc, v12, v63
	s_and_saveexec_b64 s[8:9], vcc
	s_cbranch_execz .LBB348_37
; %bb.39:                               ;   in Loop: Header=BB348_38 Depth=2
	s_mov_b64 s[10:11], 0
.LBB348_40:                             ;   Parent Loop BB348_7 Depth=1
                                        ;     Parent Loop BB348_38 Depth=2
                                        ; =>    This Inner Loop Header: Depth=3
	;;#ASMSTART
	s_sleep 0
	;;#ASMEND
	ds_read_b32 v12, v11 offset:16
	s_waitcnt lgkmcnt(0)
	v_cmp_eq_u32_e32 vcc, v12, v63
	s_or_b64 s[10:11], vcc, s[10:11]
	s_andn2_b64 exec, exec, s[10:11]
	s_cbranch_execnz .LBB348_40
	s_branch .LBB348_37
.LBB348_41:                             ;   in Loop: Header=BB348_7 Depth=1
	s_or_b64 exec, exec, s[0:1]
.LBB348_42:                             ;   in Loop: Header=BB348_7 Depth=1
	s_or_b64 exec, exec, s[6:7]
	v_subrev_u32_e32 v83, s12, v83
.LBB348_43:                             ;   in Loop: Header=BB348_7 Depth=1
	s_or_b64 exec, exec, s[2:3]
.LBB348_44:                             ;   in Loop: Header=BB348_7 Depth=1
	v_readlane_b32 s0, v93, 23
	v_readlane_b32 s1, v93, 24
	s_andn2_saveexec_b64 s[0:1], s[0:1]
	s_cbranch_execz .LBB348_6
; %bb.45:                               ;   in Loop: Header=BB348_7 Depth=1
	s_lshl_b32 s10, s4, 2
	v_cmp_gt_i32_e32 vcc, s10, v83
	s_and_saveexec_b64 s[2:3], vcc
	s_cbranch_execz .LBB348_5
; %bb.46:                               ;   in Loop: Header=BB348_7 Depth=1
	s_mul_i32 s4, s39, s94
	s_ashr_i32 s6, s4, 31
	s_add_u32 s4, s16, s4
	s_addc_u32 s7, s17, s6
	s_ashr_i32 s8, s13, 31
	s_add_u32 s6, s4, s13
	v_add_u32_e32 v2, s5, v64
	s_movk_i32 s4, 0x80
	v_cmp_gt_u32_e32 vcc, s4, v2
	s_addc_u32 s7, s7, s8
	v_sub_u32_e32 v10, 0x7f, v2
	v_cndmask_b32_e32 v0, 0, v78, vcc
	v_ashrrev_i32_e32 v1, 31, v0
	v_lshl_add_u64 v[0:1], s[6:7], 0, v[0:1]
	v_lshl_add_u64 v[8:9], v[0:1], 0, v[50:51]
	s_mov_b64 s[4:5], 0
	s_branch .LBB348_48
.LBB348_47:                             ;   in Loop: Header=BB348_48 Depth=2
	s_or_b64 exec, exec, s[6:7]
	v_lshl_or_b32 v13, v11, 11, v79
	;;#ASMSTART
	s_waitcnt vmcnt(1)
	;;#ASMEND
	ds_write2_b32 v13, v4, v5 offset1:32
	ds_write2_b32 v13, v6, v7 offset0:64 offset1:96
	v_add_u32_e32 v4, 0x400, v13
	v_add_u32_e32 v83, s97, v83
	;;#ASMSTART
	s_waitcnt vmcnt(0)
	;;#ASMEND
	ds_write2_b32 v4, v0, v1 offset1:32
	ds_write2_b32 v4, v2, v3 offset0:64 offset1:96
	v_add_u32_e32 v0, 1, v63
	v_add_u32_e32 v56, s97, v11
	v_cmp_le_i32_e32 vcc, s10, v83
	ds_write_b32 v12, v0
	v_add_u32_e32 v0, 2, v63
	s_or_b64 s[4:5], vcc, s[4:5]
	v_cmp_lt_i32_e32 vcc, 3, v56
	s_nop 1
	v_cndmask_b32_e32 v63, v63, v0, vcc
	s_andn2_b64 exec, exec, s[4:5]
	s_cbranch_execz .LBB348_4
.LBB348_48:                             ;   Parent Loop BB348_7 Depth=1
                                        ; =>  This Loop Header: Depth=2
                                        ;       Child Loop BB348_50 Depth 3
	v_cmp_gt_i32_e32 vcc, 4, v56
	s_nop 1
	v_cndmask_b32_e64 v0, -4, 0, vcc
	v_add_u32_e32 v11, v0, v56
	v_ashrrev_i32_e32 v0, 31, v83
	v_lshrrev_b32_e32 v0, 30, v0
	v_add_u32_e32 v0, v83, v0
	v_and_b32_e32 v1, 0x7fffffc, v0
	v_sub_u32_e32 v1, v83, v1
	v_lshlrev_b32_e32 v1, 5, v1
	v_cmp_le_i32_e32 vcc, v1, v10
	v_lshlrev_b32_e32 v0, 4, v0
	v_and_b32_e32 v0, 0xffffffc0, v0
	v_cndmask_b32_e32 v2, 0, v1, vcc
	v_ashrrev_i32_e32 v1, 31, v0
	v_mul_lo_u32 v2, v2, s94
	v_lshl_add_u64 v[0:1], v[8:9], 0, v[0:1]
	v_ashrrev_i32_e32 v3, 31, v2
	v_lshl_add_u64 v[0:1], v[0:1], 0, v[2:3]
	v_lshlrev_b32_e32 v12, 2, v11
	;;#ASMSTART
	global_load_dwordx4 v[4:7], v[0:1], off offset:0   
	global_load_dwordx4 v[0:3], v[0:1], off offset:32  
	
	;;#ASMEND
	ds_read_b32 v13, v12 offset:14336
	v_add_u32_e32 v12, 0x3800, v12
	s_waitcnt lgkmcnt(0)
	v_cmp_ne_u32_e32 vcc, v13, v63
	s_and_saveexec_b64 s[6:7], vcc
	s_cbranch_execz .LBB348_47
; %bb.49:                               ;   in Loop: Header=BB348_48 Depth=2
	s_mov_b64 s[8:9], 0
.LBB348_50:                             ;   Parent Loop BB348_7 Depth=1
                                        ;     Parent Loop BB348_48 Depth=2
                                        ; =>    This Inner Loop Header: Depth=3
	;;#ASMSTART
	s_sleep 0
	;;#ASMEND
	ds_read_b32 v13, v12
	s_waitcnt lgkmcnt(0)
	v_cmp_eq_u32_e32 vcc, v13, v63
	s_or_b64 s[8:9], vcc, s[8:9]
	s_andn2_b64 exec, exec, s[8:9]
	s_cbranch_execnz .LBB348_50
	s_branch .LBB348_47
.LBB348_51:
	s_endpgm
	.section	.rodata,"a",@progbits
	.p2align	6, 0x0
	.amdhsa_kernel _Z19_skinny_gemm_kernelILi4ELi3ELi1ELi32ELi4EEvPKhS1_P6__halfPKfiiiiiiii
		.amdhsa_group_segment_fixed_size 14364
		.amdhsa_private_segment_fixed_size 0
		.amdhsa_kernarg_size 64
		.amdhsa_user_sgpr_count 2
		.amdhsa_user_sgpr_dispatch_ptr 0
		.amdhsa_user_sgpr_queue_ptr 0
		.amdhsa_user_sgpr_kernarg_segment_ptr 1
		.amdhsa_user_sgpr_dispatch_id 0
		.amdhsa_user_sgpr_kernarg_preload_length 0
		.amdhsa_user_sgpr_kernarg_preload_offset 0
		.amdhsa_user_sgpr_private_segment_size 0
		.amdhsa_uses_dynamic_stack 0
		.amdhsa_enable_private_segment 0
		.amdhsa_system_sgpr_workgroup_id_x 1
		.amdhsa_system_sgpr_workgroup_id_y 0
		.amdhsa_system_sgpr_workgroup_id_z 0
		.amdhsa_system_sgpr_workgroup_info 0
		.amdhsa_system_vgpr_workitem_id 0
		.amdhsa_next_free_vgpr 94
		.amdhsa_next_free_sgpr 100
		.amdhsa_accum_offset 96
		.amdhsa_reserve_vcc 1
		.amdhsa_float_round_mode_32 0
		.amdhsa_float_round_mode_16_64 0
		.amdhsa_float_denorm_mode_32 3
		.amdhsa_float_denorm_mode_16_64 3
		.amdhsa_dx10_clamp 1
		.amdhsa_ieee_mode 1
		.amdhsa_fp16_overflow 0
		.amdhsa_tg_split 0
		.amdhsa_exception_fp_ieee_invalid_op 0
		.amdhsa_exception_fp_denorm_src 0
		.amdhsa_exception_fp_ieee_div_zero 0
		.amdhsa_exception_fp_ieee_overflow 0
		.amdhsa_exception_fp_ieee_underflow 0
		.amdhsa_exception_fp_ieee_inexact 0
		.amdhsa_exception_int_div_zero 0
	.end_amdhsa_kernel
	.section	.text._Z19_skinny_gemm_kernelILi4ELi3ELi1ELi32ELi4EEvPKhS1_P6__halfPKfiiiiiiii,"axG",@progbits,_Z19_skinny_gemm_kernelILi4ELi3ELi1ELi32ELi4EEvPKhS1_P6__halfPKfiiiiiiii,comdat
.Lfunc_end348:
	.size	_Z19_skinny_gemm_kernelILi4ELi3ELi1ELi32ELi4EEvPKhS1_P6__halfPKfiiiiiiii, .Lfunc_end348-_Z19_skinny_gemm_kernelILi4ELi3ELi1ELi32ELi4EEvPKhS1_P6__halfPKfiiiiiiii
                                        ; -- End function
	.set _Z19_skinny_gemm_kernelILi4ELi3ELi1ELi32ELi4EEvPKhS1_P6__halfPKfiiiiiiii.num_vgpr, 94
	.set _Z19_skinny_gemm_kernelILi4ELi3ELi1ELi32ELi4EEvPKhS1_P6__halfPKfiiiiiiii.num_agpr, 0
	.set _Z19_skinny_gemm_kernelILi4ELi3ELi1ELi32ELi4EEvPKhS1_P6__halfPKfiiiiiiii.numbered_sgpr, 100
	.set _Z19_skinny_gemm_kernelILi4ELi3ELi1ELi32ELi4EEvPKhS1_P6__halfPKfiiiiiiii.num_named_barrier, 0
	.set _Z19_skinny_gemm_kernelILi4ELi3ELi1ELi32ELi4EEvPKhS1_P6__halfPKfiiiiiiii.private_seg_size, 0
	.set _Z19_skinny_gemm_kernelILi4ELi3ELi1ELi32ELi4EEvPKhS1_P6__halfPKfiiiiiiii.uses_vcc, 1
	.set _Z19_skinny_gemm_kernelILi4ELi3ELi1ELi32ELi4EEvPKhS1_P6__halfPKfiiiiiiii.uses_flat_scratch, 0
	.set _Z19_skinny_gemm_kernelILi4ELi3ELi1ELi32ELi4EEvPKhS1_P6__halfPKfiiiiiiii.has_dyn_sized_stack, 0
	.set _Z19_skinny_gemm_kernelILi4ELi3ELi1ELi32ELi4EEvPKhS1_P6__halfPKfiiiiiiii.has_recursion, 0
	.set _Z19_skinny_gemm_kernelILi4ELi3ELi1ELi32ELi4EEvPKhS1_P6__halfPKfiiiiiiii.has_indirect_call, 0
	.section	.AMDGPU.csdata,"",@progbits
; Kernel info:
; codeLenInByte = 11620
; TotalNumSgprs: 106
; NumVgprs: 94
; NumAgprs: 0
; TotalNumVgprs: 94
; ScratchSize: 0
; MemoryBound: 0
; FloatMode: 240
; IeeeMode: 1
; LDSByteSize: 14364 bytes/workgroup (compile time only)
; SGPRBlocks: 13
; VGPRBlocks: 11
; NumSGPRsForWavesPerEU: 106
; NumVGPRsForWavesPerEU: 94
; AccumOffset: 96
; Occupancy: 5
; WaveLimiterHint : 0
; COMPUTE_PGM_RSRC2:SCRATCH_EN: 0
; COMPUTE_PGM_RSRC2:USER_SGPR: 2
; COMPUTE_PGM_RSRC2:TRAP_HANDLER: 0
; COMPUTE_PGM_RSRC2:TGID_X_EN: 1
; COMPUTE_PGM_RSRC2:TGID_Y_EN: 0
; COMPUTE_PGM_RSRC2:TGID_Z_EN: 0
; COMPUTE_PGM_RSRC2:TIDIG_COMP_CNT: 0
; COMPUTE_PGM_RSRC3_GFX90A:ACCUM_OFFSET: 23
; COMPUTE_PGM_RSRC3_GFX90A:TG_SPLIT: 0
	.section	.text._Z19_skinny_gemm_kernelILi4ELi3ELi1ELi32ELi8EEvPKhS1_P6__halfPKfiiiiiiii,"axG",@progbits,_Z19_skinny_gemm_kernelILi4ELi3ELi1ELi32ELi8EEvPKhS1_P6__halfPKfiiiiiiii,comdat
	.protected	_Z19_skinny_gemm_kernelILi4ELi3ELi1ELi32ELi8EEvPKhS1_P6__halfPKfiiiiiiii ; -- Begin function _Z19_skinny_gemm_kernelILi4ELi3ELi1ELi32ELi8EEvPKhS1_P6__halfPKfiiiiiiii
	.globl	_Z19_skinny_gemm_kernelILi4ELi3ELi1ELi32ELi8EEvPKhS1_P6__halfPKfiiiiiiii
	.p2align	8
	.type	_Z19_skinny_gemm_kernelILi4ELi3ELi1ELi32ELi8EEvPKhS1_P6__halfPKfiiiiiiii,@function
_Z19_skinny_gemm_kernelILi4ELi3ELi1ELi32ELi8EEvPKhS1_P6__halfPKfiiiiiiii: ; @_Z19_skinny_gemm_kernelILi4ELi3ELi1ELi32ELi8EEvPKhS1_P6__halfPKfiiiiiiii
; %bb.0:
	v_cmp_gt_u32_e32 vcc, 7, v0
	s_and_saveexec_b64 s[4:5], vcc
; %bb.1:
	v_lshlrev_b32_e32 v1, 2, v0
	v_mov_b32_e32 v2, 0
	ds_write_b32 v1, v2 offset:28672
; %bb.2:
	s_or_b64 exec, exec, s[4:5]
	s_load_dwordx8 s[92:99], s[0:1], 0x20
	s_waitcnt lgkmcnt(0)
	s_barrier
	s_add_i32 s3, s92, 0x7f
	s_ashr_i32 s5, s3, 31
	s_add_i32 s4, s93, 0x5f
	s_lshr_b32 s5, s5, 25
	s_mul_hi_i32 s4, s4, 0x2aaaaaab
	s_add_i32 s3, s3, s5
	s_ashr_i32 s14, s3, 7
	s_lshr_b32 s3, s4, 31
	s_ashr_i32 s4, s4, 4
	s_add_i32 s15, s4, s3
	s_mul_i32 s3, s15, s14
	s_mul_i32 s3, s3, s96
	s_add_i32 s4, s3, 0x12f
	s_mul_hi_i32 s4, s4, 0x6bca1af3
	s_lshr_b32 s5, s4, 31
	s_ashr_i32 s4, s4, 7
	s_add_i32 s4, s4, s5
	s_add_i32 s5, s2, 1
	s_mul_i32 s5, s4, s5
	v_cvt_f64_i32_e32 v[2:3], s3
	v_cvt_f64_u32_e32 v[4:5], s5
	v_min_f64 v[2:3], v[2:3], v[4:5]
	v_cvt_i32_f64_e32 v70, v[2:3]
	s_mul_i32 s33, s4, s2
	v_cmp_ge_i32_e32 vcc, s33, v70
	s_cbranch_vccnz .LBB349_51
; %bb.3:
	s_load_dwordx8 s[16:23], s[0:1], 0x0
	v_lshrrev_b32_e32 v1, 6, v0
	s_add_i32 s0, s98, s97
	v_cmp_le_i32_e64 s[24:25], s0, v1
	v_mov_b32_e32 v2, s97
	v_cmp_le_i32_e64 s[26:27], s97, v1
	v_mov_b32_e32 v3, s98
	v_cndmask_b32_e64 v3, 0, v3, s[24:25]
	v_cndmask_b32_e64 v2, 0, v2, s[26:27]
	s_abs_i32 s1, s96
	v_add_u32_e32 v2, v2, v3
	v_cvt_f32_u32_e32 v3, s1
	v_sub_u32_e32 v56, v1, v2
	s_ashr_i32 s2, s94, 31
	s_lshr_b32 s2, s2, 25
	v_rcp_iflag_f32_e32 v2, v3
	s_sub_i32 s5, 0, s1
	s_add_i32 s2, s94, s2
	s_ashr_i32 s2, s2, 7
	v_mul_f32_e32 v2, 0x4f7ffffe, v2
	v_cvt_u32_f32_e32 v2, v2
	s_abs_i32 s4, s2
	s_xor_b32 s3, s2, s96
	s_ashr_i32 s3, s3, 31
	v_readfirstlane_b32 s6, v2
	s_mul_i32 s5, s5, s6
	s_mul_hi_u32 s5, s6, s5
	s_add_i32 s6, s6, s5
	s_mul_hi_u32 s5, s4, s6
	s_mul_i32 s6, s5, s1
	s_sub_i32 s4, s4, s6
	s_add_i32 s6, s5, 1
	s_sub_i32 s7, s4, s1
	s_cmp_ge_u32 s4, s1
	s_cselect_b32 s5, s6, s5
	s_cselect_b32 s4, s7, s4
	s_add_i32 s6, s5, 1
	s_cmp_ge_u32 s4, s1
	s_cselect_b32 s1, s6, s5
	s_add_i32 s0, s0, s99
	v_and_b32_e32 v72, 31, v0
	v_lshrrev_b32_e32 v2, 3, v0
	v_cmp_gt_i32_e64 s[34:35], s0, v1
	v_lshlrev_b32_e32 v1, 2, v72
	v_and_b32_e32 v3, 4, v2
	v_lshlrev_b32_e32 v2, 6, v3
	v_or_b32_e32 v4, 0x4000, v1
	v_and_b32_e32 v5, 1, v0
	s_add_i32 s29, s96, -1
	v_or_b32_e32 v73, v1, v2
	v_or_b32_e32 v74, v4, v2
	v_lshlrev_b32_e32 v2, 1, v5
	v_lshrrev_b32_e32 v7, 1, v0
	s_abs_i32 s96, s14
                                        ; implicit-def: $vgpr101 : SGPR spill to VGPR lane
	v_sub_u32_e32 v2, v0, v2
	v_and_b32_e32 v50, 16, v7
	v_cvt_f32_u32_e32 v7, s96
	v_writelane_b32 v101, s14, 0
	v_add_u32_e32 v2, 1, v2
	v_writelane_b32 v101, s15, 1
	v_and_b32_e32 v6, 63, v2
	v_bitop3_b32 v75, v0, 1, v0 bitop3:0xc
	v_bitop3_b32 v76, v0, 3, 1 bitop3:0x6c
	;; [unrolled: 1-line block ×8, first 2 shown]
	v_and_b32_e32 v2, 30, v0
	v_lshlrev_b32_e32 v0, 4, v0
	s_waitcnt lgkmcnt(0)
	v_writelane_b32 v101, s16, 2
	v_and_b32_e32 v0, 0x200, v0
	v_or_b32_e32 v85, v4, v0
	v_writelane_b32 v101, s17, 3
	v_rcp_iflag_f32_e32 v4, v7
	s_abs_i32 s90, s15
	v_writelane_b32 v101, s18, 4
	v_or_b32_e32 v87, v1, v0
	v_cvt_f32_u32_e32 v1, s90
	v_writelane_b32 v101, s19, 5
	v_writelane_b32 v101, s20, 6
	;; [unrolled: 1-line block ×3, first 2 shown]
	v_mul_f32_e32 v0, 0x4f7ffffe, v4
	v_writelane_b32 v101, s22, 8
	v_cvt_u32_f32_e32 v0, v0
	v_rcp_iflag_f32_e32 v1, v1
	v_writelane_b32 v101, s23, 9
	v_cndmask_b32_e64 v71, 0, 1, s[24:25]
	s_xor_b32 s1, s1, s3
	v_writelane_b32 v101, s24, 10
	s_sub_i32 s28, s1, s3
	s_mul_i32 s1, s28, s29
	v_writelane_b32 v101, s25, 11
	v_writelane_b32 v101, s26, 12
	s_sub_i32 s30, s2, s1
	v_readfirstlane_b32 s1, v0
	v_mul_f32_e32 v0, 0x4f7ffffe, v1
	v_writelane_b32 v101, s27, 13
	v_cvt_u32_f32_e32 v0, v0
	v_writelane_b32 v101, s28, 14
	s_sub_i32 s0, 0, s96
	v_writelane_b32 v101, s29, 15
	s_mul_i32 s0, s0, s1
	v_writelane_b32 v101, s30, 16
	s_mul_hi_u32 s0, s1, s0
	v_writelane_b32 v101, s34, 17
	s_ashr_i32 s31, s14, 31
	s_add_i32 s36, s1, s0
	s_sub_i32 s0, 0, s90
	v_readfirstlane_b32 s1, v0
	v_mbcnt_lo_u32_b32 v0, -1, 0
	v_writelane_b32 v101, s35, 18
	s_mul_i32 s0, s0, s1
	v_mbcnt_hi_u32_b32 v0, -1, v0
	v_writelane_b32 v101, s31, 19
	v_mov_b32_e32 v49, 0
	v_mul_lo_u32 v52, s95, v72
	v_or_b32_e32 v88, v5, v3
	s_ashr_i32 s37, s15, 31
	s_mul_hi_u32 s0, s1, s0
	v_and_or_b32 v0, v0, 64, v6
	v_writelane_b32 v101, s36, 20
	v_or_b32_e32 v83, 32, v72
	v_or_b32_e32 v84, 64, v72
	v_ashrrev_i32_e32 v53, 31, v52
	v_mov_b32_e32 v51, v49
	s_lshl_b32 s91, s95, 5
	v_mul_lo_u32 v86, s94, v72
	v_or_b32_e32 v89, 2, v88
	s_add_i32 s38, s1, s0
	v_lshlrev_b32_e32 v48, 1, v2
	v_lshlrev_b32_e32 v90, 2, v0
	v_mov_b32_e32 v91, v56
	v_writelane_b32 v101, s37, 21
	v_writelane_b32 v101, s38, 22
	s_branch .LBB349_7
.LBB349_4:                              ;   in Loop: Header=BB349_7 Depth=1
	s_or_b64 exec, exec, s[4:5]
.LBB349_5:                              ;   in Loop: Header=BB349_7 Depth=1
	s_or_b64 exec, exec, s[2:3]
	v_subrev_u32_e32 v91, s10, v91
.LBB349_6:                              ;   in Loop: Header=BB349_7 Depth=1
	s_or_b64 exec, exec, s[0:1]
	s_add_i32 s33, s33, 1
	v_cmp_ge_i32_e32 vcc, s33, v70
	s_cbranch_vccnz .LBB349_51
.LBB349_7:                              ; =>This Loop Header: Depth=1
                                        ;     Child Loop BB349_13 Depth 2
                                        ;       Child Loop BB349_15 Depth 3
                                        ;       Child Loop BB349_18 Depth 3
	;; [unrolled: 1-line block ×4, first 2 shown]
                                        ;     Child Loop BB349_29 Depth 2
                                        ;     Child Loop BB349_38 Depth 2
                                        ;       Child Loop BB349_40 Depth 3
                                        ;     Child Loop BB349_48 Depth 2
                                        ;       Child Loop BB349_50 Depth 3
	s_abs_i32 s1, s33
	s_mul_hi_u32 s2, s1, s36
	s_mul_i32 s3, s2, s96
	s_ashr_i32 s0, s33, 31
	s_sub_i32 s1, s1, s3
	s_xor_b32 s0, s0, s31
	s_add_i32 s3, s2, 1
	s_sub_i32 s4, s1, s96
	s_cmp_ge_u32 s1, s96
	s_cselect_b32 s2, s3, s2
	s_cselect_b32 s1, s4, s1
	s_add_i32 s3, s2, 1
	s_cmp_ge_u32 s1, s96
	s_cselect_b32 s1, s3, s2
	s_xor_b32 s1, s1, s0
	s_sub_i32 s0, s1, s0
	s_abs_i32 s2, s0
	s_mul_i32 s1, s0, s14
	s_mul_hi_u32 s3, s2, s38
	s_sub_i32 s1, s33, s1
	s_mul_i32 s4, s3, s90
	s_lshl_b32 s39, s1, 7
	s_ashr_i32 s1, s0, 31
	s_sub_i32 s2, s2, s4
	s_xor_b32 s1, s1, s37
	s_add_i32 s4, s3, 1
	s_sub_i32 s5, s2, s90
	s_cmp_ge_u32 s2, s90
	s_cselect_b32 s3, s4, s3
	s_cselect_b32 s2, s5, s2
	s_add_i32 s4, s3, 1
	s_cmp_ge_u32 s2, s90
	s_cselect_b32 s2, s4, s3
	s_xor_b32 s2, s2, s1
	s_sub_i32 s1, s2, s1
	s_mul_i32 s2, s1, s28
	s_lshl_b32 s13, s2, 7
	s_cmp_eq_u32 s1, s29
	s_cselect_b32 s4, s30, s28
	s_sub_i32 s2, s39, s92
	s_addk_i32 s2, 0x80
	s_max_i32 s5, s2, 0
	s_and_saveexec_b64 s[2:3], s[26:27]
	s_xor_b64 s[2:3], exec, s[2:3]
	v_writelane_b32 v101, s2, 23
	s_nop 1
	v_writelane_b32 v101, s3, 24
	s_cbranch_execz .LBB349_44
; %bb.8:                                ;   in Loop: Header=BB349_7 Depth=1
	s_mul_i32 s1, s1, s15
	s_sub_i32 s0, s0, s1
	s_mulk_i32 s0, 0x60
	s_sub_i32 s70, s0, s93
	s_addk_i32 s70, 0x60
	s_max_i32 s1, s70, 0
	s_sub_i32 s0, s0, s1
	v_writelane_b32 v101, s13, 25
	s_and_saveexec_b64 s[2:3], s[24:25]
	s_xor_b64 s[2:3], exec, s[2:3]
	s_cbranch_execz .LBB349_34
; %bb.9:                                ;   in Loop: Header=BB349_7 Depth=1
	s_mov_b64 s[6:7], exec
	v_writelane_b32 v101, s6, 26
	s_nop 1
	v_writelane_b32 v101, s7, 27
	s_and_b64 s[6:7], s[6:7], s[34:35]
	s_mov_b64 exec, s[6:7]
	s_cbranch_execz .LBB349_33
; %bb.10:                               ;   in Loop: Header=BB349_7 Depth=1
	global_load_dword v92, v49, s[22:23]
	v_mov_b32_e32 v47, 0
	v_cmp_gt_i32_e32 vcc, s4, v91
	v_mov_b32_e32 v46, v47
	v_mov_b32_e32 v45, v47
	;; [unrolled: 1-line block ×47, first 2 shown]
	s_and_saveexec_b64 s[6:7], vcc
	s_cbranch_execz .LBB349_26
; %bb.11:                               ;   in Loop: Header=BB349_7 Depth=1
	v_mov_b32_e32 v0, 0
	s_mov_b64 s[8:9], 0
	v_mov_b32_e32 v1, v0
	v_mov_b32_e32 v2, v0
	;; [unrolled: 1-line block ×47, first 2 shown]
	s_branch .LBB349_13
.LBB349_12:                             ;   in Loop: Header=BB349_13 Depth=2
	s_or_b64 exec, exec, s[10:11]
	v_add_u32_e32 v97, 0x2000, v96
	ds_read2_b32 v[98:99], v97 offset1:32
	v_add_u32_e32 v91, s99, v91
	s_waitcnt lgkmcnt(0)
	v_mfma_f32_32x32x16_fp8_fp8 v[0:15], v[68:69], v[98:99], v[0:15]
	ds_read2_b32 v[68:69], v97 offset0:128 offset1:160
	s_waitcnt lgkmcnt(0)
	v_mfma_f32_32x32x16_fp8_fp8 v[0:15], v[66:67], v[68:69], v[0:15]
	v_add_u32_e32 v68, 0x2400, v96
	ds_read2_b32 v[66:67], v68 offset1:32
	s_waitcnt lgkmcnt(0)
	v_mfma_f32_32x32x16_fp8_fp8 v[0:15], v[64:65], v[66:67], v[0:15]
	ds_read2_b32 v[64:65], v68 offset0:128 offset1:160
	s_waitcnt lgkmcnt(0)
	v_mfma_f32_32x32x16_fp8_fp8 v[0:15], v[62:63], v[64:65], v[0:15]
	v_add_u32_e32 v64, 0x2800, v96
	ds_read2_b32 v[62:63], v64 offset1:32
	;; [unrolled: 7-line block ×3, first 2 shown]
	ds_read2_b32 v[60:61], v60 offset0:128 offset1:160
	ds_write_b32 v94, v95 offset:28692
	s_waitcnt lgkmcnt(2)
	v_mfma_f32_32x32x16_fp8_fp8 v[0:15], v[56:57], v[58:59], v[0:15]
	v_add_u32_e32 v56, s99, v93
	v_add_u32_e32 v57, 2, v71
	v_cmp_lt_i32_e32 vcc, 0, v56
	s_nop 1
	v_cndmask_b32_e32 v71, v71, v57, vcc
	v_cmp_le_i32_e32 vcc, s4, v91
	s_waitcnt lgkmcnt(1)
	v_mfma_f32_32x32x16_fp8_fp8 v[0:15], v[54:55], v[60:61], v[0:15]
	s_or_b64 s[8:9], vcc, s[8:9]
	s_andn2_b64 exec, exec, s[8:9]
	s_cbranch_execz .LBB349_25
.LBB349_13:                             ;   Parent Loop BB349_7 Depth=1
                                        ; =>  This Loop Header: Depth=2
                                        ;       Child Loop BB349_15 Depth 3
                                        ;       Child Loop BB349_18 Depth 3
	;; [unrolled: 1-line block ×4, first 2 shown]
	v_cmp_lt_i32_e32 vcc, 0, v56
	s_nop 1
	v_subbrev_co_u32_e32 v93, vcc, 0, v56, vcc
	v_mul_lo_u32 v94, v93, 24
	ds_read_b32 v54, v94 offset:28672
	s_waitcnt lgkmcnt(0)
	v_cmp_ne_u32_e32 vcc, v54, v71
	s_and_saveexec_b64 s[10:11], vcc
	s_cbranch_execz .LBB349_16
; %bb.14:                               ;   in Loop: Header=BB349_13 Depth=2
	s_mov_b64 s[12:13], 0
.LBB349_15:                             ;   Parent Loop BB349_7 Depth=1
                                        ;     Parent Loop BB349_13 Depth=2
                                        ; =>    This Inner Loop Header: Depth=3
	;;#ASMSTART
	s_sleep 0
	;;#ASMEND
	ds_read_b32 v54, v94 offset:28672
	s_waitcnt lgkmcnt(0)
	v_cmp_eq_u32_e32 vcc, v54, v71
	s_or_b64 s[12:13], vcc, s[12:13]
	s_andn2_b64 exec, exec, s[12:13]
	s_cbranch_execnz .LBB349_15
.LBB349_16:                             ;   in Loop: Header=BB349_13 Depth=2
	s_or_b64 exec, exec, s[10:11]
	v_lshl_or_b32 v54, v93, 12, v73
	v_add_u32_e32 v55, 0x400, v54
	ds_read2_b32 v[68:69], v54 offset1:32
	ds_read2_b32 v[66:67], v54 offset0:128 offset1:160
	ds_read2_b32 v[64:65], v55 offset1:32
	ds_read2_b32 v[62:63], v55 offset0:128 offset1:160
	v_add_u32_e32 v55, 0x800, v54
	v_add_u32_e32 v54, 0xc00, v54
	ds_read2_b32 v[60:61], v55 offset1:32
	ds_read2_b32 v[58:59], v55 offset0:128 offset1:160
	ds_read2_b32 v[56:57], v54 offset1:32
	ds_read_b32 v96, v94 offset:28676
	ds_read2_b32 v[54:55], v54 offset0:128 offset1:160
	v_add_u32_e32 v95, 1, v71
	ds_write_b32 v94, v95 offset:28672
	s_waitcnt lgkmcnt(2)
	v_cmp_ne_u32_e32 vcc, v96, v71
	s_and_saveexec_b64 s[10:11], vcc
	s_cbranch_execz .LBB349_19
; %bb.17:                               ;   in Loop: Header=BB349_13 Depth=2
	s_mov_b64 s[12:13], 0
.LBB349_18:                             ;   Parent Loop BB349_7 Depth=1
                                        ;     Parent Loop BB349_13 Depth=2
                                        ; =>    This Inner Loop Header: Depth=3
	;;#ASMSTART
	s_sleep 0
	;;#ASMEND
	ds_read_b32 v96, v94 offset:28676
	s_waitcnt lgkmcnt(0)
	v_cmp_eq_u32_e32 vcc, v96, v71
	s_or_b64 s[12:13], vcc, s[12:13]
	s_andn2_b64 exec, exec, s[12:13]
	s_cbranch_execnz .LBB349_18
.LBB349_19:                             ;   in Loop: Header=BB349_13 Depth=2
	s_or_b64 exec, exec, s[10:11]
	s_movk_i32 s1, 0x3000
	v_mul_lo_u32 v96, v93, s1
	v_add_u32_e32 v96, v74, v96
	ds_read2_b32 v[98:99], v96 offset1:32
	v_add_u32_e32 v97, 0x400, v96
	ds_write_b32 v94, v95 offset:28676
	s_waitcnt lgkmcnt(1)
	v_mfma_f32_32x32x16_fp8_fp8 v[32:47], v[68:69], v[98:99], v[32:47]
	ds_read2_b32 v[98:99], v96 offset0:128 offset1:160
	s_waitcnt lgkmcnt(0)
	v_mfma_f32_32x32x16_fp8_fp8 v[32:47], v[66:67], v[98:99], v[32:47]
	ds_read2_b32 v[98:99], v97 offset1:32
	s_waitcnt lgkmcnt(0)
	v_mfma_f32_32x32x16_fp8_fp8 v[32:47], v[64:65], v[98:99], v[32:47]
	ds_read2_b32 v[98:99], v97 offset0:128 offset1:160
	v_add_u32_e32 v97, 0x800, v96
	s_waitcnt lgkmcnt(0)
	v_mfma_f32_32x32x16_fp8_fp8 v[32:47], v[62:63], v[98:99], v[32:47]
	ds_read2_b32 v[98:99], v97 offset1:32
	s_waitcnt lgkmcnt(0)
	v_mfma_f32_32x32x16_fp8_fp8 v[32:47], v[60:61], v[98:99], v[32:47]
	ds_read2_b32 v[98:99], v97 offset0:128 offset1:160
	v_add_u32_e32 v97, 0xc00, v96
	s_waitcnt lgkmcnt(0)
	v_mfma_f32_32x32x16_fp8_fp8 v[32:47], v[58:59], v[98:99], v[32:47]
	ds_read2_b32 v[98:99], v97 offset1:32
	s_waitcnt lgkmcnt(0)
	v_mfma_f32_32x32x16_fp8_fp8 v[32:47], v[56:57], v[98:99], v[32:47]
	ds_read2_b32 v[98:99], v97 offset0:128 offset1:160
	ds_read_b32 v97, v94 offset:28684
	s_waitcnt lgkmcnt(0)
	v_cmp_ne_u32_e32 vcc, v97, v71
	v_mfma_f32_32x32x16_fp8_fp8 v[32:47], v[54:55], v[98:99], v[32:47]
	s_and_saveexec_b64 s[10:11], vcc
	s_cbranch_execz .LBB349_22
; %bb.20:                               ;   in Loop: Header=BB349_13 Depth=2
	s_mov_b64 s[12:13], 0
.LBB349_21:                             ;   Parent Loop BB349_7 Depth=1
                                        ;     Parent Loop BB349_13 Depth=2
                                        ; =>    This Inner Loop Header: Depth=3
	;;#ASMSTART
	s_sleep 0
	;;#ASMEND
	ds_read_b32 v97, v94 offset:28684
	s_waitcnt lgkmcnt(0)
	v_cmp_eq_u32_e32 vcc, v97, v71
	s_or_b64 s[12:13], vcc, s[12:13]
	s_andn2_b64 exec, exec, s[12:13]
	s_cbranch_execnz .LBB349_21
.LBB349_22:                             ;   in Loop: Header=BB349_13 Depth=2
	s_or_b64 exec, exec, s[10:11]
	v_add_u32_e32 v97, 0x1000, v96
	ds_read2_b32 v[98:99], v97 offset1:32
	s_waitcnt lgkmcnt(0)
	v_mfma_f32_32x32x16_fp8_fp8 v[16:31], v[68:69], v[98:99], v[16:31]
	ds_read2_b32 v[98:99], v97 offset0:128 offset1:160
	v_add_u32_e32 v97, 0x1400, v96
	s_waitcnt lgkmcnt(0)
	v_mfma_f32_32x32x16_fp8_fp8 v[16:31], v[66:67], v[98:99], v[16:31]
	ds_read2_b32 v[98:99], v97 offset1:32
	s_waitcnt lgkmcnt(0)
	v_mfma_f32_32x32x16_fp8_fp8 v[16:31], v[64:65], v[98:99], v[16:31]
	ds_read2_b32 v[98:99], v97 offset0:128 offset1:160
	v_add_u32_e32 v97, 0x1800, v96
	s_waitcnt lgkmcnt(0)
	v_mfma_f32_32x32x16_fp8_fp8 v[16:31], v[62:63], v[98:99], v[16:31]
	;; [unrolled: 7-line block ×3, first 2 shown]
	ds_read2_b32 v[98:99], v97 offset1:32
	s_waitcnt lgkmcnt(0)
	v_mfma_f32_32x32x16_fp8_fp8 v[16:31], v[56:57], v[98:99], v[16:31]
	ds_read_b32 v100, v94 offset:28692
	ds_read2_b32 v[98:99], v97 offset0:128 offset1:160
	ds_write_b32 v94, v95 offset:28684
	s_waitcnt lgkmcnt(2)
	v_cmp_ne_u32_e32 vcc, v100, v71
	s_waitcnt lgkmcnt(1)
	v_mfma_f32_32x32x16_fp8_fp8 v[16:31], v[54:55], v[98:99], v[16:31]
	s_and_saveexec_b64 s[10:11], vcc
	s_cbranch_execz .LBB349_12
; %bb.23:                               ;   in Loop: Header=BB349_13 Depth=2
	s_mov_b64 s[12:13], 0
.LBB349_24:                             ;   Parent Loop BB349_7 Depth=1
                                        ;     Parent Loop BB349_13 Depth=2
                                        ; =>    This Inner Loop Header: Depth=3
	;;#ASMSTART
	s_sleep 0
	;;#ASMEND
	ds_read_b32 v97, v94 offset:28692
	s_waitcnt lgkmcnt(0)
	v_cmp_eq_u32_e32 vcc, v97, v71
	s_or_b64 s[12:13], vcc, s[12:13]
	s_andn2_b64 exec, exec, s[12:13]
	s_cbranch_execnz .LBB349_24
	s_branch .LBB349_12
.LBB349_25:                             ;   in Loop: Header=BB349_7 Depth=1
	s_or_b64 exec, exec, s[8:9]
.LBB349_26:                             ;   in Loop: Header=BB349_7 Depth=1
	s_or_b64 exec, exec, s[6:7]
	v_cmp_le_i32_e32 vcc, s70, v72
	v_cmp_eq_u32_e64 s[60:61], 1, v75
	v_cmp_eq_u32_e64 s[26:27], 2, v75
	s_waitcnt vmcnt(0)
	v_cndmask_b32_e32 v54, 0, v92, vcc
	v_pk_mul_f32 v[32:33], v[54:55], v[32:33] op_sel_hi:[0,1]
	v_pk_mul_f32 v[46:47], v[54:55], v[46:47] op_sel_hi:[0,1]
	;; [unrolled: 1-line block ×8, first 2 shown]
	v_cndmask_b32_e64 v54, v32, v33, s[60:61]
	v_cndmask_b32_e64 v54, v54, v34, s[26:27]
	v_cmp_eq_u32_e64 s[40:41], 3, v75
	v_cmp_eq_u32_e64 s[42:43], 4, v75
	v_cmp_eq_u32_e64 s[44:45], 5, v75
	v_cndmask_b32_e64 v54, v54, v35, s[40:41]
	v_cndmask_b32_e64 v54, v54, v36, s[42:43]
	v_cndmask_b32_e64 v54, v54, v37, s[44:45]
	v_cmp_eq_u32_e64 s[46:47], 6, v75
	v_cmp_eq_u32_e64 s[48:49], 7, v75
	v_cmp_eq_u32_e64 s[50:51], 8, v75
	v_cndmask_b32_e64 v54, v54, v38, s[46:47]
	;; [unrolled: 6-line block ×4, first 2 shown]
	v_cndmask_b32_e64 v54, v54, v45, s[62:63]
	v_cndmask_b32_e64 v54, v54, v46, s[64:65]
	v_cmp_eq_u32_e64 s[66:67], 15, v75
	s_mul_i32 s6, s39, s93
	s_ashr_i32 s7, s6, 31
	v_cndmask_b32_e64 v54, v54, v47, s[66:67]
	ds_bpermute_b32 v54, v90, v54
	s_lshl_b64 s[6:7], s[6:7], 1
	v_cmp_eq_u32_e64 s[36:37], 0, v75
	s_add_u32 s71, s20, s6
	v_cmp_eq_u32_e32 vcc, 1, v76
	s_waitcnt lgkmcnt(0)
	v_cndmask_b32_e64 v47, v47, v54, s[66:67]
	v_cndmask_b32_e64 v46, v46, v54, s[64:65]
	;; [unrolled: 1-line block ×16, first 2 shown]
	s_addc_u32 s72, s21, s7
	v_cndmask_b32_e32 v32, v54, v63, vcc
	v_cmp_eq_u32_e64 s[6:7], 2, v76
	v_cmp_eq_u32_e64 s[8:9], 3, v76
	v_cmp_eq_u32_e64 s[10:11], 4, v76
	v_cndmask_b32_e64 v32, v32, v62, s[6:7]
	v_cndmask_b32_e64 v32, v32, v61, s[8:9]
	v_cndmask_b32_e64 v32, v32, v60, s[10:11]
	v_cmp_eq_u32_e64 s[12:13], 5, v76
	v_cmp_eq_u32_e64 s[14:15], 6, v76
	v_cmp_eq_u32_e64 s[16:17], 7, v76
	v_cndmask_b32_e64 v32, v32, v59, s[12:13]
	v_cndmask_b32_e64 v32, v32, v58, s[14:15]
	v_cndmask_b32_e64 v32, v32, v57, s[16:17]
	;; [unrolled: 6-line block ×4, first 2 shown]
	v_cmp_eq_u32_e64 s[34:35], 14, v76
	v_writelane_b32 v101, s39, 28
	v_cmp_eq_u32_e64 s[38:39], 15, v76
	v_cndmask_b32_e64 v32, v32, v46, s[34:35]
	s_ashr_i32 s1, s0, 31
	v_cndmask_b32_e64 v32, v32, v47, s[38:39]
	ds_bpermute_b32 v55, v90, v32
	s_lshl_b64 s[68:69], s[0:1], 1
	s_add_u32 s68, s71, s68
	s_addc_u32 s69, s72, s69
	v_writelane_b32 v101, s68, 29
	s_waitcnt lgkmcnt(0)
	v_cndmask_b32_e64 v33, v47, v55, s[38:39]
	v_cndmask_b32_e64 v38, v42, v55, s[22:23]
	v_writelane_b32 v101, s69, 30
	v_cmp_le_i32_e64 s[68:69], s70, v83
	v_cmp_le_i32_e64 s[70:71], s70, v84
	v_cndmask_b32_e64 v42, v58, v55, s[14:15]
	v_cndmask_b32_e64 v32, 0, v92, s[68:69]
	;; [unrolled: 1-line block ×3, first 2 shown]
	v_pk_mul_f32 v[16:17], v[32:33], v[16:17] op_sel_hi:[0,1]
	v_pk_mul_f32 v[0:1], v[58:59], v[0:1] op_sel_hi:[0,1]
	v_cndmask_b32_e64 v35, v45, v55, s[30:31]
	v_cndmask_b32_e64 v36, v44, v55, s[28:29]
	;; [unrolled: 1-line block ×4, first 2 shown]
	v_pk_mul_f32 v[30:31], v[32:33], v[30:31] op_sel_hi:[0,1]
	v_pk_mul_f32 v[28:29], v[32:33], v[28:29] op_sel_hi:[0,1]
	;; [unrolled: 1-line block ×7, first 2 shown]
	v_cndmask_b32_e64 v32, v16, v17, s[60:61]
	v_pk_mul_f32 v[60:61], v[58:59], v[4:5] op_sel_hi:[0,1]
	v_pk_mul_f32 v[2:3], v[58:59], v[2:3] op_sel_hi:[0,1]
	v_cndmask_b32_e64 v4, v0, v1, s[60:61]
	v_cndmask_b32_e64 v32, v32, v18, s[26:27]
	;; [unrolled: 1-line block ×8, first 2 shown]
	v_pk_mul_f32 v[6:7], v[58:59], v[6:7] op_sel_hi:[0,1]
	v_cndmask_b32_e64 v4, v4, v61, s[44:45]
	v_cndmask_b32_e64 v32, v32, v22, s[46:47]
	v_cndmask_b32_e64 v4, v4, v6, s[46:47]
	v_cndmask_b32_e64 v32, v32, v23, s[48:49]
	v_pk_mul_f32 v[8:9], v[58:59], v[8:9] op_sel_hi:[0,1]
	v_cndmask_b32_e64 v4, v4, v7, s[48:49]
	v_cndmask_b32_e64 v32, v32, v24, s[50:51]
	v_cndmask_b32_e64 v4, v4, v8, s[50:51]
	v_cndmask_b32_e64 v32, v32, v25, s[52:53]
	;; [unrolled: 5-line block ×5, first 2 shown]
	v_cndmask_b32_e64 v4, v4, v15, s[66:67]
	ds_bpermute_b32 v32, v90, v32
	ds_bpermute_b32 v5, v90, v4
	v_cmp_eq_u32_e64 s[68:69], 0, v76
	v_cndmask_b32_e32 v47, v63, v55, vcc
	v_cmp_eq_u32_e64 s[70:71], 1, v77
	v_cndmask_b32_e64 v54, v54, v55, s[68:69]
	s_waitcnt lgkmcnt(1)
	v_cndmask_b32_e64 v18, v18, v32, s[26:27]
	s_waitcnt lgkmcnt(0)
	v_cndmask_b32_e64 v2, v2, v5, s[26:27]
	v_cmp_ne_u32_e64 s[26:27], 0, v75
	v_cndmask_b32_e64 v34, v46, v55, s[34:35]
	v_cndmask_b32_e64 v37, v43, v55, s[24:25]
	;; [unrolled: 1-line block ×9, first 2 shown]
	v_cmp_eq_u32_e64 s[60:61], 2, v77
	v_cndmask_b32_e64 v1, v1, v5, s[26:27]
	v_cndmask_b32_e64 v16, v16, v32, s[36:37]
	;; [unrolled: 1-line block ×6, first 2 shown]
	v_cmp_eq_u32_e64 s[66:67], 3, v77
	v_cndmask_b32_e64 v30, v30, v32, s[64:65]
	v_cndmask_b32_e64 v14, v14, v5, s[64:65]
	;; [unrolled: 1-line block ×24, first 2 shown]
	v_cndmask_b32_e32 v32, v16, v4, vcc
	v_cndmask_b32_e32 v5, v0, v1, vcc
	v_cndmask_b32_e64 v17, v17, v45, s[66:67]
	v_cmp_eq_u32_e64 s[64:65], 4, v77
	v_cndmask_b32_e64 v32, v32, v18, s[6:7]
	v_cndmask_b32_e64 v5, v5, v2, s[6:7]
	v_cndmask_b32_e64 v17, v17, v44, s[64:65]
	v_cmp_eq_u32_e64 s[62:63], 5, v77
	v_cndmask_b32_e64 v32, v32, v19, s[8:9]
	v_cndmask_b32_e64 v5, v5, v3, s[8:9]
	;; [unrolled: 4-line block ×12, first 2 shown]
	v_cndmask_b32_e64 v17, v17, v33, s[82:83]
	v_cndmask_b32_e64 v32, v32, v30, s[34:35]
	;; [unrolled: 1-line block ×3, first 2 shown]
	ds_bpermute_b32 v17, v90, v17
	v_cndmask_b32_e64 v32, v32, v31, s[38:39]
	v_cndmask_b32_e64 v5, v5, v15, s[38:39]
	ds_bpermute_b32 v32, v90, v32
	ds_bpermute_b32 v5, v90, v5
	v_cmp_eq_u32_e64 s[40:41], 0, v77
	s_waitcnt lgkmcnt(2)
	v_cndmask_b32_e64 v33, v33, v17, s[82:83]
	v_cndmask_b32_e64 v34, v34, v17, s[78:79]
	;; [unrolled: 1-line block ×16, first 2 shown]
	v_cmp_eq_u32_e64 s[26:27], 1, v78
	v_cmp_eq_u32_e64 s[36:37], 2, v78
	s_waitcnt lgkmcnt(1)
	v_cndmask_b32_e32 v4, v4, v32, vcc
	v_cndmask_b32_e64 v54, v17, v47, s[26:27]
	s_waitcnt lgkmcnt(0)
	v_cndmask_b32_e32 v1, v1, v5, vcc
	v_cndmask_b32_e64 v16, v16, v32, s[68:69]
	v_cndmask_b32_e64 v0, v0, v5, s[68:69]
	;; [unrolled: 1-line block ×7, first 2 shown]
	v_cmp_eq_u32_e64 s[34:35], 3, v78
	v_cndmask_b32_e64 v29, v29, v32, s[30:31]
	v_cndmask_b32_e64 v13, v13, v5, s[30:31]
	v_cndmask_b32_e64 v28, v28, v32, s[28:29]
	v_cndmask_b32_e64 v12, v12, v5, s[28:29]
	v_cndmask_b32_e64 v27, v27, v32, s[24:25]
	v_cndmask_b32_e64 v11, v11, v5, s[24:25]
	v_cndmask_b32_e64 v26, v26, v32, s[22:23]
	v_cndmask_b32_e64 v10, v10, v5, s[22:23]
	v_cndmask_b32_e64 v25, v25, v32, s[20:21]
	v_cndmask_b32_e64 v9, v9, v5, s[20:21]
	v_cndmask_b32_e64 v24, v24, v32, s[18:19]
	v_cndmask_b32_e64 v8, v8, v5, s[18:19]
	v_cndmask_b32_e64 v23, v23, v32, s[16:17]
	v_cndmask_b32_e64 v7, v7, v5, s[16:17]
	v_cndmask_b32_e64 v22, v22, v32, s[14:15]
	v_cndmask_b32_e64 v6, v6, v5, s[14:15]
	v_cndmask_b32_e64 v21, v21, v32, s[12:13]
	v_cndmask_b32_e64 v55, v55, v5, s[12:13]
	v_cndmask_b32_e64 v20, v20, v32, s[10:11]
	v_cndmask_b32_e64 v57, v57, v5, s[10:11]
	v_cndmask_b32_e64 v19, v19, v32, s[8:9]
	v_cndmask_b32_e64 v3, v3, v5, s[8:9]
	v_cndmask_b32_e64 v18, v18, v32, s[6:7]
	v_cndmask_b32_e64 v2, v2, v5, s[6:7]
	v_cndmask_b32_e64 v32, v16, v4, s[70:71]
	v_cndmask_b32_e64 v5, v0, v1, s[70:71]
	v_cndmask_b32_e64 v54, v54, v45, s[34:35]
	v_cmp_eq_u32_e64 s[30:31], 4, v78
	v_cndmask_b32_e64 v32, v32, v18, s[60:61]
	v_cndmask_b32_e64 v5, v5, v2, s[60:61]
	v_cndmask_b32_e64 v54, v54, v44, s[30:31]
	v_cmp_eq_u32_e64 s[28:29], 5, v78
	v_cndmask_b32_e64 v32, v32, v19, s[66:67]
	v_cndmask_b32_e64 v5, v5, v3, s[66:67]
	v_cndmask_b32_e64 v54, v54, v43, s[28:29]
	;; [unrolled: 4-line block ×12, first 2 shown]
	v_cndmask_b32_e64 v32, v32, v30, s[78:79]
	v_cndmask_b32_e64 v5, v5, v14, s[78:79]
	ds_bpermute_b32 v54, v90, v54
	v_cndmask_b32_e64 v32, v32, v31, s[82:83]
	v_cndmask_b32_e64 v5, v5, v15, s[82:83]
	ds_bpermute_b32 v32, v90, v32
	ds_bpermute_b32 v5, v90, v5
	v_cmp_eq_u32_e64 s[16:17], 0, v78
	s_waitcnt lgkmcnt(2)
	v_cndmask_b32_e64 v47, v47, v54, s[26:27]
	v_cmp_eq_u32_e64 s[6:7], 1, v79
	v_cndmask_b32_e64 v17, v17, v54, s[16:17]
	v_cndmask_b32_e64 v33, v33, v54, s[8:9]
	v_cndmask_b32_e64 v34, v34, v54, s[10:11]
	v_cndmask_b32_e64 v35, v35, v54, s[12:13]
	v_cndmask_b32_e64 v36, v36, v54, s[80:81]
	v_cndmask_b32_e64 v37, v37, v54, s[46:47]
	v_cndmask_b32_e64 v38, v38, v54, s[76:77]
	v_cndmask_b32_e64 v39, v39, v54, s[74:75]
	v_cndmask_b32_e64 v40, v40, v54, s[20:21]
	v_cndmask_b32_e64 v41, v41, v54, s[22:23]
	v_cndmask_b32_e64 v42, v42, v54, s[42:43]
	v_cndmask_b32_e64 v43, v43, v54, s[28:29]
	v_cndmask_b32_e64 v44, v44, v54, s[30:31]
	v_cndmask_b32_e64 v45, v45, v54, s[34:35]
	v_cndmask_b32_e64 v46, v46, v54, s[36:37]
	v_cndmask_b32_e64 v54, v17, v47, s[6:7]
	v_cmp_eq_u32_e64 s[14:15], 2, v79
	s_waitcnt lgkmcnt(1)
	v_cndmask_b32_e64 v4, v4, v32, s[70:71]
	s_waitcnt lgkmcnt(0)
	v_cndmask_b32_e64 v1, v1, v5, s[70:71]
	v_cndmask_b32_e64 v16, v16, v32, s[40:41]
	;; [unrolled: 1-line block ×8, first 2 shown]
	v_cmp_eq_u32_e64 s[18:19], 3, v79
	v_cndmask_b32_e64 v29, v29, v32, s[44:45]
	v_cndmask_b32_e64 v13, v13, v5, s[44:45]
	v_cndmask_b32_e64 v28, v28, v32, s[52:53]
	v_cndmask_b32_e64 v12, v12, v5, s[52:53]
	v_cndmask_b32_e64 v27, v27, v32, s[48:49]
	v_cndmask_b32_e64 v11, v11, v5, s[48:49]
	v_cndmask_b32_e64 v26, v26, v32, s[50:51]
	v_cndmask_b32_e64 v10, v10, v5, s[50:51]
	v_cndmask_b32_e64 v25, v25, v32, s[72:73]
	v_cndmask_b32_e64 v9, v9, v5, s[72:73]
	v_cndmask_b32_e64 v24, v24, v32, s[54:55]
	v_cndmask_b32_e64 v8, v8, v5, s[54:55]
	v_cndmask_b32_e64 v23, v23, v32, s[56:57]
	v_cndmask_b32_e64 v7, v7, v5, s[56:57]
	v_cndmask_b32_e64 v22, v22, v32, s[58:59]
	v_cndmask_b32_e64 v6, v6, v5, s[58:59]
	v_cndmask_b32_e64 v21, v21, v32, s[62:63]
	v_cndmask_b32_e64 v55, v55, v5, s[62:63]
	v_cndmask_b32_e64 v20, v20, v32, s[64:65]
	v_cndmask_b32_e64 v57, v57, v5, s[64:65]
	v_cndmask_b32_e64 v19, v19, v32, s[66:67]
	v_cndmask_b32_e64 v3, v3, v5, s[66:67]
	v_cndmask_b32_e64 v18, v18, v32, s[60:61]
	v_cndmask_b32_e64 v2, v2, v5, s[60:61]
	v_cndmask_b32_e64 v32, v16, v4, s[26:27]
	v_cndmask_b32_e64 v5, v0, v1, s[26:27]
	v_cndmask_b32_e64 v54, v54, v45, s[18:19]
	v_cmp_eq_u32_e64 s[24:25], 4, v79
	v_cndmask_b32_e64 v32, v32, v18, s[36:37]
	v_cndmask_b32_e64 v5, v5, v2, s[36:37]
	v_cndmask_b32_e64 v54, v54, v44, s[24:25]
	v_cmp_eq_u32_e64 s[38:39], 5, v79
	v_cndmask_b32_e64 v32, v32, v19, s[34:35]
	v_cndmask_b32_e64 v5, v5, v3, s[34:35]
	v_cndmask_b32_e64 v54, v54, v43, s[38:39]
	;; [unrolled: 4-line block ×12, first 2 shown]
	v_cndmask_b32_e64 v32, v32, v30, s[10:11]
	v_cndmask_b32_e64 v5, v5, v14, s[10:11]
	ds_bpermute_b32 v54, v90, v54
	v_cndmask_b32_e64 v32, v32, v31, s[8:9]
	v_cndmask_b32_e64 v5, v5, v15, s[8:9]
	ds_bpermute_b32 v32, v90, v32
	ds_bpermute_b32 v5, v90, v5
	v_cmp_eq_u32_e64 s[50:51], 0, v79
	s_waitcnt lgkmcnt(2)
	v_cndmask_b32_e64 v47, v47, v54, s[6:7]
	v_cmp_eq_u32_e32 vcc, 1, v80
	v_cndmask_b32_e64 v17, v17, v54, s[50:51]
	v_cndmask_b32_e64 v33, v33, v54, s[88:89]
	;; [unrolled: 1-line block ×15, first 2 shown]
	v_cndmask_b32_e32 v54, v17, v47, vcc
	s_waitcnt lgkmcnt(1)
	v_cndmask_b32_e64 v31, v31, v32, s[8:9]
	s_waitcnt lgkmcnt(0)
	v_cndmask_b32_e64 v15, v15, v5, s[8:9]
	v_cmp_eq_u32_e64 s[8:9], 2, v80
	v_cndmask_b32_e64 v30, v30, v32, s[10:11]
	v_cndmask_b32_e64 v14, v14, v5, s[10:11]
	;; [unrolled: 1-line block ×3, first 2 shown]
	v_cmp_eq_u32_e64 s[10:11], 3, v80
	v_cndmask_b32_e64 v29, v29, v32, s[12:13]
	v_cndmask_b32_e64 v13, v13, v5, s[12:13]
	;; [unrolled: 1-line block ×3, first 2 shown]
	v_cmp_eq_u32_e64 s[12:13], 4, v80
	v_cmp_eq_u32_e64 s[40:41], 5, v80
	v_cndmask_b32_e64 v27, v27, v32, s[46:47]
	v_cndmask_b32_e64 v54, v54, v44, s[12:13]
	;; [unrolled: 1-line block ×4, first 2 shown]
	v_cmp_eq_u32_e64 s[46:47], 6, v80
	v_cmp_eq_u32_e64 s[54:55], 7, v80
	v_cndmask_b32_e64 v59, v1, v5, s[26:27]
	v_cndmask_b32_e64 v54, v54, v42, s[46:47]
	;; [unrolled: 1-line block ×4, first 2 shown]
	v_cmp_eq_u32_e64 s[56:57], 8, v80
	v_cndmask_b32_e64 v2, v2, v5, s[36:37]
	v_cndmask_b32_e64 v0, v61, v59, s[6:7]
	;; [unrolled: 1-line block ×7, first 2 shown]
	v_cmp_eq_u32_e64 s[58:59], 9, v80
	v_cndmask_b32_e64 v23, v23, v32, s[22:23]
	v_cndmask_b32_e64 v22, v22, v32, s[42:43]
	;; [unrolled: 1-line block ×11, first 2 shown]
	v_cmp_eq_u32_e64 s[60:61], 10, v80
	v_cndmask_b32_e64 v57, v57, v5, s[30:31]
	v_cndmask_b32_e64 v1, v32, v58, s[6:7]
	;; [unrolled: 1-line block ×4, first 2 shown]
	v_cmp_eq_u32_e64 s[62:63], 11, v80
	v_cndmask_b32_e64 v55, v55, v5, s[28:29]
	v_cndmask_b32_e64 v1, v1, v18, s[14:15]
	;; [unrolled: 1-line block ×5, first 2 shown]
	v_cmp_eq_u32_e64 s[64:65], 12, v80
	v_cndmask_b32_e64 v1, v1, v19, s[18:19]
	v_cndmask_b32_e64 v0, v0, v55, s[38:39]
	v_cndmask_b32_e64 v7, v7, v5, s[22:23]
	v_cndmask_b32_e64 v54, v54, v36, s[64:65]
	v_cmp_eq_u32_e64 s[66:67], 13, v80
	v_cndmask_b32_e64 v1, v1, v20, s[24:25]
	v_cndmask_b32_e64 v0, v0, v6, s[44:45]
	v_cndmask_b32_e64 v8, v8, v5, s[20:21]
	v_cndmask_b32_e64 v54, v54, v35, s[66:67]
	;; [unrolled: 5-line block ×4, first 2 shown]
	v_cndmask_b32_e64 v1, v1, v23, s[52:53]
	v_cndmask_b32_e64 v0, v0, v9, s[68:69]
	ds_bpermute_b32 v54, v90, v54
	v_cndmask_b32_e64 v1, v1, v24, s[48:49]
	v_cndmask_b32_e64 v0, v0, v10, s[72:73]
	;; [unrolled: 1-line block ×9, first 2 shown]
	v_cmp_eq_u32_e64 s[20:21], 0, v80
	v_cndmask_b32_e64 v1, v1, v28, s[82:83]
	v_cndmask_b32_e64 v0, v0, v14, s[86:87]
	s_waitcnt lgkmcnt(0)
	v_cndmask_b32_e32 v47, v47, v54, vcc
	v_cndmask_b32_e64 v1, v1, v29, s[84:85]
	v_cndmask_b32_e64 v0, v0, v15, s[88:89]
	;; [unrolled: 1-line block ×3, first 2 shown]
	v_cmp_eq_u32_e64 s[16:17], 1, v81
	v_cndmask_b32_e64 v46, v46, v54, s[8:9]
	v_cndmask_b32_e64 v1, v1, v30, s[86:87]
	ds_bpermute_b32 v62, v90, v0
	v_cndmask_b32_e64 v0, v17, v47, s[16:17]
	v_cmp_eq_u32_e64 s[22:23], 2, v81
	v_cndmask_b32_e64 v45, v45, v54, s[10:11]
	v_cndmask_b32_e64 v1, v1, v31, s[88:89]
	;; [unrolled: 1-line block ×3, first 2 shown]
	v_cmp_eq_u32_e64 s[26:27], 3, v81
	v_cndmask_b32_e64 v44, v44, v54, s[12:13]
	ds_bpermute_b32 v60, v90, v1
	v_cndmask_b32_e64 v0, v0, v45, s[26:27]
	v_cmp_eq_u32_e64 s[28:29], 4, v81
	v_cndmask_b32_e64 v43, v43, v54, s[40:41]
	v_cmp_eq_u32_e64 s[30:31], 5, v81
	v_cndmask_b32_e64 v0, v0, v44, s[28:29]
	v_cndmask_b32_e64 v42, v42, v54, s[46:47]
	;; [unrolled: 1-line block ×3, first 2 shown]
	v_cmp_eq_u32_e64 s[34:35], 6, v81
	v_cndmask_b32_e64 v41, v41, v54, s[54:55]
	v_cmp_eq_u32_e64 s[36:37], 7, v81
	v_cndmask_b32_e64 v0, v0, v42, s[34:35]
	v_cndmask_b32_e64 v40, v40, v54, s[56:57]
	;; [unrolled: 1-line block ×3, first 2 shown]
	v_cmp_eq_u32_e64 s[42:43], 8, v81
	v_cndmask_b32_e64 v39, v39, v54, s[58:59]
	s_waitcnt lgkmcnt(0)
	v_cndmask_b32_e64 v24, v24, v60, s[48:49]
	v_cndmask_b32_e64 v0, v0, v40, s[42:43]
	;; [unrolled: 1-line block ×3, first 2 shown]
	v_cmp_eq_u32_e64 s[48:49], 9, v81
	v_cndmask_b32_e64 v38, v38, v54, s[60:61]
	v_cndmask_b32_e64 v23, v23, v60, s[52:53]
	;; [unrolled: 1-line block ×4, first 2 shown]
	v_cmp_eq_u32_e64 s[52:53], 10, v81
	v_cndmask_b32_e64 v33, v33, v54, s[74:75]
	v_cndmask_b32_e64 v34, v34, v54, s[70:71]
	;; [unrolled: 1-line block ×8, first 2 shown]
	v_cmp_eq_u32_e64 s[44:45], 11, v81
	v_cndmask_b32_e64 v21, v21, v60, s[38:39]
	v_cndmask_b32_e64 v55, v55, v62, s[38:39]
	v_cndmask_b32_e64 v0, v0, v37, s[44:45]
	v_cmp_eq_u32_e64 s[38:39], 12, v81
	v_cndmask_b32_e64 v20, v20, v60, s[24:25]
	v_cndmask_b32_e64 v57, v57, v62, s[24:25]
	v_cndmask_b32_e64 v0, v0, v36, s[38:39]
	;; [unrolled: 4-line block ×5, first 2 shown]
	ds_bpermute_b32 v18, v90, v0
	v_cndmask_b32_e64 v9, v9, v62, s[68:69]
	v_cndmask_b32_e64 v26, v26, v60, s[72:73]
	;; [unrolled: 1-line block ×4, first 2 shown]
	s_waitcnt lgkmcnt(0)
	v_cndmask_b32_e64 v1, v43, v18, s[30:31]
	v_cndmask_b32_e64 v2, v44, v18, s[28:29]
	;; [unrolled: 1-line block ×8, first 2 shown]
	v_cndmask_b32_e32 v45, v32, v43, vcc
	v_cndmask_b32_e32 v47, v46, v44, vcc
	v_cndmask_b32_e64 v45, v45, v5, s[8:9]
	v_cndmask_b32_e64 v47, v47, v6, s[8:9]
	;; [unrolled: 1-line block ×37, first 2 shown]
	ds_bpermute_b32 v45, v90, v45
	ds_bpermute_b32 v47, v90, v47
	v_cmp_eq_u32_e64 s[6:7], 0, v81
	v_cndmask_b32_e64 v33, v33, v18, s[14:15]
	v_cndmask_b32_e64 v34, v34, v18, s[18:19]
	;; [unrolled: 1-line block ×11, first 2 shown]
	v_cmp_eq_u32_e64 s[50:51], 1, v82
	v_cmp_eq_u32_e64 s[68:69], 2, v82
	s_waitcnt lgkmcnt(0)
	v_cndmask_b32_e64 v17, v15, v47, s[74:75]
	v_cndmask_b32_e64 v58, v18, v0, s[50:51]
	;; [unrolled: 1-line block ×5, first 2 shown]
	v_cmp_eq_u32_e64 s[70:71], 3, v82
	v_cndmask_b32_e64 v29, v29, v45, s[66:67]
	v_cndmask_b32_e64 v59, v13, v47, s[66:67]
	v_cndmask_b32_e64 v14, v15, v3, s[70:71]
	v_cmp_eq_u32_e64 s[66:67], 4, v82
	v_cndmask_b32_e64 v28, v28, v45, s[64:65]
	v_cndmask_b32_e64 v60, v12, v47, s[64:65]
	v_cndmask_b32_e64 v13, v14, v2, s[66:67]
	v_cmp_eq_u32_e64 s[64:65], 5, v82
	v_cndmask_b32_e64 v27, v27, v45, s[62:63]
	v_cndmask_b32_e64 v61, v11, v47, s[62:63]
	v_cndmask_b32_e64 v12, v13, v1, s[64:65]
	v_cmp_eq_u32_e64 s[62:63], 6, v82
	v_cndmask_b32_e64 v26, v26, v45, s[60:61]
	v_cndmask_b32_e64 v62, v10, v47, s[60:61]
	v_cndmask_b32_e64 v11, v12, v42, s[62:63]
	v_cmp_eq_u32_e64 s[60:61], 7, v82
	v_cndmask_b32_e64 v25, v25, v45, s[58:59]
	v_cndmask_b32_e64 v63, v9, v47, s[58:59]
	v_cndmask_b32_e64 v10, v11, v41, s[60:61]
	v_cmp_eq_u32_e64 s[58:59], 8, v82
	v_cndmask_b32_e64 v24, v24, v45, s[56:57]
	v_cndmask_b32_e64 v64, v8, v47, s[56:57]
	v_cndmask_b32_e64 v9, v10, v40, s[58:59]
	v_cmp_eq_u32_e64 s[56:57], 9, v82
	v_cndmask_b32_e64 v23, v23, v45, s[54:55]
	v_cndmask_b32_e64 v65, v7, v47, s[54:55]
	v_cndmask_b32_e64 v8, v9, v39, s[56:57]
	v_cmp_eq_u32_e64 s[54:55], 10, v82
	v_cndmask_b32_e64 v22, v22, v45, s[46:47]
	v_cndmask_b32_e64 v54, v54, v47, s[46:47]
	v_cndmask_b32_e64 v7, v8, v38, s[54:55]
	v_cmp_eq_u32_e64 s[46:47], 11, v82
	v_cndmask_b32_e64 v21, v21, v45, s[40:41]
	v_cndmask_b32_e64 v55, v55, v47, s[40:41]
	v_cndmask_b32_e64 v7, v7, v37, s[46:47]
	v_cmp_eq_u32_e64 s[40:41], 12, v82
	v_cndmask_b32_e64 v20, v20, v45, s[12:13]
	v_cndmask_b32_e64 v57, v57, v47, s[12:13]
	v_cndmask_b32_e64 v7, v7, v36, s[40:41]
	v_cmp_eq_u32_e64 s[12:13], 13, v82
	v_cndmask_b32_e64 v19, v19, v45, s[10:11]
	v_cndmask_b32_e64 v66, v4, v47, s[10:11]
	v_cndmask_b32_e64 v7, v7, v35, s[12:13]
	v_cmp_eq_u32_e64 s[10:11], 14, v82
	v_cndmask_b32_e64 v67, v5, v45, s[8:9]
	v_cndmask_b32_e64 v68, v6, v47, s[8:9]
	v_cndmask_b32_e64 v4, v7, v34, s[10:11]
	v_cmp_eq_u32_e64 s[8:9], 15, v82
	v_cndmask_b32_e32 v43, v43, v45, vcc
	v_cndmask_b32_e64 v32, v32, v45, s[20:21]
	v_cndmask_b32_e64 v4, v4, v33, s[8:9]
	ds_bpermute_b32 v69, v90, v4
	v_cndmask_b32_e64 v4, v32, v43, s[16:17]
	v_cndmask_b32_e64 v4, v4, v67, s[22:23]
	;; [unrolled: 1-line block ×16, first 2 shown]
	s_waitcnt lgkmcnt(0)
	v_cndmask_b32_e64 v15, v33, v69, s[8:9]
	ds_bpermute_b32 v33, v90, v4
	v_cndmask_b32_e64 v13, v35, v69, s[12:13]
	v_cndmask_b32_e64 v14, v34, v69, s[10:11]
	;; [unrolled: 1-line block ×4, first 2 shown]
	s_waitcnt lgkmcnt(0)
	v_cndmask_b32_e64 v35, v43, v33, s[16:17]
	v_cndmask_b32_e64 v32, v32, v33, s[6:7]
	v_cndmask_b32_e64 v34, v67, v33, s[22:23]
	v_cndmask_b32_e64 v1, v32, v35, s[50:51]
	v_cndmask_b32_e64 v19, v19, v33, s[26:27]
	v_cndmask_b32_e64 v1, v1, v34, s[68:69]
	v_cndmask_b32_e64 v20, v20, v33, s[28:29]
	v_cndmask_b32_e64 v1, v1, v19, s[70:71]
	v_cndmask_b32_e64 v21, v21, v33, s[30:31]
	v_cndmask_b32_e64 v1, v1, v20, s[66:67]
	v_cndmask_b32_e64 v22, v22, v33, s[34:35]
	v_cndmask_b32_e64 v1, v1, v21, s[64:65]
	v_cndmask_b32_e64 v23, v23, v33, s[36:37]
	v_cndmask_b32_e64 v1, v1, v22, s[62:63]
	v_cndmask_b32_e64 v24, v24, v33, s[42:43]
	v_cndmask_b32_e64 v1, v1, v23, s[60:61]
	v_cndmask_b32_e64 v25, v25, v33, s[48:49]
	v_cndmask_b32_e64 v1, v1, v24, s[58:59]
	v_cndmask_b32_e64 v26, v26, v33, s[52:53]
	v_cndmask_b32_e64 v1, v1, v25, s[56:57]
	v_cndmask_b32_e64 v27, v27, v33, s[44:45]
	v_cndmask_b32_e64 v1, v1, v26, s[54:55]
	v_cndmask_b32_e64 v28, v28, v33, s[38:39]
	v_cndmask_b32_e64 v1, v1, v27, s[46:47]
	v_cndmask_b32_e64 v29, v29, v33, s[24:25]
	v_cndmask_b32_e64 v1, v1, v28, s[40:41]
	v_cndmask_b32_e64 v30, v30, v33, s[18:19]
	v_cndmask_b32_e64 v1, v1, v29, s[12:13]
	v_cndmask_b32_e64 v2, v16, v69, s[68:69]
	v_cndmask_b32_e64 v16, v31, v33, s[14:15]
	v_cndmask_b32_e64 v1, v1, v30, s[10:11]
	v_cndmask_b32_e64 v1, v1, v16, s[8:9]
	ds_bpermute_b32 v33, v90, v1
	v_cndmask_b32_e32 v44, v44, v47, vcc
	v_cndmask_b32_e64 v12, v36, v69, s[40:41]
	v_cndmask_b32_e64 v36, v46, v47, s[20:21]
	;; [unrolled: 1-line block ×3, first 2 shown]
	s_waitcnt lgkmcnt(0)
	v_cndmask_b32_e64 v31, v16, v33, s[8:9]
	v_cndmask_b32_e64 v16, v36, v44, s[16:17]
	;; [unrolled: 1-line block ×16, first 2 shown]
	ds_bpermute_b32 v16, v90, v16
	v_cndmask_b32_e64 v9, v39, v69, s[56:57]
	v_cndmask_b32_e64 v11, v37, v69, s[46:47]
	;; [unrolled: 1-line block ×4, first 2 shown]
	s_waitcnt lgkmcnt(0)
	v_cndmask_b32_e64 v38, v58, v16, s[18:19]
	v_cndmask_b32_e64 v39, v59, v16, s[24:25]
	;; [unrolled: 1-line block ×32, first 2 shown]
	ds_bpermute_b32 v65, v90, v16
	v_readlane_b32 s6, v101, 29
	v_cmp_eq_u32_e32 vcc, 0, v82
	v_readlane_b32 s7, v101, 30
	v_readlane_b32 s24, v101, 10
	;; [unrolled: 1-line block ×4, first 2 shown]
	v_subrev_u32_e32 v91, s4, v91
	s_mov_b32 s1, 0
	v_cndmask_b32_e64 v3, v3, v69, s[70:71]
	v_cndmask_b32_e64 v1, v0, v69, s[50:51]
	v_cndmask_b32_e32 v0, v18, v69, vcc
	v_cndmask_b32_e64 v30, v30, v33, s[10:11]
	v_cndmask_b32_e64 v29, v29, v33, s[12:13]
	;; [unrolled: 1-line block ×14, first 2 shown]
	v_cndmask_b32_e32 v16, v32, v33, vcc
	s_waitcnt lgkmcnt(0)
	v_cndmask_b32_e64 v47, v37, v65, s[8:9]
	v_cndmask_b32_e64 v46, v38, v65, s[10:11]
	;; [unrolled: 1-line block ×15, first 2 shown]
	v_cndmask_b32_e32 v32, v64, v65, vcc
	v_lshl_add_u64 v[54:55], s[6:7], 0, v[48:49]
	s_mov_b64 s[6:7], 0
	s_mov_b32 s16, 0
	v_readlane_b32 s25, v101, 11
	v_readlane_b32 s27, v101, 13
	;; [unrolled: 1-line block ×10, first 2 shown]
	s_mov_b64 s[20:21], 0x80
                                        ; implicit-def: $sgpr8_sgpr9
	s_branch .LBB349_29
.LBB349_27:                             ;   in Loop: Header=BB349_29 Depth=2
	s_or_b64 exec, exec, s[12:13]
	s_andn2_b64 s[8:9], s[8:9], exec
	s_and_b64 s[12:13], s[14:15], exec
	s_or_b64 s[8:9], s[8:9], s[12:13]
.LBB349_28:                             ;   in Loop: Header=BB349_29 Depth=2
	s_or_b64 exec, exec, s[10:11]
	s_and_b64 s[10:11], exec, s[8:9]
	s_or_b64 s[6:7], s[10:11], s[6:7]
	s_andn2_b64 exec, exec, s[6:7]
	s_cbranch_execz .LBB349_32
.LBB349_29:                             ;   Parent Loop BB349_7 Depth=1
                                        ; =>  This Inner Loop Header: Depth=2
	s_and_b32 s12, s1, 24
	v_or_b32_e32 v57, s12, v88
	v_add_u32_e32 v58, s5, v57
	v_cmp_gt_u32_e32 vcc, 32, v58
	s_or_b64 s[8:9], s[8:9], exec
	s_and_saveexec_b64 s[10:11], vcc
	s_cbranch_execz .LBB349_28
; %bb.30:                               ;   in Loop: Header=BB349_29 Depth=2
	s_add_i32 s13, s16, 1
	s_set_gpr_idx_on s16, gpr_idx(SRC0)
	v_mov_b32_e32 v58, v0
	s_set_gpr_idx_off
	v_cvt_f16_f32_e32 v60, v58
	s_set_gpr_idx_on s13, gpr_idx(SRC0)
	v_mov_b32_e32 v58, v0
	s_set_gpr_idx_off
	v_cvt_f16_f32_sdwa v61, v58 dst_sel:WORD_1 dst_unused:UNUSED_PAD src0_sel:DWORD
	v_mul_lo_u32 v58, v57, s93
	v_ashrrev_i32_e32 v59, 31, v58
	v_lshl_add_u64 v[58:59], v[58:59], 1, v[54:55]
	v_or_b32_e32 v57, v61, v60
	;;#ASMSTART
	global_atomic_pk_add_f16 v[58:59], v57, off
	
	;;#ASMEND
	s_set_gpr_idx_on s16, gpr_idx(SRC0)
	v_mov_b32_e32 v57, v16
	s_set_gpr_idx_off
	v_cvt_f16_f32_e32 v57, v57
	s_set_gpr_idx_on s13, gpr_idx(SRC0)
	v_mov_b32_e32 v60, v16
	s_set_gpr_idx_off
	v_cvt_f16_f32_sdwa v62, v60 dst_sel:WORD_1 dst_unused:UNUSED_PAD src0_sel:DWORD
	v_lshl_add_u64 v[60:61], v[58:59], 0, 64
	v_lshl_add_u64 v[58:59], v[58:59], 0, s[20:21]
	s_mov_b64 s[14:15], -1
	v_or_b32_e32 v57, v62, v57
	;;#ASMSTART
	global_atomic_pk_add_f16 v[60:61], v57, off
	
	;;#ASMEND
	s_set_gpr_idx_on s16, gpr_idx(SRC0)
	v_mov_b32_e32 v57, v32
	s_set_gpr_idx_off
	v_cvt_f16_f32_e32 v57, v57
	s_set_gpr_idx_on s13, gpr_idx(SRC0)
	v_mov_b32_e32 v60, v32
	s_set_gpr_idx_off
	v_cvt_f16_f32_sdwa v60, v60 dst_sel:WORD_1 dst_unused:UNUSED_PAD src0_sel:DWORD
	s_nop 0
	v_or_b32_e32 v57, v60, v57
	;;#ASMSTART
	global_atomic_pk_add_f16 v[58:59], v57, off
	
	;;#ASMEND
	v_or_b32_e32 v57, s12, v89
	v_add_u32_e32 v58, s5, v57
	v_cmp_gt_u32_e32 vcc, 32, v58
	s_and_saveexec_b64 s[12:13], vcc
	s_cbranch_execz .LBB349_27
; %bb.31:                               ;   in Loop: Header=BB349_29 Depth=2
	s_add_i32 s14, s16, 2
	s_add_i32 s15, s16, 3
	s_set_gpr_idx_on s14, gpr_idx(SRC0)
	v_mov_b32_e32 v58, v0
	s_set_gpr_idx_off
	v_cvt_f16_f32_e32 v60, v58
	s_set_gpr_idx_on s15, gpr_idx(SRC0)
	v_mov_b32_e32 v58, v0
	s_set_gpr_idx_off
	v_cvt_f16_f32_sdwa v61, v58 dst_sel:WORD_1 dst_unused:UNUSED_PAD src0_sel:DWORD
	v_mul_lo_u32 v58, v57, s93
	v_ashrrev_i32_e32 v59, 31, v58
	v_lshl_add_u64 v[58:59], v[58:59], 1, v[54:55]
	v_or_b32_e32 v57, v61, v60
	;;#ASMSTART
	global_atomic_pk_add_f16 v[58:59], v57, off
	
	;;#ASMEND
	s_set_gpr_idx_on s14, gpr_idx(SRC0)
	v_mov_b32_e32 v57, v16
	s_set_gpr_idx_off
	v_cvt_f16_f32_e32 v57, v57
	s_set_gpr_idx_on s15, gpr_idx(SRC0)
	v_mov_b32_e32 v60, v16
	s_set_gpr_idx_off
	v_cvt_f16_f32_sdwa v62, v60 dst_sel:WORD_1 dst_unused:UNUSED_PAD src0_sel:DWORD
	v_lshl_add_u64 v[60:61], v[58:59], 0, 64
	s_add_i32 s16, s16, 4
	s_add_i32 s1, s1, 8
	v_or_b32_e32 v57, v62, v57
	;;#ASMSTART
	global_atomic_pk_add_f16 v[60:61], v57, off
	
	;;#ASMEND
	s_set_gpr_idx_on s14, gpr_idx(SRC0)
	v_mov_b32_e32 v57, v32
	s_set_gpr_idx_off
	v_cvt_f16_f32_e32 v57, v57
	s_set_gpr_idx_on s15, gpr_idx(SRC0)
	v_mov_b32_e32 v60, v32
	s_set_gpr_idx_off
	v_cvt_f16_f32_sdwa v60, v60 dst_sel:WORD_1 dst_unused:UNUSED_PAD src0_sel:DWORD
	s_cmp_eq_u32 s16, 16
	s_cselect_b64 s[14:15], -1, 0
	s_orn2_b64 s[14:15], s[14:15], exec
	v_lshl_add_u64 v[58:59], v[58:59], 0, s[20:21]
	v_or_b32_e32 v57, v60, v57
	;;#ASMSTART
	global_atomic_pk_add_f16 v[58:59], v57, off
	
	;;#ASMEND
	s_branch .LBB349_27
.LBB349_32:                             ;   in Loop: Header=BB349_7 Depth=1
	s_or_b64 exec, exec, s[6:7]
	v_readlane_b32 s16, v101, 2
	v_readlane_b32 s14, v101, 0
	;; [unrolled: 1-line block ×11, first 2 shown]
.LBB349_33:                             ;   in Loop: Header=BB349_7 Depth=1
	v_readlane_b32 s6, v101, 26
	v_readlane_b32 s7, v101, 27
	s_or_b64 exec, exec, s[6:7]
.LBB349_34:                             ;   in Loop: Header=BB349_7 Depth=1
	s_or_saveexec_b64 s[2:3], s[2:3]
	v_readlane_b32 s13, v101, 25
	s_xor_b64 exec, exec, s[2:3]
	s_cbranch_execz .LBB349_43
; %bb.35:                               ;   in Loop: Header=BB349_7 Depth=1
	s_mul_i32 s12, s4, 3
	v_cmp_gt_i32_e32 vcc, s12, v91
	s_and_saveexec_b64 s[6:7], vcc
	s_cbranch_execz .LBB349_42
; %bb.36:                               ;   in Loop: Header=BB349_7 Depth=1
	s_mul_i32 s0, s0, s95
	s_ashr_i32 s1, s0, 31
	s_add_u32 s0, s18, s0
	s_addc_u32 s1, s19, s1
	s_ashr_i32 s8, s13, 31
	s_add_u32 s0, s0, s13
	s_addc_u32 s1, s1, s8
	v_lshl_add_u64 v[0:1], s[0:1], 0, v[52:53]
	v_lshl_add_u64 v[16:17], v[0:1], 0, v[50:51]
	s_mov_b64 s[0:1], 0
	s_branch .LBB349_38
.LBB349_37:                             ;   in Loop: Header=BB349_38 Depth=2
	s_or_b64 exec, exec, s[8:9]
	v_lshl_add_u32 v20, v18, 12, v85
	;;#ASMSTART
	s_waitcnt vmcnt(3)
	;;#ASMEND
	ds_write2_b32 v20, v12, v13 offset1:32
	ds_write2_b32 v20, v14, v15 offset0:64 offset1:96
	v_add_u32_e32 v12, 0x400, v20
	;;#ASMSTART
	s_waitcnt vmcnt(2)
	;;#ASMEND
	ds_write2_b32 v12, v8, v9 offset1:32
	ds_write2_b32 v12, v10, v11 offset0:64 offset1:96
	v_add_u32_e32 v8, 0x800, v20
	;; [unrolled: 6-line block ×3, first 2 shown]
	v_add_u32_e32 v91, s98, v91
	;;#ASMSTART
	s_waitcnt vmcnt(0)
	;;#ASMEND
	ds_write2_b32 v4, v0, v1 offset1:32
	ds_write2_b32 v4, v2, v3 offset0:64 offset1:96
	v_add_u32_e32 v0, 1, v71
	v_add_u32_e32 v56, s98, v18
	v_cmp_le_i32_e32 vcc, s12, v91
	ds_write_b32 v19, v0 offset:16
	v_add_u32_e32 v0, 2, v71
	s_or_b64 s[0:1], vcc, s[0:1]
	v_cmp_lt_i32_e32 vcc, 2, v56
	s_nop 1
	v_cndmask_b32_e32 v71, v71, v0, vcc
	s_andn2_b64 exec, exec, s[0:1]
	s_cbranch_execz .LBB349_41
.LBB349_38:                             ;   Parent Loop BB349_7 Depth=1
                                        ; =>  This Loop Header: Depth=2
                                        ;       Child Loop BB349_40 Depth 3
	v_cmp_gt_i32_e32 vcc, 3, v56
	s_mov_b32 s8, 0x55555556
	s_nop 0
	v_cndmask_b32_e64 v0, -3, 0, vcc
	v_add_u32_e32 v18, v0, v56
	v_mul_hi_i32 v0, v91, s8
	v_lshrrev_b32_e32 v1, 31, v0
	v_add_u32_e32 v0, v0, v1
	v_lshl_add_u32 v1, v0, 1, v0
	v_sub_u32_e32 v2, v91, v1
	v_lshlrev_b32_e32 v0, 7, v0
	v_ashrrev_i32_e32 v1, 31, v0
	v_mul_lo_u32 v2, s91, v2
	v_lshl_add_u64 v[0:1], v[16:17], 0, v[0:1]
	v_ashrrev_i32_e32 v3, 31, v2
	v_lshl_add_u64 v[0:1], v[0:1], 0, v[2:3]
	v_lshlrev_b32_e32 v19, 2, v18
	;;#ASMSTART
	global_load_dwordx4 v[12:15], v[0:1], off offset:0   sc0 sc1 nt  
	global_load_dwordx4 v[8:11], v[0:1], off offset:32  sc0 sc1 nt  
	global_load_dwordx4 v[4:7], v[0:1], off offset:64  sc0 sc1 nt  
	;; [unrolled: 1-line block ×3, first 2 shown]
	
	;;#ASMEND
	ds_read_b32 v20, v19 offset:28688
	v_add_u32_e32 v19, 0x7000, v19
	s_waitcnt lgkmcnt(0)
	v_cmp_ne_u32_e32 vcc, v20, v71
	s_and_saveexec_b64 s[8:9], vcc
	s_cbranch_execz .LBB349_37
; %bb.39:                               ;   in Loop: Header=BB349_38 Depth=2
	s_mov_b64 s[10:11], 0
.LBB349_40:                             ;   Parent Loop BB349_7 Depth=1
                                        ;     Parent Loop BB349_38 Depth=2
                                        ; =>    This Inner Loop Header: Depth=3
	;;#ASMSTART
	s_sleep 0
	;;#ASMEND
	ds_read_b32 v20, v19 offset:16
	s_waitcnt lgkmcnt(0)
	v_cmp_eq_u32_e32 vcc, v20, v71
	s_or_b64 s[10:11], vcc, s[10:11]
	s_andn2_b64 exec, exec, s[10:11]
	s_cbranch_execnz .LBB349_40
	s_branch .LBB349_37
.LBB349_41:                             ;   in Loop: Header=BB349_7 Depth=1
	s_or_b64 exec, exec, s[0:1]
.LBB349_42:                             ;   in Loop: Header=BB349_7 Depth=1
	s_or_b64 exec, exec, s[6:7]
	v_subrev_u32_e32 v91, s12, v91
.LBB349_43:                             ;   in Loop: Header=BB349_7 Depth=1
	s_or_b64 exec, exec, s[2:3]
.LBB349_44:                             ;   in Loop: Header=BB349_7 Depth=1
	v_readlane_b32 s0, v101, 23
	v_readlane_b32 s1, v101, 24
	s_andn2_saveexec_b64 s[0:1], s[0:1]
	s_cbranch_execz .LBB349_6
; %bb.45:                               ;   in Loop: Header=BB349_7 Depth=1
	s_lshl_b32 s10, s4, 2
	v_cmp_gt_i32_e32 vcc, s10, v91
	s_and_saveexec_b64 s[2:3], vcc
	s_cbranch_execz .LBB349_5
; %bb.46:                               ;   in Loop: Header=BB349_7 Depth=1
	s_mul_i32 s4, s39, s94
	s_ashr_i32 s6, s4, 31
	s_add_u32 s4, s16, s4
	s_addc_u32 s7, s17, s6
	s_ashr_i32 s8, s13, 31
	s_add_u32 s6, s4, s13
	v_add_u32_e32 v2, s5, v72
	s_movk_i32 s4, 0x80
	v_cmp_gt_u32_e32 vcc, s4, v2
	s_addc_u32 s7, s7, s8
	v_sub_u32_e32 v18, 0x7f, v2
	v_cndmask_b32_e32 v0, 0, v86, vcc
	v_ashrrev_i32_e32 v1, 31, v0
	v_lshl_add_u64 v[0:1], s[6:7], 0, v[0:1]
	v_lshl_add_u64 v[16:17], v[0:1], 0, v[50:51]
	s_mov_b64 s[4:5], 0
	s_branch .LBB349_48
.LBB349_47:                             ;   in Loop: Header=BB349_48 Depth=2
	s_or_b64 exec, exec, s[6:7]
	v_lshl_or_b32 v21, v19, 12, v87
	;;#ASMSTART
	s_waitcnt vmcnt(3)
	;;#ASMEND
	ds_write2_b32 v21, v12, v13 offset1:32
	ds_write2_b32 v21, v14, v15 offset0:64 offset1:96
	v_add_u32_e32 v12, 0x400, v21
	;;#ASMSTART
	s_waitcnt vmcnt(2)
	;;#ASMEND
	ds_write2_b32 v12, v8, v9 offset1:32
	ds_write2_b32 v12, v10, v11 offset0:64 offset1:96
	v_add_u32_e32 v8, 0x800, v21
	;; [unrolled: 6-line block ×3, first 2 shown]
	v_add_u32_e32 v91, s97, v91
	;;#ASMSTART
	s_waitcnt vmcnt(0)
	;;#ASMEND
	ds_write2_b32 v4, v0, v1 offset1:32
	ds_write2_b32 v4, v2, v3 offset0:64 offset1:96
	v_add_u32_e32 v0, 1, v71
	v_add_u32_e32 v56, s97, v19
	v_cmp_le_i32_e32 vcc, s10, v91
	ds_write_b32 v20, v0
	v_add_u32_e32 v0, 2, v71
	s_or_b64 s[4:5], vcc, s[4:5]
	v_cmp_lt_i32_e32 vcc, 3, v56
	s_nop 1
	v_cndmask_b32_e32 v71, v71, v0, vcc
	s_andn2_b64 exec, exec, s[4:5]
	s_cbranch_execz .LBB349_4
.LBB349_48:                             ;   Parent Loop BB349_7 Depth=1
                                        ; =>  This Loop Header: Depth=2
                                        ;       Child Loop BB349_50 Depth 3
	v_cmp_gt_i32_e32 vcc, 4, v56
	s_nop 1
	v_cndmask_b32_e64 v0, -4, 0, vcc
	v_add_u32_e32 v19, v0, v56
	v_ashrrev_i32_e32 v0, 31, v91
	v_lshrrev_b32_e32 v0, 30, v0
	v_add_u32_e32 v0, v91, v0
	v_and_b32_e32 v1, 0x7fffffc, v0
	v_sub_u32_e32 v1, v91, v1
	v_lshlrev_b32_e32 v1, 5, v1
	v_cmp_le_i32_e32 vcc, v1, v18
	v_lshlrev_b32_e32 v0, 5, v0
	v_and_b32_e32 v0, 0xffffff80, v0
	v_cndmask_b32_e32 v2, 0, v1, vcc
	v_ashrrev_i32_e32 v1, 31, v0
	v_mul_lo_u32 v2, v2, s94
	v_lshl_add_u64 v[0:1], v[16:17], 0, v[0:1]
	v_ashrrev_i32_e32 v3, 31, v2
	v_lshl_add_u64 v[0:1], v[0:1], 0, v[2:3]
	v_lshlrev_b32_e32 v20, 2, v19
	;;#ASMSTART
	global_load_dwordx4 v[12:15], v[0:1], off offset:0   
	global_load_dwordx4 v[8:11], v[0:1], off offset:32  
	;; [unrolled: 1-line block ×4, first 2 shown]
	
	;;#ASMEND
	ds_read_b32 v21, v20 offset:28672
	v_add_u32_e32 v20, 0x7000, v20
	s_waitcnt lgkmcnt(0)
	v_cmp_ne_u32_e32 vcc, v21, v71
	s_and_saveexec_b64 s[6:7], vcc
	s_cbranch_execz .LBB349_47
; %bb.49:                               ;   in Loop: Header=BB349_48 Depth=2
	s_mov_b64 s[8:9], 0
.LBB349_50:                             ;   Parent Loop BB349_7 Depth=1
                                        ;     Parent Loop BB349_48 Depth=2
                                        ; =>    This Inner Loop Header: Depth=3
	;;#ASMSTART
	s_sleep 0
	;;#ASMEND
	ds_read_b32 v21, v20
	s_waitcnt lgkmcnt(0)
	v_cmp_eq_u32_e32 vcc, v21, v71
	s_or_b64 s[8:9], vcc, s[8:9]
	s_andn2_b64 exec, exec, s[8:9]
	s_cbranch_execnz .LBB349_50
	s_branch .LBB349_47
.LBB349_51:
	s_endpgm
	.section	.rodata,"a",@progbits
	.p2align	6, 0x0
	.amdhsa_kernel _Z19_skinny_gemm_kernelILi4ELi3ELi1ELi32ELi8EEvPKhS1_P6__halfPKfiiiiiiii
		.amdhsa_group_segment_fixed_size 28700
		.amdhsa_private_segment_fixed_size 0
		.amdhsa_kernarg_size 64
		.amdhsa_user_sgpr_count 2
		.amdhsa_user_sgpr_dispatch_ptr 0
		.amdhsa_user_sgpr_queue_ptr 0
		.amdhsa_user_sgpr_kernarg_segment_ptr 1
		.amdhsa_user_sgpr_dispatch_id 0
		.amdhsa_user_sgpr_kernarg_preload_length 0
		.amdhsa_user_sgpr_kernarg_preload_offset 0
		.amdhsa_user_sgpr_private_segment_size 0
		.amdhsa_uses_dynamic_stack 0
		.amdhsa_enable_private_segment 0
		.amdhsa_system_sgpr_workgroup_id_x 1
		.amdhsa_system_sgpr_workgroup_id_y 0
		.amdhsa_system_sgpr_workgroup_id_z 0
		.amdhsa_system_sgpr_workgroup_info 0
		.amdhsa_system_vgpr_workitem_id 0
		.amdhsa_next_free_vgpr 102
		.amdhsa_next_free_sgpr 100
		.amdhsa_accum_offset 104
		.amdhsa_reserve_vcc 1
		.amdhsa_float_round_mode_32 0
		.amdhsa_float_round_mode_16_64 0
		.amdhsa_float_denorm_mode_32 3
		.amdhsa_float_denorm_mode_16_64 3
		.amdhsa_dx10_clamp 1
		.amdhsa_ieee_mode 1
		.amdhsa_fp16_overflow 0
		.amdhsa_tg_split 0
		.amdhsa_exception_fp_ieee_invalid_op 0
		.amdhsa_exception_fp_denorm_src 0
		.amdhsa_exception_fp_ieee_div_zero 0
		.amdhsa_exception_fp_ieee_overflow 0
		.amdhsa_exception_fp_ieee_underflow 0
		.amdhsa_exception_fp_ieee_inexact 0
		.amdhsa_exception_int_div_zero 0
	.end_amdhsa_kernel
	.section	.text._Z19_skinny_gemm_kernelILi4ELi3ELi1ELi32ELi8EEvPKhS1_P6__halfPKfiiiiiiii,"axG",@progbits,_Z19_skinny_gemm_kernelILi4ELi3ELi1ELi32ELi8EEvPKhS1_P6__halfPKfiiiiiiii,comdat
.Lfunc_end349:
	.size	_Z19_skinny_gemm_kernelILi4ELi3ELi1ELi32ELi8EEvPKhS1_P6__halfPKfiiiiiiii, .Lfunc_end349-_Z19_skinny_gemm_kernelILi4ELi3ELi1ELi32ELi8EEvPKhS1_P6__halfPKfiiiiiiii
                                        ; -- End function
	.set _Z19_skinny_gemm_kernelILi4ELi3ELi1ELi32ELi8EEvPKhS1_P6__halfPKfiiiiiiii.num_vgpr, 102
	.set _Z19_skinny_gemm_kernelILi4ELi3ELi1ELi32ELi8EEvPKhS1_P6__halfPKfiiiiiiii.num_agpr, 0
	.set _Z19_skinny_gemm_kernelILi4ELi3ELi1ELi32ELi8EEvPKhS1_P6__halfPKfiiiiiiii.numbered_sgpr, 100
	.set _Z19_skinny_gemm_kernelILi4ELi3ELi1ELi32ELi8EEvPKhS1_P6__halfPKfiiiiiiii.num_named_barrier, 0
	.set _Z19_skinny_gemm_kernelILi4ELi3ELi1ELi32ELi8EEvPKhS1_P6__halfPKfiiiiiiii.private_seg_size, 0
	.set _Z19_skinny_gemm_kernelILi4ELi3ELi1ELi32ELi8EEvPKhS1_P6__halfPKfiiiiiiii.uses_vcc, 1
	.set _Z19_skinny_gemm_kernelILi4ELi3ELi1ELi32ELi8EEvPKhS1_P6__halfPKfiiiiiiii.uses_flat_scratch, 0
	.set _Z19_skinny_gemm_kernelILi4ELi3ELi1ELi32ELi8EEvPKhS1_P6__halfPKfiiiiiiii.has_dyn_sized_stack, 0
	.set _Z19_skinny_gemm_kernelILi4ELi3ELi1ELi32ELi8EEvPKhS1_P6__halfPKfiiiiiiii.has_recursion, 0
	.set _Z19_skinny_gemm_kernelILi4ELi3ELi1ELi32ELi8EEvPKhS1_P6__halfPKfiiiiiiii.has_indirect_call, 0
	.section	.AMDGPU.csdata,"",@progbits
; Kernel info:
; codeLenInByte = 12176
; TotalNumSgprs: 106
; NumVgprs: 102
; NumAgprs: 0
; TotalNumVgprs: 102
; ScratchSize: 0
; MemoryBound: 0
; FloatMode: 240
; IeeeMode: 1
; LDSByteSize: 28700 bytes/workgroup (compile time only)
; SGPRBlocks: 13
; VGPRBlocks: 12
; NumSGPRsForWavesPerEU: 106
; NumVGPRsForWavesPerEU: 102
; AccumOffset: 104
; Occupancy: 4
; WaveLimiterHint : 0
; COMPUTE_PGM_RSRC2:SCRATCH_EN: 0
; COMPUTE_PGM_RSRC2:USER_SGPR: 2
; COMPUTE_PGM_RSRC2:TRAP_HANDLER: 0
; COMPUTE_PGM_RSRC2:TGID_X_EN: 1
; COMPUTE_PGM_RSRC2:TGID_Y_EN: 0
; COMPUTE_PGM_RSRC2:TGID_Z_EN: 0
; COMPUTE_PGM_RSRC2:TIDIG_COMP_CNT: 0
; COMPUTE_PGM_RSRC3_GFX90A:ACCUM_OFFSET: 25
; COMPUTE_PGM_RSRC3_GFX90A:TG_SPLIT: 0
	.section	.text._Z19_skinny_gemm_kernelILi4ELi3ELi2ELi16ELi4EEvPKhS1_P6__halfPKfiiiiiiii,"axG",@progbits,_Z19_skinny_gemm_kernelILi4ELi3ELi2ELi16ELi4EEvPKhS1_P6__halfPKfiiiiiiii,comdat
	.protected	_Z19_skinny_gemm_kernelILi4ELi3ELi2ELi16ELi4EEvPKhS1_P6__halfPKfiiiiiiii ; -- Begin function _Z19_skinny_gemm_kernelILi4ELi3ELi2ELi16ELi4EEvPKhS1_P6__halfPKfiiiiiiii
	.globl	_Z19_skinny_gemm_kernelILi4ELi3ELi2ELi16ELi4EEvPKhS1_P6__halfPKfiiiiiiii
	.p2align	8
	.type	_Z19_skinny_gemm_kernelILi4ELi3ELi2ELi16ELi4EEvPKhS1_P6__halfPKfiiiiiiii,@function
_Z19_skinny_gemm_kernelILi4ELi3ELi2ELi16ELi4EEvPKhS1_P6__halfPKfiiiiiiii: ; @_Z19_skinny_gemm_kernelILi4ELi3ELi2ELi16ELi4EEvPKhS1_P6__halfPKfiiiiiiii
; %bb.0:
	v_cmp_gt_u32_e32 vcc, 14, v0
	v_lshlrev_b32_e32 v1, 2, v0
	s_and_saveexec_b64 s[4:5], vcc
; %bb.1:
	v_mov_b32_e32 v2, 0
	ds_write_b32 v1, v2 offset:28672
; %bb.2:
	s_or_b64 exec, exec, s[4:5]
	s_load_dwordx8 s[20:27], s[0:1], 0x20
	s_waitcnt lgkmcnt(0)
	s_barrier
	s_add_i32 s3, s20, 63
	s_ashr_i32 s5, s3, 31
	s_add_i32 s4, s21, 47
	s_lshr_b32 s5, s5, 26
	s_mul_hi_i32 s4, s4, 0x2aaaaaab
	s_add_i32 s3, s3, s5
	s_ashr_i32 s33, s3, 6
	s_lshr_b32 s3, s4, 31
	s_ashr_i32 s50, s4, 3
	s_add_i32 s50, s50, s3
	s_mul_i32 s3, s50, s33
	s_mul_i32 s3, s3, s24
	s_add_i32 s4, s3, 0x12f
	s_mul_hi_i32 s4, s4, 0x6bca1af3
	s_lshr_b32 s5, s4, 31
	s_ashr_i32 s4, s4, 7
	s_add_i32 s4, s4, s5
	s_add_i32 s5, s2, 1
	s_mul_i32 s5, s4, s5
	v_cvt_f64_i32_e32 v[2:3], s3
	v_cvt_f64_u32_e32 v[4:5], s5
	v_min_f64 v[2:3], v[2:3], v[4:5]
	v_cvt_i32_f64_e32 v49, v[2:3]
	s_mul_i32 s51, s4, s2
	v_cmp_ge_i32_e32 vcc, s51, v49
	s_cbranch_vccnz .LBB350_63
; %bb.3:
	v_lshrrev_b32_e32 v2, 6, v0
	s_add_i32 s4, s26, s25
	s_load_dwordx8 s[36:43], s[0:1], 0x0
	v_cmp_le_i32_e64 s[0:1], s4, v2
	v_mov_b32_e32 v3, s25
	v_cmp_le_i32_e64 s[2:3], s25, v2
	v_mov_b32_e32 v4, s26
	v_cndmask_b32_e64 v4, 0, v4, s[0:1]
	v_cndmask_b32_e64 v3, 0, v3, s[2:3]
	s_abs_i32 s5, s24
	v_add_u32_e32 v3, v3, v4
	v_cvt_f32_u32_e32 v4, s5
	v_sub_u32_e32 v64, v2, v3
	s_ashr_i32 s6, s22, 31
	s_lshr_b32 s6, s6, 25
	v_rcp_iflag_f32_e32 v3, v4
	s_sub_i32 s9, 0, s5
	s_add_i32 s6, s22, s6
	s_ashr_i32 s6, s6, 7
	v_mul_f32_e32 v3, 0x4f7ffffe, v3
	v_cvt_u32_f32_e32 v3, v3
	s_abs_i32 s8, s6
	s_xor_b32 s7, s6, s24
	s_ashr_i32 s7, s7, 31
	v_readfirstlane_b32 s10, v3
	s_mul_i32 s9, s9, s10
	s_mul_hi_u32 s9, s10, s9
	s_add_i32 s10, s10, s9
	s_mul_hi_u32 s9, s8, s10
	s_mul_i32 s10, s9, s5
	s_sub_i32 s8, s8, s10
	s_add_i32 s10, s9, 1
	s_sub_i32 s11, s8, s5
	s_cmp_ge_u32 s8, s5
	s_cselect_b32 s9, s10, s9
	s_cselect_b32 s8, s11, s8
	s_add_i32 s10, s9, 1
	s_cmp_ge_u32 s8, s5
	s_cselect_b32 s5, s10, s9
	s_xor_b32 s5, s5, s7
	s_sub_i32 s52, s5, s7
	s_add_i32 s24, s24, -1
	s_mul_i32 s5, s52, s24
	s_add_i32 s4, s4, s27
	s_sub_i32 s53, s6, s5
	v_cmp_gt_i32_e64 s[4:5], s4, v2
	v_lshlrev_b32_e32 v2, 1, v0
	v_lshlrev_b32_e32 v3, 4, v0
	v_and_b32_e32 v1, 60, v1
	v_and_b32_e32 v2, 64, v2
	;; [unrolled: 1-line block ×3, first 2 shown]
	v_or3_b32 v101, v1, v2, v4
	v_and_b32_e32 v1, 1, v0
	v_lshrrev_b32_e32 v4, 2, v0
	s_abs_i32 s54, s33
	v_and_or_b32 v107, v4, 12, v1
	v_cvt_f32_u32_e32 v4, s54
	v_lshlrev_b32_e32 v2, 1, v1
	v_and_b32_e32 v48, 14, v0
	v_sub_u32_e32 v2, v0, v2
	v_bitop3_b32 v103, v0, 1, v0 bitop3:0xc
	v_bitop3_b32 v104, v0, 3, 1 bitop3:0x6c
	v_and_b32_e32 v58, 48, v3
	v_bfe_u32 v111, v0, 2, 4
	v_and_b32_e32 v1, 60, v0
	v_lshlrev_b32_e32 v3, 8, v0
	v_lshlrev_b32_e32 v0, 6, v0
	v_and_b32_e32 v3, 0x200, v3
	v_and_b32_e32 v0, 64, v0
	v_or3_b32 v112, v1, v3, v0
	v_rcp_iflag_f32_e32 v0, v4
	s_abs_i32 s56, s50
	v_cvt_f32_u32_e32 v1, s56
	v_mad_u64_u32 v[50:51], s[6:7], s21, v107, v[48:49]
	v_mul_f32_e32 v0, 0x4f7ffffe, v0
	v_cvt_u32_f32_e32 v0, v0
	v_rcp_iflag_f32_e32 v1, v1
	s_lshl_b32 s6, s21, 4
	v_add_u32_e32 v52, s6, v50
	v_readfirstlane_b32 s7, v0
	v_mul_f32_e32 v0, 0x4f7ffffe, v1
	v_add_u32_e32 v54, s6, v52
	v_cvt_u32_f32_e32 v0, v0
	v_add_u32_e32 v56, s6, v54
	s_sub_i32 s6, 0, s54
	s_mul_i32 s6, s6, s7
	s_mul_hi_u32 s6, s7, s6
	v_add_u32_e32 v2, 1, v2
	s_add_i32 s58, s7, s6
	s_sub_i32 s6, 0, s56
	v_readfirstlane_b32 s7, v0
	v_mbcnt_lo_u32_b32 v0, -1, 0
	v_and_b32_e32 v2, 63, v2
	s_mul_i32 s6, s6, s7
	v_mbcnt_hi_u32_b32 v0, -1, v0
	v_mul_lo_u32 v60, s23, v111
	s_mul_hi_u32 s6, s7, s6
	v_and_or_b32 v0, v0, 64, v2
	v_cndmask_b32_e64 v100, 0, 1, s[0:1]
	v_or_b32_e32 v102, 0x4000, v101
	s_ashr_i32 s29, s21, 31
	s_mov_b32 s28, s21
	v_or_b32_e32 v105, 16, v48
	v_or_b32_e32 v106, 32, v48
	v_ashrrev_i32_e32 v51, 31, v50
	v_or_b32_e32 v108, 16, v107
	v_ashrrev_i32_e32 v53, 31, v52
	;; [unrolled: 2-line block ×4, first 2 shown]
	v_ashrrev_i32_e32 v61, 31, v60
	v_mov_b32_e32 v59, 0
	v_or_b32_e32 v113, 0x4000, v112
	s_lshl_b32 s55, s23, 4
	v_mul_lo_u32 v114, s22, v111
	s_ashr_i32 s57, s33, 31
	s_ashr_i32 s59, s50, 31
	s_add_i32 s60, s7, s6
	s_movk_i32 s61, 0x1800
	s_mov_b32 s62, 0x55555556
	v_lshlrev_b32_e32 v115, 2, v0
	v_mov_b32_e32 v116, v64
	s_branch .LBB350_7
.LBB350_4:                              ;   in Loop: Header=BB350_7 Depth=1
	s_or_b64 exec, exec, s[10:11]
.LBB350_5:                              ;   in Loop: Header=BB350_7 Depth=1
	s_or_b64 exec, exec, s[8:9]
	v_subrev_u32_e32 v116, s16, v116
.LBB350_6:                              ;   in Loop: Header=BB350_7 Depth=1
	s_or_b64 exec, exec, s[6:7]
	s_add_i32 s51, s51, 1
	v_cmp_ge_i32_e32 vcc, s51, v49
	s_cbranch_vccnz .LBB350_63
.LBB350_7:                              ; =>This Loop Header: Depth=1
                                        ;     Child Loop BB350_13 Depth 2
                                        ;       Child Loop BB350_15 Depth 3
                                        ;       Child Loop BB350_18 Depth 3
	;; [unrolled: 1-line block ×7, first 2 shown]
                                        ;     Child Loop BB350_50 Depth 2
                                        ;       Child Loop BB350_52 Depth 3
                                        ;     Child Loop BB350_60 Depth 2
                                        ;       Child Loop BB350_62 Depth 3
	s_abs_i32 s7, s51
	s_mul_hi_u32 s8, s7, s58
	s_mul_i32 s9, s8, s54
	s_ashr_i32 s6, s51, 31
	s_sub_i32 s7, s7, s9
	s_xor_b32 s6, s6, s57
	s_add_i32 s9, s8, 1
	s_sub_i32 s10, s7, s54
	s_cmp_ge_u32 s7, s54
	s_cselect_b32 s8, s9, s8
	s_cselect_b32 s7, s10, s7
	s_add_i32 s9, s8, 1
	s_cmp_ge_u32 s7, s54
	s_cselect_b32 s7, s9, s8
	s_xor_b32 s7, s7, s6
	s_sub_i32 s6, s7, s6
	s_abs_i32 s8, s6
	s_mul_i32 s7, s6, s33
	s_mul_hi_u32 s9, s8, s60
	s_sub_i32 s7, s51, s7
	s_mul_i32 s10, s9, s56
	s_lshl_b32 s63, s7, 6
	s_ashr_i32 s7, s6, 31
	s_sub_i32 s8, s8, s10
	s_xor_b32 s7, s7, s59
	s_add_i32 s10, s9, 1
	s_sub_i32 s11, s8, s56
	s_cmp_ge_u32 s8, s56
	s_cselect_b32 s9, s10, s9
	s_cselect_b32 s8, s11, s8
	s_add_i32 s10, s9, 1
	s_cmp_ge_u32 s8, s56
	s_cselect_b32 s8, s10, s9
	s_xor_b32 s8, s8, s7
	s_sub_i32 s7, s8, s7
	s_mul_i32 s8, s7, s52
	s_lshl_b32 s64, s8, 7
	s_cmp_eq_u32 s7, s24
	s_cselect_b32 s66, s53, s52
	s_sub_i32 s8, s63, s20
	s_add_i32 s8, s8, 64
	s_max_i32 s65, s8, 0
	s_and_saveexec_b64 s[8:9], s[2:3]
	s_xor_b64 s[30:31], exec, s[8:9]
	s_cbranch_execz .LBB350_56
; %bb.8:                                ;   in Loop: Header=BB350_7 Depth=1
	s_mul_i32 s7, s7, s50
	s_sub_i32 s6, s6, s7
	s_mul_i32 s6, s6, 48
	s_sub_i32 s18, s6, s21
	s_add_i32 s18, s18, 48
	s_max_i32 s7, s18, 0
	s_sub_i32 s34, s6, s7
	s_and_saveexec_b64 s[6:7], s[0:1]
	s_xor_b64 s[44:45], exec, s[6:7]
	s_cbranch_execz .LBB350_46
; %bb.9:                                ;   in Loop: Header=BB350_7 Depth=1
	s_and_saveexec_b64 s[46:47], s[4:5]
	s_cbranch_execz .LBB350_45
; %bb.10:                               ;   in Loop: Header=BB350_7 Depth=1
	s_waitcnt lgkmcnt(0)
	global_load_dword v117, v59, s[42:43]
	v_mov_b32_e32 v47, 0
	v_cmp_gt_i32_e32 vcc, s66, v116
	v_mov_b32_e32 v46, v47
	v_mov_b32_e32 v45, v47
	;; [unrolled: 1-line block ×47, first 2 shown]
	s_and_saveexec_b64 s[6:7], vcc
	s_cbranch_execz .LBB350_35
; %bb.11:                               ;   in Loop: Header=BB350_7 Depth=1
	v_mov_b32_e32 v4, 0
	s_mov_b64 s[8:9], 0
	v_mov_b32_e32 v5, v4
	v_mov_b32_e32 v6, v4
	;; [unrolled: 1-line block ×47, first 2 shown]
	s_branch .LBB350_13
.LBB350_12:                             ;   in Loop: Header=BB350_13 Depth=2
	s_or_b64 exec, exec, s[10:11]
	v_add_u32_e32 v82, 0x1000, v121
	ds_read2_b32 v[80:81], v82 offset1:32
	v_add_u32_e32 v84, 0x1400, v121
	v_add_u32_e32 v116, s27, v116
	s_waitcnt lgkmcnt(0)
	v_mfma_f32_16x16x32_fp8_fp8 v[36:39], v[62:63], v[80:81], v[36:39]
	ds_read2_b32 v[62:63], v82 offset0:128 offset1:160
	ds_read2_b32 v[82:83], v84 offset1:32
	v_mfma_f32_16x16x32_fp8_fp8 v[24:27], v[70:71], v[80:81], v[24:27]
	v_mfma_f32_16x16x32_fp8_fp8 v[12:15], v[86:87], v[80:81], v[12:15]
	;; [unrolled: 1-line block ×3, first 2 shown]
	s_waitcnt lgkmcnt(1)
	v_mfma_f32_16x16x32_fp8_fp8 v[36:39], v[64:65], v[62:63], v[36:39]
	v_add_u32_e32 v64, s27, v118
	v_cmp_lt_i32_e32 vcc, 1, v64
	v_mfma_f32_16x16x32_fp8_fp8 v[24:27], v[72:73], v[62:63], v[24:27]
	v_mfma_f32_16x16x32_fp8_fp8 v[12:15], v[88:89], v[62:63], v[12:15]
	;; [unrolled: 1-line block ×3, first 2 shown]
	v_add_u32_e32 v62, 2, v100
	v_cndmask_b32_e32 v100, v100, v62, vcc
	v_cmp_le_i32_e32 vcc, s66, v116
	s_waitcnt lgkmcnt(0)
	v_mfma_f32_16x16x32_fp8_fp8 v[36:39], v[66:67], v[82:83], v[36:39]
	ds_read2_b32 v[66:67], v84 offset0:128 offset1:160
	s_or_b64 s[8:9], vcc, s[8:9]
	;;#ASMSTART
	s_waitcnt lgkmcnt(0)
	;;#ASMEND
	v_mfma_f32_16x16x32_fp8_fp8 v[24:27], v[74:75], v[82:83], v[24:27]
	ds_write_b32 v119, v120 offset:28712
	v_mfma_f32_16x16x32_fp8_fp8 v[12:15], v[90:91], v[82:83], v[12:15]
	v_mfma_f32_16x16x32_fp8_fp8 v[4:7], v[98:99], v[82:83], v[4:7]
	s_waitcnt lgkmcnt(1)
	v_mfma_f32_16x16x32_fp8_fp8 v[36:39], v[68:69], v[66:67], v[36:39]
	v_mfma_f32_16x16x32_fp8_fp8 v[24:27], v[76:77], v[66:67], v[24:27]
	;; [unrolled: 1-line block ×4, first 2 shown]
	s_andn2_b64 exec, exec, s[8:9]
	s_cbranch_execz .LBB350_34
.LBB350_13:                             ;   Parent Loop BB350_7 Depth=1
                                        ; =>  This Loop Header: Depth=2
                                        ;       Child Loop BB350_15 Depth 3
                                        ;       Child Loop BB350_18 Depth 3
	;; [unrolled: 1-line block ×7, first 2 shown]
	v_cmp_gt_i32_e32 vcc, 2, v64
	s_nop 1
	v_cndmask_b32_e64 v62, -2, 0, vcc
	v_add_u32_e32 v118, v62, v64
	v_mul_lo_u32 v119, v118, 12
	ds_read_b32 v62, v119 offset:28704
	s_waitcnt lgkmcnt(0)
	v_cmp_ne_u32_e32 vcc, v62, v100
	s_and_saveexec_b64 s[10:11], vcc
	s_cbranch_execz .LBB350_16
; %bb.14:                               ;   in Loop: Header=BB350_13 Depth=2
	s_mov_b64 s[12:13], 0
.LBB350_15:                             ;   Parent Loop BB350_7 Depth=1
                                        ;     Parent Loop BB350_13 Depth=2
                                        ; =>    This Inner Loop Header: Depth=3
	;;#ASMSTART
	s_sleep 0
	;;#ASMEND
	ds_read_b32 v62, v119 offset:28704
	s_waitcnt lgkmcnt(0)
	v_cmp_eq_u32_e32 vcc, v62, v100
	s_or_b64 s[12:13], vcc, s[12:13]
	s_andn2_b64 exec, exec, s[12:13]
	s_cbranch_execnz .LBB350_15
.LBB350_16:                             ;   in Loop: Header=BB350_13 Depth=2
	s_or_b64 exec, exec, s[10:11]
	v_mul_lo_u32 v62, v118, s61
	v_add_u32_e32 v121, v102, v62
	v_add_u32_e32 v62, 0x400, v121
	;; [unrolled: 1-line block ×3, first 2 shown]
	ds_read2_b32 v[78:79], v121 offset1:32
	ds_read2_b32 v[80:81], v121 offset0:128 offset1:160
	ds_read2_b32 v[84:85], v62 offset1:32
	ds_read2_b32 v[82:83], v62 offset0:128 offset1:160
	;;#ASMSTART
	s_waitcnt lgkmcnt(0)
	;;#ASMEND
	ds_write_b32 v119, v120 offset:28704
	v_lshlrev_b32_e32 v122, 4, v118
	ds_read_b32 v62, v122 offset:28672
	s_waitcnt lgkmcnt(0)
	v_cmp_ne_u32_e32 vcc, v62, v100
	s_and_saveexec_b64 s[10:11], vcc
	s_cbranch_execz .LBB350_19
; %bb.17:                               ;   in Loop: Header=BB350_13 Depth=2
	s_mov_b64 s[12:13], 0
.LBB350_18:                             ;   Parent Loop BB350_7 Depth=1
                                        ;     Parent Loop BB350_13 Depth=2
                                        ; =>    This Inner Loop Header: Depth=3
	;;#ASMSTART
	s_sleep 0
	;;#ASMEND
	ds_read_b32 v62, v122 offset:28672
	s_waitcnt lgkmcnt(0)
	v_cmp_eq_u32_e32 vcc, v62, v100
	s_or_b64 s[12:13], vcc, s[12:13]
	s_andn2_b64 exec, exec, s[12:13]
	s_cbranch_execnz .LBB350_18
.LBB350_19:                             ;   in Loop: Header=BB350_13 Depth=2
	s_or_b64 exec, exec, s[10:11]
	v_lshlrev_b32_e32 v70, 13, v118
	v_or_b32_e32 v66, v101, v70
	ds_read2_b32 v[62:63], v66 offset1:32
	ds_read2_b32 v[64:65], v66 offset0:128 offset1:160
	v_add_u32_e32 v68, 0x400, v66
	ds_read2_b32 v[66:67], v68 offset1:32
	ds_read2_b32 v[68:69], v68 offset0:128 offset1:160
	ds_read_b32 v71, v122 offset:28676
	ds_write_b32 v122, v120 offset:28672
	s_waitcnt lgkmcnt(5)
	v_mfma_f32_16x16x32_fp8_fp8 v[44:47], v[62:63], v[78:79], v[44:47]
	s_waitcnt lgkmcnt(1)
	v_cmp_ne_u32_e32 vcc, v71, v100
	v_mfma_f32_16x16x32_fp8_fp8 v[44:47], v[64:65], v[80:81], v[44:47]
	v_mfma_f32_16x16x32_fp8_fp8 v[44:47], v[66:67], v[84:85], v[44:47]
	v_mfma_f32_16x16x32_fp8_fp8 v[44:47], v[68:69], v[82:83], v[44:47]
	s_and_saveexec_b64 s[10:11], vcc
	s_cbranch_execz .LBB350_22
; %bb.20:                               ;   in Loop: Header=BB350_13 Depth=2
	s_mov_b64 s[12:13], 0
.LBB350_21:                             ;   Parent Loop BB350_7 Depth=1
                                        ;     Parent Loop BB350_13 Depth=2
                                        ; =>    This Inner Loop Header: Depth=3
	;;#ASMSTART
	s_sleep 0
	;;#ASMEND
	ds_read_b32 v71, v122 offset:28676
	s_waitcnt lgkmcnt(0)
	v_cmp_eq_u32_e32 vcc, v71, v100
	s_or_b64 s[12:13], vcc, s[12:13]
	s_andn2_b64 exec, exec, s[12:13]
	s_cbranch_execnz .LBB350_21
.LBB350_22:                             ;   in Loop: Header=BB350_13 Depth=2
	s_or_b64 exec, exec, s[10:11]
	v_add_u32_e32 v98, v101, v70
	v_add_u32_e32 v72, 0x800, v98
	ds_read2_b32 v[70:71], v72 offset1:32
	ds_read2_b32 v[72:73], v72 offset0:128 offset1:160
	v_add_u32_e32 v76, 0xc00, v98
	ds_read2_b32 v[74:75], v76 offset1:32
	ds_read2_b32 v[76:77], v76 offset0:128 offset1:160
	ds_read_b32 v86, v122 offset:28680
	ds_write_b32 v122, v120 offset:28676
	s_waitcnt lgkmcnt(5)
	v_mfma_f32_16x16x32_fp8_fp8 v[32:35], v[70:71], v[78:79], v[32:35]
	s_waitcnt lgkmcnt(1)
	v_cmp_ne_u32_e32 vcc, v86, v100
	v_mfma_f32_16x16x32_fp8_fp8 v[32:35], v[72:73], v[80:81], v[32:35]
	v_mfma_f32_16x16x32_fp8_fp8 v[32:35], v[74:75], v[84:85], v[32:35]
	;; [unrolled: 1-line block ×3, first 2 shown]
	s_and_saveexec_b64 s[10:11], vcc
	s_cbranch_execz .LBB350_25
; %bb.23:                               ;   in Loop: Header=BB350_13 Depth=2
	s_mov_b64 s[12:13], 0
.LBB350_24:                             ;   Parent Loop BB350_7 Depth=1
                                        ;     Parent Loop BB350_13 Depth=2
                                        ; =>    This Inner Loop Header: Depth=3
	;;#ASMSTART
	s_sleep 0
	;;#ASMEND
	ds_read_b32 v86, v122 offset:28680
	s_waitcnt lgkmcnt(0)
	v_cmp_eq_u32_e32 vcc, v86, v100
	s_or_b64 s[12:13], vcc, s[12:13]
	s_andn2_b64 exec, exec, s[12:13]
	s_cbranch_execnz .LBB350_24
.LBB350_25:                             ;   in Loop: Header=BB350_13 Depth=2
	s_or_b64 exec, exec, s[10:11]
	v_add_u32_e32 v88, 0x1000, v98
	ds_read2_b32 v[86:87], v88 offset1:32
	ds_read2_b32 v[88:89], v88 offset0:128 offset1:160
	v_add_u32_e32 v92, 0x1400, v98
	ds_read2_b32 v[90:91], v92 offset1:32
	ds_read2_b32 v[92:93], v92 offset0:128 offset1:160
	ds_read_b32 v94, v122 offset:28684
	ds_write_b32 v122, v120 offset:28680
	s_waitcnt lgkmcnt(5)
	v_mfma_f32_16x16x32_fp8_fp8 v[20:23], v[86:87], v[78:79], v[20:23]
	s_waitcnt lgkmcnt(1)
	v_cmp_ne_u32_e32 vcc, v94, v100
	v_mfma_f32_16x16x32_fp8_fp8 v[20:23], v[88:89], v[80:81], v[20:23]
	v_mfma_f32_16x16x32_fp8_fp8 v[20:23], v[90:91], v[84:85], v[20:23]
	;; [unrolled: 1-line block ×3, first 2 shown]
	s_and_saveexec_b64 s[10:11], vcc
	s_cbranch_execz .LBB350_28
; %bb.26:                               ;   in Loop: Header=BB350_13 Depth=2
	s_mov_b64 s[12:13], 0
.LBB350_27:                             ;   Parent Loop BB350_7 Depth=1
                                        ;     Parent Loop BB350_13 Depth=2
                                        ; =>    This Inner Loop Header: Depth=3
	;;#ASMSTART
	s_sleep 0
	;;#ASMEND
	ds_read_b32 v94, v122 offset:28684
	s_waitcnt lgkmcnt(0)
	v_cmp_eq_u32_e32 vcc, v94, v100
	s_or_b64 s[12:13], vcc, s[12:13]
	s_andn2_b64 exec, exec, s[12:13]
	s_cbranch_execnz .LBB350_27
.LBB350_28:                             ;   in Loop: Header=BB350_13 Depth=2
	s_or_b64 exec, exec, s[10:11]
	v_add_u32_e32 v96, 0x1800, v98
	ds_read2_b32 v[94:95], v96 offset1:32
	ds_read2_b32 v[96:97], v96 offset0:128 offset1:160
	v_add_u32_e32 v123, 0x1c00, v98
	ds_read2_b32 v[98:99], v123 offset1:32
	ds_write_b32 v122, v120 offset:28684
	s_waitcnt lgkmcnt(3)
	v_mfma_f32_16x16x32_fp8_fp8 v[8:11], v[94:95], v[78:79], v[8:11]
	ds_read2_b32 v[78:79], v123 offset0:128 offset1:160
	s_waitcnt lgkmcnt(3)
	v_mfma_f32_16x16x32_fp8_fp8 v[8:11], v[96:97], v[80:81], v[8:11]
	ds_read_b32 v80, v119 offset:28708
	s_waitcnt lgkmcnt(0)
	v_cmp_ne_u32_e32 vcc, v80, v100
	v_mfma_f32_16x16x32_fp8_fp8 v[8:11], v[98:99], v[84:85], v[8:11]
	v_mfma_f32_16x16x32_fp8_fp8 v[8:11], v[78:79], v[82:83], v[8:11]
	s_and_saveexec_b64 s[10:11], vcc
	s_cbranch_execz .LBB350_31
; %bb.29:                               ;   in Loop: Header=BB350_13 Depth=2
	s_mov_b64 s[12:13], 0
.LBB350_30:                             ;   Parent Loop BB350_7 Depth=1
                                        ;     Parent Loop BB350_13 Depth=2
                                        ; =>    This Inner Loop Header: Depth=3
	;;#ASMSTART
	s_sleep 0
	;;#ASMEND
	ds_read_b32 v80, v119 offset:28708
	s_waitcnt lgkmcnt(0)
	v_cmp_eq_u32_e32 vcc, v80, v100
	s_or_b64 s[12:13], vcc, s[12:13]
	s_andn2_b64 exec, exec, s[12:13]
	s_cbranch_execnz .LBB350_30
.LBB350_31:                             ;   in Loop: Header=BB350_13 Depth=2
	s_or_b64 exec, exec, s[10:11]
	v_add_u32_e32 v82, 0x800, v121
	ds_read2_b32 v[80:81], v82 offset1:32
	ds_read2_b32 v[82:83], v82 offset0:128 offset1:160
	v_add_u32_e32 v122, 0xc00, v121
	ds_read2_b32 v[84:85], v122 offset1:32
	ds_read2_b32 v[122:123], v122 offset0:128 offset1:160
	s_waitcnt lgkmcnt(3)
	v_mfma_f32_16x16x32_fp8_fp8 v[40:43], v[62:63], v[80:81], v[40:43]
	;;#ASMSTART
	s_waitcnt lgkmcnt(0)
	;;#ASMEND
	ds_write_b32 v119, v120 offset:28708
	v_mfma_f32_16x16x32_fp8_fp8 v[28:31], v[70:71], v[80:81], v[28:31]
	v_mfma_f32_16x16x32_fp8_fp8 v[16:19], v[86:87], v[80:81], v[16:19]
	;; [unrolled: 1-line block ×3, first 2 shown]
	ds_read_b32 v80, v119 offset:28712
	s_waitcnt lgkmcnt(0)
	v_cmp_ne_u32_e32 vcc, v80, v100
	v_mfma_f32_16x16x32_fp8_fp8 v[40:43], v[64:65], v[82:83], v[40:43]
	v_mfma_f32_16x16x32_fp8_fp8 v[28:31], v[72:73], v[82:83], v[28:31]
	;; [unrolled: 1-line block ×12, first 2 shown]
	s_and_saveexec_b64 s[10:11], vcc
	s_cbranch_execz .LBB350_12
; %bb.32:                               ;   in Loop: Header=BB350_13 Depth=2
	s_mov_b64 s[12:13], 0
.LBB350_33:                             ;   Parent Loop BB350_7 Depth=1
                                        ;     Parent Loop BB350_13 Depth=2
                                        ; =>    This Inner Loop Header: Depth=3
	;;#ASMSTART
	s_sleep 0
	;;#ASMEND
	ds_read_b32 v80, v119 offset:28712
	s_waitcnt lgkmcnt(0)
	v_cmp_eq_u32_e32 vcc, v80, v100
	s_or_b64 s[12:13], vcc, s[12:13]
	s_andn2_b64 exec, exec, s[12:13]
	s_cbranch_execnz .LBB350_33
	s_branch .LBB350_12
.LBB350_34:                             ;   in Loop: Header=BB350_7 Depth=1
	s_or_b64 exec, exec, s[8:9]
.LBB350_35:                             ;   in Loop: Header=BB350_7 Depth=1
	s_or_b64 exec, exec, s[6:7]
	v_cmp_le_i32_e32 vcc, s18, v48
	v_cmp_eq_u32_e64 s[6:7], 2, v103
	v_cmp_eq_u32_e64 s[8:9], 3, v103
	s_waitcnt vmcnt(0)
	v_cndmask_b32_e32 v62, 0, v117, vcc
	v_pk_mul_f32 v[44:45], v[62:63], v[44:45] op_sel_hi:[0,1]
	v_cmp_eq_u32_e32 vcc, 1, v103
	v_pk_mul_f32 v[66:67], v[62:63], v[46:47] op_sel_hi:[0,1]
	v_cmp_eq_u32_e64 s[10:11], 0, v103
	v_cndmask_b32_e32 v46, v44, v45, vcc
	v_cndmask_b32_e64 v46, v46, v66, s[6:7]
	v_cndmask_b32_e64 v46, v46, v67, s[8:9]
	ds_bpermute_b32 v63, v115, v46
	v_cmp_le_i32_e64 s[14:15], s18, v105
	v_cmp_eq_u32_e64 s[12:13], 1, v104
	v_cmp_le_i32_e64 s[18:19], s18, v106
	v_cmp_eq_u32_e64 s[16:17], 3, v104
	s_waitcnt lgkmcnt(0)
	v_cndmask_b32_e64 v46, v67, v63, s[8:9]
	v_cndmask_b32_e64 v47, v66, v63, s[6:7]
	v_cndmask_b32_e32 v45, v45, v63, vcc
	v_cndmask_b32_e64 v63, v44, v63, s[10:11]
	v_cndmask_b32_e64 v44, 0, v117, s[14:15]
	v_pk_mul_f32 v[40:41], v[44:45], v[40:41] op_sel_hi:[0,1]
	v_pk_mul_f32 v[66:67], v[44:45], v[42:43] op_sel_hi:[0,1]
	v_cndmask_b32_e32 v42, v40, v41, vcc
	v_cndmask_b32_e64 v42, v42, v66, s[6:7]
	v_cndmask_b32_e64 v42, v42, v67, s[8:9]
	ds_bpermute_b32 v69, v115, v42
	v_cndmask_b32_e64 v65, v63, v45, s[12:13]
	v_cmp_eq_u32_e64 s[14:15], 2, v104
	s_waitcnt lgkmcnt(0)
	v_cndmask_b32_e64 v43, v67, v69, s[8:9]
	v_cndmask_b32_e64 v42, v65, v47, s[14:15]
	;; [unrolled: 1-line block ×3, first 2 shown]
	v_cndmask_b32_e32 v68, v41, v69, vcc
	v_cndmask_b32_e64 v69, v40, v69, s[10:11]
	v_cndmask_b32_e64 v40, 0, v117, s[18:19]
	v_pk_mul_f32 v[70:71], v[40:41], v[36:37] op_sel_hi:[0,1]
	v_pk_mul_f32 v[66:67], v[40:41], v[38:39] op_sel_hi:[0,1]
	v_cndmask_b32_e32 v36, v70, v71, vcc
	v_cndmask_b32_e64 v36, v36, v66, s[6:7]
	v_cndmask_b32_e64 v36, v36, v67, s[8:9]
	ds_bpermute_b32 v37, v115, v36
	v_cndmask_b32_e64 v36, v69, v68, s[12:13]
	v_cndmask_b32_e64 v36, v36, v65, s[14:15]
	;; [unrolled: 1-line block ×3, first 2 shown]
	v_cmp_ne_u32_e32 vcc, 0, v103
	ds_bpermute_b32 v38, v115, v36
	s_waitcnt lgkmcnt(1)
	v_cndmask_b32_e64 v39, v67, v37, s[8:9]
	v_cndmask_b32_e64 v66, v66, v37, s[6:7]
	v_cndmask_b32_e32 v36, v71, v37, vcc
	v_cndmask_b32_e64 v37, v70, v37, s[10:11]
	v_cndmask_b32_e64 v41, v37, v36, s[12:13]
	;; [unrolled: 1-line block ×5, first 2 shown]
	ds_bpermute_b32 v42, v115, v42
	ds_bpermute_b32 v67, v115, v41
	v_add_u32_e32 v41, s65, v107
	v_cmp_gt_u32_e32 vcc, 64, v41
	s_and_saveexec_b64 s[18:19], vcc
	s_cbranch_execz .LBB350_44
; %bb.36:                               ;   in Loop: Header=BB350_7 Depth=1
	v_cmp_eq_u32_e64 s[8:9], 1, v104
	v_cmp_eq_u32_e64 s[10:11], 0, v104
	v_cmp_eq_u32_e32 vcc, 3, v104
	s_waitcnt lgkmcnt(1)
	v_cndmask_b32_e64 v45, v45, v42, s[8:9]
	v_cndmask_b32_e64 v68, v68, v38, s[8:9]
	s_waitcnt lgkmcnt(0)
	v_cndmask_b32_e64 v70, v36, v67, s[8:9]
	s_mul_i32 s8, s63, s21
	s_ashr_i32 s9, s8, 31
	v_cndmask_b32_e64 v63, v63, v42, s[10:11]
	s_lshl_b64 s[8:9], s[8:9], 1
	v_cndmask_b32_e64 v69, v69, v38, s[10:11]
	v_cndmask_b32_e64 v71, v37, v67, s[10:11]
	s_add_u32 s10, s40, s8
	v_cvt_f16_f32_e32 v63, v63
	v_cvt_f16_f32_sdwa v45, v45 dst_sel:WORD_1 dst_unused:UNUSED_PAD src0_sel:DWORD
	s_addc_u32 s11, s41, s9
	s_ashr_i32 s35, s34, 31
	s_lshl_b64 s[8:9], s[34:35], 1
	s_add_u32 s48, s10, s8
	s_addc_u32 s49, s11, s9
	v_or_b32_e32 v45, v45, v63
	v_lshl_add_u64 v[36:37], v[50:51], 1, s[48:49]
	;;#ASMSTART
	global_atomic_pk_add_f16 v[36:37], v45, off
	
	;;#ASMEND
	v_cvt_f16_f32_e32 v45, v69
	v_cvt_f16_f32_sdwa v63, v68 dst_sel:WORD_1 dst_unused:UNUSED_PAD src0_sel:DWORD
	v_cvt_f16_f32_e32 v71, v71
	v_cvt_f16_f32_sdwa v70, v70 dst_sel:WORD_1 dst_unused:UNUSED_PAD src0_sel:DWORD
	v_cmp_eq_u32_e64 s[6:7], 2, v104
	v_lshl_add_u64 v[68:69], v[36:37], 0, 32
	v_or_b32_e32 v45, v63, v45
	v_cmp_gt_u32_e64 s[8:9], 62, v41
	;;#ASMSTART
	global_atomic_pk_add_f16 v[68:69], v45, off
	
	;;#ASMEND
	v_lshl_add_u64 v[68:69], v[36:37], 0, 64
	v_or_b32_e32 v45, v70, v71
	;;#ASMSTART
	global_atomic_pk_add_f16 v[68:69], v45, off
	
	;;#ASMEND
	s_and_b64 exec, exec, s[8:9]
	s_cbranch_execz .LBB350_44
; %bb.37:                               ;   in Loop: Header=BB350_7 Depth=1
	v_cndmask_b32_e32 v46, v46, v42, vcc
	v_cndmask_b32_e64 v42, v47, v42, s[6:7]
	v_cndmask_b32_e32 v43, v43, v38, vcc
	v_cndmask_b32_e64 v38, v65, v38, s[6:7]
	v_cndmask_b32_e32 v47, v39, v67, vcc
	v_cvt_f16_f32_e32 v39, v42
	v_cvt_f16_f32_sdwa v42, v46 dst_sel:WORD_1 dst_unused:UNUSED_PAD src0_sel:DWORD
	v_cvt_f16_f32_e32 v46, v38
	v_cvt_f16_f32_sdwa v43, v43 dst_sel:WORD_1 dst_unused:UNUSED_PAD src0_sel:DWORD
	v_mov_b32_e32 v63, v62
	v_or_b32_e32 v38, v42, v39
	v_mov_b32_e32 v42, v62
	v_or_b32_e32 v46, v43, v46
	v_mov_b32_e32 v43, v62
	v_pk_mul_f32 v[34:35], v[42:43], v[34:35]
	v_pk_mul_f32 v[42:43], v[62:63], v[32:33]
	v_cmp_eq_u32_e32 vcc, 1, v103
	v_cndmask_b32_e64 v65, v66, v67, s[6:7]
	v_cmp_eq_u32_e64 s[6:7], 2, v103
	v_cndmask_b32_e32 v32, v42, v43, vcc
	v_lshl_add_u64 v[36:37], s[28:29], 2, v[36:37]
	v_cndmask_b32_e64 v32, v32, v34, s[6:7]
	v_cmp_eq_u32_e64 s[8:9], 3, v103
	;;#ASMSTART
	global_atomic_pk_add_f16 v[36:37], v38, off
	
	;;#ASMEND
	v_lshl_add_u64 v[38:39], v[36:37], 0, 32
	v_mov_b32_e32 v45, v44
	v_cndmask_b32_e64 v32, v32, v35, s[8:9]
	ds_bpermute_b32 v66, v115, v32
	;;#ASMSTART
	global_atomic_pk_add_f16 v[38:39], v46, off
	
	;;#ASMEND
	v_cvt_f16_f32_e32 v39, v65
	v_cvt_f16_f32_sdwa v65, v47 dst_sel:WORD_1 dst_unused:UNUSED_PAD src0_sel:DWORD
	v_lshl_add_u64 v[46:47], v[36:37], 0, 64
	v_mov_b32_e32 v36, v44
	v_mov_b32_e32 v37, v44
	v_pk_mul_f32 v[30:31], v[36:37], v[30:31]
	v_pk_mul_f32 v[36:37], v[44:45], v[28:29]
	v_cmp_eq_u32_e64 s[10:11], 0, v103
	v_cndmask_b32_e32 v28, v36, v37, vcc
	v_cndmask_b32_e64 v28, v28, v30, s[6:7]
	v_cndmask_b32_e64 v28, v28, v31, s[8:9]
	s_waitcnt lgkmcnt(0)
	v_cndmask_b32_e64 v32, v35, v66, s[8:9]
	v_cndmask_b32_e64 v35, v42, v66, s[10:11]
	ds_bpermute_b32 v42, v115, v28
	v_cndmask_b32_e64 v33, v34, v66, s[6:7]
	v_cndmask_b32_e32 v34, v43, v66, vcc
	v_cmp_eq_u32_e64 s[12:13], 1, v104
	v_mov_b32_e32 v41, v40
	v_cmp_eq_u32_e64 s[14:15], 2, v104
	v_cndmask_b32_e64 v38, v35, v34, s[12:13]
	s_waitcnt lgkmcnt(0)
	v_cndmask_b32_e64 v29, v31, v42, s[8:9]
	v_cndmask_b32_e64 v28, v38, v33, s[14:15]
	;; [unrolled: 1-line block ×3, first 2 shown]
	v_cndmask_b32_e32 v37, v37, v42, vcc
	v_cndmask_b32_e64 v38, v36, v42, s[10:11]
	v_mov_b32_e32 v42, v40
	v_mov_b32_e32 v43, v40
	v_pk_mul_f32 v[66:67], v[40:41], v[24:25]
	v_pk_mul_f32 v[42:43], v[42:43], v[26:27]
	v_cndmask_b32_e32 v24, v66, v67, vcc
	v_cndmask_b32_e64 v24, v24, v42, s[6:7]
	v_cndmask_b32_e64 v24, v24, v43, s[8:9]
	ds_bpermute_b32 v25, v115, v24
	v_cndmask_b32_e64 v24, v38, v37, s[12:13]
	v_cmp_eq_u32_e64 s[16:17], 3, v104
	v_cndmask_b32_e64 v24, v24, v30, s[14:15]
	v_cmp_ne_u32_e32 vcc, 0, v103
	v_cndmask_b32_e64 v24, v24, v29, s[16:17]
	ds_bpermute_b32 v26, v115, v24
	s_waitcnt lgkmcnt(1)
	v_cndmask_b32_e64 v27, v43, v25, s[8:9]
	v_cndmask_b32_e64 v31, v42, v25, s[6:7]
	v_cndmask_b32_e32 v24, v67, v25, vcc
	v_cndmask_b32_e64 v25, v66, v25, s[10:11]
	v_cndmask_b32_e64 v36, v25, v24, s[12:13]
	;; [unrolled: 1-line block ×5, first 2 shown]
	ds_bpermute_b32 v28, v115, v28
	ds_bpermute_b32 v36, v115, v36
	v_or_b32_e32 v39, v65, v39
	;;#ASMSTART
	global_atomic_pk_add_f16 v[46:47], v39, off
	
	;;#ASMEND
	v_add_u32_e32 v39, s65, v108
	v_cmp_gt_u32_e32 vcc, 64, v39
	s_and_b64 exec, exec, vcc
	s_cbranch_execz .LBB350_44
; %bb.38:                               ;   in Loop: Header=BB350_7 Depth=1
	v_cmp_eq_u32_e64 s[8:9], 1, v104
	v_cmp_eq_u32_e64 s[10:11], 0, v104
	v_cmp_eq_u32_e32 vcc, 3, v104
	s_waitcnt lgkmcnt(1)
	v_cndmask_b32_e64 v34, v34, v28, s[8:9]
	v_cndmask_b32_e64 v35, v35, v28, s[10:11]
	;; [unrolled: 1-line block ×4, first 2 shown]
	v_cvt_f16_f32_e32 v35, v35
	v_cvt_f16_f32_sdwa v34, v34 dst_sel:WORD_1 dst_unused:UNUSED_PAD src0_sel:DWORD
	s_waitcnt lgkmcnt(0)
	v_cndmask_b32_e64 v42, v24, v36, s[8:9]
	v_cndmask_b32_e64 v43, v25, v36, s[10:11]
	v_cvt_f16_f32_e32 v38, v38
	v_cvt_f16_f32_sdwa v37, v37 dst_sel:WORD_1 dst_unused:UNUSED_PAD src0_sel:DWORD
	v_cvt_f16_f32_e32 v43, v43
	v_cvt_f16_f32_sdwa v42, v42 dst_sel:WORD_1 dst_unused:UNUSED_PAD src0_sel:DWORD
	v_lshl_add_u64 v[24:25], v[52:53], 1, s[48:49]
	v_or_b32_e32 v34, v34, v35
	v_cmp_eq_u32_e64 s[6:7], 2, v104
	;;#ASMSTART
	global_atomic_pk_add_f16 v[24:25], v34, off
	
	;;#ASMEND
	v_lshl_add_u64 v[34:35], v[24:25], 0, 32
	v_or_b32_e32 v37, v37, v38
	v_cmp_gt_u32_e64 s[8:9], 62, v39
	;;#ASMSTART
	global_atomic_pk_add_f16 v[34:35], v37, off
	
	;;#ASMEND
	v_lshl_add_u64 v[34:35], v[24:25], 0, 64
	v_or_b32_e32 v37, v42, v43
	;;#ASMSTART
	global_atomic_pk_add_f16 v[34:35], v37, off
	
	;;#ASMEND
	s_and_b64 exec, exec, s[8:9]
	s_cbranch_execz .LBB350_44
; %bb.39:                               ;   in Loop: Header=BB350_7 Depth=1
	v_cndmask_b32_e32 v32, v32, v28, vcc
	v_cndmask_b32_e64 v28, v33, v28, s[6:7]
	v_cndmask_b32_e32 v29, v29, v26, vcc
	v_cndmask_b32_e64 v26, v30, v26, s[6:7]
	v_cndmask_b32_e32 v30, v27, v36, vcc
	v_cvt_f16_f32_e32 v27, v28
	v_cvt_f16_f32_sdwa v28, v32 dst_sel:WORD_1 dst_unused:UNUSED_PAD src0_sel:DWORD
	v_cvt_f16_f32_e32 v32, v26
	v_cvt_f16_f32_sdwa v29, v29 dst_sel:WORD_1 dst_unused:UNUSED_PAD src0_sel:DWORD
	v_cmp_eq_u32_e32 vcc, 1, v103
	v_or_b32_e32 v26, v28, v27
	v_mov_b32_e32 v28, v62
	v_or_b32_e32 v32, v29, v32
	v_mov_b32_e32 v29, v62
	v_pk_mul_f32 v[22:23], v[28:29], v[22:23]
	v_pk_mul_f32 v[28:29], v[62:63], v[20:21]
	v_cndmask_b32_e64 v31, v31, v36, s[6:7]
	v_cndmask_b32_e32 v20, v28, v29, vcc
	v_cmp_eq_u32_e64 s[6:7], 2, v103
	v_lshl_add_u64 v[24:25], s[28:29], 2, v[24:25]
	v_cmp_eq_u32_e64 s[8:9], 3, v103
	v_cndmask_b32_e64 v20, v20, v22, s[6:7]
	;;#ASMSTART
	global_atomic_pk_add_f16 v[24:25], v26, off
	
	;;#ASMEND
	v_lshl_add_u64 v[26:27], v[24:25], 0, 32
	v_cndmask_b32_e64 v20, v20, v23, s[8:9]
	ds_bpermute_b32 v33, v115, v20
	;;#ASMSTART
	global_atomic_pk_add_f16 v[26:27], v32, off
	
	;;#ASMEND
	v_cvt_f16_f32_e32 v27, v31
	v_cvt_f16_f32_sdwa v34, v30 dst_sel:WORD_1 dst_unused:UNUSED_PAD src0_sel:DWORD
	v_lshl_add_u64 v[30:31], v[24:25], 0, 64
	v_mov_b32_e32 v24, v44
	v_mov_b32_e32 v25, v44
	v_pk_mul_f32 v[18:19], v[24:25], v[18:19]
	v_pk_mul_f32 v[24:25], v[44:45], v[16:17]
	v_cmp_eq_u32_e64 s[10:11], 0, v103
	v_cndmask_b32_e32 v16, v24, v25, vcc
	v_cndmask_b32_e64 v16, v16, v18, s[6:7]
	v_cndmask_b32_e64 v16, v16, v19, s[8:9]
	s_waitcnt lgkmcnt(0)
	v_cndmask_b32_e64 v20, v23, v33, s[8:9]
	v_cndmask_b32_e64 v23, v28, v33, s[10:11]
	ds_bpermute_b32 v28, v115, v16
	v_cndmask_b32_e64 v21, v22, v33, s[6:7]
	v_cndmask_b32_e32 v22, v29, v33, vcc
	v_cmp_eq_u32_e64 s[12:13], 1, v104
	v_cmp_eq_u32_e64 s[14:15], 2, v104
	s_waitcnt lgkmcnt(0)
	v_cndmask_b32_e64 v17, v19, v28, s[8:9]
	v_cndmask_b32_e64 v26, v23, v22, s[12:13]
	;; [unrolled: 1-line block ×4, first 2 shown]
	v_cndmask_b32_e32 v25, v25, v28, vcc
	v_cndmask_b32_e64 v26, v24, v28, s[10:11]
	v_mov_b32_e32 v28, v40
	v_mov_b32_e32 v29, v40
	v_pk_mul_f32 v[32:33], v[40:41], v[12:13]
	v_pk_mul_f32 v[28:29], v[28:29], v[14:15]
	v_cndmask_b32_e32 v12, v32, v33, vcc
	v_cndmask_b32_e64 v12, v12, v28, s[6:7]
	v_cndmask_b32_e64 v12, v12, v29, s[8:9]
	ds_bpermute_b32 v13, v115, v12
	v_cndmask_b32_e64 v12, v26, v25, s[12:13]
	v_cmp_eq_u32_e64 s[16:17], 3, v104
	v_cndmask_b32_e64 v12, v12, v18, s[14:15]
	v_cmp_ne_u32_e32 vcc, 0, v103
	v_cndmask_b32_e64 v12, v12, v17, s[16:17]
	ds_bpermute_b32 v14, v115, v12
	s_waitcnt lgkmcnt(1)
	v_cndmask_b32_e64 v15, v29, v13, s[8:9]
	v_cndmask_b32_e64 v19, v28, v13, s[6:7]
	v_cndmask_b32_e32 v12, v33, v13, vcc
	v_cndmask_b32_e64 v13, v32, v13, s[10:11]
	v_cndmask_b32_e64 v24, v13, v12, s[12:13]
	;; [unrolled: 1-line block ×5, first 2 shown]
	ds_bpermute_b32 v16, v115, v16
	ds_bpermute_b32 v24, v115, v24
	v_or_b32_e32 v27, v34, v27
	;;#ASMSTART
	global_atomic_pk_add_f16 v[30:31], v27, off
	
	;;#ASMEND
	v_add_u32_e32 v27, s65, v109
	v_cmp_gt_u32_e32 vcc, 64, v27
	s_and_b64 exec, exec, vcc
	s_cbranch_execz .LBB350_44
; %bb.40:                               ;   in Loop: Header=BB350_7 Depth=1
	v_cmp_eq_u32_e64 s[8:9], 1, v104
	v_cmp_eq_u32_e64 s[10:11], 0, v104
	v_cmp_eq_u32_e32 vcc, 3, v104
	s_waitcnt lgkmcnt(1)
	v_cndmask_b32_e64 v22, v22, v16, s[8:9]
	v_cndmask_b32_e64 v23, v23, v16, s[10:11]
	;; [unrolled: 1-line block ×4, first 2 shown]
	v_cvt_f16_f32_e32 v23, v23
	v_cvt_f16_f32_sdwa v22, v22 dst_sel:WORD_1 dst_unused:UNUSED_PAD src0_sel:DWORD
	s_waitcnt lgkmcnt(0)
	v_cndmask_b32_e64 v28, v12, v24, s[8:9]
	v_cndmask_b32_e64 v29, v13, v24, s[10:11]
	v_cvt_f16_f32_e32 v26, v26
	v_cvt_f16_f32_sdwa v25, v25 dst_sel:WORD_1 dst_unused:UNUSED_PAD src0_sel:DWORD
	v_cvt_f16_f32_e32 v29, v29
	v_cvt_f16_f32_sdwa v28, v28 dst_sel:WORD_1 dst_unused:UNUSED_PAD src0_sel:DWORD
	v_lshl_add_u64 v[12:13], v[54:55], 1, s[48:49]
	v_or_b32_e32 v22, v22, v23
	v_cmp_eq_u32_e64 s[6:7], 2, v104
	;;#ASMSTART
	global_atomic_pk_add_f16 v[12:13], v22, off
	
	;;#ASMEND
	v_lshl_add_u64 v[22:23], v[12:13], 0, 32
	v_or_b32_e32 v25, v25, v26
	v_cmp_gt_u32_e64 s[8:9], 62, v27
	;;#ASMSTART
	global_atomic_pk_add_f16 v[22:23], v25, off
	
	;;#ASMEND
	v_lshl_add_u64 v[22:23], v[12:13], 0, 64
	v_or_b32_e32 v25, v28, v29
	;;#ASMSTART
	global_atomic_pk_add_f16 v[22:23], v25, off
	
	;;#ASMEND
	s_and_b64 exec, exec, s[8:9]
	s_cbranch_execz .LBB350_44
; %bb.41:                               ;   in Loop: Header=BB350_7 Depth=1
	v_cndmask_b32_e32 v20, v20, v16, vcc
	v_cndmask_b32_e64 v16, v21, v16, s[6:7]
	v_cndmask_b32_e32 v17, v17, v14, vcc
	v_cndmask_b32_e64 v14, v18, v14, s[6:7]
	v_cndmask_b32_e32 v18, v15, v24, vcc
	v_cvt_f16_f32_e32 v15, v16
	v_cvt_f16_f32_sdwa v16, v20 dst_sel:WORD_1 dst_unused:UNUSED_PAD src0_sel:DWORD
	v_cvt_f16_f32_e32 v20, v14
	v_cvt_f16_f32_sdwa v17, v17 dst_sel:WORD_1 dst_unused:UNUSED_PAD src0_sel:DWORD
	v_cmp_eq_u32_e32 vcc, 1, v103
	v_or_b32_e32 v14, v16, v15
	v_mov_b32_e32 v16, v62
	v_or_b32_e32 v20, v17, v20
	v_mov_b32_e32 v17, v62
	v_pk_mul_f32 v[10:11], v[16:17], v[10:11]
	v_pk_mul_f32 v[16:17], v[62:63], v[8:9]
	v_cndmask_b32_e64 v19, v19, v24, s[6:7]
	v_cndmask_b32_e32 v8, v16, v17, vcc
	v_cmp_eq_u32_e64 s[6:7], 2, v103
	v_cmp_eq_u32_e64 s[8:9], 3, v103
	v_lshl_add_u64 v[12:13], s[28:29], 2, v[12:13]
	v_cndmask_b32_e64 v8, v8, v10, s[6:7]
	v_cndmask_b32_e64 v8, v8, v11, s[8:9]
	ds_bpermute_b32 v21, v115, v8
	;;#ASMSTART
	global_atomic_pk_add_f16 v[12:13], v14, off
	
	;;#ASMEND
	v_lshl_add_u64 v[14:15], v[12:13], 0, 32
	v_cmp_eq_u32_e64 s[10:11], 0, v103
	;;#ASMSTART
	global_atomic_pk_add_f16 v[14:15], v20, off
	
	;;#ASMEND
	v_cvt_f16_f32_e32 v20, v19
	v_cvt_f16_f32_sdwa v22, v18 dst_sel:WORD_1 dst_unused:UNUSED_PAD src0_sel:DWORD
	v_lshl_add_u64 v[18:19], v[12:13], 0, 64
	s_waitcnt lgkmcnt(0)
	v_cndmask_b32_e64 v8, v11, v21, s[8:9]
	v_cndmask_b32_e32 v11, v17, v21, vcc
	v_cndmask_b32_e64 v12, v16, v21, s[10:11]
	v_mov_b32_e32 v14, v44
	v_mov_b32_e32 v15, v44
	v_pk_mul_f32 v[16:17], v[44:45], v[0:1]
	v_pk_mul_f32 v[14:15], v[14:15], v[2:3]
	v_cndmask_b32_e32 v0, v16, v17, vcc
	v_cndmask_b32_e64 v0, v0, v14, s[6:7]
	v_cndmask_b32_e64 v0, v0, v15, s[8:9]
	ds_bpermute_b32 v1, v115, v0
	v_cmp_eq_u32_e64 s[12:13], 1, v104
	v_cndmask_b32_e64 v9, v10, v21, s[6:7]
	v_cmp_eq_u32_e64 s[14:15], 2, v104
	v_cndmask_b32_e64 v10, v12, v11, s[12:13]
	;; [unrolled: 2-line block ×3, first 2 shown]
	s_waitcnt lgkmcnt(0)
	v_cndmask_b32_e64 v3, v15, v1, s[8:9]
	v_cndmask_b32_e64 v0, v0, v8, s[16:17]
	ds_bpermute_b32 v2, v115, v0
	v_cndmask_b32_e64 v10, v14, v1, s[6:7]
	v_cndmask_b32_e32 v0, v17, v1, vcc
	v_cndmask_b32_e64 v1, v16, v1, s[10:11]
	v_mov_b32_e32 v14, v40
	v_mov_b32_e32 v15, v40
	v_pk_mul_f32 v[16:17], v[40:41], v[4:5]
	v_pk_mul_f32 v[14:15], v[14:15], v[6:7]
	v_cndmask_b32_e32 v4, v16, v17, vcc
	v_cndmask_b32_e64 v4, v4, v14, s[6:7]
	v_cndmask_b32_e64 v4, v4, v15, s[8:9]
	ds_bpermute_b32 v7, v115, v4
	v_cndmask_b32_e64 v4, v1, v0, s[12:13]
	v_cndmask_b32_e64 v4, v4, v10, s[14:15]
	;; [unrolled: 1-line block ×3, first 2 shown]
	v_cmp_ne_u32_e32 vcc, 0, v103
	ds_bpermute_b32 v6, v115, v4
	s_waitcnt lgkmcnt(1)
	v_cndmask_b32_e64 v4, v15, v7, s[8:9]
	v_cndmask_b32_e64 v5, v14, v7, s[6:7]
	v_cndmask_b32_e32 v14, v17, v7, vcc
	v_cndmask_b32_e64 v15, v16, v7, s[10:11]
	v_cndmask_b32_e64 v7, v15, v14, s[12:13]
	;; [unrolled: 1-line block ×4, first 2 shown]
	ds_bpermute_b32 v7, v115, v7
	v_or_b32_e32 v13, v22, v20
	;;#ASMSTART
	global_atomic_pk_add_f16 v[18:19], v13, off
	
	;;#ASMEND
	v_add_u32_e32 v13, s65, v110
	v_cmp_gt_u32_e32 vcc, 64, v13
	s_and_b64 exec, exec, vcc
	s_cbranch_execz .LBB350_44
; %bb.42:                               ;   in Loop: Header=BB350_7 Depth=1
	v_cmp_eq_u32_e64 s[8:9], 1, v104
	v_cmp_eq_u32_e64 s[10:11], 0, v104
	v_cmp_eq_u32_e32 vcc, 3, v104
	v_cndmask_b32_e64 v11, v11, v2, s[8:9]
	v_cndmask_b32_e64 v12, v12, v2, s[10:11]
	v_cvt_f16_f32_e32 v12, v12
	v_cvt_f16_f32_sdwa v11, v11 dst_sel:WORD_1 dst_unused:UNUSED_PAD src0_sel:DWORD
	s_waitcnt lgkmcnt(1)
	v_cndmask_b32_e64 v16, v0, v6, s[8:9]
	v_cndmask_b32_e64 v17, v1, v6, s[10:11]
	s_waitcnt lgkmcnt(0)
	v_cndmask_b32_e64 v18, v14, v7, s[8:9]
	v_or_b32_e32 v11, v11, v12
	v_cndmask_b32_e64 v19, v15, v7, s[10:11]
	v_lshl_add_u64 v[0:1], v[56:57], 1, s[48:49]
	;;#ASMSTART
	global_atomic_pk_add_f16 v[0:1], v11, off
	
	;;#ASMEND
	v_cvt_f16_f32_e32 v11, v17
	v_cvt_f16_f32_sdwa v12, v16 dst_sel:WORD_1 dst_unused:UNUSED_PAD src0_sel:DWORD
	v_cvt_f16_f32_e32 v16, v19
	v_cvt_f16_f32_sdwa v17, v18 dst_sel:WORD_1 dst_unused:UNUSED_PAD src0_sel:DWORD
	v_cmp_eq_u32_e64 s[6:7], 2, v104
	v_lshl_add_u64 v[14:15], v[0:1], 0, 32
	v_or_b32_e32 v11, v12, v11
	v_cmp_gt_u32_e64 s[8:9], 62, v13
	;;#ASMSTART
	global_atomic_pk_add_f16 v[14:15], v11, off
	
	;;#ASMEND
	v_lshl_add_u64 v[14:15], v[0:1], 0, 64
	v_or_b32_e32 v11, v17, v16
	;;#ASMSTART
	global_atomic_pk_add_f16 v[14:15], v11, off
	
	;;#ASMEND
	s_and_b64 exec, exec, s[8:9]
	s_cbranch_execz .LBB350_44
; %bb.43:                               ;   in Loop: Header=BB350_7 Depth=1
	v_cndmask_b32_e32 v8, v8, v2, vcc
	v_cndmask_b32_e64 v2, v9, v2, s[6:7]
	v_cvt_f16_f32_e32 v2, v2
	v_cvt_f16_f32_sdwa v8, v8 dst_sel:WORD_1 dst_unused:UNUSED_PAD src0_sel:DWORD
	v_cndmask_b32_e32 v3, v3, v6, vcc
	v_cndmask_b32_e64 v6, v10, v6, s[6:7]
	v_cndmask_b32_e32 v4, v4, v7, vcc
	v_cndmask_b32_e64 v5, v5, v7, s[6:7]
	v_cvt_f16_f32_e32 v6, v6
	v_cvt_f16_f32_sdwa v7, v3 dst_sel:WORD_1 dst_unused:UNUSED_PAD src0_sel:DWORD
	v_cvt_f16_f32_e32 v5, v5
	v_cvt_f16_f32_sdwa v4, v4 dst_sel:WORD_1 dst_unused:UNUSED_PAD src0_sel:DWORD
	v_lshl_add_u64 v[0:1], s[28:29], 2, v[0:1]
	v_or_b32_e32 v2, v8, v2
	;;#ASMSTART
	global_atomic_pk_add_f16 v[0:1], v2, off
	
	;;#ASMEND
	v_lshl_add_u64 v[2:3], v[0:1], 0, 32
	v_or_b32_e32 v6, v7, v6
	;;#ASMSTART
	global_atomic_pk_add_f16 v[2:3], v6, off
	
	;;#ASMEND
	;; [unrolled: 6-line block ×3, first 2 shown]
.LBB350_44:                             ;   in Loop: Header=BB350_7 Depth=1
	s_or_b64 exec, exec, s[18:19]
	v_subrev_u32_e32 v116, s66, v116
.LBB350_45:                             ;   in Loop: Header=BB350_7 Depth=1
	s_or_b64 exec, exec, s[46:47]
.LBB350_46:                             ;   in Loop: Header=BB350_7 Depth=1
	s_andn2_saveexec_b64 s[6:7], s[44:45]
	s_cbranch_execz .LBB350_55
; %bb.47:                               ;   in Loop: Header=BB350_7 Depth=1
	s_mul_i32 s16, s66, 3
	v_cmp_gt_i32_e32 vcc, s16, v116
	s_and_saveexec_b64 s[8:9], vcc
	s_cbranch_execz .LBB350_54
; %bb.48:                               ;   in Loop: Header=BB350_7 Depth=1
	s_mul_i32 s10, s34, s23
	s_ashr_i32 s11, s10, 31
	s_waitcnt lgkmcnt(0)
	s_add_u32 s10, s38, s10
	s_addc_u32 s11, s39, s11
	s_ashr_i32 s12, s64, 31
	s_add_u32 s10, s10, s64
	s_addc_u32 s11, s11, s12
	v_lshl_add_u64 v[0:1], s[10:11], 0, v[60:61]
	v_lshl_add_u64 v[8:9], v[0:1], 0, v[58:59]
	s_mov_b64 s[10:11], 0
	s_branch .LBB350_50
.LBB350_49:                             ;   in Loop: Header=BB350_50 Depth=2
	s_or_b64 exec, exec, s[12:13]
	v_lshl_add_u32 v12, v10, 11, v113
	;;#ASMSTART
	s_waitcnt vmcnt(1)
	;;#ASMEND
	ds_write2_b32 v12, v4, v5 offset1:32
	ds_write2_b32 v12, v6, v7 offset0:64 offset1:96
	v_add_u32_e32 v4, 0x400, v12
	v_add_u32_e32 v116, s26, v116
	;;#ASMSTART
	s_waitcnt vmcnt(0)
	;;#ASMEND
	ds_write2_b32 v4, v0, v1 offset1:32
	ds_write2_b32 v4, v2, v3 offset0:64 offset1:96
	v_add_u32_e32 v0, 1, v100
	v_add_u32_e32 v64, s26, v10
	v_cmp_le_i32_e32 vcc, s16, v116
	ds_write_b32 v11, v0 offset:32
	v_add_u32_e32 v0, 2, v100
	s_or_b64 s[10:11], vcc, s[10:11]
	v_cmp_lt_i32_e32 vcc, 5, v64
	s_nop 1
	v_cndmask_b32_e32 v100, v100, v0, vcc
	s_andn2_b64 exec, exec, s[10:11]
	s_cbranch_execz .LBB350_53
.LBB350_50:                             ;   Parent Loop BB350_7 Depth=1
                                        ; =>  This Loop Header: Depth=2
                                        ;       Child Loop BB350_52 Depth 3
	v_cmp_gt_i32_e32 vcc, 6, v64
	s_nop 1
	v_cndmask_b32_e64 v0, -6, 0, vcc
	v_add_u32_e32 v10, v0, v64
	v_mul_hi_i32 v0, v116, s62
	v_lshrrev_b32_e32 v1, 31, v0
	v_add_u32_e32 v0, v0, v1
	v_lshl_add_u32 v1, v0, 1, v0
	v_sub_u32_e32 v2, v116, v1
	v_lshlrev_b32_e32 v0, 7, v0
	v_ashrrev_i32_e32 v1, 31, v0
	v_mul_lo_u32 v2, s55, v2
	v_lshl_add_u64 v[0:1], v[8:9], 0, v[0:1]
	v_ashrrev_i32_e32 v3, 31, v2
	v_lshl_add_u64 v[0:1], v[0:1], 0, v[2:3]
	v_lshlrev_b32_e32 v11, 2, v10
	;;#ASMSTART
	global_load_dwordx4 v[4:7], v[0:1], off offset:0   sc0 sc1 nt  
	global_load_dwordx4 v[0:3], v[0:1], off offset:64  sc0 sc1 nt  
	
	;;#ASMEND
	ds_read_b32 v12, v11 offset:28704
	v_add_u32_e32 v11, 0x7000, v11
	s_waitcnt lgkmcnt(0)
	v_cmp_ne_u32_e32 vcc, v12, v100
	s_and_saveexec_b64 s[12:13], vcc
	s_cbranch_execz .LBB350_49
; %bb.51:                               ;   in Loop: Header=BB350_50 Depth=2
	s_mov_b64 s[14:15], 0
.LBB350_52:                             ;   Parent Loop BB350_7 Depth=1
                                        ;     Parent Loop BB350_50 Depth=2
                                        ; =>    This Inner Loop Header: Depth=3
	;;#ASMSTART
	s_sleep 0
	;;#ASMEND
	ds_read_b32 v12, v11 offset:32
	s_waitcnt lgkmcnt(0)
	v_cmp_eq_u32_e32 vcc, v12, v100
	s_or_b64 s[14:15], vcc, s[14:15]
	s_andn2_b64 exec, exec, s[14:15]
	s_cbranch_execnz .LBB350_52
	s_branch .LBB350_49
.LBB350_53:                             ;   in Loop: Header=BB350_7 Depth=1
	s_or_b64 exec, exec, s[10:11]
.LBB350_54:                             ;   in Loop: Header=BB350_7 Depth=1
	s_or_b64 exec, exec, s[8:9]
	v_subrev_u32_e32 v116, s16, v116
.LBB350_55:                             ;   in Loop: Header=BB350_7 Depth=1
	s_or_b64 exec, exec, s[6:7]
.LBB350_56:                             ;   in Loop: Header=BB350_7 Depth=1
	s_andn2_saveexec_b64 s[6:7], s[30:31]
	s_cbranch_execz .LBB350_6
; %bb.57:                               ;   in Loop: Header=BB350_7 Depth=1
	s_lshl_b32 s16, s66, 2
	v_cmp_gt_i32_e32 vcc, s16, v116
	s_and_saveexec_b64 s[8:9], vcc
	s_cbranch_execz .LBB350_5
; %bb.58:                               ;   in Loop: Header=BB350_7 Depth=1
	s_mul_i32 s63, s63, s22
	s_ashr_i32 s10, s63, 31
	s_waitcnt lgkmcnt(0)
	s_add_u32 s11, s36, s63
	v_add_u32_e32 v2, s65, v111
	s_addc_u32 s12, s37, s10
	s_ashr_i32 s13, s64, 31
	v_cmp_gt_u32_e32 vcc, 64, v2
	s_add_u32 s10, s11, s64
	s_addc_u32 s11, s12, s13
	v_cndmask_b32_e32 v0, 0, v114, vcc
	v_ashrrev_i32_e32 v1, 31, v0
	v_lshl_add_u64 v[0:1], s[10:11], 0, v[0:1]
	v_lshl_add_u64 v[8:9], v[0:1], 0, v[58:59]
	v_sub_u32_e32 v10, 63, v2
	s_mov_b64 s[10:11], 0
	s_branch .LBB350_60
.LBB350_59:                             ;   in Loop: Header=BB350_60 Depth=2
	s_or_b64 exec, exec, s[12:13]
	v_lshl_or_b32 v13, v11, 11, v112
	;;#ASMSTART
	s_waitcnt vmcnt(1)
	;;#ASMEND
	ds_write2_b32 v13, v4, v5 offset1:32
	ds_write2_b32 v13, v6, v7 offset0:64 offset1:96
	v_add_u32_e32 v4, 0x400, v13
	v_add_u32_e32 v116, s25, v116
	;;#ASMSTART
	s_waitcnt vmcnt(0)
	;;#ASMEND
	ds_write2_b32 v4, v0, v1 offset1:32
	ds_write2_b32 v4, v2, v3 offset0:64 offset1:96
	v_add_u32_e32 v0, 1, v100
	v_add_u32_e32 v64, s25, v11
	v_cmp_le_i32_e32 vcc, s16, v116
	ds_write_b32 v12, v0
	v_add_u32_e32 v0, 2, v100
	s_or_b64 s[10:11], vcc, s[10:11]
	v_cmp_lt_i32_e32 vcc, 7, v64
	s_nop 1
	v_cndmask_b32_e32 v100, v100, v0, vcc
	s_andn2_b64 exec, exec, s[10:11]
	s_cbranch_execz .LBB350_4
.LBB350_60:                             ;   Parent Loop BB350_7 Depth=1
                                        ; =>  This Loop Header: Depth=2
                                        ;       Child Loop BB350_62 Depth 3
	v_cmp_gt_i32_e32 vcc, 8, v64
	s_nop 1
	v_cndmask_b32_e64 v0, -8, 0, vcc
	v_add_u32_e32 v11, v0, v64
	v_ashrrev_i32_e32 v0, 31, v116
	v_lshrrev_b32_e32 v0, 30, v0
	v_add_u32_e32 v0, v116, v0
	v_and_b32_e32 v1, 0xffffffc, v0
	v_sub_u32_e32 v1, v116, v1
	v_lshlrev_b32_e32 v1, 4, v1
	v_cmp_le_i32_e32 vcc, v1, v10
	v_lshlrev_b32_e32 v0, 5, v0
	v_and_b32_e32 v0, 0xffffff80, v0
	v_cndmask_b32_e32 v2, 0, v1, vcc
	v_ashrrev_i32_e32 v1, 31, v0
	v_mul_lo_u32 v2, v2, s22
	v_lshl_add_u64 v[0:1], v[8:9], 0, v[0:1]
	v_ashrrev_i32_e32 v3, 31, v2
	v_lshl_add_u64 v[0:1], v[0:1], 0, v[2:3]
	v_lshlrev_b32_e32 v12, 2, v11
	;;#ASMSTART
	global_load_dwordx4 v[4:7], v[0:1], off offset:0   
	global_load_dwordx4 v[0:3], v[0:1], off offset:64  
	
	;;#ASMEND
	ds_read_b32 v13, v12 offset:28672
	v_add_u32_e32 v12, 0x7000, v12
	s_waitcnt lgkmcnt(0)
	v_cmp_ne_u32_e32 vcc, v13, v100
	s_and_saveexec_b64 s[12:13], vcc
	s_cbranch_execz .LBB350_59
; %bb.61:                               ;   in Loop: Header=BB350_60 Depth=2
	s_mov_b64 s[14:15], 0
.LBB350_62:                             ;   Parent Loop BB350_7 Depth=1
                                        ;     Parent Loop BB350_60 Depth=2
                                        ; =>    This Inner Loop Header: Depth=3
	;;#ASMSTART
	s_sleep 0
	;;#ASMEND
	ds_read_b32 v13, v12
	s_waitcnt lgkmcnt(0)
	v_cmp_eq_u32_e32 vcc, v13, v100
	s_or_b64 s[14:15], vcc, s[14:15]
	s_andn2_b64 exec, exec, s[14:15]
	s_cbranch_execnz .LBB350_62
	s_branch .LBB350_59
.LBB350_63:
	s_endpgm
	.section	.rodata,"a",@progbits
	.p2align	6, 0x0
	.amdhsa_kernel _Z19_skinny_gemm_kernelILi4ELi3ELi2ELi16ELi4EEvPKhS1_P6__halfPKfiiiiiiii
		.amdhsa_group_segment_fixed_size 28728
		.amdhsa_private_segment_fixed_size 0
		.amdhsa_kernarg_size 64
		.amdhsa_user_sgpr_count 2
		.amdhsa_user_sgpr_dispatch_ptr 0
		.amdhsa_user_sgpr_queue_ptr 0
		.amdhsa_user_sgpr_kernarg_segment_ptr 1
		.amdhsa_user_sgpr_dispatch_id 0
		.amdhsa_user_sgpr_kernarg_preload_length 0
		.amdhsa_user_sgpr_kernarg_preload_offset 0
		.amdhsa_user_sgpr_private_segment_size 0
		.amdhsa_uses_dynamic_stack 0
		.amdhsa_enable_private_segment 0
		.amdhsa_system_sgpr_workgroup_id_x 1
		.amdhsa_system_sgpr_workgroup_id_y 0
		.amdhsa_system_sgpr_workgroup_id_z 0
		.amdhsa_system_sgpr_workgroup_info 0
		.amdhsa_system_vgpr_workitem_id 0
		.amdhsa_next_free_vgpr 124
		.amdhsa_next_free_sgpr 67
		.amdhsa_accum_offset 124
		.amdhsa_reserve_vcc 1
		.amdhsa_float_round_mode_32 0
		.amdhsa_float_round_mode_16_64 0
		.amdhsa_float_denorm_mode_32 3
		.amdhsa_float_denorm_mode_16_64 3
		.amdhsa_dx10_clamp 1
		.amdhsa_ieee_mode 1
		.amdhsa_fp16_overflow 0
		.amdhsa_tg_split 0
		.amdhsa_exception_fp_ieee_invalid_op 0
		.amdhsa_exception_fp_denorm_src 0
		.amdhsa_exception_fp_ieee_div_zero 0
		.amdhsa_exception_fp_ieee_overflow 0
		.amdhsa_exception_fp_ieee_underflow 0
		.amdhsa_exception_fp_ieee_inexact 0
		.amdhsa_exception_int_div_zero 0
	.end_amdhsa_kernel
	.section	.text._Z19_skinny_gemm_kernelILi4ELi3ELi2ELi16ELi4EEvPKhS1_P6__halfPKfiiiiiiii,"axG",@progbits,_Z19_skinny_gemm_kernelILi4ELi3ELi2ELi16ELi4EEvPKhS1_P6__halfPKfiiiiiiii,comdat
.Lfunc_end350:
	.size	_Z19_skinny_gemm_kernelILi4ELi3ELi2ELi16ELi4EEvPKhS1_P6__halfPKfiiiiiiii, .Lfunc_end350-_Z19_skinny_gemm_kernelILi4ELi3ELi2ELi16ELi4EEvPKhS1_P6__halfPKfiiiiiiii
                                        ; -- End function
	.set _Z19_skinny_gemm_kernelILi4ELi3ELi2ELi16ELi4EEvPKhS1_P6__halfPKfiiiiiiii.num_vgpr, 124
	.set _Z19_skinny_gemm_kernelILi4ELi3ELi2ELi16ELi4EEvPKhS1_P6__halfPKfiiiiiiii.num_agpr, 0
	.set _Z19_skinny_gemm_kernelILi4ELi3ELi2ELi16ELi4EEvPKhS1_P6__halfPKfiiiiiiii.numbered_sgpr, 67
	.set _Z19_skinny_gemm_kernelILi4ELi3ELi2ELi16ELi4EEvPKhS1_P6__halfPKfiiiiiiii.num_named_barrier, 0
	.set _Z19_skinny_gemm_kernelILi4ELi3ELi2ELi16ELi4EEvPKhS1_P6__halfPKfiiiiiiii.private_seg_size, 0
	.set _Z19_skinny_gemm_kernelILi4ELi3ELi2ELi16ELi4EEvPKhS1_P6__halfPKfiiiiiiii.uses_vcc, 1
	.set _Z19_skinny_gemm_kernelILi4ELi3ELi2ELi16ELi4EEvPKhS1_P6__halfPKfiiiiiiii.uses_flat_scratch, 0
	.set _Z19_skinny_gemm_kernelILi4ELi3ELi2ELi16ELi4EEvPKhS1_P6__halfPKfiiiiiiii.has_dyn_sized_stack, 0
	.set _Z19_skinny_gemm_kernelILi4ELi3ELi2ELi16ELi4EEvPKhS1_P6__halfPKfiiiiiiii.has_recursion, 0
	.set _Z19_skinny_gemm_kernelILi4ELi3ELi2ELi16ELi4EEvPKhS1_P6__halfPKfiiiiiiii.has_indirect_call, 0
	.section	.AMDGPU.csdata,"",@progbits
; Kernel info:
; codeLenInByte = 7088
; TotalNumSgprs: 73
; NumVgprs: 124
; NumAgprs: 0
; TotalNumVgprs: 124
; ScratchSize: 0
; MemoryBound: 0
; FloatMode: 240
; IeeeMode: 1
; LDSByteSize: 28728 bytes/workgroup (compile time only)
; SGPRBlocks: 9
; VGPRBlocks: 15
; NumSGPRsForWavesPerEU: 73
; NumVGPRsForWavesPerEU: 124
; AccumOffset: 124
; Occupancy: 4
; WaveLimiterHint : 0
; COMPUTE_PGM_RSRC2:SCRATCH_EN: 0
; COMPUTE_PGM_RSRC2:USER_SGPR: 2
; COMPUTE_PGM_RSRC2:TRAP_HANDLER: 0
; COMPUTE_PGM_RSRC2:TGID_X_EN: 1
; COMPUTE_PGM_RSRC2:TGID_Y_EN: 0
; COMPUTE_PGM_RSRC2:TGID_Z_EN: 0
; COMPUTE_PGM_RSRC2:TIDIG_COMP_CNT: 0
; COMPUTE_PGM_RSRC3_GFX90A:ACCUM_OFFSET: 30
; COMPUTE_PGM_RSRC3_GFX90A:TG_SPLIT: 0
	.section	.text._Z19_skinny_gemm_kernelILi4ELi3ELi2ELi16ELi8EEvPKhS1_P6__halfPKfiiiiiiii,"axG",@progbits,_Z19_skinny_gemm_kernelILi4ELi3ELi2ELi16ELi8EEvPKhS1_P6__halfPKfiiiiiiii,comdat
	.protected	_Z19_skinny_gemm_kernelILi4ELi3ELi2ELi16ELi8EEvPKhS1_P6__halfPKfiiiiiiii ; -- Begin function _Z19_skinny_gemm_kernelILi4ELi3ELi2ELi16ELi8EEvPKhS1_P6__halfPKfiiiiiiii
	.globl	_Z19_skinny_gemm_kernelILi4ELi3ELi2ELi16ELi8EEvPKhS1_P6__halfPKfiiiiiiii
	.p2align	8
	.type	_Z19_skinny_gemm_kernelILi4ELi3ELi2ELi16ELi8EEvPKhS1_P6__halfPKfiiiiiiii,@function
_Z19_skinny_gemm_kernelILi4ELi3ELi2ELi16ELi8EEvPKhS1_P6__halfPKfiiiiiiii: ; @_Z19_skinny_gemm_kernelILi4ELi3ELi2ELi16ELi8EEvPKhS1_P6__halfPKfiiiiiiii
; %bb.0:
	v_cmp_gt_u32_e32 vcc, 14, v0
	v_lshlrev_b32_e32 v1, 2, v0
	s_and_saveexec_b64 s[4:5], vcc
; %bb.1:
	v_mov_b32_e32 v2, 0
	ds_write_b32 v1, v2 offset:57344
; %bb.2:
	s_or_b64 exec, exec, s[4:5]
	s_load_dwordx8 s[20:27], s[0:1], 0x20
	s_waitcnt lgkmcnt(0)
	s_barrier
	s_add_i32 s3, s20, 63
	s_ashr_i32 s5, s3, 31
	s_add_i32 s4, s21, 47
	s_lshr_b32 s5, s5, 26
	s_mul_hi_i32 s4, s4, 0x2aaaaaab
	s_add_i32 s3, s3, s5
	s_ashr_i32 s33, s3, 6
	s_lshr_b32 s3, s4, 31
	s_ashr_i32 s50, s4, 3
	s_add_i32 s50, s50, s3
	s_mul_i32 s3, s50, s33
	s_mul_i32 s3, s3, s24
	s_add_i32 s4, s3, 0x12f
	s_mul_hi_i32 s4, s4, 0x6bca1af3
	s_lshr_b32 s5, s4, 31
	s_ashr_i32 s4, s4, 7
	s_add_i32 s4, s4, s5
	s_add_i32 s5, s2, 1
	s_mul_i32 s5, s4, s5
	v_cvt_f64_i32_e32 v[2:3], s3
	v_cvt_f64_u32_e32 v[4:5], s5
	v_min_f64 v[2:3], v[2:3], v[4:5]
	v_cvt_i32_f64_e32 v53, v[2:3]
	s_mul_i32 s51, s4, s2
	v_cmp_ge_i32_e32 vcc, s51, v53
	s_cbranch_vccnz .LBB351_63
; %bb.3:
	v_lshrrev_b32_e32 v2, 6, v0
	s_add_i32 s4, s26, s25
	s_load_dwordx8 s[36:43], s[0:1], 0x0
	v_cmp_le_i32_e64 s[0:1], s4, v2
	v_mov_b32_e32 v3, s25
	v_cmp_le_i32_e64 s[2:3], s25, v2
	v_mov_b32_e32 v4, s26
	v_cndmask_b32_e64 v4, 0, v4, s[0:1]
	v_cndmask_b32_e64 v3, 0, v3, s[2:3]
	s_abs_i32 s5, s24
	v_add_u32_e32 v3, v3, v4
	v_cvt_f32_u32_e32 v4, s5
	v_sub_u32_e32 v52, v2, v3
	s_ashr_i32 s6, s22, 31
	s_lshr_b32 s6, s6, 24
	v_rcp_iflag_f32_e32 v3, v4
	s_sub_i32 s9, 0, s5
	s_add_i32 s6, s22, s6
	s_ashr_i32 s6, s6, 8
	v_mul_f32_e32 v3, 0x4f7ffffe, v3
	v_cvt_u32_f32_e32 v3, v3
	s_abs_i32 s8, s6
	s_xor_b32 s7, s6, s24
	s_ashr_i32 s7, s7, 31
	v_readfirstlane_b32 s10, v3
	s_mul_i32 s9, s9, s10
	s_mul_hi_u32 s9, s10, s9
	s_add_i32 s10, s10, s9
	s_mul_hi_u32 s9, s8, s10
	s_mul_i32 s10, s9, s5
	s_sub_i32 s8, s8, s10
	s_add_i32 s10, s9, 1
	s_sub_i32 s11, s8, s5
	s_cmp_ge_u32 s8, s5
	s_cselect_b32 s9, s10, s9
	s_cselect_b32 s8, s11, s8
	s_add_i32 s10, s9, 1
	s_cmp_ge_u32 s8, s5
	s_cselect_b32 s5, s10, s9
	s_xor_b32 s5, s5, s7
	s_sub_i32 s52, s5, s7
	s_add_i32 s24, s24, -1
	s_mul_i32 s5, s52, s24
	s_add_i32 s4, s4, s27
	s_sub_i32 s53, s6, s5
	v_cmp_gt_i32_e64 s[4:5], s4, v2
	v_lshlrev_b32_e32 v2, 1, v0
	v_lshlrev_b32_e32 v3, 4, v0
	v_and_b32_e32 v1, 60, v1
	v_and_b32_e32 v2, 64, v2
	;; [unrolled: 1-line block ×3, first 2 shown]
	v_or3_b32 v54, v1, v2, v4
	v_and_b32_e32 v1, 1, v0
	v_lshrrev_b32_e32 v4, 2, v0
	v_and_b32_e32 v56, 14, v0
	v_bitop3_b32 v57, v0, 3, 1 bitop3:0x6c
	v_and_or_b32 v58, v4, 12, v1
	v_mad_u64_u32 v[4:5], s[6:7], s21, v58, v[56:57]
	v_ashrrev_i32_e32 v5, 31, v4
	s_lshl_b32 s6, s21, 4
	scratch_store_dwordx2 off, v[4:5], off offset:108 ; 8-byte Folded Spill
	v_add_u32_e32 v4, s6, v4
	v_ashrrev_i32_e32 v5, 31, v4
	scratch_store_dwordx2 off, v[4:5], off offset:124 ; 8-byte Folded Spill
	v_add_u32_e32 v4, s6, v4
	v_ashrrev_i32_e32 v5, 31, v4
	scratch_store_dwordx2 off, v[4:5], off offset:132 ; 8-byte Folded Spill
	v_add_u32_e32 v4, s6, v4
	s_abs_i32 s54, s33
	v_ashrrev_i32_e32 v5, 31, v4
	v_and_b32_e32 v60, 48, v3
	v_bfe_u32 v22, v0, 2, 4
	v_cvt_f32_u32_e32 v3, s54
	scratch_store_dwordx2 off, v[4:5], off offset:140 ; 8-byte Folded Spill
	v_mul_lo_u32 v4, s23, v22
	v_lshlrev_b32_e32 v2, 1, v1
	v_ashrrev_i32_e32 v5, 31, v4
	v_sub_u32_e32 v2, v0, v2
	v_bitop3_b32 v55, v0, 1, v0 bitop3:0xc
	scratch_store_dwordx2 off, v[4:5], off offset:76 ; 8-byte Folded Spill
	v_and_b32_e32 v1, 60, v0
	v_lshlrev_b32_e32 v4, 8, v0
	v_lshlrev_b32_e32 v0, 6, v0
	v_and_b32_e32 v4, 0x200, v4
	v_rcp_iflag_f32_e32 v3, v3
	v_and_b32_e32 v0, 64, v0
	s_abs_i32 s56, s50
	v_or3_b32 v48, v1, v4, v0
	v_cvt_f32_u32_e32 v1, s56
	v_mul_f32_e32 v0, 0x4f7ffffe, v3
	v_cvt_u32_f32_e32 v0, v0
	s_sub_i32 s6, 0, s54
	v_rcp_iflag_f32_e32 v1, v1
	v_add_u32_e32 v2, 1, v2
	v_readfirstlane_b32 s7, v0
	s_mul_i32 s6, s6, s7
	v_mul_f32_e32 v0, 0x4f7ffffe, v1
	v_cvt_u32_f32_e32 v0, v0
	s_mul_hi_u32 s6, s7, s6
	s_add_i32 s58, s7, s6
	s_sub_i32 s6, 0, s56
	v_readfirstlane_b32 s7, v0
	v_mbcnt_lo_u32_b32 v0, -1, 0
	v_and_b32_e32 v2, 63, v2
	s_mul_i32 s6, s6, s7
	v_mbcnt_hi_u32_b32 v0, -1, v0
	s_mul_hi_u32 s6, s7, s6
	v_and_or_b32 v0, v0, 64, v2
	v_cndmask_b32_e64 v50, 0, 1, s[0:1]
	s_ashr_i32 s29, s21, 31
	s_mov_b32 s28, s21
	v_mov_b32_e32 v61, 0
	s_lshl_b32 s55, s23, 4
	s_ashr_i32 s57, s33, 31
	s_ashr_i32 s59, s50, 31
	s_add_i32 s60, s7, s6
	s_movk_i32 s61, 0x3000
	s_mov_b32 s62, 0x55555556
	v_lshlrev_b32_e32 v0, 2, v0
	v_mov_b32_e32 v59, v52
	scratch_store_dword off, v0, off offset:68 ; 4-byte Folded Spill
	scratch_store_dword off, v53, off offset:84 ; 4-byte Folded Spill
	scratch_store_dwordx2 off, v[56:57], off offset:88 ; 8-byte Folded Spill
	scratch_store_dword off, v55, off offset:96 ; 4-byte Folded Spill
	scratch_store_dword off, v57, off offset:100 ; 4-byte Folded Spill
	;; [unrolled: 1-line block ×3, first 2 shown]
	scratch_store_dwordx2 off, v[60:61], off offset:116 ; 8-byte Folded Spill
	scratch_store_dword off, v22, off offset:72 ; 4-byte Folded Spill
	s_branch .LBB351_7
.LBB351_4:                              ;   in Loop: Header=BB351_7 Depth=1
	s_or_b64 exec, exec, s[10:11]
.LBB351_5:                              ;   in Loop: Header=BB351_7 Depth=1
	s_or_b64 exec, exec, s[8:9]
	v_subrev_u32_e32 v59, s16, v59
.LBB351_6:                              ;   in Loop: Header=BB351_7 Depth=1
	s_or_b64 exec, exec, s[6:7]
	s_add_i32 s51, s51, 1
	v_cmp_ge_i32_e32 vcc, s51, v53
	s_cbranch_vccnz .LBB351_63
.LBB351_7:                              ; =>This Loop Header: Depth=1
                                        ;     Child Loop BB351_13 Depth 2
                                        ;       Child Loop BB351_15 Depth 3
                                        ;       Child Loop BB351_18 Depth 3
	;; [unrolled: 1-line block ×7, first 2 shown]
                                        ;     Child Loop BB351_50 Depth 2
                                        ;       Child Loop BB351_52 Depth 3
                                        ;     Child Loop BB351_60 Depth 2
                                        ;       Child Loop BB351_62 Depth 3
	s_abs_i32 s7, s51
	s_mul_hi_u32 s8, s7, s58
	s_mul_i32 s9, s8, s54
	s_ashr_i32 s6, s51, 31
	s_sub_i32 s7, s7, s9
	s_xor_b32 s6, s6, s57
	s_add_i32 s9, s8, 1
	s_sub_i32 s10, s7, s54
	s_cmp_ge_u32 s7, s54
	s_cselect_b32 s8, s9, s8
	s_cselect_b32 s7, s10, s7
	s_add_i32 s9, s8, 1
	s_cmp_ge_u32 s7, s54
	s_cselect_b32 s7, s9, s8
	s_xor_b32 s7, s7, s6
	s_sub_i32 s6, s7, s6
	s_abs_i32 s8, s6
	s_mul_i32 s7, s6, s33
	s_mul_hi_u32 s9, s8, s60
	s_sub_i32 s7, s51, s7
	s_mul_i32 s10, s9, s56
	s_lshl_b32 s63, s7, 6
	s_ashr_i32 s7, s6, 31
	s_sub_i32 s8, s8, s10
	s_xor_b32 s7, s7, s59
	s_add_i32 s10, s9, 1
	s_sub_i32 s11, s8, s56
	s_cmp_ge_u32 s8, s56
	s_cselect_b32 s9, s10, s9
	s_cselect_b32 s8, s11, s8
	s_add_i32 s10, s9, 1
	s_cmp_ge_u32 s8, s56
	s_cselect_b32 s8, s10, s9
	s_xor_b32 s8, s8, s7
	s_sub_i32 s7, s8, s7
	s_mul_i32 s8, s7, s52
	s_lshl_b32 s64, s8, 8
	s_cmp_eq_u32 s7, s24
	s_cselect_b32 s66, s53, s52
	s_sub_i32 s8, s63, s20
	s_add_i32 s8, s8, 64
	s_max_i32 s65, s8, 0
	s_and_saveexec_b64 s[8:9], s[2:3]
	s_xor_b64 s[30:31], exec, s[8:9]
	s_cbranch_execz .LBB351_56
; %bb.8:                                ;   in Loop: Header=BB351_7 Depth=1
	s_mul_i32 s7, s7, s50
	s_sub_i32 s6, s6, s7
	s_mul_i32 s6, s6, 48
	s_sub_i32 s18, s6, s21
	s_add_i32 s18, s18, 48
	s_max_i32 s7, s18, 0
	s_sub_i32 s34, s6, s7
	s_and_saveexec_b64 s[6:7], s[0:1]
	s_xor_b64 s[44:45], exec, s[6:7]
	s_cbranch_execz .LBB351_46
; %bb.9:                                ;   in Loop: Header=BB351_7 Depth=1
	s_and_saveexec_b64 s[46:47], s[4:5]
	s_cbranch_execz .LBB351_45
; %bb.10:                               ;   in Loop: Header=BB351_7 Depth=1
	s_waitcnt lgkmcnt(0)
	global_load_dword v0, v61, s[42:43]
	v_mov_b32_e32 v47, 0
	v_cmp_gt_i32_e32 vcc, s66, v59
	v_mov_b32_e32 v46, v47
	v_mov_b32_e32 v45, v47
	;; [unrolled: 1-line block ×11, first 2 shown]
	s_waitcnt vmcnt(1)
	v_mov_b32_e32 v22, v47
	v_mov_b32_e32 v21, v47
	;; [unrolled: 1-line block ×27, first 2 shown]
	s_waitcnt vmcnt(0)
	scratch_store_dword off, v0, off offset:64 ; 4-byte Folded Spill
	v_mov_b32_e32 v0, v47
	scratch_store_dwordx4 off, v[0:3], off  ; 16-byte Folded Spill
	scratch_store_dwordx4 off, v[0:3], off offset:16 ; 16-byte Folded Spill
	scratch_store_dwordx4 off, v[0:3], off offset:32 ; 16-byte Folded Spill
	s_and_saveexec_b64 s[6:7], vcc
	s_cbranch_execz .LBB351_35
; %bb.11:                               ;   in Loop: Header=BB351_7 Depth=1
	v_mov_b32_e32 v4, 0
	s_mov_b64 s[8:9], 0
	v_mov_b32_e32 v5, v4
	v_mov_b32_e32 v6, v4
	;; [unrolled: 1-line block ×39, first 2 shown]
	scratch_store_dwordx4 off, v[0:3], off offset:32 ; 16-byte Folded Spill
	scratch_store_dwordx4 off, v[0:3], off offset:16 ; 16-byte Folded Spill
	scratch_store_dwordx4 off, v[0:3], off  ; 16-byte Folded Spill
	s_branch .LBB351_13
.LBB351_12:                             ;   in Loop: Header=BB351_13 Depth=2
	s_or_b64 exec, exec, s[10:11]
	v_add_u32_e32 v10, 0x2000, v49
	ds_read2_b32 v[8:9], v10 offset1:32
	ds_read2_b32 v[10:11], v10 offset0:128 offset1:160
	v_add_u32_e32 v18, 0x2400, v49
	ds_read2_b32 v[16:17], v18 offset1:32
	ds_read2_b32 v[18:19], v18 offset0:128 offset1:160
	s_waitcnt lgkmcnt(3)
	v_mfma_f32_16x16x32_fp8_fp8 v[0:3], v[62:63], v[8:9], v[36:39]
	v_add_u32_e32 v59, s27, v59
	s_waitcnt lgkmcnt(2)
	v_mfma_f32_16x16x32_fp8_fp8 v[0:3], v[64:65], v[10:11], v[0:3]
	v_add_u32_e32 v36, 0x2800, v49
	ds_read2_b32 v[62:63], v36 offset1:32
	ds_read2_b32 v[64:65], v36 offset0:128 offset1:160
	s_waitcnt lgkmcnt(3)
	v_mfma_f32_16x16x32_fp8_fp8 v[0:3], v[70:71], v[16:17], v[0:3]
	v_add_u32_e32 v36, 0x2c00, v49
	s_waitcnt lgkmcnt(2)
	v_mfma_f32_16x16x32_fp8_fp8 v[0:3], v[66:67], v[18:19], v[0:3]
	ds_read2_b32 v[66:67], v36 offset1:32
	s_waitcnt lgkmcnt(2)
	v_mfma_f32_16x16x32_fp8_fp8 v[0:3], v[72:73], v[62:63], v[0:3]
	s_waitcnt lgkmcnt(1)
	v_mfma_f32_16x16x32_fp8_fp8 v[0:3], v[68:69], v[64:65], v[0:3]
	ds_read2_b32 v[68:69], v36 offset0:128 offset1:160
	;;#ASMSTART
	s_waitcnt lgkmcnt(0)
	;;#ASMEND
	ds_write_b32 v60, v58 offset:57384
	s_waitcnt lgkmcnt(2)
	v_mfma_f32_16x16x32_fp8_fp8 v[0:3], v[74:75], v[66:67], v[0:3]
	s_waitcnt lgkmcnt(1)
	v_mfma_f32_16x16x32_fp8_fp8 v[36:39], v[76:77], v[68:69], v[0:3]
	v_mfma_f32_16x16x32_fp8_fp8 v[0:3], v[78:79], v[8:9], v[24:27]
	v_mfma_f32_16x16x32_fp8_fp8 v[0:3], v[80:81], v[10:11], v[0:3]
	v_mfma_f32_16x16x32_fp8_fp8 v[0:3], v[82:83], v[16:17], v[0:3]
	v_mfma_f32_16x16x32_fp8_fp8 v[0:3], v[84:85], v[18:19], v[0:3]
	v_mfma_f32_16x16x32_fp8_fp8 v[0:3], v[86:87], v[62:63], v[0:3]
	v_mfma_f32_16x16x32_fp8_fp8 v[0:3], v[88:89], v[64:65], v[0:3]
	v_mfma_f32_16x16x32_fp8_fp8 v[0:3], v[90:91], v[66:67], v[0:3]
	v_mfma_f32_16x16x32_fp8_fp8 v[24:27], v[92:93], v[68:69], v[0:3]
	v_mfma_f32_16x16x32_fp8_fp8 v[0:3], v[110:111], v[8:9], v[12:15]
	v_mfma_f32_16x16x32_fp8_fp8 v[0:3], v[112:113], v[10:11], v[0:3]
	v_mfma_f32_16x16x32_fp8_fp8 v[0:3], v[114:115], v[16:17], v[0:3]
	v_mfma_f32_16x16x32_fp8_fp8 v[0:3], v[116:117], v[18:19], v[0:3]
	v_mfma_f32_16x16x32_fp8_fp8 v[0:3], v[118:119], v[62:63], v[0:3]
	v_mfma_f32_16x16x32_fp8_fp8 v[0:3], v[120:121], v[64:65], v[0:3]
	v_mfma_f32_16x16x32_fp8_fp8 v[0:3], v[122:123], v[66:67], v[0:3]
	v_mfma_f32_16x16x32_fp8_fp8 v[12:15], v[124:125], v[68:69], v[0:3]
	v_mfma_f32_16x16x32_fp8_fp8 v[0:3], v[126:127], v[8:9], v[4:7]
	v_mfma_f32_16x16x32_fp8_fp8 v[0:3], v[56:57], v[10:11], v[0:3]
	s_nop 1
	v_add_u32_e32 v4, 2, v50
	v_mov_b64_e32 v[8:9], v[32:33]
	v_mov_b64_e32 v[10:11], v[34:35]
	v_mfma_f32_16x16x32_fp8_fp8 v[0:3], v[54:55], v[16:17], v[0:3]
	v_mov_b32_e32 v54, v20
	v_mov_b64_e32 v[20:21], v[28:29]
	v_mov_b64_e32 v[22:23], v[30:31]
	v_mfma_f32_16x16x32_fp8_fp8 v[0:3], v[52:53], v[18:19], v[0:3]
	v_add_u32_e32 v52, s27, v61
	v_cmp_lt_i32_e32 vcc, 1, v52
	v_mfma_f32_16x16x32_fp8_fp8 v[0:3], v[98:99], v[62:63], v[0:3]
	s_nop 0
	v_cndmask_b32_e32 v50, v50, v4, vcc
	v_cmp_le_i32_e32 vcc, s66, v59
	s_or_b64 s[8:9], vcc, s[8:9]
	v_mfma_f32_16x16x32_fp8_fp8 v[0:3], v[100:101], v[64:65], v[0:3]
	v_mfma_f32_16x16x32_fp8_fp8 v[0:3], v[96:97], v[66:67], v[0:3]
	;; [unrolled: 1-line block ×3, first 2 shown]
	s_andn2_b64 exec, exec, s[8:9]
	s_cbranch_execz .LBB351_34
.LBB351_13:                             ;   Parent Loop BB351_7 Depth=1
                                        ; =>  This Loop Header: Depth=2
                                        ;       Child Loop BB351_15 Depth 3
                                        ;       Child Loop BB351_18 Depth 3
	;; [unrolled: 1-line block ×7, first 2 shown]
	v_cmp_gt_i32_e32 vcc, 2, v52
	s_nop 3
	v_cndmask_b32_e64 v0, -2, 0, vcc
	v_add_u32_e32 v61, v0, v52
	v_mul_lo_u32 v60, v61, 12
	ds_read_b32 v0, v60 offset:57376
	s_waitcnt lgkmcnt(0)
	v_cmp_ne_u32_e32 vcc, v0, v50
	s_and_saveexec_b64 s[10:11], vcc
	s_cbranch_execz .LBB351_16
; %bb.14:                               ;   in Loop: Header=BB351_13 Depth=2
	s_mov_b64 s[12:13], 0
.LBB351_15:                             ;   Parent Loop BB351_7 Depth=1
                                        ;     Parent Loop BB351_13 Depth=2
                                        ; =>    This Inner Loop Header: Depth=3
	;;#ASMSTART
	s_sleep 0
	;;#ASMEND
	ds_read_b32 v0, v60 offset:57376
	s_waitcnt lgkmcnt(0)
	v_cmp_eq_u32_e32 vcc, v0, v50
	s_or_b64 s[12:13], vcc, s[12:13]
	s_andn2_b64 exec, exec, s[12:13]
	s_cbranch_execnz .LBB351_15
.LBB351_16:                             ;   in Loop: Header=BB351_13 Depth=2
	s_or_b64 exec, exec, s[10:11]
	v_mul_lo_u32 v0, v61, s61
	v_or_b32_e32 v1, 0x8000, v54
	v_add_u32_e32 v49, v1, v0
	scratch_store_dwordx4 off, v[102:105], off offset:48 ; 16-byte Folded Spill
	v_add_u32_e32 v0, 0x400, v49
	ds_read2_b32 v[94:95], v49 offset1:32
	ds_read2_b32 v[96:97], v49 offset0:128 offset1:160
	ds_read2_b32 v[98:99], v0 offset1:32
	ds_read2_b32 v[100:101], v0 offset0:128 offset1:160
	v_add_u32_e32 v0, 0x800, v49
	ds_read2_b32 v[102:103], v0 offset1:32
	ds_read2_b32 v[104:105], v0 offset0:128 offset1:160
	v_add_u32_e32 v0, 0xc00, v49
	v_add_u32_e32 v58, 1, v50
	ds_read2_b32 v[108:109], v0 offset1:32
	ds_read2_b32 v[106:107], v0 offset0:128 offset1:160
	;;#ASMSTART
	s_waitcnt lgkmcnt(0)
	;;#ASMEND
	ds_write_b32 v60, v58 offset:57376
	v_lshlrev_b32_e32 v51, 4, v61
	ds_read_b32 v0, v51 offset:57344
	s_waitcnt lgkmcnt(0)
	v_cmp_ne_u32_e32 vcc, v0, v50
	s_and_saveexec_b64 s[10:11], vcc
	s_cbranch_execz .LBB351_19
; %bb.17:                               ;   in Loop: Header=BB351_13 Depth=2
	s_mov_b64 s[12:13], 0
.LBB351_18:                             ;   Parent Loop BB351_7 Depth=1
                                        ;     Parent Loop BB351_13 Depth=2
                                        ; =>    This Inner Loop Header: Depth=3
	;;#ASMSTART
	s_sleep 0
	;;#ASMEND
	ds_read_b32 v0, v51 offset:57344
	s_waitcnt lgkmcnt(0)
	v_cmp_eq_u32_e32 vcc, v0, v50
	s_or_b64 s[12:13], vcc, s[12:13]
	s_andn2_b64 exec, exec, s[12:13]
	s_cbranch_execnz .LBB351_18
.LBB351_19:                             ;   in Loop: Header=BB351_13 Depth=2
	s_or_b64 exec, exec, s[10:11]
	v_lshl_or_b32 v0, v61, 14, v54
	ds_read2_b32 v[62:63], v0 offset1:32
	ds_read2_b32 v[64:65], v0 offset0:128 offset1:160
	v_add_u32_e32 v1, 0x400, v0
	ds_read2_b32 v[70:71], v1 offset1:32
	ds_read2_b32 v[66:67], v1 offset0:128 offset1:160
	v_add_u32_e32 v1, 0x800, v0
	;; [unrolled: 3-line block ×3, first 2 shown]
	s_waitcnt lgkmcnt(5)
	v_mfma_f32_16x16x32_fp8_fp8 v[44:47], v[62:63], v[94:95], v[44:47]
	ds_read2_b32 v[74:75], v1 offset1:32
	ds_read2_b32 v[76:77], v1 offset0:128 offset1:160
	ds_read_b32 v1, v51 offset:57348
	ds_write_b32 v51, v58 offset:57344
	s_waitcnt lgkmcnt(8)
	v_mfma_f32_16x16x32_fp8_fp8 v[44:47], v[64:65], v[96:97], v[44:47]
	s_waitcnt lgkmcnt(1)
	v_cmp_ne_u32_e32 vcc, v1, v50
	v_mfma_f32_16x16x32_fp8_fp8 v[44:47], v[70:71], v[98:99], v[44:47]
	v_mfma_f32_16x16x32_fp8_fp8 v[44:47], v[66:67], v[100:101], v[44:47]
	;; [unrolled: 1-line block ×6, first 2 shown]
	s_and_saveexec_b64 s[10:11], vcc
	s_cbranch_execz .LBB351_22
; %bb.20:                               ;   in Loop: Header=BB351_13 Depth=2
	s_mov_b64 s[12:13], 0
.LBB351_21:                             ;   Parent Loop BB351_7 Depth=1
                                        ;     Parent Loop BB351_13 Depth=2
                                        ; =>    This Inner Loop Header: Depth=3
	;;#ASMSTART
	s_sleep 0
	;;#ASMEND
	ds_read_b32 v1, v51 offset:57348
	s_waitcnt lgkmcnt(0)
	v_cmp_eq_u32_e32 vcc, v1, v50
	s_or_b64 s[12:13], vcc, s[12:13]
	s_andn2_b64 exec, exec, s[12:13]
	s_cbranch_execnz .LBB351_21
.LBB351_22:                             ;   in Loop: Header=BB351_13 Depth=2
	s_or_b64 exec, exec, s[10:11]
	v_add_u32_e32 v1, 0x1000, v0
	ds_read2_b32 v[78:79], v1 offset1:32
	ds_read2_b32 v[80:81], v1 offset0:128 offset1:160
	v_add_u32_e32 v1, 0x1400, v0
	ds_read2_b32 v[82:83], v1 offset1:32
	ds_read2_b32 v[84:85], v1 offset0:128 offset1:160
	v_add_u32_e32 v1, 0x1800, v0
	s_waitcnt lgkmcnt(3)
	v_mfma_f32_16x16x32_fp8_fp8 v[32:35], v[78:79], v[94:95], v[20:23]
	ds_read2_b32 v[86:87], v1 offset1:32
	ds_read2_b32 v[88:89], v1 offset0:128 offset1:160
	v_add_u32_e32 v1, 0x1c00, v0
	ds_read2_b32 v[90:91], v1 offset1:32
	ds_read2_b32 v[92:93], v1 offset0:128 offset1:160
	s_waitcnt lgkmcnt(6)
	v_mfma_f32_16x16x32_fp8_fp8 v[32:35], v[80:81], v[96:97], v[32:35]
	ds_read_b32 v1, v51 offset:57352
	ds_write_b32 v51, v58 offset:57348
	s_waitcnt lgkmcnt(1)
	v_cmp_ne_u32_e32 vcc, v1, v50
	v_mfma_f32_16x16x32_fp8_fp8 v[32:35], v[82:83], v[98:99], v[32:35]
	v_mfma_f32_16x16x32_fp8_fp8 v[32:35], v[84:85], v[100:101], v[32:35]
	;; [unrolled: 1-line block ×6, first 2 shown]
	s_and_saveexec_b64 s[10:11], vcc
	s_cbranch_execz .LBB351_25
; %bb.23:                               ;   in Loop: Header=BB351_13 Depth=2
	s_mov_b64 s[12:13], 0
.LBB351_24:                             ;   Parent Loop BB351_7 Depth=1
                                        ;     Parent Loop BB351_13 Depth=2
                                        ; =>    This Inner Loop Header: Depth=3
	;;#ASMSTART
	s_sleep 0
	;;#ASMEND
	ds_read_b32 v1, v51 offset:57352
	s_waitcnt lgkmcnt(0)
	v_cmp_eq_u32_e32 vcc, v1, v50
	s_or_b64 s[12:13], vcc, s[12:13]
	s_andn2_b64 exec, exec, s[12:13]
	s_cbranch_execnz .LBB351_24
.LBB351_25:                             ;   in Loop: Header=BB351_13 Depth=2
	s_or_b64 exec, exec, s[10:11]
	v_add_u32_e32 v1, 0x2000, v0
	ds_read2_b32 v[110:111], v1 offset1:32
	ds_read2_b32 v[112:113], v1 offset0:128 offset1:160
	v_add_u32_e32 v1, 0x2400, v0
	ds_read2_b32 v[114:115], v1 offset1:32
	ds_read2_b32 v[116:117], v1 offset0:128 offset1:160
	v_add_u32_e32 v1, 0x2800, v0
	s_waitcnt lgkmcnt(3)
	v_mfma_f32_16x16x32_fp8_fp8 v[20:23], v[110:111], v[94:95], v[40:43]
	ds_read2_b32 v[118:119], v1 offset1:32
	ds_read2_b32 v[120:121], v1 offset0:128 offset1:160
	v_add_u32_e32 v1, 0x2c00, v0
	ds_read2_b32 v[122:123], v1 offset1:32
	ds_read2_b32 v[124:125], v1 offset0:128 offset1:160
	s_waitcnt lgkmcnt(6)
	v_mfma_f32_16x16x32_fp8_fp8 v[20:23], v[112:113], v[96:97], v[20:23]
	ds_read_b32 v1, v51 offset:57356
	ds_write_b32 v51, v58 offset:57352
	s_waitcnt lgkmcnt(1)
	v_cmp_ne_u32_e32 vcc, v1, v50
	v_mfma_f32_16x16x32_fp8_fp8 v[20:23], v[114:115], v[98:99], v[20:23]
	v_mfma_f32_16x16x32_fp8_fp8 v[20:23], v[116:117], v[100:101], v[20:23]
	;; [unrolled: 1-line block ×6, first 2 shown]
	s_and_saveexec_b64 s[10:11], vcc
	s_cbranch_execz .LBB351_28
; %bb.26:                               ;   in Loop: Header=BB351_13 Depth=2
	s_mov_b64 s[12:13], 0
.LBB351_27:                             ;   Parent Loop BB351_7 Depth=1
                                        ;     Parent Loop BB351_13 Depth=2
                                        ; =>    This Inner Loop Header: Depth=3
	;;#ASMSTART
	s_sleep 0
	;;#ASMEND
	ds_read_b32 v1, v51 offset:57356
	s_waitcnt lgkmcnt(0)
	v_cmp_eq_u32_e32 vcc, v1, v50
	s_or_b64 s[12:13], vcc, s[12:13]
	s_andn2_b64 exec, exec, s[12:13]
	s_cbranch_execnz .LBB351_27
.LBB351_28:                             ;   in Loop: Header=BB351_13 Depth=2
	s_or_b64 exec, exec, s[10:11]
	v_add_u32_e32 v1, 0x3000, v0
	ds_read2_b32 v[126:127], v1 offset1:32
	ds_read2_b32 v[56:57], v1 offset0:128 offset1:160
	v_add_u32_e32 v1, 0x3400, v0
	v_mov_b32_e32 v20, v54
	ds_read2_b32 v[54:55], v1 offset1:32
	s_waitcnt lgkmcnt(2)
	v_mfma_f32_16x16x32_fp8_fp8 v[8:11], v[126:127], v[94:95], v[8:11]
	ds_read2_b32 v[52:53], v1 offset0:128 offset1:160
	v_add_u32_e32 v1, 0x3800, v0
	v_add_u32_e32 v16, 0x3c00, v0
	s_waitcnt lgkmcnt(2)
	v_mfma_f32_16x16x32_fp8_fp8 v[8:11], v[56:57], v[96:97], v[8:11]
	ds_read2_b32 v[96:97], v16 offset1:32
	ds_read2_b32 v[94:95], v16 offset0:128 offset1:160
	ds_write_b32 v51, v58 offset:57356
	s_waitcnt lgkmcnt(4)
	v_mfma_f32_16x16x32_fp8_fp8 v[8:11], v[54:55], v[98:99], v[8:11]
	ds_read2_b32 v[98:99], v1 offset1:32
	s_waitcnt lgkmcnt(4)
	v_mfma_f32_16x16x32_fp8_fp8 v[8:11], v[52:53], v[100:101], v[8:11]
	ds_read2_b32 v[100:101], v1 offset0:128 offset1:160
	s_waitcnt lgkmcnt(1)
	v_mfma_f32_16x16x32_fp8_fp8 v[0:3], v[98:99], v[102:103], v[8:11]
	s_nop 4
	ds_read_b32 v8, v60 offset:57380
	s_waitcnt lgkmcnt(1)
	v_mfma_f32_16x16x32_fp8_fp8 v[0:3], v[100:101], v[104:105], v[0:3]
	s_waitcnt lgkmcnt(0)
	v_cmp_ne_u32_e32 vcc, v8, v50
	v_mfma_f32_16x16x32_fp8_fp8 v[0:3], v[96:97], v[108:109], v[0:3]
	v_mfma_f32_16x16x32_fp8_fp8 v[32:35], v[94:95], v[106:107], v[0:3]
	s_and_saveexec_b64 s[10:11], vcc
	s_cbranch_execz .LBB351_31
; %bb.29:                               ;   in Loop: Header=BB351_13 Depth=2
	s_mov_b64 s[12:13], 0
.LBB351_30:                             ;   Parent Loop BB351_7 Depth=1
                                        ;     Parent Loop BB351_13 Depth=2
                                        ; =>    This Inner Loop Header: Depth=3
	;;#ASMSTART
	s_sleep 0
	;;#ASMEND
	s_nop 3
	ds_read_b32 v0, v60 offset:57380
	s_waitcnt lgkmcnt(0)
	v_cmp_eq_u32_e32 vcc, v0, v50
	s_or_b64 s[12:13], vcc, s[12:13]
	s_andn2_b64 exec, exec, s[12:13]
	s_cbranch_execnz .LBB351_30
.LBB351_31:                             ;   in Loop: Header=BB351_13 Depth=2
	s_or_b64 exec, exec, s[10:11]
	scratch_load_dwordx4 v[0:3], off, off   ; 16-byte Folded Reload
	v_add_u32_e32 v8, 0x1000, v49
	ds_read2_b32 v[102:103], v8 offset1:32
	ds_read2_b32 v[104:105], v8 offset0:128 offset1:160
	v_add_u32_e32 v8, 0x1400, v49
	ds_read2_b32 v[106:107], v8 offset1:32
	ds_read2_b32 v[108:109], v8 offset0:128 offset1:160
	;; [unrolled: 3-line block ×4, first 2 shown]
	s_waitcnt vmcnt(0) lgkmcnt(7)
	v_mfma_f32_16x16x32_fp8_fp8 v[0:3], v[62:63], v[102:103], v[0:3]
	s_waitcnt lgkmcnt(6)
	v_mfma_f32_16x16x32_fp8_fp8 v[0:3], v[64:65], v[104:105], v[0:3]
	s_waitcnt lgkmcnt(5)
	;; [unrolled: 2-line block ×7, first 2 shown]
	v_mfma_f32_16x16x32_fp8_fp8 v[0:3], v[76:77], v[18:19], v[0:3]
	s_nop 7
	scratch_store_dwordx4 off, v[0:3], off  ; 16-byte Folded Spill
	scratch_load_dwordx4 v[0:3], off, off offset:16 ; 16-byte Folded Reload
	s_waitcnt vmcnt(0)
	v_mfma_f32_16x16x32_fp8_fp8 v[0:3], v[78:79], v[102:103], v[0:3]
	v_mfma_f32_16x16x32_fp8_fp8 v[0:3], v[80:81], v[104:105], v[0:3]
	;; [unrolled: 1-line block ×8, first 2 shown]
	s_nop 7
	scratch_store_dwordx4 off, v[0:3], off offset:16 ; 16-byte Folded Spill
	scratch_load_dwordx4 v[0:3], off, off offset:32 ; 16-byte Folded Reload
	s_waitcnt vmcnt(0)
	v_mfma_f32_16x16x32_fp8_fp8 v[0:3], v[110:111], v[102:103], v[0:3]
	v_mfma_f32_16x16x32_fp8_fp8 v[0:3], v[112:113], v[104:105], v[0:3]
	;; [unrolled: 1-line block ×8, first 2 shown]
	s_nop 7
	scratch_store_dwordx4 off, v[0:3], off offset:32 ; 16-byte Folded Spill
	scratch_load_dwordx4 v[0:3], off, off offset:48 ; 16-byte Folded Reload
	;;#ASMSTART
	s_waitcnt lgkmcnt(0)
	;;#ASMEND
	ds_write_b32 v60, v58 offset:57380
	s_waitcnt vmcnt(0)
	v_mfma_f32_16x16x32_fp8_fp8 v[0:3], v[126:127], v[102:103], v[0:3]
	v_mfma_f32_16x16x32_fp8_fp8 v[0:3], v[56:57], v[104:105], v[0:3]
	;; [unrolled: 1-line block ×5, first 2 shown]
	ds_read_b32 v8, v60 offset:57384
	s_waitcnt lgkmcnt(0)
	v_cmp_ne_u32_e32 vcc, v8, v50
	v_mfma_f32_16x16x32_fp8_fp8 v[0:3], v[100:101], v[10:11], v[0:3]
	v_mfma_f32_16x16x32_fp8_fp8 v[0:3], v[96:97], v[16:17], v[0:3]
	;; [unrolled: 1-line block ×3, first 2 shown]
	s_and_saveexec_b64 s[10:11], vcc
	s_cbranch_execz .LBB351_12
; %bb.32:                               ;   in Loop: Header=BB351_13 Depth=2
	s_mov_b64 s[12:13], 0
.LBB351_33:                             ;   Parent Loop BB351_7 Depth=1
                                        ;     Parent Loop BB351_13 Depth=2
                                        ; =>    This Inner Loop Header: Depth=3
	;;#ASMSTART
	s_sleep 0
	;;#ASMEND
	s_nop 3
	ds_read_b32 v0, v60 offset:57384
	s_waitcnt lgkmcnt(0)
	v_cmp_eq_u32_e32 vcc, v0, v50
	s_or_b64 s[12:13], vcc, s[12:13]
	s_andn2_b64 exec, exec, s[12:13]
	s_cbranch_execnz .LBB351_33
	s_branch .LBB351_12
.LBB351_34:                             ;   in Loop: Header=BB351_7 Depth=1
	s_or_b64 exec, exec, s[8:9]
	scratch_load_dword v53, off, off offset:84 ; 4-byte Folded Reload
	scratch_load_dwordx2 v[56:57], off, off offset:88 ; 8-byte Folded Reload
	scratch_load_dword v55, off, off offset:96 ; 4-byte Folded Reload
	scratch_load_dword v57, off, off offset:100 ; 4-byte Folded Reload
	;; [unrolled: 1-line block ×3, first 2 shown]
	scratch_load_dwordx2 v[60:61], off, off offset:116 ; 8-byte Folded Reload
.LBB351_35:                             ;   in Loop: Header=BB351_7 Depth=1
	s_or_b64 exec, exec, s[6:7]
	scratch_load_dword v17, off, off offset:64 ; 4-byte Folded Reload
	scratch_load_dword v18, off, off offset:68 ; 4-byte Folded Reload
	scratch_load_dwordx4 v[28:31], off, off ; 16-byte Folded Reload
	s_waitcnt vmcnt(7)
	v_cmp_le_i32_e32 vcc, s18, v56
	v_mov_b64_e32 v[66:67], v[10:11]
	v_mov_b64_e32 v[64:65], v[8:9]
	s_waitcnt vmcnt(6)
	v_cmp_eq_u32_e64 s[6:7], 2, v55
	v_cmp_eq_u32_e64 s[8:9], 3, v55
	;; [unrolled: 1-line block ×3, first 2 shown]
	v_mov_b64_e32 v[70:71], v[42:43]
	v_mov_b64_e32 v[68:69], v[40:41]
	s_waitcnt vmcnt(5)
	v_cmp_eq_u32_e64 s[12:13], 1, v57
	v_cmp_eq_u32_e64 s[16:17], 3, v57
	s_waitcnt vmcnt(2)
	v_cndmask_b32_e32 v62, 0, v17, vcc
	v_pk_mul_f32 v[8:9], v[62:63], v[44:45] op_sel_hi:[0,1]
	v_cmp_eq_u32_e32 vcc, 1, v55
	v_pk_mul_f32 v[2:3], v[62:63], v[46:47] op_sel_hi:[0,1]
	s_nop 0
	v_cndmask_b32_e32 v0, v8, v9, vcc
	v_cndmask_b32_e64 v0, v0, v2, s[6:7]
	v_cndmask_b32_e64 v0, v0, v3, s[8:9]
	s_waitcnt vmcnt(1)
	ds_bpermute_b32 v10, v18, v0
	s_waitcnt lgkmcnt(0)
	v_cndmask_b32_e64 v0, v3, v10, s[8:9]
	v_or_b32_e32 v3, 16, v56
	v_cmp_le_i32_e64 s[14:15], s18, v3
	v_cndmask_b32_e32 v45, v9, v10, vcc
	v_cndmask_b32_e64 v1, v2, v10, s[6:7]
	v_cndmask_b32_e64 v44, 0, v17, s[14:15]
	;; [unrolled: 1-line block ×3, first 2 shown]
	s_waitcnt vmcnt(0)
	v_pk_mul_f32 v[10:11], v[44:45], v[28:29] op_sel_hi:[0,1]
	v_pk_mul_f32 v[8:9], v[44:45], v[30:31] op_sel_hi:[0,1]
	v_cndmask_b32_e32 v3, v10, v11, vcc
	v_cndmask_b32_e64 v3, v3, v8, s[6:7]
	v_cndmask_b32_e64 v3, v3, v9, s[8:9]
	ds_bpermute_b32 v16, v18, v3
	v_cndmask_b32_e64 v2, v46, v45, s[12:13]
	v_cmp_eq_u32_e64 s[14:15], 2, v57
	s_waitcnt lgkmcnt(0)
	v_cndmask_b32_e64 v42, v8, v16, s[6:7]
	v_or_b32_e32 v8, 32, v56
	v_cmp_le_i32_e64 s[18:19], s18, v8
	v_cndmask_b32_e32 v49, v11, v16, vcc
	v_cndmask_b32_e64 v51, v10, v16, s[10:11]
	v_cndmask_b32_e64 v40, 0, v17, s[18:19]
	v_pk_mul_f32 v[10:11], v[40:41], v[36:37] op_sel_hi:[0,1]
	v_cndmask_b32_e64 v3, v9, v16, s[8:9]
	v_pk_mul_f32 v[8:9], v[40:41], v[38:39] op_sel_hi:[0,1]
	v_cndmask_b32_e32 v16, v10, v11, vcc
	v_cndmask_b32_e64 v16, v16, v8, s[6:7]
	v_cndmask_b32_e64 v16, v16, v9, s[8:9]
	ds_bpermute_b32 v16, v18, v16
	v_cmp_ne_u32_e32 vcc, 0, v55
	v_cndmask_b32_e64 v17, v51, v49, s[12:13]
	v_cndmask_b32_e64 v2, v2, v1, s[14:15]
	;; [unrolled: 1-line block ×3, first 2 shown]
	s_waitcnt lgkmcnt(0)
	v_cndmask_b32_e32 v36, v11, v16, vcc
	v_cndmask_b32_e64 v37, v10, v16, s[10:11]
	v_cndmask_b32_e64 v43, v8, v16, s[6:7]
	;; [unrolled: 1-line block ×8, first 2 shown]
	ds_bpermute_b32 v2, v18, v2
	ds_bpermute_b32 v38, v18, v17
	;; [unrolled: 1-line block ×3, first 2 shown]
	v_add_u32_e32 v41, s65, v58
	v_cmp_gt_u32_e32 vcc, 64, v41
	s_and_saveexec_b64 s[18:19], vcc
	s_cbranch_execz .LBB351_44
; %bb.36:                               ;   in Loop: Header=BB351_7 Depth=1
	scratch_load_dwordx2 v[18:19], off, off offset:108 ; 8-byte Folded Reload
	v_cmp_eq_u32_e64 s[8:9], 1, v57
	v_cmp_eq_u32_e64 s[10:11], 0, v57
	v_cmp_eq_u32_e32 vcc, 3, v57
	s_waitcnt lgkmcnt(2)
	v_cndmask_b32_e64 v8, v45, v2, s[8:9]
	s_waitcnt lgkmcnt(1)
	v_cndmask_b32_e64 v10, v49, v38, s[8:9]
	;; [unrolled: 2-line block ×3, first 2 shown]
	s_mul_i32 s8, s63, s21
	s_ashr_i32 s9, s8, 31
	s_lshl_b64 s[8:9], s[8:9], 1
	v_cndmask_b32_e64 v9, v46, v2, s[10:11]
	v_cndmask_b32_e64 v11, v51, v38, s[10:11]
	;; [unrolled: 1-line block ×3, first 2 shown]
	s_add_u32 s10, s40, s8
	s_addc_u32 s11, s41, s9
	s_ashr_i32 s35, s34, 31
	v_cvt_f16_f32_e32 v9, v9
	v_cvt_f16_f32_sdwa v8, v8 dst_sel:WORD_1 dst_unused:UNUSED_PAD src0_sel:DWORD
	s_lshl_b64 s[8:9], s[34:35], 1
	v_cvt_f16_f32_e32 v11, v11
	v_cvt_f16_f32_sdwa v10, v10 dst_sel:WORD_1 dst_unused:UNUSED_PAD src0_sel:DWORD
	s_add_u32 s48, s10, s8
	v_cvt_f16_f32_e32 v17, v17
	v_cvt_f16_f32_sdwa v16, v16 dst_sel:WORD_1 dst_unused:UNUSED_PAD src0_sel:DWORD
	s_addc_u32 s49, s11, s9
	v_or_b32_e32 v8, v8, v9
	v_cmp_eq_u32_e64 s[6:7], 2, v57
	v_or_b32_e32 v10, v10, v11
	v_cmp_gt_u32_e64 s[8:9], 62, v41
	s_waitcnt vmcnt(0)
	v_lshl_add_u64 v[36:37], v[18:19], 1, s[48:49]
	;;#ASMSTART
	global_atomic_pk_add_f16 v[36:37], v8, off
	
	;;#ASMEND
	v_lshl_add_u64 v[8:9], v[36:37], 0, 32
	;;#ASMSTART
	global_atomic_pk_add_f16 v[8:9], v10, off
	
	;;#ASMEND
	v_lshl_add_u64 v[8:9], v[36:37], 0, 64
	v_or_b32_e32 v10, v16, v17
	;;#ASMSTART
	global_atomic_pk_add_f16 v[8:9], v10, off
	
	;;#ASMEND
	s_and_b64 exec, exec, s[8:9]
	s_cbranch_execz .LBB351_44
; %bb.37:                               ;   in Loop: Header=BB351_7 Depth=1
	v_cndmask_b32_e32 v0, v0, v2, vcc
	v_cndmask_b32_e64 v1, v1, v2, s[6:7]
	v_cndmask_b32_e32 v2, v3, v38, vcc
	v_cndmask_b32_e64 v3, v42, v38, s[6:7]
	v_cvt_f16_f32_e32 v8, v1
	v_cvt_f16_f32_sdwa v9, v0 dst_sel:WORD_1 dst_unused:UNUSED_PAD src0_sel:DWORD
	v_cvt_f16_f32_e32 v10, v3
	v_cvt_f16_f32_sdwa v11, v2 dst_sel:WORD_1 dst_unused:UNUSED_PAD src0_sel:DWORD
	v_mov_b32_e32 v63, v62
	v_lshl_add_u64 v[0:1], s[28:29], 2, v[36:37]
	v_or_b32_e32 v2, v9, v8
	;;#ASMSTART
	global_atomic_pk_add_f16 v[0:1], v2, off
	
	;;#ASMEND
	v_or_b32_e32 v18, v11, v10
	v_pk_mul_f32 v[10:11], v[62:63], v[20:21]
	scratch_load_dword v20, off, off offset:68 ; 4-byte Folded Reload
	v_lshl_add_u64 v[2:3], v[0:1], 0, 32
	;;#ASMSTART
	global_atomic_pk_add_f16 v[2:3], v18, off
	
	;;#ASMEND
	scratch_load_dwordx4 v[28:31], off, off offset:16 ; 16-byte Folded Reload
	v_cndmask_b32_e32 v16, v39, v47, vcc
	v_mov_b32_e32 v8, v62
	v_mov_b32_e32 v9, v62
	v_cmp_eq_u32_e32 vcc, 1, v55
	v_cndmask_b32_e64 v17, v43, v47, s[6:7]
	v_pk_mul_f32 v[8:9], v[8:9], v[22:23]
	v_cndmask_b32_e32 v19, v10, v11, vcc
	v_cmp_eq_u32_e64 s[6:7], 2, v55
	v_cmp_eq_u32_e64 s[8:9], 3, v55
	v_mov_b32_e32 v45, v44
	v_cndmask_b32_e64 v19, v19, v8, s[6:7]
	v_cndmask_b32_e64 v19, v19, v9, s[8:9]
	v_cmp_eq_u32_e64 s[10:11], 0, v55
	v_mov_b32_e32 v2, v44
	v_mov_b32_e32 v3, v44
	v_cvt_f16_f32_e32 v18, v17
	v_cvt_f16_f32_sdwa v35, v16 dst_sel:WORD_1 dst_unused:UNUSED_PAD src0_sel:DWORD
	v_lshl_add_u64 v[16:17], v[0:1], 0, 64
	v_mov_b32_e32 v41, v40
	v_cmp_eq_u32_e64 s[12:13], 1, v57
	v_cmp_eq_u32_e64 s[14:15], 2, v57
	;; [unrolled: 1-line block ×3, first 2 shown]
	s_waitcnt vmcnt(1)
	ds_bpermute_b32 v19, v20, v19
	s_waitcnt lgkmcnt(0)
	v_cndmask_b32_e32 v32, v11, v19, vcc
	v_cndmask_b32_e64 v33, v10, v19, s[10:11]
	s_waitcnt vmcnt(0)
	v_pk_mul_f32 v[10:11], v[44:45], v[28:29]
	v_cndmask_b32_e64 v0, v9, v19, s[8:9]
	v_cndmask_b32_e64 v1, v8, v19, s[6:7]
	v_pk_mul_f32 v[8:9], v[2:3], v[30:31]
	v_cndmask_b32_e32 v2, v10, v11, vcc
	v_cndmask_b32_e64 v2, v2, v8, s[6:7]
	v_cndmask_b32_e64 v2, v2, v9, s[8:9]
	ds_bpermute_b32 v29, v20, v2
	v_cndmask_b32_e64 v19, v33, v32, s[12:13]
	v_cndmask_b32_e64 v2, v19, v1, s[14:15]
	;; [unrolled: 1-line block ×3, first 2 shown]
	ds_bpermute_b32 v2, v20, v2
	s_waitcnt lgkmcnt(1)
	v_cndmask_b32_e64 v3, v9, v29, s[8:9]
	v_cndmask_b32_e64 v28, v8, v29, s[6:7]
	v_cndmask_b32_e32 v31, v11, v29, vcc
	v_cndmask_b32_e64 v34, v10, v29, s[10:11]
	v_mov_b32_e32 v8, v40
	v_mov_b32_e32 v9, v40
	v_pk_mul_f32 v[10:11], v[40:41], v[24:25]
	v_pk_mul_f32 v[8:9], v[8:9], v[26:27]
	v_cndmask_b32_e32 v19, v10, v11, vcc
	v_cndmask_b32_e64 v19, v19, v8, s[6:7]
	v_cndmask_b32_e64 v19, v19, v9, s[8:9]
	ds_bpermute_b32 v19, v20, v19
	v_cndmask_b32_e64 v24, v34, v31, s[12:13]
	v_cndmask_b32_e64 v24, v24, v28, s[14:15]
	v_cndmask_b32_e64 v24, v24, v3, s[16:17]
	v_cmp_ne_u32_e32 vcc, 0, v55
	ds_bpermute_b32 v26, v20, v24
	s_waitcnt lgkmcnt(1)
	v_cndmask_b32_e64 v25, v10, v19, s[10:11]
	v_cndmask_b32_e32 v24, v11, v19, vcc
	v_cndmask_b32_e64 v29, v8, v19, s[6:7]
	v_cndmask_b32_e64 v8, v25, v24, s[12:13]
	v_cndmask_b32_e64 v27, v9, v19, s[8:9]
	v_cndmask_b32_e64 v8, v8, v29, s[14:15]
	v_cndmask_b32_e64 v8, v8, v27, s[16:17]
	ds_bpermute_b32 v30, v20, v8
	v_or_b32_e32 v8, v35, v18
	;;#ASMSTART
	global_atomic_pk_add_f16 v[16:17], v8, off
	
	;;#ASMEND
	v_or_b32_e32 v8, 16, v58
	v_add_u32_e32 v35, s65, v8
	v_cmp_gt_u32_e32 vcc, 64, v35
	s_and_b64 exec, exec, vcc
	s_cbranch_execz .LBB351_44
; %bb.38:                               ;   in Loop: Header=BB351_7 Depth=1
	scratch_load_dwordx2 v[18:19], off, off offset:124 ; 8-byte Folded Reload
	v_cmp_eq_u32_e64 s[8:9], 1, v57
	v_cmp_eq_u32_e64 s[10:11], 0, v57
	v_cmp_eq_u32_e32 vcc, 3, v57
	v_cndmask_b32_e64 v8, v32, v2, s[8:9]
	v_cndmask_b32_e64 v9, v33, v2, s[10:11]
	s_waitcnt lgkmcnt(1)
	v_cndmask_b32_e64 v10, v31, v26, s[8:9]
	v_cndmask_b32_e64 v11, v34, v26, s[10:11]
	v_cvt_f16_f32_e32 v9, v9
	v_cvt_f16_f32_sdwa v8, v8 dst_sel:WORD_1 dst_unused:UNUSED_PAD src0_sel:DWORD
	s_waitcnt lgkmcnt(0)
	v_cndmask_b32_e64 v16, v24, v30, s[8:9]
	v_cndmask_b32_e64 v17, v25, v30, s[10:11]
	v_cvt_f16_f32_e32 v11, v11
	v_cvt_f16_f32_sdwa v10, v10 dst_sel:WORD_1 dst_unused:UNUSED_PAD src0_sel:DWORD
	v_cvt_f16_f32_e32 v17, v17
	v_cvt_f16_f32_sdwa v16, v16 dst_sel:WORD_1 dst_unused:UNUSED_PAD src0_sel:DWORD
	v_or_b32_e32 v8, v8, v9
	v_cmp_eq_u32_e64 s[6:7], 2, v57
	v_or_b32_e32 v10, v10, v11
	v_cmp_gt_u32_e64 s[8:9], 62, v35
	s_waitcnt vmcnt(0)
	v_lshl_add_u64 v[24:25], v[18:19], 1, s[48:49]
	;;#ASMSTART
	global_atomic_pk_add_f16 v[24:25], v8, off
	
	;;#ASMEND
	v_lshl_add_u64 v[8:9], v[24:25], 0, 32
	;;#ASMSTART
	global_atomic_pk_add_f16 v[8:9], v10, off
	
	;;#ASMEND
	v_lshl_add_u64 v[8:9], v[24:25], 0, 64
	v_or_b32_e32 v10, v16, v17
	;;#ASMSTART
	global_atomic_pk_add_f16 v[8:9], v10, off
	
	;;#ASMEND
	s_and_b64 exec, exec, s[8:9]
	s_cbranch_execz .LBB351_44
; %bb.39:                               ;   in Loop: Header=BB351_7 Depth=1
	v_cndmask_b32_e32 v0, v0, v2, vcc
	v_cndmask_b32_e64 v1, v1, v2, s[6:7]
	v_cvt_f16_f32_e32 v8, v1
	v_cvt_f16_f32_sdwa v9, v0 dst_sel:WORD_1 dst_unused:UNUSED_PAD src0_sel:DWORD
	v_cndmask_b32_e32 v2, v3, v26, vcc
	v_cndmask_b32_e64 v3, v28, v26, s[6:7]
	v_cndmask_b32_e32 v16, v27, v30, vcc
	v_lshl_add_u64 v[0:1], s[28:29], 2, v[24:25]
	v_cvt_f16_f32_sdwa v11, v2 dst_sel:WORD_1 dst_unused:UNUSED_PAD src0_sel:DWORD
	v_or_b32_e32 v2, v9, v8
	;;#ASMSTART
	global_atomic_pk_add_f16 v[0:1], v2, off
	
	;;#ASMEND
	scratch_load_dword v27, off, off offset:68 ; 4-byte Folded Reload
	v_cvt_f16_f32_e32 v10, v3
	v_cndmask_b32_e64 v17, v29, v30, s[6:7]
	v_lshl_add_u64 v[2:3], v[0:1], 0, 32
	v_mov_b32_e32 v8, v62
	v_or_b32_e32 v18, v11, v10
	;;#ASMSTART
	global_atomic_pk_add_f16 v[2:3], v18, off
	
	;;#ASMEND
	scratch_load_dwordx4 v[28:31], off, off offset:32 ; 16-byte Folded Reload
	v_mov_b32_e32 v9, v62
	v_pk_mul_f32 v[10:11], v[62:63], v[68:69]
	v_cmp_eq_u32_e32 vcc, 1, v55
	v_pk_mul_f32 v[8:9], v[8:9], v[70:71]
	v_cmp_eq_u32_e64 s[6:7], 2, v55
	v_cndmask_b32_e32 v19, v10, v11, vcc
	v_cmp_eq_u32_e64 s[8:9], 3, v55
	v_cndmask_b32_e64 v19, v19, v8, s[6:7]
	v_cmp_eq_u32_e64 s[10:11], 0, v55
	v_cndmask_b32_e64 v19, v19, v9, s[8:9]
	v_mov_b32_e32 v2, v44
	v_mov_b32_e32 v3, v44
	v_lshl_add_u64 v[24:25], v[0:1], 0, 64
	v_cvt_f16_f32_e32 v23, v17
	v_cmp_eq_u32_e64 s[12:13], 1, v57
	v_cvt_f16_f32_sdwa v26, v16 dst_sel:WORD_1 dst_unused:UNUSED_PAD src0_sel:DWORD
	v_cmp_eq_u32_e64 s[14:15], 2, v57
	v_cmp_eq_u32_e64 s[16:17], 3, v57
	s_waitcnt vmcnt(1)
	ds_bpermute_b32 v19, v27, v19
	s_waitcnt lgkmcnt(0)
	v_cndmask_b32_e32 v20, v11, v19, vcc
	v_cndmask_b32_e64 v21, v10, v19, s[10:11]
	s_waitcnt vmcnt(0)
	v_pk_mul_f32 v[10:11], v[44:45], v[28:29]
	v_cndmask_b32_e64 v0, v9, v19, s[8:9]
	v_cndmask_b32_e64 v1, v8, v19, s[6:7]
	v_pk_mul_f32 v[8:9], v[2:3], v[30:31]
	v_cndmask_b32_e32 v2, v10, v11, vcc
	v_cndmask_b32_e64 v2, v2, v8, s[6:7]
	v_cndmask_b32_e64 v2, v2, v9, s[8:9]
	ds_bpermute_b32 v17, v27, v2
	v_cndmask_b32_e64 v16, v21, v20, s[12:13]
	v_cndmask_b32_e64 v2, v16, v1, s[14:15]
	;; [unrolled: 1-line block ×3, first 2 shown]
	ds_bpermute_b32 v2, v27, v2
	s_waitcnt lgkmcnt(1)
	v_cndmask_b32_e64 v3, v9, v17, s[8:9]
	v_cndmask_b32_e64 v16, v8, v17, s[6:7]
	v_cndmask_b32_e32 v19, v11, v17, vcc
	v_cndmask_b32_e64 v22, v10, v17, s[10:11]
	v_mov_b32_e32 v8, v40
	v_mov_b32_e32 v9, v40
	v_pk_mul_f32 v[10:11], v[40:41], v[12:13]
	v_pk_mul_f32 v[8:9], v[8:9], v[14:15]
	v_cndmask_b32_e32 v12, v10, v11, vcc
	v_cndmask_b32_e64 v12, v12, v8, s[6:7]
	v_cndmask_b32_e64 v12, v12, v9, s[8:9]
	ds_bpermute_b32 v13, v27, v12
	v_cndmask_b32_e64 v12, v22, v19, s[12:13]
	v_cndmask_b32_e64 v12, v12, v16, s[14:15]
	;; [unrolled: 1-line block ×3, first 2 shown]
	v_cmp_ne_u32_e32 vcc, 0, v55
	ds_bpermute_b32 v14, v27, v12
	s_waitcnt lgkmcnt(1)
	v_cndmask_b32_e64 v15, v9, v13, s[8:9]
	v_cndmask_b32_e64 v17, v8, v13, s[6:7]
	v_cndmask_b32_e32 v12, v11, v13, vcc
	v_cndmask_b32_e64 v13, v10, v13, s[10:11]
	v_cndmask_b32_e64 v8, v13, v12, s[12:13]
	;; [unrolled: 1-line block ×4, first 2 shown]
	ds_bpermute_b32 v18, v27, v8
	v_or_b32_e32 v8, v26, v23
	;;#ASMSTART
	global_atomic_pk_add_f16 v[24:25], v8, off
	
	;;#ASMEND
	v_or_b32_e32 v8, 32, v58
	v_add_u32_e32 v23, s65, v8
	v_cmp_gt_u32_e32 vcc, 64, v23
	s_and_b64 exec, exec, vcc
	s_cbranch_execz .LBB351_44
; %bb.40:                               ;   in Loop: Header=BB351_7 Depth=1
	v_cmp_eq_u32_e64 s[8:9], 1, v57
	v_cmp_eq_u32_e64 s[10:11], 0, v57
	v_cmp_eq_u32_e32 vcc, 3, v57
	v_cndmask_b32_e64 v8, v20, v2, s[8:9]
	s_waitcnt lgkmcnt(1)
	v_cndmask_b32_e64 v10, v19, v14, s[8:9]
	s_waitcnt lgkmcnt(0)
	v_cndmask_b32_e64 v19, v12, v18, s[8:9]
	v_cndmask_b32_e64 v20, v13, v18, s[10:11]
	scratch_load_dwordx2 v[12:13], off, off offset:132 ; 8-byte Folded Reload
	v_cndmask_b32_e64 v9, v21, v2, s[10:11]
	v_cndmask_b32_e64 v11, v22, v14, s[10:11]
	v_cvt_f16_f32_e32 v9, v9
	v_cvt_f16_f32_sdwa v8, v8 dst_sel:WORD_1 dst_unused:UNUSED_PAD src0_sel:DWORD
	v_cvt_f16_f32_e32 v11, v11
	v_cvt_f16_f32_sdwa v10, v10 dst_sel:WORD_1 dst_unused:UNUSED_PAD src0_sel:DWORD
	;; [unrolled: 2-line block ×3, first 2 shown]
	v_or_b32_e32 v8, v8, v9
	v_cmp_eq_u32_e64 s[6:7], 2, v57
	v_or_b32_e32 v10, v10, v11
	v_cmp_gt_u32_e64 s[8:9], 62, v23
	s_waitcnt vmcnt(0)
	v_lshl_add_u64 v[12:13], v[12:13], 1, s[48:49]
	;;#ASMSTART
	global_atomic_pk_add_f16 v[12:13], v8, off
	
	;;#ASMEND
	v_lshl_add_u64 v[8:9], v[12:13], 0, 32
	;;#ASMSTART
	global_atomic_pk_add_f16 v[8:9], v10, off
	
	;;#ASMEND
	v_lshl_add_u64 v[8:9], v[12:13], 0, 64
	v_or_b32_e32 v10, v19, v20
	;;#ASMSTART
	global_atomic_pk_add_f16 v[8:9], v10, off
	
	;;#ASMEND
	s_and_b64 exec, exec, s[8:9]
	s_cbranch_execz .LBB351_44
; %bb.41:                               ;   in Loop: Header=BB351_7 Depth=1
	v_cndmask_b32_e32 v0, v0, v2, vcc
	v_cndmask_b32_e64 v1, v1, v2, s[6:7]
	v_cvt_f16_f32_e32 v8, v1
	v_cvt_f16_f32_sdwa v9, v0 dst_sel:WORD_1 dst_unused:UNUSED_PAD src0_sel:DWORD
	v_cndmask_b32_e32 v2, v3, v14, vcc
	v_lshl_add_u64 v[0:1], s[28:29], 2, v[12:13]
	v_cvt_f16_f32_sdwa v11, v2 dst_sel:WORD_1 dst_unused:UNUSED_PAD src0_sel:DWORD
	v_or_b32_e32 v2, v9, v8
	;;#ASMSTART
	global_atomic_pk_add_f16 v[0:1], v2, off
	
	;;#ASMEND
	scratch_load_dword v22, off, off offset:68 ; 4-byte Folded Reload
	v_cndmask_b32_e64 v3, v16, v14, s[6:7]
	v_cvt_f16_f32_e32 v10, v3
	v_cndmask_b32_e32 v14, v15, v18, vcc
	v_mov_b32_e32 v8, v62
	v_mov_b32_e32 v9, v62
	v_or_b32_e32 v12, v11, v10
	v_pk_mul_f32 v[10:11], v[62:63], v[64:65]
	v_cmp_eq_u32_e32 vcc, 1, v55
	v_cndmask_b32_e64 v15, v17, v18, s[6:7]
	v_pk_mul_f32 v[8:9], v[8:9], v[66:67]
	v_cndmask_b32_e32 v13, v10, v11, vcc
	v_cmp_eq_u32_e64 s[6:7], 2, v55
	v_cmp_eq_u32_e64 s[8:9], 3, v55
	v_lshl_add_u64 v[2:3], v[0:1], 0, 32
	v_cndmask_b32_e64 v13, v13, v8, s[6:7]
	v_cndmask_b32_e64 v13, v13, v9, s[8:9]
	v_cmp_eq_u32_e64 s[10:11], 0, v55
	;;#ASMSTART
	global_atomic_pk_add_f16 v[2:3], v12, off
	
	;;#ASMEND
	v_lshl_add_u64 v[16:17], v[0:1], 0, 64
	v_cvt_f16_f32_e32 v20, v15
	v_cmp_eq_u32_e64 s[12:13], 1, v57
	v_cvt_f16_f32_sdwa v21, v14 dst_sel:WORD_1 dst_unused:UNUSED_PAD src0_sel:DWORD
	v_cmp_eq_u32_e64 s[14:15], 2, v57
	v_pk_mul_f32 v[18:19], v[40:41], v[4:5]
	v_cmp_eq_u32_e64 s[16:17], 3, v57
	v_cndmask_b32_e32 v4, v18, v19, vcc
	s_waitcnt vmcnt(0)
	ds_bpermute_b32 v13, v22, v13
	s_waitcnt lgkmcnt(0)
	v_cndmask_b32_e64 v2, v9, v13, s[8:9]
	v_cndmask_b32_e64 v3, v8, v13, s[6:7]
	v_cndmask_b32_e32 v0, v11, v13, vcc
	v_cndmask_b32_e64 v1, v10, v13, s[10:11]
	v_mov_b32_e32 v8, v44
	v_mov_b32_e32 v9, v44
	v_pk_mul_f32 v[12:13], v[44:45], v[102:103]
	v_pk_mul_f32 v[10:11], v[8:9], v[104:105]
	v_cndmask_b32_e32 v8, v12, v13, vcc
	v_cndmask_b32_e64 v8, v8, v10, s[6:7]
	v_cndmask_b32_e64 v8, v8, v11, s[8:9]
	ds_bpermute_b32 v15, v22, v8
	v_cndmask_b32_e64 v14, v1, v0, s[12:13]
	v_cndmask_b32_e64 v8, v14, v3, s[14:15]
	v_mov_b32_e32 v14, v40
	v_cndmask_b32_e64 v8, v8, v2, s[16:17]
	s_waitcnt lgkmcnt(0)
	v_cndmask_b32_e64 v9, v11, v15, s[8:9]
	v_cndmask_b32_e64 v10, v10, v15, s[6:7]
	v_cndmask_b32_e32 v11, v13, v15, vcc
	v_cndmask_b32_e64 v12, v12, v15, s[10:11]
	v_mov_b32_e32 v15, v40
	v_pk_mul_f32 v[14:15], v[14:15], v[6:7]
	v_cmp_ne_u32_e32 vcc, 0, v55
	v_cndmask_b32_e64 v4, v4, v14, s[6:7]
	v_cndmask_b32_e64 v4, v4, v15, s[8:9]
	ds_bpermute_b32 v7, v22, v4
	v_cndmask_b32_e64 v4, v12, v11, s[12:13]
	v_cndmask_b32_e64 v4, v4, v10, s[14:15]
	;; [unrolled: 1-line block ×3, first 2 shown]
	ds_bpermute_b32 v6, v22, v4
	s_waitcnt lgkmcnt(1)
	v_cndmask_b32_e64 v4, v15, v7, s[8:9]
	v_cndmask_b32_e64 v5, v14, v7, s[6:7]
	v_cndmask_b32_e32 v14, v19, v7, vcc
	v_cndmask_b32_e64 v15, v18, v7, s[10:11]
	v_cndmask_b32_e64 v7, v15, v14, s[12:13]
	;; [unrolled: 1-line block ×4, first 2 shown]
	ds_bpermute_b32 v8, v22, v8
	ds_bpermute_b32 v7, v22, v7
	v_or_b32_e32 v13, v21, v20
	;;#ASMSTART
	global_atomic_pk_add_f16 v[16:17], v13, off
	
	;;#ASMEND
	v_or_b32_e32 v13, 48, v58
	v_add_u32_e32 v13, s65, v13
	v_cmp_gt_u32_e32 vcc, 64, v13
	s_and_b64 exec, exec, vcc
	s_cbranch_execz .LBB351_44
; %bb.42:                               ;   in Loop: Header=BB351_7 Depth=1
	v_cmp_eq_u32_e64 s[8:9], 1, v57
	v_cmp_eq_u32_e64 s[10:11], 0, v57
	v_cmp_eq_u32_e32 vcc, 3, v57
	s_waitcnt lgkmcnt(1)
	v_cndmask_b32_e64 v0, v0, v8, s[8:9]
	v_cndmask_b32_e64 v1, v1, v8, s[10:11]
	v_cvt_f16_f32_e32 v16, v1
	v_cvt_f16_f32_sdwa v17, v0 dst_sel:WORD_1 dst_unused:UNUSED_PAD src0_sel:DWORD
	scratch_load_dwordx2 v[0:1], off, off offset:140 ; 8-byte Folded Reload
	v_cndmask_b32_e64 v11, v11, v6, s[8:9]
	v_cndmask_b32_e64 v12, v12, v6, s[10:11]
	s_waitcnt lgkmcnt(0)
	v_cndmask_b32_e64 v18, v14, v7, s[8:9]
	v_cndmask_b32_e64 v19, v15, v7, s[10:11]
	v_cvt_f16_f32_e32 v12, v12
	v_cvt_f16_f32_sdwa v11, v11 dst_sel:WORD_1 dst_unused:UNUSED_PAD src0_sel:DWORD
	v_or_b32_e32 v14, v17, v16
	v_cvt_f16_f32_e32 v16, v19
	v_cvt_f16_f32_sdwa v17, v18 dst_sel:WORD_1 dst_unused:UNUSED_PAD src0_sel:DWORD
	v_cmp_eq_u32_e64 s[6:7], 2, v57
	v_or_b32_e32 v11, v11, v12
	v_cmp_gt_u32_e64 s[8:9], 62, v13
	s_waitcnt vmcnt(0)
	v_lshl_add_u64 v[0:1], v[0:1], 1, s[48:49]
	;;#ASMSTART
	global_atomic_pk_add_f16 v[0:1], v14, off
	
	;;#ASMEND
	v_lshl_add_u64 v[14:15], v[0:1], 0, 32
	;;#ASMSTART
	global_atomic_pk_add_f16 v[14:15], v11, off
	
	;;#ASMEND
	v_lshl_add_u64 v[14:15], v[0:1], 0, 64
	v_or_b32_e32 v11, v17, v16
	;;#ASMSTART
	global_atomic_pk_add_f16 v[14:15], v11, off
	
	;;#ASMEND
	s_and_b64 exec, exec, s[8:9]
	s_cbranch_execz .LBB351_44
; %bb.43:                               ;   in Loop: Header=BB351_7 Depth=1
	v_cndmask_b32_e32 v2, v2, v8, vcc
	v_cndmask_b32_e64 v3, v3, v8, s[6:7]
	v_cvt_f16_f32_e32 v3, v3
	v_cvt_f16_f32_sdwa v2, v2 dst_sel:WORD_1 dst_unused:UNUSED_PAD src0_sel:DWORD
	v_cndmask_b32_e32 v8, v9, v6, vcc
	v_cndmask_b32_e64 v6, v10, v6, s[6:7]
	v_cndmask_b32_e32 v4, v4, v7, vcc
	v_cndmask_b32_e64 v5, v5, v7, s[6:7]
	v_cvt_f16_f32_e32 v6, v6
	v_cvt_f16_f32_sdwa v7, v8 dst_sel:WORD_1 dst_unused:UNUSED_PAD src0_sel:DWORD
	v_cvt_f16_f32_e32 v5, v5
	v_cvt_f16_f32_sdwa v4, v4 dst_sel:WORD_1 dst_unused:UNUSED_PAD src0_sel:DWORD
	v_lshl_add_u64 v[0:1], s[28:29], 2, v[0:1]
	v_or_b32_e32 v2, v2, v3
	;;#ASMSTART
	global_atomic_pk_add_f16 v[0:1], v2, off
	
	;;#ASMEND
	v_lshl_add_u64 v[2:3], v[0:1], 0, 32
	v_or_b32_e32 v6, v7, v6
	;;#ASMSTART
	global_atomic_pk_add_f16 v[2:3], v6, off
	
	;;#ASMEND
	;; [unrolled: 6-line block ×3, first 2 shown]
.LBB351_44:                             ;   in Loop: Header=BB351_7 Depth=1
	s_or_b64 exec, exec, s[18:19]
	scratch_load_dword v22, off, off offset:72 ; 4-byte Folded Reload
	v_subrev_u32_e32 v59, s66, v59
.LBB351_45:                             ;   in Loop: Header=BB351_7 Depth=1
	s_or_b64 exec, exec, s[46:47]
.LBB351_46:                             ;   in Loop: Header=BB351_7 Depth=1
	s_andn2_saveexec_b64 s[6:7], s[44:45]
	s_cbranch_execz .LBB351_55
; %bb.47:                               ;   in Loop: Header=BB351_7 Depth=1
	s_mul_i32 s16, s66, 3
	v_cmp_gt_i32_e32 vcc, s16, v59
	s_and_saveexec_b64 s[8:9], vcc
	s_cbranch_execz .LBB351_54
; %bb.48:                               ;   in Loop: Header=BB351_7 Depth=1
	scratch_load_dwordx2 v[0:1], off, off offset:76 ; 8-byte Folded Reload
	s_mul_i32 s10, s34, s23
	s_ashr_i32 s11, s10, 31
	s_waitcnt lgkmcnt(0)
	s_add_u32 s10, s38, s10
	s_addc_u32 s11, s39, s11
	s_ashr_i32 s12, s64, 31
	s_add_u32 s10, s10, s64
	s_addc_u32 s11, s11, s12
	s_waitcnt vmcnt(0)
	v_lshl_add_u64 v[0:1], s[10:11], 0, v[0:1]
	v_lshl_add_u64 v[16:17], v[0:1], 0, v[60:61]
	s_mov_b64 s[10:11], 0
	s_branch .LBB351_50
.LBB351_49:                             ;   in Loop: Header=BB351_50 Depth=2
	s_or_b64 exec, exec, s[12:13]
	v_or_b32_e32 v20, 0x8000, v48
	v_lshl_add_u32 v20, v18, 12, v20
	;;#ASMSTART
	s_waitcnt vmcnt(3)
	;;#ASMEND
	ds_write2_b32 v20, v12, v13 offset1:32
	ds_write2_b32 v20, v14, v15 offset0:64 offset1:96
	v_add_u32_e32 v12, 0x400, v20
	;;#ASMSTART
	s_waitcnt vmcnt(2)
	;;#ASMEND
	ds_write2_b32 v12, v8, v9 offset1:32
	ds_write2_b32 v12, v10, v11 offset0:64 offset1:96
	v_add_u32_e32 v8, 0x800, v20
	;; [unrolled: 6-line block ×3, first 2 shown]
	v_add_u32_e32 v59, s26, v59
	;;#ASMSTART
	s_waitcnt vmcnt(0)
	;;#ASMEND
	ds_write2_b32 v4, v0, v1 offset1:32
	ds_write2_b32 v4, v2, v3 offset0:64 offset1:96
	v_add_u32_e32 v0, 1, v50
	v_add_u32_e32 v52, s26, v18
	v_cmp_le_i32_e32 vcc, s16, v59
	ds_write_b32 v19, v0 offset:32
	v_add_u32_e32 v0, 2, v50
	s_or_b64 s[10:11], vcc, s[10:11]
	v_cmp_lt_i32_e32 vcc, 5, v52
	s_nop 1
	v_cndmask_b32_e32 v50, v50, v0, vcc
	s_andn2_b64 exec, exec, s[10:11]
	s_cbranch_execz .LBB351_53
.LBB351_50:                             ;   Parent Loop BB351_7 Depth=1
                                        ; =>  This Loop Header: Depth=2
                                        ;       Child Loop BB351_52 Depth 3
	v_cmp_gt_i32_e32 vcc, 6, v52
	s_nop 1
	v_cndmask_b32_e64 v0, -6, 0, vcc
	v_add_u32_e32 v18, v0, v52
	v_mul_hi_i32 v0, v59, s62
	v_lshrrev_b32_e32 v1, 31, v0
	v_add_u32_e32 v0, v0, v1
	v_lshl_add_u32 v1, v0, 1, v0
	v_sub_u32_e32 v2, v59, v1
	v_lshlrev_b32_e32 v0, 8, v0
	v_ashrrev_i32_e32 v1, 31, v0
	v_mul_lo_u32 v2, s55, v2
	v_lshl_add_u64 v[0:1], v[16:17], 0, v[0:1]
	v_ashrrev_i32_e32 v3, 31, v2
	v_lshl_add_u64 v[0:1], v[0:1], 0, v[2:3]
	v_lshlrev_b32_e32 v19, 2, v18
	;;#ASMSTART
	global_load_dwordx4 v[12:15], v[0:1], off offset:0    sc0 sc1 nt  
	global_load_dwordx4 v[8:11], v[0:1], off offset:64   sc0 sc1 nt  
	global_load_dwordx4 v[4:7], v[0:1], off offset:128  sc0 sc1 nt  
	global_load_dwordx4 v[0:3], v[0:1], off offset:192  sc0 sc1 nt  
	
	;;#ASMEND
	ds_read_b32 v20, v19 offset:57376
	v_add_u32_e32 v19, 0xe000, v19
	s_waitcnt lgkmcnt(0)
	v_cmp_ne_u32_e32 vcc, v20, v50
	s_and_saveexec_b64 s[12:13], vcc
	s_cbranch_execz .LBB351_49
; %bb.51:                               ;   in Loop: Header=BB351_50 Depth=2
	s_mov_b64 s[14:15], 0
.LBB351_52:                             ;   Parent Loop BB351_7 Depth=1
                                        ;     Parent Loop BB351_50 Depth=2
                                        ; =>    This Inner Loop Header: Depth=3
	;;#ASMSTART
	s_sleep 0
	;;#ASMEND
	ds_read_b32 v20, v19 offset:32
	s_waitcnt lgkmcnt(0)
	v_cmp_eq_u32_e32 vcc, v20, v50
	s_or_b64 s[14:15], vcc, s[14:15]
	s_andn2_b64 exec, exec, s[14:15]
	s_cbranch_execnz .LBB351_52
	s_branch .LBB351_49
.LBB351_53:                             ;   in Loop: Header=BB351_7 Depth=1
	s_or_b64 exec, exec, s[10:11]
.LBB351_54:                             ;   in Loop: Header=BB351_7 Depth=1
	s_or_b64 exec, exec, s[8:9]
	v_subrev_u32_e32 v59, s16, v59
.LBB351_55:                             ;   in Loop: Header=BB351_7 Depth=1
	s_or_b64 exec, exec, s[6:7]
.LBB351_56:                             ;   in Loop: Header=BB351_7 Depth=1
	s_andn2_saveexec_b64 s[6:7], s[30:31]
	s_cbranch_execz .LBB351_6
; %bb.57:                               ;   in Loop: Header=BB351_7 Depth=1
	s_lshl_b32 s16, s66, 2
	v_cmp_gt_i32_e32 vcc, s16, v59
	s_and_saveexec_b64 s[8:9], vcc
	s_cbranch_execz .LBB351_5
; %bb.58:                               ;   in Loop: Header=BB351_7 Depth=1
	s_mul_i32 s63, s63, s22
	s_ashr_i32 s10, s63, 31
	s_waitcnt lgkmcnt(0)
	s_add_u32 s11, s36, s63
	s_waitcnt vmcnt(0)
	v_add_u32_e32 v2, s65, v22
	s_addc_u32 s12, s37, s10
	s_ashr_i32 s13, s64, 31
	v_mul_lo_u32 v0, s22, v22
	v_cmp_gt_u32_e32 vcc, 64, v2
	s_add_u32 s10, s11, s64
	s_addc_u32 s11, s12, s13
	v_cndmask_b32_e32 v0, 0, v0, vcc
	v_ashrrev_i32_e32 v1, 31, v0
	v_lshl_add_u64 v[0:1], s[10:11], 0, v[0:1]
	v_lshl_add_u64 v[16:17], v[0:1], 0, v[60:61]
	v_sub_u32_e32 v18, 63, v2
	s_mov_b64 s[10:11], 0
	s_branch .LBB351_60
.LBB351_59:                             ;   in Loop: Header=BB351_60 Depth=2
	s_or_b64 exec, exec, s[12:13]
	v_lshl_or_b32 v21, v19, 12, v48
	;;#ASMSTART
	s_waitcnt vmcnt(3)
	;;#ASMEND
	ds_write2_b32 v21, v12, v13 offset1:32
	ds_write2_b32 v21, v14, v15 offset0:64 offset1:96
	v_add_u32_e32 v12, 0x400, v21
	;;#ASMSTART
	s_waitcnt vmcnt(2)
	;;#ASMEND
	ds_write2_b32 v12, v8, v9 offset1:32
	ds_write2_b32 v12, v10, v11 offset0:64 offset1:96
	v_add_u32_e32 v8, 0x800, v21
	;; [unrolled: 6-line block ×3, first 2 shown]
	v_add_u32_e32 v59, s25, v59
	;;#ASMSTART
	s_waitcnt vmcnt(0)
	;;#ASMEND
	ds_write2_b32 v4, v0, v1 offset1:32
	ds_write2_b32 v4, v2, v3 offset0:64 offset1:96
	v_add_u32_e32 v0, 1, v50
	v_add_u32_e32 v52, s25, v19
	v_cmp_le_i32_e32 vcc, s16, v59
	ds_write_b32 v20, v0
	v_add_u32_e32 v0, 2, v50
	s_or_b64 s[10:11], vcc, s[10:11]
	v_cmp_lt_i32_e32 vcc, 7, v52
	s_nop 1
	v_cndmask_b32_e32 v50, v50, v0, vcc
	s_andn2_b64 exec, exec, s[10:11]
	s_cbranch_execz .LBB351_4
.LBB351_60:                             ;   Parent Loop BB351_7 Depth=1
                                        ; =>  This Loop Header: Depth=2
                                        ;       Child Loop BB351_62 Depth 3
	v_cmp_gt_i32_e32 vcc, 8, v52
	s_nop 1
	v_cndmask_b32_e64 v0, -8, 0, vcc
	v_add_u32_e32 v19, v0, v52
	v_ashrrev_i32_e32 v0, 31, v59
	v_lshrrev_b32_e32 v0, 30, v0
	v_add_u32_e32 v0, v59, v0
	v_and_b32_e32 v1, 0xffffffc, v0
	v_sub_u32_e32 v1, v59, v1
	v_lshlrev_b32_e32 v1, 4, v1
	v_cmp_le_i32_e32 vcc, v1, v18
	v_lshlrev_b32_e32 v0, 6, v0
	v_and_b32_e32 v0, 0xffffff00, v0
	v_cndmask_b32_e32 v2, 0, v1, vcc
	v_ashrrev_i32_e32 v1, 31, v0
	v_mul_lo_u32 v2, v2, s22
	v_lshl_add_u64 v[0:1], v[16:17], 0, v[0:1]
	v_ashrrev_i32_e32 v3, 31, v2
	v_lshl_add_u64 v[0:1], v[0:1], 0, v[2:3]
	v_lshlrev_b32_e32 v20, 2, v19
	;;#ASMSTART
	global_load_dwordx4 v[12:15], v[0:1], off offset:0    
	global_load_dwordx4 v[8:11], v[0:1], off offset:64   
	;; [unrolled: 1-line block ×4, first 2 shown]
	
	;;#ASMEND
	ds_read_b32 v21, v20 offset:57344
	v_add_u32_e32 v20, 0xe000, v20
	s_waitcnt lgkmcnt(0)
	v_cmp_ne_u32_e32 vcc, v21, v50
	s_and_saveexec_b64 s[12:13], vcc
	s_cbranch_execz .LBB351_59
; %bb.61:                               ;   in Loop: Header=BB351_60 Depth=2
	s_mov_b64 s[14:15], 0
.LBB351_62:                             ;   Parent Loop BB351_7 Depth=1
                                        ;     Parent Loop BB351_60 Depth=2
                                        ; =>    This Inner Loop Header: Depth=3
	;;#ASMSTART
	s_sleep 0
	;;#ASMEND
	ds_read_b32 v21, v20
	s_waitcnt lgkmcnt(0)
	v_cmp_eq_u32_e32 vcc, v21, v50
	s_or_b64 s[14:15], vcc, s[14:15]
	s_andn2_b64 exec, exec, s[14:15]
	s_cbranch_execnz .LBB351_62
	s_branch .LBB351_59
.LBB351_63:
	s_endpgm
	.section	.rodata,"a",@progbits
	.p2align	6, 0x0
	.amdhsa_kernel _Z19_skinny_gemm_kernelILi4ELi3ELi2ELi16ELi8EEvPKhS1_P6__halfPKfiiiiiiii
		.amdhsa_group_segment_fixed_size 57400
		.amdhsa_private_segment_fixed_size 152
		.amdhsa_kernarg_size 64
		.amdhsa_user_sgpr_count 2
		.amdhsa_user_sgpr_dispatch_ptr 0
		.amdhsa_user_sgpr_queue_ptr 0
		.amdhsa_user_sgpr_kernarg_segment_ptr 1
		.amdhsa_user_sgpr_dispatch_id 0
		.amdhsa_user_sgpr_kernarg_preload_length 0
		.amdhsa_user_sgpr_kernarg_preload_offset 0
		.amdhsa_user_sgpr_private_segment_size 0
		.amdhsa_uses_dynamic_stack 0
		.amdhsa_enable_private_segment 1
		.amdhsa_system_sgpr_workgroup_id_x 1
		.amdhsa_system_sgpr_workgroup_id_y 0
		.amdhsa_system_sgpr_workgroup_id_z 0
		.amdhsa_system_sgpr_workgroup_info 0
		.amdhsa_system_vgpr_workitem_id 0
		.amdhsa_next_free_vgpr 128
		.amdhsa_next_free_sgpr 67
		.amdhsa_accum_offset 128
		.amdhsa_reserve_vcc 1
		.amdhsa_float_round_mode_32 0
		.amdhsa_float_round_mode_16_64 0
		.amdhsa_float_denorm_mode_32 3
		.amdhsa_float_denorm_mode_16_64 3
		.amdhsa_dx10_clamp 1
		.amdhsa_ieee_mode 1
		.amdhsa_fp16_overflow 0
		.amdhsa_tg_split 0
		.amdhsa_exception_fp_ieee_invalid_op 0
		.amdhsa_exception_fp_denorm_src 0
		.amdhsa_exception_fp_ieee_div_zero 0
		.amdhsa_exception_fp_ieee_overflow 0
		.amdhsa_exception_fp_ieee_underflow 0
		.amdhsa_exception_fp_ieee_inexact 0
		.amdhsa_exception_int_div_zero 0
	.end_amdhsa_kernel
	.section	.text._Z19_skinny_gemm_kernelILi4ELi3ELi2ELi16ELi8EEvPKhS1_P6__halfPKfiiiiiiii,"axG",@progbits,_Z19_skinny_gemm_kernelILi4ELi3ELi2ELi16ELi8EEvPKhS1_P6__halfPKfiiiiiiii,comdat
.Lfunc_end351:
	.size	_Z19_skinny_gemm_kernelILi4ELi3ELi2ELi16ELi8EEvPKhS1_P6__halfPKfiiiiiiii, .Lfunc_end351-_Z19_skinny_gemm_kernelILi4ELi3ELi2ELi16ELi8EEvPKhS1_P6__halfPKfiiiiiiii
                                        ; -- End function
	.set _Z19_skinny_gemm_kernelILi4ELi3ELi2ELi16ELi8EEvPKhS1_P6__halfPKfiiiiiiii.num_vgpr, 128
	.set _Z19_skinny_gemm_kernelILi4ELi3ELi2ELi16ELi8EEvPKhS1_P6__halfPKfiiiiiiii.num_agpr, 0
	.set _Z19_skinny_gemm_kernelILi4ELi3ELi2ELi16ELi8EEvPKhS1_P6__halfPKfiiiiiiii.numbered_sgpr, 67
	.set _Z19_skinny_gemm_kernelILi4ELi3ELi2ELi16ELi8EEvPKhS1_P6__halfPKfiiiiiiii.num_named_barrier, 0
	.set _Z19_skinny_gemm_kernelILi4ELi3ELi2ELi16ELi8EEvPKhS1_P6__halfPKfiiiiiiii.private_seg_size, 152
	.set _Z19_skinny_gemm_kernelILi4ELi3ELi2ELi16ELi8EEvPKhS1_P6__halfPKfiiiiiiii.uses_vcc, 1
	.set _Z19_skinny_gemm_kernelILi4ELi3ELi2ELi16ELi8EEvPKhS1_P6__halfPKfiiiiiiii.uses_flat_scratch, 0
	.set _Z19_skinny_gemm_kernelILi4ELi3ELi2ELi16ELi8EEvPKhS1_P6__halfPKfiiiiiiii.has_dyn_sized_stack, 0
	.set _Z19_skinny_gemm_kernelILi4ELi3ELi2ELi16ELi8EEvPKhS1_P6__halfPKfiiiiiiii.has_recursion, 0
	.set _Z19_skinny_gemm_kernelILi4ELi3ELi2ELi16ELi8EEvPKhS1_P6__halfPKfiiiiiiii.has_indirect_call, 0
	.section	.AMDGPU.csdata,"",@progbits
; Kernel info:
; codeLenInByte = 8584
; TotalNumSgprs: 73
; NumVgprs: 128
; NumAgprs: 0
; TotalNumVgprs: 128
; ScratchSize: 152
; MemoryBound: 0
; FloatMode: 240
; IeeeMode: 1
; LDSByteSize: 57400 bytes/workgroup (compile time only)
; SGPRBlocks: 9
; VGPRBlocks: 15
; NumSGPRsForWavesPerEU: 73
; NumVGPRsForWavesPerEU: 128
; AccumOffset: 128
; Occupancy: 4
; WaveLimiterHint : 0
; COMPUTE_PGM_RSRC2:SCRATCH_EN: 1
; COMPUTE_PGM_RSRC2:USER_SGPR: 2
; COMPUTE_PGM_RSRC2:TRAP_HANDLER: 0
; COMPUTE_PGM_RSRC2:TGID_X_EN: 1
; COMPUTE_PGM_RSRC2:TGID_Y_EN: 0
; COMPUTE_PGM_RSRC2:TGID_Z_EN: 0
; COMPUTE_PGM_RSRC2:TIDIG_COMP_CNT: 0
; COMPUTE_PGM_RSRC3_GFX90A:ACCUM_OFFSET: 31
; COMPUTE_PGM_RSRC3_GFX90A:TG_SPLIT: 0
	.section	.text._Z19_skinny_gemm_kernelILi4ELi3ELi2ELi32ELi4EEvPKhS1_P6__halfPKfiiiiiiii,"axG",@progbits,_Z19_skinny_gemm_kernelILi4ELi3ELi2ELi32ELi4EEvPKhS1_P6__halfPKfiiiiiiii,comdat
	.protected	_Z19_skinny_gemm_kernelILi4ELi3ELi2ELi32ELi4EEvPKhS1_P6__halfPKfiiiiiiii ; -- Begin function _Z19_skinny_gemm_kernelILi4ELi3ELi2ELi32ELi4EEvPKhS1_P6__halfPKfiiiiiiii
	.globl	_Z19_skinny_gemm_kernelILi4ELi3ELi2ELi32ELi4EEvPKhS1_P6__halfPKfiiiiiiii
	.p2align	8
	.type	_Z19_skinny_gemm_kernelILi4ELi3ELi2ELi32ELi4EEvPKhS1_P6__halfPKfiiiiiiii,@function
_Z19_skinny_gemm_kernelILi4ELi3ELi2ELi32ELi4EEvPKhS1_P6__halfPKfiiiiiiii: ; @_Z19_skinny_gemm_kernelILi4ELi3ELi2ELi32ELi4EEvPKhS1_P6__halfPKfiiiiiiii
; %bb.0:
	v_cmp_gt_u32_e32 vcc, 14, v0
	s_and_saveexec_b64 s[4:5], vcc
; %bb.1:
	v_lshlrev_b32_e32 v1, 2, v0
	v_mov_b32_e32 v2, 0
	ds_write_b32 v1, v2 offset:28672
; %bb.2:
	s_or_b64 exec, exec, s[4:5]
	s_load_dwordx8 s[92:99], s[0:1], 0x20
	s_waitcnt lgkmcnt(0)
	s_barrier
	s_add_i32 s3, s92, 0x7f
	s_ashr_i32 s5, s3, 31
	s_add_i32 s4, s93, 0x5f
	s_lshr_b32 s5, s5, 25
	s_mul_hi_i32 s4, s4, 0x2aaaaaab
	s_add_i32 s3, s3, s5
	s_ashr_i32 s14, s3, 7
	s_lshr_b32 s3, s4, 31
	s_ashr_i32 s4, s4, 4
	s_add_i32 s15, s4, s3
	s_mul_i32 s3, s15, s14
	s_mul_i32 s3, s3, s96
	s_add_i32 s4, s3, 0x12f
	s_mul_hi_i32 s4, s4, 0x6bca1af3
	s_lshr_b32 s5, s4, 31
	s_ashr_i32 s4, s4, 7
	s_add_i32 s4, s4, s5
	s_add_i32 s5, s2, 1
	s_mul_i32 s5, s4, s5
	v_cvt_f64_i32_e32 v[2:3], s3
	v_cvt_f64_u32_e32 v[4:5], s5
	v_min_f64 v[2:3], v[2:3], v[4:5]
	v_cvt_i32_f64_e32 v62, v[2:3]
	s_mul_i32 s33, s4, s2
	v_cmp_ge_i32_e32 vcc, s33, v62
	s_cbranch_vccnz .LBB352_51
; %bb.3:
	s_load_dwordx8 s[16:23], s[0:1], 0x0
	v_lshrrev_b32_e32 v1, 6, v0
	s_add_i32 s0, s98, s97
	v_cmp_le_i32_e64 s[24:25], s0, v1
	v_mov_b32_e32 v2, s97
	v_cmp_le_i32_e64 s[26:27], s97, v1
	v_mov_b32_e32 v3, s98
	v_cndmask_b32_e64 v3, 0, v3, s[24:25]
	v_cndmask_b32_e64 v2, 0, v2, s[26:27]
	s_abs_i32 s1, s96
	v_add_u32_e32 v2, v2, v3
	v_cvt_f32_u32_e32 v3, s1
	v_sub_u32_e32 v56, v1, v2
	s_ashr_i32 s2, s94, 31
	s_lshr_b32 s2, s2, 26
	v_rcp_iflag_f32_e32 v2, v3
	s_sub_i32 s5, 0, s1
	s_add_i32 s2, s94, s2
	s_ashr_i32 s2, s2, 6
	v_mul_f32_e32 v2, 0x4f7ffffe, v2
	v_cvt_u32_f32_e32 v2, v2
	s_abs_i32 s4, s2
	s_xor_b32 s3, s2, s96
	s_ashr_i32 s3, s3, 31
	v_readfirstlane_b32 s6, v2
	s_mul_i32 s5, s5, s6
	s_mul_hi_u32 s5, s6, s5
	s_add_i32 s6, s6, s5
	s_mul_hi_u32 s5, s4, s6
	s_mul_i32 s6, s5, s1
	s_sub_i32 s4, s4, s6
	s_add_i32 s6, s5, 1
	s_sub_i32 s7, s4, s1
	s_cmp_ge_u32 s4, s1
	s_cselect_b32 s5, s6, s5
	s_cselect_b32 s4, s7, s4
	s_add_i32 s6, s5, 1
	s_cmp_ge_u32 s4, s1
	s_cselect_b32 s1, s6, s5
	s_add_i32 s0, s0, s99
	v_and_b32_e32 v64, 31, v0
	v_lshrrev_b32_e32 v2, 3, v0
	v_cmp_gt_i32_e64 s[34:35], s0, v1
	v_lshlrev_b32_e32 v1, 2, v64
	v_and_b32_e32 v3, 4, v2
	v_lshlrev_b32_e32 v2, 6, v3
	v_or_b32_e32 v4, 0x4000, v1
	v_and_b32_e32 v5, 1, v0
	s_add_i32 s29, s96, -1
	v_or_b32_e32 v65, v1, v2
	v_or_b32_e32 v66, v4, v2
	v_lshlrev_b32_e32 v2, 1, v5
	v_lshrrev_b32_e32 v7, 1, v0
	s_abs_i32 s96, s14
                                        ; implicit-def: $vgpr93 : SGPR spill to VGPR lane
	v_sub_u32_e32 v2, v0, v2
	v_and_b32_e32 v50, 16, v7
	v_cvt_f32_u32_e32 v7, s96
	v_writelane_b32 v93, s14, 0
	v_add_u32_e32 v2, 1, v2
	v_writelane_b32 v93, s15, 1
	v_and_b32_e32 v6, 63, v2
	v_bitop3_b32 v67, v0, 1, v0 bitop3:0xc
	v_bitop3_b32 v68, v0, 3, 1 bitop3:0x6c
	;; [unrolled: 1-line block ×8, first 2 shown]
	v_and_b32_e32 v2, 30, v0
	v_lshlrev_b32_e32 v0, 4, v0
	s_waitcnt lgkmcnt(0)
	v_writelane_b32 v93, s16, 2
	v_and_b32_e32 v0, 0x200, v0
	v_or_b32_e32 v77, v4, v0
	v_writelane_b32 v93, s17, 3
	v_rcp_iflag_f32_e32 v4, v7
	s_abs_i32 s90, s15
	v_writelane_b32 v93, s18, 4
	v_or_b32_e32 v79, v1, v0
	v_cvt_f32_u32_e32 v1, s90
	v_writelane_b32 v93, s19, 5
	v_writelane_b32 v93, s20, 6
	;; [unrolled: 1-line block ×3, first 2 shown]
	v_mul_f32_e32 v0, 0x4f7ffffe, v4
	v_writelane_b32 v93, s22, 8
	v_cvt_u32_f32_e32 v0, v0
	v_rcp_iflag_f32_e32 v1, v1
	v_writelane_b32 v93, s23, 9
	v_cndmask_b32_e64 v63, 0, 1, s[24:25]
	s_xor_b32 s1, s1, s3
	v_writelane_b32 v93, s24, 10
	s_sub_i32 s28, s1, s3
	s_mul_i32 s1, s28, s29
	v_writelane_b32 v93, s25, 11
	v_writelane_b32 v93, s26, 12
	s_sub_i32 s30, s2, s1
	v_readfirstlane_b32 s1, v0
	v_mul_f32_e32 v0, 0x4f7ffffe, v1
	v_writelane_b32 v93, s27, 13
	v_cvt_u32_f32_e32 v0, v0
	v_writelane_b32 v93, s28, 14
	s_sub_i32 s0, 0, s96
	v_writelane_b32 v93, s29, 15
	s_mul_i32 s0, s0, s1
	v_writelane_b32 v93, s30, 16
	s_mul_hi_u32 s0, s1, s0
	v_writelane_b32 v93, s34, 17
	s_ashr_i32 s31, s14, 31
	s_add_i32 s36, s1, s0
	s_sub_i32 s0, 0, s90
	v_readfirstlane_b32 s1, v0
	v_mbcnt_lo_u32_b32 v0, -1, 0
	v_writelane_b32 v93, s35, 18
	s_mul_i32 s0, s0, s1
	v_mbcnt_hi_u32_b32 v0, -1, v0
	v_writelane_b32 v93, s31, 19
	v_mov_b32_e32 v49, 0
	v_mul_lo_u32 v52, s95, v64
	v_or_b32_e32 v80, v5, v3
	s_ashr_i32 s37, s15, 31
	s_mul_hi_u32 s0, s1, s0
	v_and_or_b32 v0, v0, 64, v6
	v_writelane_b32 v93, s36, 20
	v_or_b32_e32 v75, 32, v64
	v_or_b32_e32 v76, 64, v64
	v_ashrrev_i32_e32 v53, 31, v52
	v_mov_b32_e32 v51, v49
	s_lshl_b32 s91, s95, 5
	v_mul_lo_u32 v78, s94, v64
	v_or_b32_e32 v81, 2, v80
	s_add_i32 s38, s1, s0
	v_lshlrev_b32_e32 v48, 1, v2
	v_lshlrev_b32_e32 v82, 2, v0
	v_mov_b32_e32 v83, v56
	v_writelane_b32 v93, s37, 21
	v_writelane_b32 v93, s38, 22
	s_branch .LBB352_7
.LBB352_4:                              ;   in Loop: Header=BB352_7 Depth=1
	s_or_b64 exec, exec, s[4:5]
.LBB352_5:                              ;   in Loop: Header=BB352_7 Depth=1
	s_or_b64 exec, exec, s[2:3]
	v_subrev_u32_e32 v83, s10, v83
.LBB352_6:                              ;   in Loop: Header=BB352_7 Depth=1
	s_or_b64 exec, exec, s[0:1]
	s_add_i32 s33, s33, 1
	v_cmp_ge_i32_e32 vcc, s33, v62
	s_cbranch_vccnz .LBB352_51
.LBB352_7:                              ; =>This Loop Header: Depth=1
                                        ;     Child Loop BB352_13 Depth 2
                                        ;       Child Loop BB352_15 Depth 3
                                        ;       Child Loop BB352_18 Depth 3
	;; [unrolled: 1-line block ×4, first 2 shown]
                                        ;     Child Loop BB352_29 Depth 2
                                        ;     Child Loop BB352_38 Depth 2
                                        ;       Child Loop BB352_40 Depth 3
                                        ;     Child Loop BB352_48 Depth 2
                                        ;       Child Loop BB352_50 Depth 3
	s_abs_i32 s1, s33
	s_mul_hi_u32 s2, s1, s36
	s_mul_i32 s3, s2, s96
	s_ashr_i32 s0, s33, 31
	s_sub_i32 s1, s1, s3
	s_xor_b32 s0, s0, s31
	s_add_i32 s3, s2, 1
	s_sub_i32 s4, s1, s96
	s_cmp_ge_u32 s1, s96
	s_cselect_b32 s2, s3, s2
	s_cselect_b32 s1, s4, s1
	s_add_i32 s3, s2, 1
	s_cmp_ge_u32 s1, s96
	s_cselect_b32 s1, s3, s2
	s_xor_b32 s1, s1, s0
	s_sub_i32 s0, s1, s0
	s_abs_i32 s2, s0
	s_mul_i32 s1, s0, s14
	s_mul_hi_u32 s3, s2, s38
	s_sub_i32 s1, s33, s1
	s_mul_i32 s4, s3, s90
	s_lshl_b32 s39, s1, 7
	s_ashr_i32 s1, s0, 31
	s_sub_i32 s2, s2, s4
	s_xor_b32 s1, s1, s37
	s_add_i32 s4, s3, 1
	s_sub_i32 s5, s2, s90
	s_cmp_ge_u32 s2, s90
	s_cselect_b32 s3, s4, s3
	s_cselect_b32 s2, s5, s2
	s_add_i32 s4, s3, 1
	s_cmp_ge_u32 s2, s90
	s_cselect_b32 s2, s4, s3
	s_xor_b32 s2, s2, s1
	s_sub_i32 s1, s2, s1
	s_mul_i32 s2, s1, s28
	s_lshl_b32 s13, s2, 6
	s_cmp_eq_u32 s1, s29
	s_cselect_b32 s4, s30, s28
	s_sub_i32 s2, s39, s92
	s_addk_i32 s2, 0x80
	s_max_i32 s5, s2, 0
	s_and_saveexec_b64 s[2:3], s[26:27]
	s_xor_b64 s[2:3], exec, s[2:3]
	v_writelane_b32 v93, s2, 23
	s_nop 1
	v_writelane_b32 v93, s3, 24
	s_cbranch_execz .LBB352_44
; %bb.8:                                ;   in Loop: Header=BB352_7 Depth=1
	s_mul_i32 s1, s1, s15
	s_sub_i32 s0, s0, s1
	s_mulk_i32 s0, 0x60
	s_sub_i32 s70, s0, s93
	s_addk_i32 s70, 0x60
	s_max_i32 s1, s70, 0
	s_sub_i32 s0, s0, s1
	v_writelane_b32 v93, s13, 25
	s_and_saveexec_b64 s[2:3], s[24:25]
	s_xor_b64 s[2:3], exec, s[2:3]
	s_cbranch_execz .LBB352_34
; %bb.9:                                ;   in Loop: Header=BB352_7 Depth=1
	s_mov_b64 s[6:7], exec
	v_writelane_b32 v93, s6, 26
	s_nop 1
	v_writelane_b32 v93, s7, 27
	s_and_b64 s[6:7], s[6:7], s[34:35]
	s_mov_b64 exec, s[6:7]
	s_cbranch_execz .LBB352_33
; %bb.10:                               ;   in Loop: Header=BB352_7 Depth=1
	global_load_dword v84, v49, s[22:23]
	v_mov_b32_e32 v47, 0
	v_cmp_gt_i32_e32 vcc, s4, v83
	v_mov_b32_e32 v46, v47
	v_mov_b32_e32 v45, v47
	;; [unrolled: 1-line block ×47, first 2 shown]
	s_and_saveexec_b64 s[6:7], vcc
	s_cbranch_execz .LBB352_26
; %bb.11:                               ;   in Loop: Header=BB352_7 Depth=1
	v_mov_b32_e32 v0, 0
	s_mov_b64 s[8:9], 0
	v_mov_b32_e32 v1, v0
	v_mov_b32_e32 v2, v0
	;; [unrolled: 1-line block ×47, first 2 shown]
	s_branch .LBB352_13
.LBB352_12:                             ;   in Loop: Header=BB352_13 Depth=2
	s_or_b64 exec, exec, s[10:11]
	v_add_u32_e32 v89, 0x1000, v88
	ds_read2_b32 v[90:91], v89 offset1:32
	v_add_u32_e32 v83, s99, v83
	s_waitcnt lgkmcnt(0)
	v_mfma_f32_32x32x16_fp8_fp8 v[0:15], v[60:61], v[90:91], v[0:15]
	ds_read2_b32 v[60:61], v89 offset0:128 offset1:160
	s_waitcnt lgkmcnt(0)
	v_mfma_f32_32x32x16_fp8_fp8 v[0:15], v[58:59], v[60:61], v[0:15]
	v_add_u32_e32 v60, 0x1400, v88
	ds_read2_b32 v[58:59], v60 offset1:32
	ds_read2_b32 v[60:61], v60 offset0:128 offset1:160
	ds_write_b32 v86, v87 offset:28692
	s_waitcnt lgkmcnt(2)
	v_mfma_f32_32x32x16_fp8_fp8 v[0:15], v[56:57], v[58:59], v[0:15]
	v_add_u32_e32 v56, s99, v85
	v_add_u32_e32 v57, 2, v63
	v_cmp_lt_i32_e32 vcc, 1, v56
	s_nop 1
	v_cndmask_b32_e32 v63, v63, v57, vcc
	v_cmp_le_i32_e32 vcc, s4, v83
	s_waitcnt lgkmcnt(1)
	v_mfma_f32_32x32x16_fp8_fp8 v[0:15], v[54:55], v[60:61], v[0:15]
	s_or_b64 s[8:9], vcc, s[8:9]
	s_andn2_b64 exec, exec, s[8:9]
	s_cbranch_execz .LBB352_25
.LBB352_13:                             ;   Parent Loop BB352_7 Depth=1
                                        ; =>  This Loop Header: Depth=2
                                        ;       Child Loop BB352_15 Depth 3
                                        ;       Child Loop BB352_18 Depth 3
	;; [unrolled: 1-line block ×4, first 2 shown]
	v_cmp_gt_i32_e32 vcc, 2, v56
	s_nop 1
	v_cndmask_b32_e64 v54, -2, 0, vcc
	v_add_u32_e32 v85, v54, v56
	v_mul_lo_u32 v86, v85, 24
	ds_read_b32 v54, v86 offset:28672
	s_waitcnt lgkmcnt(0)
	v_cmp_ne_u32_e32 vcc, v54, v63
	s_and_saveexec_b64 s[10:11], vcc
	s_cbranch_execz .LBB352_16
; %bb.14:                               ;   in Loop: Header=BB352_13 Depth=2
	s_mov_b64 s[12:13], 0
.LBB352_15:                             ;   Parent Loop BB352_7 Depth=1
                                        ;     Parent Loop BB352_13 Depth=2
                                        ; =>    This Inner Loop Header: Depth=3
	;;#ASMSTART
	s_sleep 0
	;;#ASMEND
	ds_read_b32 v54, v86 offset:28672
	s_waitcnt lgkmcnt(0)
	v_cmp_eq_u32_e32 vcc, v54, v63
	s_or_b64 s[12:13], vcc, s[12:13]
	s_andn2_b64 exec, exec, s[12:13]
	s_cbranch_execnz .LBB352_15
.LBB352_16:                             ;   in Loop: Header=BB352_13 Depth=2
	s_or_b64 exec, exec, s[10:11]
	v_lshl_or_b32 v54, v85, 11, v65
	ds_read2_b32 v[60:61], v54 offset1:32
	ds_read2_b32 v[58:59], v54 offset0:128 offset1:160
	v_add_u32_e32 v54, 0x400, v54
	ds_read2_b32 v[56:57], v54 offset1:32
	ds_read_b32 v88, v86 offset:28676
	ds_read2_b32 v[54:55], v54 offset0:128 offset1:160
	v_add_u32_e32 v87, 1, v63
	ds_write_b32 v86, v87 offset:28672
	s_waitcnt lgkmcnt(2)
	v_cmp_ne_u32_e32 vcc, v88, v63
	s_and_saveexec_b64 s[10:11], vcc
	s_cbranch_execz .LBB352_19
; %bb.17:                               ;   in Loop: Header=BB352_13 Depth=2
	s_mov_b64 s[12:13], 0
.LBB352_18:                             ;   Parent Loop BB352_7 Depth=1
                                        ;     Parent Loop BB352_13 Depth=2
                                        ; =>    This Inner Loop Header: Depth=3
	;;#ASMSTART
	s_sleep 0
	;;#ASMEND
	ds_read_b32 v88, v86 offset:28676
	s_waitcnt lgkmcnt(0)
	v_cmp_eq_u32_e32 vcc, v88, v63
	s_or_b64 s[12:13], vcc, s[12:13]
	s_andn2_b64 exec, exec, s[12:13]
	s_cbranch_execnz .LBB352_18
.LBB352_19:                             ;   in Loop: Header=BB352_13 Depth=2
	s_or_b64 exec, exec, s[10:11]
	s_movk_i32 s1, 0x1800
	v_mul_lo_u32 v88, v85, s1
	v_add_u32_e32 v88, v66, v88
	ds_read2_b32 v[90:91], v88 offset1:32
	v_add_u32_e32 v89, 0x400, v88
	ds_write_b32 v86, v87 offset:28676
	s_waitcnt lgkmcnt(1)
	v_mfma_f32_32x32x16_fp8_fp8 v[32:47], v[60:61], v[90:91], v[32:47]
	ds_read2_b32 v[90:91], v88 offset0:128 offset1:160
	s_waitcnt lgkmcnt(0)
	v_mfma_f32_32x32x16_fp8_fp8 v[32:47], v[58:59], v[90:91], v[32:47]
	ds_read2_b32 v[90:91], v89 offset1:32
	s_waitcnt lgkmcnt(0)
	v_mfma_f32_32x32x16_fp8_fp8 v[32:47], v[56:57], v[90:91], v[32:47]
	ds_read2_b32 v[90:91], v89 offset0:128 offset1:160
	ds_read_b32 v89, v86 offset:28684
	s_waitcnt lgkmcnt(0)
	v_cmp_ne_u32_e32 vcc, v89, v63
	v_mfma_f32_32x32x16_fp8_fp8 v[32:47], v[54:55], v[90:91], v[32:47]
	s_and_saveexec_b64 s[10:11], vcc
	s_cbranch_execz .LBB352_22
; %bb.20:                               ;   in Loop: Header=BB352_13 Depth=2
	s_mov_b64 s[12:13], 0
.LBB352_21:                             ;   Parent Loop BB352_7 Depth=1
                                        ;     Parent Loop BB352_13 Depth=2
                                        ; =>    This Inner Loop Header: Depth=3
	;;#ASMSTART
	s_sleep 0
	;;#ASMEND
	ds_read_b32 v89, v86 offset:28684
	s_waitcnt lgkmcnt(0)
	v_cmp_eq_u32_e32 vcc, v89, v63
	s_or_b64 s[12:13], vcc, s[12:13]
	s_andn2_b64 exec, exec, s[12:13]
	s_cbranch_execnz .LBB352_21
.LBB352_22:                             ;   in Loop: Header=BB352_13 Depth=2
	s_or_b64 exec, exec, s[10:11]
	v_add_u32_e32 v89, 0x800, v88
	ds_read2_b32 v[90:91], v89 offset1:32
	s_waitcnt lgkmcnt(0)
	v_mfma_f32_32x32x16_fp8_fp8 v[16:31], v[60:61], v[90:91], v[16:31]
	ds_read2_b32 v[90:91], v89 offset0:128 offset1:160
	v_add_u32_e32 v89, 0xc00, v88
	s_waitcnt lgkmcnt(0)
	v_mfma_f32_32x32x16_fp8_fp8 v[16:31], v[58:59], v[90:91], v[16:31]
	ds_read2_b32 v[90:91], v89 offset1:32
	s_waitcnt lgkmcnt(0)
	v_mfma_f32_32x32x16_fp8_fp8 v[16:31], v[56:57], v[90:91], v[16:31]
	ds_read_b32 v92, v86 offset:28692
	ds_read2_b32 v[90:91], v89 offset0:128 offset1:160
	ds_write_b32 v86, v87 offset:28684
	s_waitcnt lgkmcnt(2)
	v_cmp_ne_u32_e32 vcc, v92, v63
	s_waitcnt lgkmcnt(1)
	v_mfma_f32_32x32x16_fp8_fp8 v[16:31], v[54:55], v[90:91], v[16:31]
	s_and_saveexec_b64 s[10:11], vcc
	s_cbranch_execz .LBB352_12
; %bb.23:                               ;   in Loop: Header=BB352_13 Depth=2
	s_mov_b64 s[12:13], 0
.LBB352_24:                             ;   Parent Loop BB352_7 Depth=1
                                        ;     Parent Loop BB352_13 Depth=2
                                        ; =>    This Inner Loop Header: Depth=3
	;;#ASMSTART
	s_sleep 0
	;;#ASMEND
	ds_read_b32 v89, v86 offset:28692
	s_waitcnt lgkmcnt(0)
	v_cmp_eq_u32_e32 vcc, v89, v63
	s_or_b64 s[12:13], vcc, s[12:13]
	s_andn2_b64 exec, exec, s[12:13]
	s_cbranch_execnz .LBB352_24
	s_branch .LBB352_12
.LBB352_25:                             ;   in Loop: Header=BB352_7 Depth=1
	s_or_b64 exec, exec, s[8:9]
.LBB352_26:                             ;   in Loop: Header=BB352_7 Depth=1
	s_or_b64 exec, exec, s[6:7]
	v_cmp_le_i32_e32 vcc, s70, v64
	v_cmp_eq_u32_e64 s[60:61], 1, v67
	v_cmp_eq_u32_e64 s[26:27], 2, v67
	s_waitcnt vmcnt(0)
	v_cndmask_b32_e32 v54, 0, v84, vcc
	v_pk_mul_f32 v[32:33], v[54:55], v[32:33] op_sel_hi:[0,1]
	v_pk_mul_f32 v[46:47], v[54:55], v[46:47] op_sel_hi:[0,1]
	;; [unrolled: 1-line block ×8, first 2 shown]
	v_cndmask_b32_e64 v54, v32, v33, s[60:61]
	v_cndmask_b32_e64 v54, v54, v34, s[26:27]
	v_cmp_eq_u32_e64 s[40:41], 3, v67
	v_cmp_eq_u32_e64 s[42:43], 4, v67
	v_cmp_eq_u32_e64 s[44:45], 5, v67
	v_cndmask_b32_e64 v54, v54, v35, s[40:41]
	v_cndmask_b32_e64 v54, v54, v36, s[42:43]
	v_cndmask_b32_e64 v54, v54, v37, s[44:45]
	v_cmp_eq_u32_e64 s[46:47], 6, v67
	v_cmp_eq_u32_e64 s[48:49], 7, v67
	v_cmp_eq_u32_e64 s[50:51], 8, v67
	v_cndmask_b32_e64 v54, v54, v38, s[46:47]
	;; [unrolled: 6-line block ×4, first 2 shown]
	v_cndmask_b32_e64 v54, v54, v45, s[62:63]
	v_cndmask_b32_e64 v54, v54, v46, s[64:65]
	v_cmp_eq_u32_e64 s[66:67], 15, v67
	s_mul_i32 s6, s39, s93
	s_ashr_i32 s7, s6, 31
	v_cndmask_b32_e64 v54, v54, v47, s[66:67]
	ds_bpermute_b32 v54, v82, v54
	s_lshl_b64 s[6:7], s[6:7], 1
	v_cmp_eq_u32_e64 s[36:37], 0, v67
	s_add_u32 s71, s20, s6
	v_cmp_eq_u32_e32 vcc, 1, v68
	s_waitcnt lgkmcnt(0)
	v_cndmask_b32_e64 v47, v47, v54, s[66:67]
	v_cndmask_b32_e64 v46, v46, v54, s[64:65]
	;; [unrolled: 1-line block ×16, first 2 shown]
	s_addc_u32 s72, s21, s7
	v_cndmask_b32_e32 v32, v54, v86, vcc
	v_cmp_eq_u32_e64 s[6:7], 2, v68
	v_cmp_eq_u32_e64 s[8:9], 3, v68
	v_cmp_eq_u32_e64 s[10:11], 4, v68
	v_cndmask_b32_e64 v32, v32, v85, s[6:7]
	v_cndmask_b32_e64 v32, v32, v61, s[8:9]
	v_cndmask_b32_e64 v32, v32, v60, s[10:11]
	v_cmp_eq_u32_e64 s[12:13], 5, v68
	v_cmp_eq_u32_e64 s[14:15], 6, v68
	v_cmp_eq_u32_e64 s[16:17], 7, v68
	v_cndmask_b32_e64 v32, v32, v59, s[12:13]
	v_cndmask_b32_e64 v32, v32, v58, s[14:15]
	v_cndmask_b32_e64 v32, v32, v57, s[16:17]
	;; [unrolled: 6-line block ×4, first 2 shown]
	v_cmp_eq_u32_e64 s[34:35], 14, v68
	v_writelane_b32 v93, s39, 28
	v_cmp_eq_u32_e64 s[38:39], 15, v68
	v_cndmask_b32_e64 v32, v32, v46, s[34:35]
	s_ashr_i32 s1, s0, 31
	v_cndmask_b32_e64 v32, v32, v47, s[38:39]
	ds_bpermute_b32 v55, v82, v32
	s_lshl_b64 s[68:69], s[0:1], 1
	s_add_u32 s68, s71, s68
	s_addc_u32 s69, s72, s69
	v_writelane_b32 v93, s68, 29
	s_waitcnt lgkmcnt(0)
	v_cndmask_b32_e64 v33, v47, v55, s[38:39]
	v_cndmask_b32_e64 v38, v42, v55, s[22:23]
	v_writelane_b32 v93, s69, 30
	v_cmp_le_i32_e64 s[68:69], s70, v75
	v_cmp_le_i32_e64 s[70:71], s70, v76
	v_cndmask_b32_e64 v42, v58, v55, s[14:15]
	v_cndmask_b32_e64 v32, 0, v84, s[68:69]
	;; [unrolled: 1-line block ×3, first 2 shown]
	v_pk_mul_f32 v[16:17], v[32:33], v[16:17] op_sel_hi:[0,1]
	v_pk_mul_f32 v[0:1], v[58:59], v[0:1] op_sel_hi:[0,1]
	v_cndmask_b32_e64 v35, v45, v55, s[30:31]
	v_cndmask_b32_e64 v36, v44, v55, s[28:29]
	;; [unrolled: 1-line block ×4, first 2 shown]
	v_pk_mul_f32 v[30:31], v[32:33], v[30:31] op_sel_hi:[0,1]
	v_pk_mul_f32 v[28:29], v[32:33], v[28:29] op_sel_hi:[0,1]
	;; [unrolled: 1-line block ×7, first 2 shown]
	v_cndmask_b32_e64 v32, v16, v17, s[60:61]
	v_pk_mul_f32 v[60:61], v[58:59], v[4:5] op_sel_hi:[0,1]
	v_pk_mul_f32 v[2:3], v[58:59], v[2:3] op_sel_hi:[0,1]
	v_cndmask_b32_e64 v4, v0, v1, s[60:61]
	v_cndmask_b32_e64 v32, v32, v18, s[26:27]
	;; [unrolled: 1-line block ×8, first 2 shown]
	v_pk_mul_f32 v[6:7], v[58:59], v[6:7] op_sel_hi:[0,1]
	v_cndmask_b32_e64 v4, v4, v61, s[44:45]
	v_cndmask_b32_e64 v32, v32, v22, s[46:47]
	v_cndmask_b32_e64 v4, v4, v6, s[46:47]
	v_cndmask_b32_e64 v32, v32, v23, s[48:49]
	v_pk_mul_f32 v[8:9], v[58:59], v[8:9] op_sel_hi:[0,1]
	v_cndmask_b32_e64 v4, v4, v7, s[48:49]
	v_cndmask_b32_e64 v32, v32, v24, s[50:51]
	v_cndmask_b32_e64 v4, v4, v8, s[50:51]
	v_cndmask_b32_e64 v32, v32, v25, s[52:53]
	;; [unrolled: 5-line block ×5, first 2 shown]
	v_cndmask_b32_e64 v4, v4, v15, s[66:67]
	ds_bpermute_b32 v32, v82, v32
	ds_bpermute_b32 v5, v82, v4
	v_cmp_eq_u32_e64 s[68:69], 0, v68
	v_cndmask_b32_e32 v47, v86, v55, vcc
	v_cmp_eq_u32_e64 s[70:71], 1, v69
	v_cndmask_b32_e64 v54, v54, v55, s[68:69]
	v_cndmask_b32_e64 v34, v46, v55, s[34:35]
	;; [unrolled: 1-line block ×9, first 2 shown]
	s_waitcnt lgkmcnt(1)
	v_cndmask_b32_e64 v4, v17, v32, s[60:61]
	v_cmp_eq_u32_e64 s[60:61], 2, v69
	v_cndmask_b32_e64 v18, v18, v32, s[26:27]
	s_waitcnt lgkmcnt(0)
	v_cndmask_b32_e64 v2, v2, v5, s[26:27]
	v_cmp_ne_u32_e64 s[26:27], 0, v67
	v_cndmask_b32_e64 v17, v55, v46, s[60:61]
	v_cndmask_b32_e64 v31, v31, v32, s[66:67]
	;; [unrolled: 1-line block ×3, first 2 shown]
	v_cmp_eq_u32_e64 s[66:67], 3, v69
	v_cndmask_b32_e64 v1, v1, v5, s[26:27]
	v_cndmask_b32_e64 v16, v16, v32, s[36:37]
	;; [unrolled: 1-line block ×6, first 2 shown]
	v_cmp_eq_u32_e64 s[64:65], 4, v69
	v_cndmask_b32_e64 v29, v29, v32, s[62:63]
	v_cndmask_b32_e64 v13, v13, v5, s[62:63]
	;; [unrolled: 1-line block ×22, first 2 shown]
	v_cndmask_b32_e32 v32, v16, v4, vcc
	v_cndmask_b32_e32 v5, v0, v1, vcc
	v_cndmask_b32_e64 v17, v17, v44, s[64:65]
	v_cmp_eq_u32_e64 s[62:63], 5, v69
	v_cndmask_b32_e64 v32, v32, v18, s[6:7]
	v_cndmask_b32_e64 v5, v5, v2, s[6:7]
	v_cndmask_b32_e64 v17, v17, v43, s[62:63]
	v_cmp_eq_u32_e64 s[58:59], 6, v69
	v_cndmask_b32_e64 v32, v32, v19, s[8:9]
	v_cndmask_b32_e64 v5, v5, v3, s[8:9]
	;; [unrolled: 4-line block ×11, first 2 shown]
	v_cndmask_b32_e64 v17, v17, v33, s[82:83]
	v_cndmask_b32_e64 v32, v32, v29, s[30:31]
	;; [unrolled: 1-line block ×3, first 2 shown]
	ds_bpermute_b32 v17, v82, v17
	v_cndmask_b32_e64 v32, v32, v30, s[34:35]
	v_cndmask_b32_e64 v5, v5, v14, s[34:35]
	;; [unrolled: 1-line block ×4, first 2 shown]
	ds_bpermute_b32 v32, v82, v32
	ds_bpermute_b32 v5, v82, v5
	v_cmp_eq_u32_e64 s[42:43], 0, v69
	s_waitcnt lgkmcnt(2)
	v_cndmask_b32_e64 v33, v33, v17, s[82:83]
	v_cndmask_b32_e64 v34, v34, v17, s[76:77]
	;; [unrolled: 1-line block ×16, first 2 shown]
	v_cmp_eq_u32_e64 s[26:27], 1, v70
	v_cmp_eq_u32_e64 s[36:37], 2, v70
	s_waitcnt lgkmcnt(1)
	v_cndmask_b32_e64 v30, v30, v32, s[34:35]
	v_cndmask_b32_e64 v54, v17, v47, s[26:27]
	;; [unrolled: 1-line block ×3, first 2 shown]
	s_waitcnt lgkmcnt(0)
	v_cndmask_b32_e64 v14, v14, v5, s[34:35]
	v_cmp_eq_u32_e64 s[34:35], 3, v70
	v_cndmask_b32_e32 v4, v4, v32, vcc
	v_cndmask_b32_e32 v1, v1, v5, vcc
	v_cndmask_b32_e64 v16, v16, v32, s[68:69]
	v_cndmask_b32_e64 v0, v0, v5, s[68:69]
	;; [unrolled: 1-line block ×7, first 2 shown]
	v_cmp_eq_u32_e64 s[30:31], 4, v70
	v_cndmask_b32_e64 v28, v28, v32, s[28:29]
	v_cndmask_b32_e64 v12, v12, v5, s[28:29]
	;; [unrolled: 1-line block ×25, first 2 shown]
	v_cmp_eq_u32_e64 s[38:39], 5, v70
	v_cndmask_b32_e64 v32, v32, v18, s[60:61]
	v_cndmask_b32_e64 v5, v5, v2, s[60:61]
	v_cndmask_b32_e64 v54, v54, v43, s[38:39]
	v_cmp_eq_u32_e64 s[24:25], 6, v70
	v_cndmask_b32_e64 v32, v32, v19, s[66:67]
	v_cndmask_b32_e64 v5, v5, v3, s[66:67]
	v_cndmask_b32_e64 v54, v54, v42, s[24:25]
	;; [unrolled: 4-line block ×11, first 2 shown]
	v_cndmask_b32_e64 v32, v32, v29, s[44:45]
	v_cndmask_b32_e64 v5, v5, v13, s[44:45]
	ds_bpermute_b32 v54, v82, v54
	v_cndmask_b32_e64 v32, v32, v30, s[76:77]
	v_cndmask_b32_e64 v5, v5, v14, s[76:77]
	;; [unrolled: 1-line block ×4, first 2 shown]
	ds_bpermute_b32 v32, v82, v32
	ds_bpermute_b32 v5, v82, v5
	v_cmp_eq_u32_e64 s[16:17], 0, v70
	s_waitcnt lgkmcnt(2)
	v_cndmask_b32_e64 v47, v47, v54, s[26:27]
	v_cmp_eq_u32_e64 s[8:9], 1, v71
	v_cndmask_b32_e64 v17, v17, v54, s[16:17]
	v_cndmask_b32_e64 v33, v33, v54, s[86:87]
	;; [unrolled: 1-line block ×16, first 2 shown]
	v_cmp_eq_u32_e64 s[14:15], 2, v71
	v_cmp_eq_u32_e64 s[18:19], 3, v71
	s_waitcnt lgkmcnt(1)
	v_cndmask_b32_e64 v4, v4, v32, s[70:71]
	v_cndmask_b32_e64 v54, v54, v46, s[14:15]
	s_waitcnt lgkmcnt(0)
	v_cndmask_b32_e64 v1, v1, v5, s[70:71]
	v_cndmask_b32_e64 v16, v16, v32, s[42:43]
	;; [unrolled: 1-line block ×10, first 2 shown]
	v_cmp_eq_u32_e64 s[28:29], 4, v71
	v_cndmask_b32_e64 v28, v28, v32, s[46:47]
	v_cndmask_b32_e64 v12, v12, v5, s[46:47]
	;; [unrolled: 1-line block ×25, first 2 shown]
	v_cmp_eq_u32_e64 s[40:41], 5, v71
	v_cndmask_b32_e64 v32, v32, v18, s[36:37]
	v_cndmask_b32_e64 v5, v5, v2, s[36:37]
	v_cndmask_b32_e64 v54, v54, v43, s[40:41]
	v_cmp_eq_u32_e64 s[48:49], 6, v71
	v_cndmask_b32_e64 v32, v32, v19, s[34:35]
	v_cndmask_b32_e64 v5, v5, v3, s[34:35]
	v_cndmask_b32_e64 v54, v54, v42, s[48:49]
	;; [unrolled: 4-line block ×11, first 2 shown]
	v_cndmask_b32_e64 v32, v32, v29, s[12:13]
	v_cndmask_b32_e64 v5, v5, v13, s[12:13]
	ds_bpermute_b32 v54, v82, v54
	v_cndmask_b32_e64 v32, v32, v30, s[10:11]
	v_cndmask_b32_e64 v5, v5, v14, s[10:11]
	;; [unrolled: 1-line block ×4, first 2 shown]
	ds_bpermute_b32 v32, v82, v32
	ds_bpermute_b32 v5, v82, v5
	v_cmp_eq_u32_e64 s[60:61], 0, v71
	s_waitcnt lgkmcnt(2)
	v_cndmask_b32_e64 v47, v47, v54, s[8:9]
	v_cmp_eq_u32_e32 vcc, 1, v72
	v_cndmask_b32_e64 v17, v17, v54, s[60:61]
	v_cndmask_b32_e64 v33, v33, v54, s[88:89]
	;; [unrolled: 1-line block ×15, first 2 shown]
	v_cndmask_b32_e32 v54, v17, v47, vcc
	v_cmp_eq_u32_e64 s[6:7], 2, v72
	s_waitcnt lgkmcnt(1)
	v_cndmask_b32_e64 v30, v30, v32, s[10:11]
	s_waitcnt lgkmcnt(0)
	v_cndmask_b32_e64 v14, v14, v5, s[10:11]
	v_cndmask_b32_e64 v54, v54, v46, s[6:7]
	v_cmp_eq_u32_e64 s[10:11], 3, v72
	v_cndmask_b32_e64 v29, v29, v32, s[12:13]
	v_cndmask_b32_e64 v13, v13, v5, s[12:13]
	;; [unrolled: 1-line block ×3, first 2 shown]
	v_cmp_eq_u32_e64 s[12:13], 4, v72
	v_cmp_eq_u32_e64 s[42:43], 5, v72
	;; [unrolled: 1-line block ×3, first 2 shown]
	v_cndmask_b32_e64 v54, v54, v44, s[12:13]
	v_cndmask_b32_e64 v54, v54, v43, s[42:43]
	;; [unrolled: 1-line block ×7, first 2 shown]
	v_cmp_eq_u32_e64 s[52:53], 7, v72
	v_cndmask_b32_e64 v9, v9, v5, s[72:73]
	v_cndmask_b32_e64 v8, v8, v5, s[20:21]
	;; [unrolled: 1-line block ×11, first 2 shown]
	v_cmp_eq_u32_e64 s[54:55], 8, v72
	v_cndmask_b32_e64 v0, v5, v58, s[8:9]
	v_cndmask_b32_e64 v31, v31, v32, s[86:87]
	;; [unrolled: 1-line block ×8, first 2 shown]
	v_cmp_eq_u32_e64 s[56:57], 9, v72
	v_cndmask_b32_e64 v23, v23, v32, s[22:23]
	v_cndmask_b32_e64 v22, v22, v32, s[24:25]
	;; [unrolled: 1-line block ×10, first 2 shown]
	v_cmp_eq_u32_e64 s[62:63], 10, v72
	v_cndmask_b32_e64 v1, v32, v4, s[8:9]
	v_cndmask_b32_e64 v0, v0, v3, s[18:19]
	v_cndmask_b32_e64 v54, v54, v38, s[62:63]
	v_cmp_eq_u32_e64 s[66:67], 11, v72
	v_cndmask_b32_e64 v1, v1, v18, s[14:15]
	v_cndmask_b32_e64 v0, v0, v57, s[28:29]
	v_cndmask_b32_e64 v54, v54, v37, s[66:67]
	;; [unrolled: 4-line block ×6, first 2 shown]
	v_cndmask_b32_e64 v1, v1, v23, s[46:47]
	v_cndmask_b32_e64 v0, v0, v9, s[68:69]
	ds_bpermute_b32 v54, v82, v54
	v_cndmask_b32_e64 v1, v1, v24, s[44:45]
	v_cndmask_b32_e64 v0, v0, v10, s[76:77]
	;; [unrolled: 1-line block ×10, first 2 shown]
	v_cmp_eq_u32_e64 s[34:35], 0, v72
	s_waitcnt lgkmcnt(0)
	v_cndmask_b32_e32 v47, v47, v54, vcc
	v_cndmask_b32_e64 v1, v1, v29, s[64:65]
	v_cndmask_b32_e64 v0, v0, v15, s[88:89]
	;; [unrolled: 1-line block ×3, first 2 shown]
	v_cmp_eq_u32_e64 s[16:17], 1, v73
	v_cndmask_b32_e64 v46, v46, v54, s[6:7]
	v_cndmask_b32_e64 v1, v1, v30, s[84:85]
	ds_bpermute_b32 v60, v82, v0
	v_cndmask_b32_e64 v0, v17, v47, s[16:17]
	v_cmp_eq_u32_e64 s[20:21], 2, v73
	v_cndmask_b32_e64 v45, v45, v54, s[10:11]
	v_cndmask_b32_e64 v1, v1, v31, s[88:89]
	;; [unrolled: 1-line block ×3, first 2 shown]
	v_cmp_eq_u32_e64 s[22:23], 3, v73
	v_cndmask_b32_e64 v44, v44, v54, s[12:13]
	ds_bpermute_b32 v59, v82, v1
	v_cndmask_b32_e64 v0, v0, v45, s[22:23]
	v_cmp_eq_u32_e64 s[24:25], 4, v73
	v_cndmask_b32_e64 v43, v43, v54, s[42:43]
	v_cmp_eq_u32_e64 s[26:27], 5, v73
	v_cndmask_b32_e64 v0, v0, v44, s[24:25]
	v_cndmask_b32_e64 v42, v42, v54, s[50:51]
	;; [unrolled: 1-line block ×3, first 2 shown]
	v_cmp_eq_u32_e64 s[30:31], 6, v73
	v_cndmask_b32_e64 v41, v41, v54, s[52:53]
	v_cmp_eq_u32_e64 s[36:37], 7, v73
	v_cndmask_b32_e64 v0, v0, v42, s[30:31]
	v_cndmask_b32_e64 v40, v40, v54, s[54:55]
	v_cndmask_b32_e64 v0, v0, v41, s[36:37]
	v_cmp_eq_u32_e64 s[38:39], 8, v73
	v_cndmask_b32_e64 v39, v39, v54, s[56:57]
	s_waitcnt lgkmcnt(0)
	v_cndmask_b32_e64 v24, v24, v59, s[44:45]
	v_cndmask_b32_e64 v0, v0, v40, s[38:39]
	v_cndmask_b32_e64 v8, v8, v60, s[44:45]
	v_cmp_eq_u32_e64 s[44:45], 9, v73
	v_cndmask_b32_e64 v38, v38, v54, s[62:63]
	v_cndmask_b32_e64 v23, v23, v59, s[46:47]
	v_cndmask_b32_e64 v0, v0, v39, s[44:45]
	v_cndmask_b32_e64 v7, v7, v60, s[46:47]
	v_cmp_eq_u32_e64 s[46:47], 10, v73
	v_cndmask_b32_e64 v37, v37, v54, s[66:67]
	;; [unrolled: 5-line block ×3, first 2 shown]
	v_cndmask_b32_e64 v34, v34, v54, s[74:75]
	v_cndmask_b32_e64 v35, v35, v54, s[72:73]
	;; [unrolled: 1-line block ×6, first 2 shown]
	v_cmp_eq_u32_e64 s[40:41], 12, v73
	v_cndmask_b32_e64 v20, v20, v59, s[28:29]
	v_cndmask_b32_e64 v55, v57, v60, s[28:29]
	v_cndmask_b32_e64 v0, v0, v36, s[40:41]
	v_cmp_eq_u32_e64 s[28:29], 13, v73
	v_cndmask_b32_e64 v27, v27, v59, s[58:59]
	v_cndmask_b32_e64 v11, v11, v60, s[58:59]
	v_cndmask_b32_e64 v0, v0, v35, s[28:29]
	;; [unrolled: 4-line block ×4, first 2 shown]
	ds_bpermute_b32 v57, v82, v0
	v_cndmask_b32_e64 v32, v32, v59, s[60:61]
	v_cndmask_b32_e64 v18, v18, v59, s[14:15]
	;; [unrolled: 1-line block ×4, first 2 shown]
	s_waitcnt lgkmcnt(0)
	v_cndmask_b32_e64 v1, v43, v57, s[26:27]
	v_cndmask_b32_e64 v3, v45, v57, s[22:23]
	;; [unrolled: 1-line block ×5, first 2 shown]
	v_cndmask_b32_e32 v44, v32, v4, vcc
	v_cndmask_b32_e32 v5, v45, v43, vcc
	v_cndmask_b32_e64 v44, v44, v18, s[6:7]
	v_cndmask_b32_e64 v5, v5, v84, s[6:7]
	;; [unrolled: 1-line block ×38, first 2 shown]
	v_cmp_eq_u32_e64 s[76:77], 0, v73
	v_cndmask_b32_e64 v16, v46, v57, s[20:21]
	v_cndmask_b32_e64 v0, v47, v57, s[16:17]
	ds_bpermute_b32 v44, v82, v44
	ds_bpermute_b32 v46, v82, v5
	v_cndmask_b32_e64 v47, v17, v57, s[76:77]
	v_cmp_eq_u32_e64 s[8:9], 1, v74
	v_cmp_eq_u32_e64 s[14:15], 2, v74
	;; [unrolled: 1-line block ×3, first 2 shown]
	v_cndmask_b32_e64 v5, v47, v0, s[8:9]
	v_cndmask_b32_e64 v5, v5, v16, s[14:15]
	v_cndmask_b32_e64 v5, v5, v3, s[18:19]
	v_cmp_eq_u32_e64 s[60:61], 4, v74
	v_cmp_eq_u32_e64 s[68:69], 5, v74
	v_cndmask_b32_e64 v42, v42, v57, s[30:31]
	v_cndmask_b32_e64 v5, v5, v2, s[60:61]
	;; [unrolled: 1-line block ×3, first 2 shown]
	s_waitcnt lgkmcnt(1)
	v_cndmask_b32_e64 v27, v27, v44, s[66:67]
	s_waitcnt lgkmcnt(0)
	v_cndmask_b32_e64 v60, v11, v46, s[66:67]
	v_cmp_eq_u32_e64 s[66:67], 6, v74
	v_cndmask_b32_e32 v91, v4, v44, vcc
	v_cndmask_b32_e64 v32, v32, v44, s[34:35]
	v_cndmask_b32_e64 v41, v41, v57, s[36:37]
	v_cndmask_b32_e64 v5, v5, v42, s[66:67]
	v_cndmask_b32_e64 v26, v26, v44, s[62:63]
	v_cndmask_b32_e64 v85, v10, v46, s[62:63]
	v_cmp_eq_u32_e64 s[62:63], 7, v74
	v_cndmask_b32_e64 v18, v18, v44, s[6:7]
	v_cndmask_b32_e64 v4, v32, v91, s[16:17]
	v_cndmask_b32_e64 v40, v40, v57, s[38:39]
	v_cndmask_b32_e64 v5, v5, v41, s[62:63]
	v_cndmask_b32_e64 v25, v25, v44, s[56:57]
	v_cndmask_b32_e64 v86, v9, v46, s[56:57]
	v_cmp_eq_u32_e64 s[56:57], 8, v74
	v_cndmask_b32_e64 v19, v19, v44, s[10:11]
	;; [unrolled: 7-line block ×5, first 2 shown]
	v_cndmask_b32_e64 v36, v36, v57, s[40:41]
	v_cndmask_b32_e64 v5, v5, v37, s[50:51]
	v_cndmask_b32_e64 v54, v54, v46, s[42:43]
	v_cmp_eq_u32_e64 s[42:43], 12, v74
	v_cndmask_b32_e64 v4, v4, v22, s[30:31]
	v_cndmask_b32_e64 v35, v35, v57, s[28:29]
	v_cndmask_b32_e64 v5, v5, v36, s[42:43]
	v_cndmask_b32_e64 v55, v55, v46, s[12:13]
	v_cmp_eq_u32_e64 s[12:13], 13, v74
	v_cndmask_b32_e64 v4, v4, v23, s[36:37]
	;; [unrolled: 5-line block ×4, first 2 shown]
	v_cndmask_b32_e64 v4, v4, v26, s[46:47]
	v_cndmask_b32_e64 v5, v5, v33, s[6:7]
	;; [unrolled: 1-line block ×3, first 2 shown]
	ds_bpermute_b32 v90, v82, v5
	v_cndmask_b32_e64 v4, v4, v27, s[48:49]
	v_cndmask_b32_e64 v29, v29, v44, s[72:73]
	;; [unrolled: 1-line block ×9, first 2 shown]
	s_waitcnt lgkmcnt(0)
	v_cndmask_b32_e64 v15, v33, v90, s[6:7]
	ds_bpermute_b32 v33, v82, v4
	v_cndmask_b32_e64 v57, v14, v46, s[74:75]
	v_cndmask_b32_e64 v14, v34, v90, s[10:11]
	;; [unrolled: 1-line block ×4, first 2 shown]
	s_waitcnt lgkmcnt(0)
	v_cndmask_b32_e64 v34, v91, v33, s[16:17]
	v_cndmask_b32_e64 v32, v32, v33, s[76:77]
	;; [unrolled: 1-line block ×32, first 2 shown]
	ds_bpermute_b32 v33, v82, v1
	v_cndmask_b32_e64 v58, v13, v46, s[72:73]
	v_cndmask_b32_e32 v43, v43, v46, vcc
	v_cndmask_b32_e64 v13, v35, v90, s[12:13]
	v_cndmask_b32_e64 v35, v45, v46, s[34:35]
	s_waitcnt lgkmcnt(0)
	v_cndmask_b32_e64 v31, v16, v33, s[6:7]
	v_cndmask_b32_e64 v16, v35, v43, s[16:17]
	;; [unrolled: 1-line block ×17, first 2 shown]
	ds_bpermute_b32 v16, v82, v16
	v_cndmask_b32_e64 v11, v37, v90, s[50:51]
	v_cndmask_b32_e64 v7, v41, v90, s[62:63]
	;; [unrolled: 1-line block ×4, first 2 shown]
	s_waitcnt lgkmcnt(0)
	v_cndmask_b32_e64 v37, v57, v16, s[58:59]
	v_cndmask_b32_e64 v41, v85, v16, s[46:47]
	;; [unrolled: 1-line block ×33, first 2 shown]
	ds_bpermute_b32 v87, v82, v16
	v_cmp_eq_u32_e32 vcc, 0, v74
	v_cndmask_b32_e64 v1, v0, v90, s[8:9]
	v_readlane_b32 s24, v93, 10
	v_cndmask_b32_e32 v0, v47, v90, vcc
	s_waitcnt lgkmcnt(0)
	v_cndmask_b32_e64 v47, v36, v87, s[6:7]
	v_readlane_b32 s6, v93, 29
	v_readlane_b32 s7, v93, 30
	;; [unrolled: 1-line block ×4, first 2 shown]
	v_subrev_u32_e32 v83, s4, v83
	s_mov_b32 s1, 0
	v_cndmask_b32_e64 v6, v42, v90, s[66:67]
	v_cndmask_b32_e64 v3, v3, v90, s[18:19]
	;; [unrolled: 1-line block ×16, first 2 shown]
	v_cndmask_b32_e32 v16, v32, v33, vcc
	v_cndmask_b32_e64 v46, v37, v87, s[10:11]
	v_cndmask_b32_e64 v45, v38, v87, s[12:13]
	;; [unrolled: 1-line block ×14, first 2 shown]
	v_cndmask_b32_e32 v32, v86, v87, vcc
	v_lshl_add_u64 v[54:55], s[6:7], 0, v[48:49]
	s_mov_b64 s[6:7], 0
	s_mov_b32 s16, 0
	v_readlane_b32 s25, v93, 11
	v_readlane_b32 s27, v93, 13
	;; [unrolled: 1-line block ×10, first 2 shown]
	s_mov_b64 s[20:21], 0x80
                                        ; implicit-def: $sgpr8_sgpr9
	s_branch .LBB352_29
.LBB352_27:                             ;   in Loop: Header=BB352_29 Depth=2
	s_or_b64 exec, exec, s[12:13]
	s_andn2_b64 s[8:9], s[8:9], exec
	s_and_b64 s[12:13], s[14:15], exec
	s_or_b64 s[8:9], s[8:9], s[12:13]
.LBB352_28:                             ;   in Loop: Header=BB352_29 Depth=2
	s_or_b64 exec, exec, s[10:11]
	s_and_b64 s[10:11], exec, s[8:9]
	s_or_b64 s[6:7], s[10:11], s[6:7]
	s_andn2_b64 exec, exec, s[6:7]
	s_cbranch_execz .LBB352_32
.LBB352_29:                             ;   Parent Loop BB352_7 Depth=1
                                        ; =>  This Inner Loop Header: Depth=2
	s_and_b32 s12, s1, 24
	v_or_b32_e32 v57, s12, v80
	v_add_u32_e32 v58, s5, v57
	v_cmp_gt_u32_e32 vcc, 32, v58
	s_or_b64 s[8:9], s[8:9], exec
	s_and_saveexec_b64 s[10:11], vcc
	s_cbranch_execz .LBB352_28
; %bb.30:                               ;   in Loop: Header=BB352_29 Depth=2
	s_add_i32 s13, s16, 1
	s_set_gpr_idx_on s16, gpr_idx(SRC0)
	v_mov_b32_e32 v58, v0
	s_set_gpr_idx_off
	v_cvt_f16_f32_e32 v60, v58
	s_set_gpr_idx_on s13, gpr_idx(SRC0)
	v_mov_b32_e32 v58, v0
	s_set_gpr_idx_off
	v_cvt_f16_f32_sdwa v61, v58 dst_sel:WORD_1 dst_unused:UNUSED_PAD src0_sel:DWORD
	v_mul_lo_u32 v58, v57, s93
	v_ashrrev_i32_e32 v59, 31, v58
	v_lshl_add_u64 v[58:59], v[58:59], 1, v[54:55]
	v_or_b32_e32 v57, v61, v60
	;;#ASMSTART
	global_atomic_pk_add_f16 v[58:59], v57, off
	
	;;#ASMEND
	s_set_gpr_idx_on s16, gpr_idx(SRC0)
	v_mov_b32_e32 v57, v16
	s_set_gpr_idx_off
	v_cvt_f16_f32_e32 v57, v57
	s_set_gpr_idx_on s13, gpr_idx(SRC0)
	v_mov_b32_e32 v60, v16
	s_set_gpr_idx_off
	v_cvt_f16_f32_sdwa v84, v60 dst_sel:WORD_1 dst_unused:UNUSED_PAD src0_sel:DWORD
	v_lshl_add_u64 v[60:61], v[58:59], 0, 64
	v_lshl_add_u64 v[58:59], v[58:59], 0, s[20:21]
	s_mov_b64 s[14:15], -1
	v_or_b32_e32 v57, v84, v57
	;;#ASMSTART
	global_atomic_pk_add_f16 v[60:61], v57, off
	
	;;#ASMEND
	s_set_gpr_idx_on s16, gpr_idx(SRC0)
	v_mov_b32_e32 v57, v32
	s_set_gpr_idx_off
	v_cvt_f16_f32_e32 v57, v57
	s_set_gpr_idx_on s13, gpr_idx(SRC0)
	v_mov_b32_e32 v60, v32
	s_set_gpr_idx_off
	v_cvt_f16_f32_sdwa v60, v60 dst_sel:WORD_1 dst_unused:UNUSED_PAD src0_sel:DWORD
	s_nop 0
	v_or_b32_e32 v57, v60, v57
	;;#ASMSTART
	global_atomic_pk_add_f16 v[58:59], v57, off
	
	;;#ASMEND
	v_or_b32_e32 v57, s12, v81
	v_add_u32_e32 v58, s5, v57
	v_cmp_gt_u32_e32 vcc, 32, v58
	s_and_saveexec_b64 s[12:13], vcc
	s_cbranch_execz .LBB352_27
; %bb.31:                               ;   in Loop: Header=BB352_29 Depth=2
	s_add_i32 s14, s16, 2
	s_add_i32 s15, s16, 3
	s_set_gpr_idx_on s14, gpr_idx(SRC0)
	v_mov_b32_e32 v58, v0
	s_set_gpr_idx_off
	v_cvt_f16_f32_e32 v60, v58
	s_set_gpr_idx_on s15, gpr_idx(SRC0)
	v_mov_b32_e32 v58, v0
	s_set_gpr_idx_off
	v_cvt_f16_f32_sdwa v61, v58 dst_sel:WORD_1 dst_unused:UNUSED_PAD src0_sel:DWORD
	v_mul_lo_u32 v58, v57, s93
	v_ashrrev_i32_e32 v59, 31, v58
	v_lshl_add_u64 v[58:59], v[58:59], 1, v[54:55]
	v_or_b32_e32 v57, v61, v60
	;;#ASMSTART
	global_atomic_pk_add_f16 v[58:59], v57, off
	
	;;#ASMEND
	s_set_gpr_idx_on s14, gpr_idx(SRC0)
	v_mov_b32_e32 v57, v16
	s_set_gpr_idx_off
	v_cvt_f16_f32_e32 v57, v57
	s_set_gpr_idx_on s15, gpr_idx(SRC0)
	v_mov_b32_e32 v60, v16
	s_set_gpr_idx_off
	v_cvt_f16_f32_sdwa v84, v60 dst_sel:WORD_1 dst_unused:UNUSED_PAD src0_sel:DWORD
	v_lshl_add_u64 v[60:61], v[58:59], 0, 64
	s_add_i32 s16, s16, 4
	s_add_i32 s1, s1, 8
	v_or_b32_e32 v57, v84, v57
	;;#ASMSTART
	global_atomic_pk_add_f16 v[60:61], v57, off
	
	;;#ASMEND
	s_set_gpr_idx_on s14, gpr_idx(SRC0)
	v_mov_b32_e32 v57, v32
	s_set_gpr_idx_off
	v_cvt_f16_f32_e32 v57, v57
	s_set_gpr_idx_on s15, gpr_idx(SRC0)
	v_mov_b32_e32 v60, v32
	s_set_gpr_idx_off
	v_cvt_f16_f32_sdwa v60, v60 dst_sel:WORD_1 dst_unused:UNUSED_PAD src0_sel:DWORD
	s_cmp_eq_u32 s16, 16
	s_cselect_b64 s[14:15], -1, 0
	s_orn2_b64 s[14:15], s[14:15], exec
	v_lshl_add_u64 v[58:59], v[58:59], 0, s[20:21]
	v_or_b32_e32 v57, v60, v57
	;;#ASMSTART
	global_atomic_pk_add_f16 v[58:59], v57, off
	
	;;#ASMEND
	s_branch .LBB352_27
.LBB352_32:                             ;   in Loop: Header=BB352_7 Depth=1
	s_or_b64 exec, exec, s[6:7]
	v_readlane_b32 s16, v93, 2
	v_readlane_b32 s14, v93, 0
	;; [unrolled: 1-line block ×11, first 2 shown]
.LBB352_33:                             ;   in Loop: Header=BB352_7 Depth=1
	v_readlane_b32 s6, v93, 26
	v_readlane_b32 s7, v93, 27
	s_or_b64 exec, exec, s[6:7]
.LBB352_34:                             ;   in Loop: Header=BB352_7 Depth=1
	s_or_saveexec_b64 s[2:3], s[2:3]
	v_readlane_b32 s13, v93, 25
	s_xor_b64 exec, exec, s[2:3]
	s_cbranch_execz .LBB352_43
; %bb.35:                               ;   in Loop: Header=BB352_7 Depth=1
	s_mul_i32 s12, s4, 3
	v_cmp_gt_i32_e32 vcc, s12, v83
	s_and_saveexec_b64 s[6:7], vcc
	s_cbranch_execz .LBB352_42
; %bb.36:                               ;   in Loop: Header=BB352_7 Depth=1
	s_mul_i32 s0, s0, s95
	s_ashr_i32 s1, s0, 31
	s_add_u32 s0, s18, s0
	s_addc_u32 s1, s19, s1
	s_ashr_i32 s8, s13, 31
	s_add_u32 s0, s0, s13
	s_addc_u32 s1, s1, s8
	v_lshl_add_u64 v[0:1], s[0:1], 0, v[52:53]
	v_lshl_add_u64 v[8:9], v[0:1], 0, v[50:51]
	s_mov_b64 s[0:1], 0
	s_branch .LBB352_38
.LBB352_37:                             ;   in Loop: Header=BB352_38 Depth=2
	s_or_b64 exec, exec, s[8:9]
	v_lshl_add_u32 v12, v10, 11, v77
	;;#ASMSTART
	s_waitcnt vmcnt(1)
	;;#ASMEND
	ds_write2_b32 v12, v4, v5 offset1:32
	ds_write2_b32 v12, v6, v7 offset0:64 offset1:96
	v_add_u32_e32 v4, 0x400, v12
	v_add_u32_e32 v83, s98, v83
	;;#ASMSTART
	s_waitcnt vmcnt(0)
	;;#ASMEND
	ds_write2_b32 v4, v0, v1 offset1:32
	ds_write2_b32 v4, v2, v3 offset0:64 offset1:96
	v_add_u32_e32 v0, 1, v63
	v_add_u32_e32 v56, s98, v10
	v_cmp_le_i32_e32 vcc, s12, v83
	ds_write_b32 v11, v0 offset:32
	v_add_u32_e32 v0, 2, v63
	s_or_b64 s[0:1], vcc, s[0:1]
	v_cmp_lt_i32_e32 vcc, 5, v56
	s_nop 1
	v_cndmask_b32_e32 v63, v63, v0, vcc
	s_andn2_b64 exec, exec, s[0:1]
	s_cbranch_execz .LBB352_41
.LBB352_38:                             ;   Parent Loop BB352_7 Depth=1
                                        ; =>  This Loop Header: Depth=2
                                        ;       Child Loop BB352_40 Depth 3
	v_cmp_gt_i32_e32 vcc, 6, v56
	s_mov_b32 s8, 0x55555556
	s_nop 0
	v_cndmask_b32_e64 v0, -6, 0, vcc
	v_add_u32_e32 v10, v0, v56
	v_mul_hi_i32 v0, v83, s8
	v_lshrrev_b32_e32 v1, 31, v0
	v_add_u32_e32 v0, v0, v1
	v_lshl_add_u32 v1, v0, 1, v0
	v_sub_u32_e32 v2, v83, v1
	v_lshlrev_b32_e32 v0, 6, v0
	v_ashrrev_i32_e32 v1, 31, v0
	v_mul_lo_u32 v2, s91, v2
	v_lshl_add_u64 v[0:1], v[8:9], 0, v[0:1]
	v_ashrrev_i32_e32 v3, 31, v2
	v_lshl_add_u64 v[0:1], v[0:1], 0, v[2:3]
	v_lshlrev_b32_e32 v11, 2, v10
	;;#ASMSTART
	global_load_dwordx4 v[4:7], v[0:1], off offset:0   sc0 sc1 nt  
	global_load_dwordx4 v[0:3], v[0:1], off offset:32  sc0 sc1 nt  
	
	;;#ASMEND
	ds_read_b32 v12, v11 offset:28704
	v_add_u32_e32 v11, 0x7000, v11
	s_waitcnt lgkmcnt(0)
	v_cmp_ne_u32_e32 vcc, v12, v63
	s_and_saveexec_b64 s[8:9], vcc
	s_cbranch_execz .LBB352_37
; %bb.39:                               ;   in Loop: Header=BB352_38 Depth=2
	s_mov_b64 s[10:11], 0
.LBB352_40:                             ;   Parent Loop BB352_7 Depth=1
                                        ;     Parent Loop BB352_38 Depth=2
                                        ; =>    This Inner Loop Header: Depth=3
	;;#ASMSTART
	s_sleep 0
	;;#ASMEND
	ds_read_b32 v12, v11 offset:32
	s_waitcnt lgkmcnt(0)
	v_cmp_eq_u32_e32 vcc, v12, v63
	s_or_b64 s[10:11], vcc, s[10:11]
	s_andn2_b64 exec, exec, s[10:11]
	s_cbranch_execnz .LBB352_40
	s_branch .LBB352_37
.LBB352_41:                             ;   in Loop: Header=BB352_7 Depth=1
	s_or_b64 exec, exec, s[0:1]
.LBB352_42:                             ;   in Loop: Header=BB352_7 Depth=1
	s_or_b64 exec, exec, s[6:7]
	v_subrev_u32_e32 v83, s12, v83
.LBB352_43:                             ;   in Loop: Header=BB352_7 Depth=1
	s_or_b64 exec, exec, s[2:3]
.LBB352_44:                             ;   in Loop: Header=BB352_7 Depth=1
	v_readlane_b32 s0, v93, 23
	v_readlane_b32 s1, v93, 24
	s_andn2_saveexec_b64 s[0:1], s[0:1]
	s_cbranch_execz .LBB352_6
; %bb.45:                               ;   in Loop: Header=BB352_7 Depth=1
	s_lshl_b32 s10, s4, 2
	v_cmp_gt_i32_e32 vcc, s10, v83
	s_and_saveexec_b64 s[2:3], vcc
	s_cbranch_execz .LBB352_5
; %bb.46:                               ;   in Loop: Header=BB352_7 Depth=1
	s_mul_i32 s4, s39, s94
	s_ashr_i32 s6, s4, 31
	s_add_u32 s4, s16, s4
	s_addc_u32 s7, s17, s6
	s_ashr_i32 s8, s13, 31
	s_add_u32 s6, s4, s13
	v_add_u32_e32 v2, s5, v64
	s_movk_i32 s4, 0x80
	v_cmp_gt_u32_e32 vcc, s4, v2
	s_addc_u32 s7, s7, s8
	v_sub_u32_e32 v10, 0x7f, v2
	v_cndmask_b32_e32 v0, 0, v78, vcc
	v_ashrrev_i32_e32 v1, 31, v0
	v_lshl_add_u64 v[0:1], s[6:7], 0, v[0:1]
	v_lshl_add_u64 v[8:9], v[0:1], 0, v[50:51]
	s_mov_b64 s[4:5], 0
	s_branch .LBB352_48
.LBB352_47:                             ;   in Loop: Header=BB352_48 Depth=2
	s_or_b64 exec, exec, s[6:7]
	v_lshl_or_b32 v13, v11, 11, v79
	;;#ASMSTART
	s_waitcnt vmcnt(1)
	;;#ASMEND
	ds_write2_b32 v13, v4, v5 offset1:32
	ds_write2_b32 v13, v6, v7 offset0:64 offset1:96
	v_add_u32_e32 v4, 0x400, v13
	v_add_u32_e32 v83, s97, v83
	;;#ASMSTART
	s_waitcnt vmcnt(0)
	;;#ASMEND
	ds_write2_b32 v4, v0, v1 offset1:32
	ds_write2_b32 v4, v2, v3 offset0:64 offset1:96
	v_add_u32_e32 v0, 1, v63
	v_add_u32_e32 v56, s97, v11
	v_cmp_le_i32_e32 vcc, s10, v83
	ds_write_b32 v12, v0
	v_add_u32_e32 v0, 2, v63
	s_or_b64 s[4:5], vcc, s[4:5]
	v_cmp_lt_i32_e32 vcc, 7, v56
	s_nop 1
	v_cndmask_b32_e32 v63, v63, v0, vcc
	s_andn2_b64 exec, exec, s[4:5]
	s_cbranch_execz .LBB352_4
.LBB352_48:                             ;   Parent Loop BB352_7 Depth=1
                                        ; =>  This Loop Header: Depth=2
                                        ;       Child Loop BB352_50 Depth 3
	v_cmp_gt_i32_e32 vcc, 8, v56
	s_nop 1
	v_cndmask_b32_e64 v0, -8, 0, vcc
	v_add_u32_e32 v11, v0, v56
	v_ashrrev_i32_e32 v0, 31, v83
	v_lshrrev_b32_e32 v0, 30, v0
	v_add_u32_e32 v0, v83, v0
	v_and_b32_e32 v1, 0x7fffffc, v0
	v_sub_u32_e32 v1, v83, v1
	v_lshlrev_b32_e32 v1, 5, v1
	v_cmp_le_i32_e32 vcc, v1, v10
	v_lshlrev_b32_e32 v0, 4, v0
	v_and_b32_e32 v0, 0xffffffc0, v0
	v_cndmask_b32_e32 v2, 0, v1, vcc
	v_ashrrev_i32_e32 v1, 31, v0
	v_mul_lo_u32 v2, v2, s94
	v_lshl_add_u64 v[0:1], v[8:9], 0, v[0:1]
	v_ashrrev_i32_e32 v3, 31, v2
	v_lshl_add_u64 v[0:1], v[0:1], 0, v[2:3]
	v_lshlrev_b32_e32 v12, 2, v11
	;;#ASMSTART
	global_load_dwordx4 v[4:7], v[0:1], off offset:0   
	global_load_dwordx4 v[0:3], v[0:1], off offset:32  
	
	;;#ASMEND
	ds_read_b32 v13, v12 offset:28672
	v_add_u32_e32 v12, 0x7000, v12
	s_waitcnt lgkmcnt(0)
	v_cmp_ne_u32_e32 vcc, v13, v63
	s_and_saveexec_b64 s[6:7], vcc
	s_cbranch_execz .LBB352_47
; %bb.49:                               ;   in Loop: Header=BB352_48 Depth=2
	s_mov_b64 s[8:9], 0
.LBB352_50:                             ;   Parent Loop BB352_7 Depth=1
                                        ;     Parent Loop BB352_48 Depth=2
                                        ; =>    This Inner Loop Header: Depth=3
	;;#ASMSTART
	s_sleep 0
	;;#ASMEND
	ds_read_b32 v13, v12
	s_waitcnt lgkmcnt(0)
	v_cmp_eq_u32_e32 vcc, v13, v63
	s_or_b64 s[8:9], vcc, s[8:9]
	s_andn2_b64 exec, exec, s[8:9]
	s_cbranch_execnz .LBB352_50
	s_branch .LBB352_47
.LBB352_51:
	s_endpgm
	.section	.rodata,"a",@progbits
	.p2align	6, 0x0
	.amdhsa_kernel _Z19_skinny_gemm_kernelILi4ELi3ELi2ELi32ELi4EEvPKhS1_P6__halfPKfiiiiiiii
		.amdhsa_group_segment_fixed_size 28728
		.amdhsa_private_segment_fixed_size 0
		.amdhsa_kernarg_size 64
		.amdhsa_user_sgpr_count 2
		.amdhsa_user_sgpr_dispatch_ptr 0
		.amdhsa_user_sgpr_queue_ptr 0
		.amdhsa_user_sgpr_kernarg_segment_ptr 1
		.amdhsa_user_sgpr_dispatch_id 0
		.amdhsa_user_sgpr_kernarg_preload_length 0
		.amdhsa_user_sgpr_kernarg_preload_offset 0
		.amdhsa_user_sgpr_private_segment_size 0
		.amdhsa_uses_dynamic_stack 0
		.amdhsa_enable_private_segment 0
		.amdhsa_system_sgpr_workgroup_id_x 1
		.amdhsa_system_sgpr_workgroup_id_y 0
		.amdhsa_system_sgpr_workgroup_id_z 0
		.amdhsa_system_sgpr_workgroup_info 0
		.amdhsa_system_vgpr_workitem_id 0
		.amdhsa_next_free_vgpr 94
		.amdhsa_next_free_sgpr 100
		.amdhsa_accum_offset 96
		.amdhsa_reserve_vcc 1
		.amdhsa_float_round_mode_32 0
		.amdhsa_float_round_mode_16_64 0
		.amdhsa_float_denorm_mode_32 3
		.amdhsa_float_denorm_mode_16_64 3
		.amdhsa_dx10_clamp 1
		.amdhsa_ieee_mode 1
		.amdhsa_fp16_overflow 0
		.amdhsa_tg_split 0
		.amdhsa_exception_fp_ieee_invalid_op 0
		.amdhsa_exception_fp_denorm_src 0
		.amdhsa_exception_fp_ieee_div_zero 0
		.amdhsa_exception_fp_ieee_overflow 0
		.amdhsa_exception_fp_ieee_underflow 0
		.amdhsa_exception_fp_ieee_inexact 0
		.amdhsa_exception_int_div_zero 0
	.end_amdhsa_kernel
	.section	.text._Z19_skinny_gemm_kernelILi4ELi3ELi2ELi32ELi4EEvPKhS1_P6__halfPKfiiiiiiii,"axG",@progbits,_Z19_skinny_gemm_kernelILi4ELi3ELi2ELi32ELi4EEvPKhS1_P6__halfPKfiiiiiiii,comdat
.Lfunc_end352:
	.size	_Z19_skinny_gemm_kernelILi4ELi3ELi2ELi32ELi4EEvPKhS1_P6__halfPKfiiiiiiii, .Lfunc_end352-_Z19_skinny_gemm_kernelILi4ELi3ELi2ELi32ELi4EEvPKhS1_P6__halfPKfiiiiiiii
                                        ; -- End function
	.set _Z19_skinny_gemm_kernelILi4ELi3ELi2ELi32ELi4EEvPKhS1_P6__halfPKfiiiiiiii.num_vgpr, 94
	.set _Z19_skinny_gemm_kernelILi4ELi3ELi2ELi32ELi4EEvPKhS1_P6__halfPKfiiiiiiii.num_agpr, 0
	.set _Z19_skinny_gemm_kernelILi4ELi3ELi2ELi32ELi4EEvPKhS1_P6__halfPKfiiiiiiii.numbered_sgpr, 100
	.set _Z19_skinny_gemm_kernelILi4ELi3ELi2ELi32ELi4EEvPKhS1_P6__halfPKfiiiiiiii.num_named_barrier, 0
	.set _Z19_skinny_gemm_kernelILi4ELi3ELi2ELi32ELi4EEvPKhS1_P6__halfPKfiiiiiiii.private_seg_size, 0
	.set _Z19_skinny_gemm_kernelILi4ELi3ELi2ELi32ELi4EEvPKhS1_P6__halfPKfiiiiiiii.uses_vcc, 1
	.set _Z19_skinny_gemm_kernelILi4ELi3ELi2ELi32ELi4EEvPKhS1_P6__halfPKfiiiiiiii.uses_flat_scratch, 0
	.set _Z19_skinny_gemm_kernelILi4ELi3ELi2ELi32ELi4EEvPKhS1_P6__halfPKfiiiiiiii.has_dyn_sized_stack, 0
	.set _Z19_skinny_gemm_kernelILi4ELi3ELi2ELi32ELi4EEvPKhS1_P6__halfPKfiiiiiiii.has_recursion, 0
	.set _Z19_skinny_gemm_kernelILi4ELi3ELi2ELi32ELi4EEvPKhS1_P6__halfPKfiiiiiiii.has_indirect_call, 0
	.section	.AMDGPU.csdata,"",@progbits
; Kernel info:
; codeLenInByte = 11628
; TotalNumSgprs: 106
; NumVgprs: 94
; NumAgprs: 0
; TotalNumVgprs: 94
; ScratchSize: 0
; MemoryBound: 0
; FloatMode: 240
; IeeeMode: 1
; LDSByteSize: 28728 bytes/workgroup (compile time only)
; SGPRBlocks: 13
; VGPRBlocks: 11
; NumSGPRsForWavesPerEU: 106
; NumVGPRsForWavesPerEU: 94
; AccumOffset: 96
; Occupancy: 5
; WaveLimiterHint : 0
; COMPUTE_PGM_RSRC2:SCRATCH_EN: 0
; COMPUTE_PGM_RSRC2:USER_SGPR: 2
; COMPUTE_PGM_RSRC2:TRAP_HANDLER: 0
; COMPUTE_PGM_RSRC2:TGID_X_EN: 1
; COMPUTE_PGM_RSRC2:TGID_Y_EN: 0
; COMPUTE_PGM_RSRC2:TGID_Z_EN: 0
; COMPUTE_PGM_RSRC2:TIDIG_COMP_CNT: 0
; COMPUTE_PGM_RSRC3_GFX90A:ACCUM_OFFSET: 23
; COMPUTE_PGM_RSRC3_GFX90A:TG_SPLIT: 0
	.section	.text._Z19_skinny_gemm_kernelILi4ELi3ELi2ELi32ELi8EEvPKhS1_P6__halfPKfiiiiiiii,"axG",@progbits,_Z19_skinny_gemm_kernelILi4ELi3ELi2ELi32ELi8EEvPKhS1_P6__halfPKfiiiiiiii,comdat
	.protected	_Z19_skinny_gemm_kernelILi4ELi3ELi2ELi32ELi8EEvPKhS1_P6__halfPKfiiiiiiii ; -- Begin function _Z19_skinny_gemm_kernelILi4ELi3ELi2ELi32ELi8EEvPKhS1_P6__halfPKfiiiiiiii
	.globl	_Z19_skinny_gemm_kernelILi4ELi3ELi2ELi32ELi8EEvPKhS1_P6__halfPKfiiiiiiii
	.p2align	8
	.type	_Z19_skinny_gemm_kernelILi4ELi3ELi2ELi32ELi8EEvPKhS1_P6__halfPKfiiiiiiii,@function
_Z19_skinny_gemm_kernelILi4ELi3ELi2ELi32ELi8EEvPKhS1_P6__halfPKfiiiiiiii: ; @_Z19_skinny_gemm_kernelILi4ELi3ELi2ELi32ELi8EEvPKhS1_P6__halfPKfiiiiiiii
; %bb.0:
	v_cmp_gt_u32_e32 vcc, 14, v0
	s_and_saveexec_b64 s[4:5], vcc
; %bb.1:
	v_lshlrev_b32_e32 v1, 2, v0
	v_mov_b32_e32 v2, 0
	ds_write_b32 v1, v2 offset:57344
; %bb.2:
	s_or_b64 exec, exec, s[4:5]
	s_load_dwordx8 s[92:99], s[0:1], 0x20
	s_waitcnt lgkmcnt(0)
	s_barrier
	s_add_i32 s3, s92, 0x7f
	s_ashr_i32 s5, s3, 31
	s_add_i32 s4, s93, 0x5f
	s_lshr_b32 s5, s5, 25
	s_mul_hi_i32 s4, s4, 0x2aaaaaab
	s_add_i32 s3, s3, s5
	s_ashr_i32 s14, s3, 7
	s_lshr_b32 s3, s4, 31
	s_ashr_i32 s4, s4, 4
	s_add_i32 s15, s4, s3
	s_mul_i32 s3, s15, s14
	s_mul_i32 s3, s3, s96
	s_add_i32 s4, s3, 0x12f
	s_mul_hi_i32 s4, s4, 0x6bca1af3
	s_lshr_b32 s5, s4, 31
	s_ashr_i32 s4, s4, 7
	s_add_i32 s4, s4, s5
	s_add_i32 s5, s2, 1
	s_mul_i32 s5, s4, s5
	v_cvt_f64_i32_e32 v[2:3], s3
	v_cvt_f64_u32_e32 v[4:5], s5
	v_min_f64 v[2:3], v[2:3], v[4:5]
	v_cvt_i32_f64_e32 v70, v[2:3]
	s_mul_i32 s33, s4, s2
	v_cmp_ge_i32_e32 vcc, s33, v70
	s_cbranch_vccnz .LBB353_51
; %bb.3:
	s_load_dwordx8 s[16:23], s[0:1], 0x0
	v_lshrrev_b32_e32 v1, 6, v0
	s_add_i32 s0, s98, s97
	v_cmp_le_i32_e64 s[24:25], s0, v1
	v_mov_b32_e32 v2, s97
	v_cmp_le_i32_e64 s[26:27], s97, v1
	v_mov_b32_e32 v3, s98
	v_cndmask_b32_e64 v3, 0, v3, s[24:25]
	v_cndmask_b32_e64 v2, 0, v2, s[26:27]
	s_abs_i32 s1, s96
	v_add_u32_e32 v2, v2, v3
	v_cvt_f32_u32_e32 v3, s1
	v_sub_u32_e32 v56, v1, v2
	s_ashr_i32 s2, s94, 31
	s_lshr_b32 s2, s2, 25
	v_rcp_iflag_f32_e32 v2, v3
	s_sub_i32 s5, 0, s1
	s_add_i32 s2, s94, s2
	s_ashr_i32 s2, s2, 7
	v_mul_f32_e32 v2, 0x4f7ffffe, v2
	v_cvt_u32_f32_e32 v2, v2
	s_abs_i32 s4, s2
	s_xor_b32 s3, s2, s96
	s_ashr_i32 s3, s3, 31
	v_readfirstlane_b32 s6, v2
	s_mul_i32 s5, s5, s6
	s_mul_hi_u32 s5, s6, s5
	s_add_i32 s6, s6, s5
	s_mul_hi_u32 s5, s4, s6
	s_mul_i32 s6, s5, s1
	s_sub_i32 s4, s4, s6
	s_add_i32 s6, s5, 1
	s_sub_i32 s7, s4, s1
	s_cmp_ge_u32 s4, s1
	s_cselect_b32 s5, s6, s5
	s_cselect_b32 s4, s7, s4
	s_add_i32 s6, s5, 1
	s_cmp_ge_u32 s4, s1
	s_cselect_b32 s1, s6, s5
	s_add_i32 s0, s0, s99
	v_and_b32_e32 v72, 31, v0
	v_lshrrev_b32_e32 v2, 3, v0
	v_cmp_gt_i32_e64 s[34:35], s0, v1
	v_lshlrev_b32_e32 v1, 2, v72
	v_and_b32_e32 v3, 4, v2
	v_lshlrev_b32_e32 v2, 6, v3
	v_or_b32_e32 v4, 0x8000, v1
	v_and_b32_e32 v5, 1, v0
	s_add_i32 s29, s96, -1
	v_or_b32_e32 v73, v1, v2
	v_or_b32_e32 v74, v4, v2
	v_lshlrev_b32_e32 v2, 1, v5
	v_lshrrev_b32_e32 v7, 1, v0
	s_abs_i32 s96, s14
                                        ; implicit-def: $vgpr101 : SGPR spill to VGPR lane
	v_sub_u32_e32 v2, v0, v2
	v_and_b32_e32 v50, 16, v7
	v_cvt_f32_u32_e32 v7, s96
	v_writelane_b32 v101, s14, 0
	v_add_u32_e32 v2, 1, v2
	v_writelane_b32 v101, s15, 1
	v_and_b32_e32 v6, 63, v2
	v_bitop3_b32 v75, v0, 1, v0 bitop3:0xc
	v_bitop3_b32 v76, v0, 3, 1 bitop3:0x6c
	;; [unrolled: 1-line block ×8, first 2 shown]
	v_and_b32_e32 v2, 30, v0
	v_lshlrev_b32_e32 v0, 4, v0
	s_waitcnt lgkmcnt(0)
	v_writelane_b32 v101, s16, 2
	v_and_b32_e32 v0, 0x200, v0
	v_or_b32_e32 v85, v4, v0
	v_writelane_b32 v101, s17, 3
	v_rcp_iflag_f32_e32 v4, v7
	s_abs_i32 s90, s15
	v_writelane_b32 v101, s18, 4
	v_or_b32_e32 v87, v1, v0
	v_cvt_f32_u32_e32 v1, s90
	v_writelane_b32 v101, s19, 5
	v_writelane_b32 v101, s20, 6
	v_writelane_b32 v101, s21, 7
	v_mul_f32_e32 v0, 0x4f7ffffe, v4
	v_writelane_b32 v101, s22, 8
	v_cvt_u32_f32_e32 v0, v0
	v_rcp_iflag_f32_e32 v1, v1
	v_writelane_b32 v101, s23, 9
	v_cndmask_b32_e64 v71, 0, 1, s[24:25]
	s_xor_b32 s1, s1, s3
	v_writelane_b32 v101, s24, 10
	s_sub_i32 s28, s1, s3
	s_mul_i32 s1, s28, s29
	v_writelane_b32 v101, s25, 11
	v_writelane_b32 v101, s26, 12
	s_sub_i32 s30, s2, s1
	v_readfirstlane_b32 s1, v0
	v_mul_f32_e32 v0, 0x4f7ffffe, v1
	v_writelane_b32 v101, s27, 13
	v_cvt_u32_f32_e32 v0, v0
	v_writelane_b32 v101, s28, 14
	s_sub_i32 s0, 0, s96
	v_writelane_b32 v101, s29, 15
	s_mul_i32 s0, s0, s1
	v_writelane_b32 v101, s30, 16
	s_mul_hi_u32 s0, s1, s0
	v_writelane_b32 v101, s34, 17
	s_ashr_i32 s31, s14, 31
	s_add_i32 s36, s1, s0
	s_sub_i32 s0, 0, s90
	v_readfirstlane_b32 s1, v0
	v_mbcnt_lo_u32_b32 v0, -1, 0
	v_writelane_b32 v101, s35, 18
	s_mul_i32 s0, s0, s1
	v_mbcnt_hi_u32_b32 v0, -1, v0
	v_writelane_b32 v101, s31, 19
	v_mov_b32_e32 v49, 0
	v_mul_lo_u32 v52, s95, v72
	v_or_b32_e32 v88, v5, v3
	s_ashr_i32 s37, s15, 31
	s_mul_hi_u32 s0, s1, s0
	v_and_or_b32 v0, v0, 64, v6
	v_writelane_b32 v101, s36, 20
	v_or_b32_e32 v83, 32, v72
	v_or_b32_e32 v84, 64, v72
	v_ashrrev_i32_e32 v53, 31, v52
	v_mov_b32_e32 v51, v49
	s_lshl_b32 s91, s95, 5
	v_mul_lo_u32 v86, s94, v72
	v_or_b32_e32 v89, 2, v88
	s_add_i32 s38, s1, s0
	v_lshlrev_b32_e32 v48, 1, v2
	v_lshlrev_b32_e32 v90, 2, v0
	v_mov_b32_e32 v91, v56
	v_writelane_b32 v101, s37, 21
	v_writelane_b32 v101, s38, 22
	s_branch .LBB353_7
.LBB353_4:                              ;   in Loop: Header=BB353_7 Depth=1
	s_or_b64 exec, exec, s[4:5]
.LBB353_5:                              ;   in Loop: Header=BB353_7 Depth=1
	s_or_b64 exec, exec, s[2:3]
	v_subrev_u32_e32 v91, s10, v91
.LBB353_6:                              ;   in Loop: Header=BB353_7 Depth=1
	s_or_b64 exec, exec, s[0:1]
	s_add_i32 s33, s33, 1
	v_cmp_ge_i32_e32 vcc, s33, v70
	s_cbranch_vccnz .LBB353_51
.LBB353_7:                              ; =>This Loop Header: Depth=1
                                        ;     Child Loop BB353_13 Depth 2
                                        ;       Child Loop BB353_15 Depth 3
                                        ;       Child Loop BB353_18 Depth 3
	;; [unrolled: 1-line block ×4, first 2 shown]
                                        ;     Child Loop BB353_29 Depth 2
                                        ;     Child Loop BB353_38 Depth 2
                                        ;       Child Loop BB353_40 Depth 3
                                        ;     Child Loop BB353_48 Depth 2
                                        ;       Child Loop BB353_50 Depth 3
	s_abs_i32 s1, s33
	s_mul_hi_u32 s2, s1, s36
	s_mul_i32 s3, s2, s96
	s_ashr_i32 s0, s33, 31
	s_sub_i32 s1, s1, s3
	s_xor_b32 s0, s0, s31
	s_add_i32 s3, s2, 1
	s_sub_i32 s4, s1, s96
	s_cmp_ge_u32 s1, s96
	s_cselect_b32 s2, s3, s2
	s_cselect_b32 s1, s4, s1
	s_add_i32 s3, s2, 1
	s_cmp_ge_u32 s1, s96
	s_cselect_b32 s1, s3, s2
	s_xor_b32 s1, s1, s0
	s_sub_i32 s0, s1, s0
	s_abs_i32 s2, s0
	s_mul_i32 s1, s0, s14
	s_mul_hi_u32 s3, s2, s38
	s_sub_i32 s1, s33, s1
	s_mul_i32 s4, s3, s90
	s_lshl_b32 s39, s1, 7
	s_ashr_i32 s1, s0, 31
	s_sub_i32 s2, s2, s4
	s_xor_b32 s1, s1, s37
	s_add_i32 s4, s3, 1
	s_sub_i32 s5, s2, s90
	s_cmp_ge_u32 s2, s90
	s_cselect_b32 s3, s4, s3
	s_cselect_b32 s2, s5, s2
	s_add_i32 s4, s3, 1
	s_cmp_ge_u32 s2, s90
	s_cselect_b32 s2, s4, s3
	s_xor_b32 s2, s2, s1
	s_sub_i32 s1, s2, s1
	s_mul_i32 s2, s1, s28
	s_lshl_b32 s13, s2, 7
	s_cmp_eq_u32 s1, s29
	s_cselect_b32 s4, s30, s28
	s_sub_i32 s2, s39, s92
	s_addk_i32 s2, 0x80
	s_max_i32 s5, s2, 0
	s_and_saveexec_b64 s[2:3], s[26:27]
	s_xor_b64 s[2:3], exec, s[2:3]
	v_writelane_b32 v101, s2, 23
	s_nop 1
	v_writelane_b32 v101, s3, 24
	s_cbranch_execz .LBB353_44
; %bb.8:                                ;   in Loop: Header=BB353_7 Depth=1
	s_mul_i32 s1, s1, s15
	s_sub_i32 s0, s0, s1
	s_mulk_i32 s0, 0x60
	s_sub_i32 s70, s0, s93
	s_addk_i32 s70, 0x60
	s_max_i32 s1, s70, 0
	s_sub_i32 s0, s0, s1
	v_writelane_b32 v101, s13, 25
	s_and_saveexec_b64 s[2:3], s[24:25]
	s_xor_b64 s[2:3], exec, s[2:3]
	s_cbranch_execz .LBB353_34
; %bb.9:                                ;   in Loop: Header=BB353_7 Depth=1
	s_mov_b64 s[6:7], exec
	v_writelane_b32 v101, s6, 26
	s_nop 1
	v_writelane_b32 v101, s7, 27
	s_and_b64 s[6:7], s[6:7], s[34:35]
	s_mov_b64 exec, s[6:7]
	s_cbranch_execz .LBB353_33
; %bb.10:                               ;   in Loop: Header=BB353_7 Depth=1
	global_load_dword v92, v49, s[22:23]
	v_mov_b32_e32 v47, 0
	v_cmp_gt_i32_e32 vcc, s4, v91
	v_mov_b32_e32 v46, v47
	v_mov_b32_e32 v45, v47
	;; [unrolled: 1-line block ×47, first 2 shown]
	s_and_saveexec_b64 s[6:7], vcc
	s_cbranch_execz .LBB353_26
; %bb.11:                               ;   in Loop: Header=BB353_7 Depth=1
	v_mov_b32_e32 v0, 0
	s_mov_b64 s[8:9], 0
	v_mov_b32_e32 v1, v0
	v_mov_b32_e32 v2, v0
	;; [unrolled: 1-line block ×47, first 2 shown]
	s_branch .LBB353_13
.LBB353_12:                             ;   in Loop: Header=BB353_13 Depth=2
	s_or_b64 exec, exec, s[10:11]
	v_add_u32_e32 v97, 0x2000, v96
	ds_read2_b32 v[98:99], v97 offset1:32
	v_add_u32_e32 v91, s99, v91
	s_waitcnt lgkmcnt(0)
	v_mfma_f32_32x32x16_fp8_fp8 v[0:15], v[68:69], v[98:99], v[0:15]
	ds_read2_b32 v[68:69], v97 offset0:128 offset1:160
	s_waitcnt lgkmcnt(0)
	v_mfma_f32_32x32x16_fp8_fp8 v[0:15], v[66:67], v[68:69], v[0:15]
	v_add_u32_e32 v68, 0x2400, v96
	ds_read2_b32 v[66:67], v68 offset1:32
	s_waitcnt lgkmcnt(0)
	v_mfma_f32_32x32x16_fp8_fp8 v[0:15], v[64:65], v[66:67], v[0:15]
	ds_read2_b32 v[64:65], v68 offset0:128 offset1:160
	s_waitcnt lgkmcnt(0)
	v_mfma_f32_32x32x16_fp8_fp8 v[0:15], v[62:63], v[64:65], v[0:15]
	v_add_u32_e32 v64, 0x2800, v96
	ds_read2_b32 v[62:63], v64 offset1:32
	;; [unrolled: 7-line block ×3, first 2 shown]
	ds_read2_b32 v[60:61], v60 offset0:128 offset1:160
	ds_write_b32 v94, v95 offset:57364
	s_waitcnt lgkmcnt(2)
	v_mfma_f32_32x32x16_fp8_fp8 v[0:15], v[56:57], v[58:59], v[0:15]
	v_add_u32_e32 v56, s99, v93
	v_add_u32_e32 v57, 2, v71
	v_cmp_lt_i32_e32 vcc, 1, v56
	s_nop 1
	v_cndmask_b32_e32 v71, v71, v57, vcc
	v_cmp_le_i32_e32 vcc, s4, v91
	s_waitcnt lgkmcnt(1)
	v_mfma_f32_32x32x16_fp8_fp8 v[0:15], v[54:55], v[60:61], v[0:15]
	s_or_b64 s[8:9], vcc, s[8:9]
	s_andn2_b64 exec, exec, s[8:9]
	s_cbranch_execz .LBB353_25
.LBB353_13:                             ;   Parent Loop BB353_7 Depth=1
                                        ; =>  This Loop Header: Depth=2
                                        ;       Child Loop BB353_15 Depth 3
                                        ;       Child Loop BB353_18 Depth 3
	;; [unrolled: 1-line block ×4, first 2 shown]
	v_cmp_gt_i32_e32 vcc, 2, v56
	s_nop 1
	v_cndmask_b32_e64 v54, -2, 0, vcc
	v_add_u32_e32 v93, v54, v56
	v_mul_lo_u32 v94, v93, 24
	ds_read_b32 v54, v94 offset:57344
	s_waitcnt lgkmcnt(0)
	v_cmp_ne_u32_e32 vcc, v54, v71
	s_and_saveexec_b64 s[10:11], vcc
	s_cbranch_execz .LBB353_16
; %bb.14:                               ;   in Loop: Header=BB353_13 Depth=2
	s_mov_b64 s[12:13], 0
.LBB353_15:                             ;   Parent Loop BB353_7 Depth=1
                                        ;     Parent Loop BB353_13 Depth=2
                                        ; =>    This Inner Loop Header: Depth=3
	;;#ASMSTART
	s_sleep 0
	;;#ASMEND
	ds_read_b32 v54, v94 offset:57344
	s_waitcnt lgkmcnt(0)
	v_cmp_eq_u32_e32 vcc, v54, v71
	s_or_b64 s[12:13], vcc, s[12:13]
	s_andn2_b64 exec, exec, s[12:13]
	s_cbranch_execnz .LBB353_15
.LBB353_16:                             ;   in Loop: Header=BB353_13 Depth=2
	s_or_b64 exec, exec, s[10:11]
	v_lshl_or_b32 v54, v93, 12, v73
	v_add_u32_e32 v55, 0x400, v54
	ds_read2_b32 v[68:69], v54 offset1:32
	ds_read2_b32 v[66:67], v54 offset0:128 offset1:160
	ds_read2_b32 v[64:65], v55 offset1:32
	ds_read2_b32 v[62:63], v55 offset0:128 offset1:160
	v_add_u32_e32 v55, 0x800, v54
	v_add_u32_e32 v54, 0xc00, v54
	ds_read2_b32 v[60:61], v55 offset1:32
	ds_read2_b32 v[58:59], v55 offset0:128 offset1:160
	ds_read2_b32 v[56:57], v54 offset1:32
	ds_read_b32 v96, v94 offset:57348
	ds_read2_b32 v[54:55], v54 offset0:128 offset1:160
	v_add_u32_e32 v95, 1, v71
	ds_write_b32 v94, v95 offset:57344
	s_waitcnt lgkmcnt(2)
	v_cmp_ne_u32_e32 vcc, v96, v71
	s_and_saveexec_b64 s[10:11], vcc
	s_cbranch_execz .LBB353_19
; %bb.17:                               ;   in Loop: Header=BB353_13 Depth=2
	s_mov_b64 s[12:13], 0
.LBB353_18:                             ;   Parent Loop BB353_7 Depth=1
                                        ;     Parent Loop BB353_13 Depth=2
                                        ; =>    This Inner Loop Header: Depth=3
	;;#ASMSTART
	s_sleep 0
	;;#ASMEND
	ds_read_b32 v96, v94 offset:57348
	s_waitcnt lgkmcnt(0)
	v_cmp_eq_u32_e32 vcc, v96, v71
	s_or_b64 s[12:13], vcc, s[12:13]
	s_andn2_b64 exec, exec, s[12:13]
	s_cbranch_execnz .LBB353_18
.LBB353_19:                             ;   in Loop: Header=BB353_13 Depth=2
	s_or_b64 exec, exec, s[10:11]
	s_movk_i32 s1, 0x3000
	v_mul_lo_u32 v96, v93, s1
	v_add_u32_e32 v96, v74, v96
	ds_read2_b32 v[98:99], v96 offset1:32
	v_add_u32_e32 v97, 0x400, v96
	ds_write_b32 v94, v95 offset:57348
	s_waitcnt lgkmcnt(1)
	v_mfma_f32_32x32x16_fp8_fp8 v[32:47], v[68:69], v[98:99], v[32:47]
	ds_read2_b32 v[98:99], v96 offset0:128 offset1:160
	s_waitcnt lgkmcnt(0)
	v_mfma_f32_32x32x16_fp8_fp8 v[32:47], v[66:67], v[98:99], v[32:47]
	ds_read2_b32 v[98:99], v97 offset1:32
	s_waitcnt lgkmcnt(0)
	v_mfma_f32_32x32x16_fp8_fp8 v[32:47], v[64:65], v[98:99], v[32:47]
	ds_read2_b32 v[98:99], v97 offset0:128 offset1:160
	v_add_u32_e32 v97, 0x800, v96
	s_waitcnt lgkmcnt(0)
	v_mfma_f32_32x32x16_fp8_fp8 v[32:47], v[62:63], v[98:99], v[32:47]
	ds_read2_b32 v[98:99], v97 offset1:32
	s_waitcnt lgkmcnt(0)
	v_mfma_f32_32x32x16_fp8_fp8 v[32:47], v[60:61], v[98:99], v[32:47]
	ds_read2_b32 v[98:99], v97 offset0:128 offset1:160
	v_add_u32_e32 v97, 0xc00, v96
	s_waitcnt lgkmcnt(0)
	v_mfma_f32_32x32x16_fp8_fp8 v[32:47], v[58:59], v[98:99], v[32:47]
	ds_read2_b32 v[98:99], v97 offset1:32
	s_waitcnt lgkmcnt(0)
	v_mfma_f32_32x32x16_fp8_fp8 v[32:47], v[56:57], v[98:99], v[32:47]
	ds_read2_b32 v[98:99], v97 offset0:128 offset1:160
	ds_read_b32 v97, v94 offset:57356
	s_waitcnt lgkmcnt(0)
	v_cmp_ne_u32_e32 vcc, v97, v71
	v_mfma_f32_32x32x16_fp8_fp8 v[32:47], v[54:55], v[98:99], v[32:47]
	s_and_saveexec_b64 s[10:11], vcc
	s_cbranch_execz .LBB353_22
; %bb.20:                               ;   in Loop: Header=BB353_13 Depth=2
	s_mov_b64 s[12:13], 0
.LBB353_21:                             ;   Parent Loop BB353_7 Depth=1
                                        ;     Parent Loop BB353_13 Depth=2
                                        ; =>    This Inner Loop Header: Depth=3
	;;#ASMSTART
	s_sleep 0
	;;#ASMEND
	ds_read_b32 v97, v94 offset:57356
	s_waitcnt lgkmcnt(0)
	v_cmp_eq_u32_e32 vcc, v97, v71
	s_or_b64 s[12:13], vcc, s[12:13]
	s_andn2_b64 exec, exec, s[12:13]
	s_cbranch_execnz .LBB353_21
.LBB353_22:                             ;   in Loop: Header=BB353_13 Depth=2
	s_or_b64 exec, exec, s[10:11]
	v_add_u32_e32 v97, 0x1000, v96
	ds_read2_b32 v[98:99], v97 offset1:32
	s_waitcnt lgkmcnt(0)
	v_mfma_f32_32x32x16_fp8_fp8 v[16:31], v[68:69], v[98:99], v[16:31]
	ds_read2_b32 v[98:99], v97 offset0:128 offset1:160
	v_add_u32_e32 v97, 0x1400, v96
	s_waitcnt lgkmcnt(0)
	v_mfma_f32_32x32x16_fp8_fp8 v[16:31], v[66:67], v[98:99], v[16:31]
	ds_read2_b32 v[98:99], v97 offset1:32
	s_waitcnt lgkmcnt(0)
	v_mfma_f32_32x32x16_fp8_fp8 v[16:31], v[64:65], v[98:99], v[16:31]
	ds_read2_b32 v[98:99], v97 offset0:128 offset1:160
	v_add_u32_e32 v97, 0x1800, v96
	s_waitcnt lgkmcnt(0)
	v_mfma_f32_32x32x16_fp8_fp8 v[16:31], v[62:63], v[98:99], v[16:31]
	ds_read2_b32 v[98:99], v97 offset1:32
	s_waitcnt lgkmcnt(0)
	v_mfma_f32_32x32x16_fp8_fp8 v[16:31], v[60:61], v[98:99], v[16:31]
	ds_read2_b32 v[98:99], v97 offset0:128 offset1:160
	v_add_u32_e32 v97, 0x1c00, v96
	s_waitcnt lgkmcnt(0)
	v_mfma_f32_32x32x16_fp8_fp8 v[16:31], v[58:59], v[98:99], v[16:31]
	ds_read2_b32 v[98:99], v97 offset1:32
	s_waitcnt lgkmcnt(0)
	v_mfma_f32_32x32x16_fp8_fp8 v[16:31], v[56:57], v[98:99], v[16:31]
	ds_read_b32 v100, v94 offset:57364
	ds_read2_b32 v[98:99], v97 offset0:128 offset1:160
	ds_write_b32 v94, v95 offset:57356
	s_waitcnt lgkmcnt(2)
	v_cmp_ne_u32_e32 vcc, v100, v71
	s_waitcnt lgkmcnt(1)
	v_mfma_f32_32x32x16_fp8_fp8 v[16:31], v[54:55], v[98:99], v[16:31]
	s_and_saveexec_b64 s[10:11], vcc
	s_cbranch_execz .LBB353_12
; %bb.23:                               ;   in Loop: Header=BB353_13 Depth=2
	s_mov_b64 s[12:13], 0
.LBB353_24:                             ;   Parent Loop BB353_7 Depth=1
                                        ;     Parent Loop BB353_13 Depth=2
                                        ; =>    This Inner Loop Header: Depth=3
	;;#ASMSTART
	s_sleep 0
	;;#ASMEND
	ds_read_b32 v97, v94 offset:57364
	s_waitcnt lgkmcnt(0)
	v_cmp_eq_u32_e32 vcc, v97, v71
	s_or_b64 s[12:13], vcc, s[12:13]
	s_andn2_b64 exec, exec, s[12:13]
	s_cbranch_execnz .LBB353_24
	s_branch .LBB353_12
.LBB353_25:                             ;   in Loop: Header=BB353_7 Depth=1
	s_or_b64 exec, exec, s[8:9]
.LBB353_26:                             ;   in Loop: Header=BB353_7 Depth=1
	s_or_b64 exec, exec, s[6:7]
	v_cmp_le_i32_e32 vcc, s70, v72
	v_cmp_eq_u32_e64 s[60:61], 1, v75
	v_cmp_eq_u32_e64 s[26:27], 2, v75
	s_waitcnt vmcnt(0)
	v_cndmask_b32_e32 v54, 0, v92, vcc
	v_pk_mul_f32 v[32:33], v[54:55], v[32:33] op_sel_hi:[0,1]
	v_pk_mul_f32 v[46:47], v[54:55], v[46:47] op_sel_hi:[0,1]
	;; [unrolled: 1-line block ×8, first 2 shown]
	v_cndmask_b32_e64 v54, v32, v33, s[60:61]
	v_cndmask_b32_e64 v54, v54, v34, s[26:27]
	v_cmp_eq_u32_e64 s[40:41], 3, v75
	v_cmp_eq_u32_e64 s[42:43], 4, v75
	v_cmp_eq_u32_e64 s[44:45], 5, v75
	v_cndmask_b32_e64 v54, v54, v35, s[40:41]
	v_cndmask_b32_e64 v54, v54, v36, s[42:43]
	v_cndmask_b32_e64 v54, v54, v37, s[44:45]
	v_cmp_eq_u32_e64 s[46:47], 6, v75
	v_cmp_eq_u32_e64 s[48:49], 7, v75
	v_cmp_eq_u32_e64 s[50:51], 8, v75
	v_cndmask_b32_e64 v54, v54, v38, s[46:47]
	;; [unrolled: 6-line block ×4, first 2 shown]
	v_cndmask_b32_e64 v54, v54, v45, s[62:63]
	v_cndmask_b32_e64 v54, v54, v46, s[64:65]
	v_cmp_eq_u32_e64 s[66:67], 15, v75
	s_mul_i32 s6, s39, s93
	s_ashr_i32 s7, s6, 31
	v_cndmask_b32_e64 v54, v54, v47, s[66:67]
	ds_bpermute_b32 v54, v90, v54
	s_lshl_b64 s[6:7], s[6:7], 1
	v_cmp_eq_u32_e64 s[36:37], 0, v75
	s_add_u32 s71, s20, s6
	v_cmp_eq_u32_e32 vcc, 1, v76
	s_waitcnt lgkmcnt(0)
	v_cndmask_b32_e64 v47, v47, v54, s[66:67]
	v_cndmask_b32_e64 v46, v46, v54, s[64:65]
	;; [unrolled: 1-line block ×16, first 2 shown]
	s_addc_u32 s72, s21, s7
	v_cndmask_b32_e32 v32, v54, v63, vcc
	v_cmp_eq_u32_e64 s[6:7], 2, v76
	v_cmp_eq_u32_e64 s[8:9], 3, v76
	v_cmp_eq_u32_e64 s[10:11], 4, v76
	v_cndmask_b32_e64 v32, v32, v62, s[6:7]
	v_cndmask_b32_e64 v32, v32, v61, s[8:9]
	v_cndmask_b32_e64 v32, v32, v60, s[10:11]
	v_cmp_eq_u32_e64 s[12:13], 5, v76
	v_cmp_eq_u32_e64 s[14:15], 6, v76
	v_cmp_eq_u32_e64 s[16:17], 7, v76
	v_cndmask_b32_e64 v32, v32, v59, s[12:13]
	v_cndmask_b32_e64 v32, v32, v58, s[14:15]
	v_cndmask_b32_e64 v32, v32, v57, s[16:17]
	;; [unrolled: 6-line block ×4, first 2 shown]
	v_cmp_eq_u32_e64 s[34:35], 14, v76
	v_writelane_b32 v101, s39, 28
	v_cmp_eq_u32_e64 s[38:39], 15, v76
	v_cndmask_b32_e64 v32, v32, v46, s[34:35]
	s_ashr_i32 s1, s0, 31
	v_cndmask_b32_e64 v32, v32, v47, s[38:39]
	ds_bpermute_b32 v55, v90, v32
	s_lshl_b64 s[68:69], s[0:1], 1
	s_add_u32 s68, s71, s68
	s_addc_u32 s69, s72, s69
	v_writelane_b32 v101, s68, 29
	s_waitcnt lgkmcnt(0)
	v_cndmask_b32_e64 v33, v47, v55, s[38:39]
	v_cndmask_b32_e64 v38, v42, v55, s[22:23]
	v_writelane_b32 v101, s69, 30
	v_cmp_le_i32_e64 s[68:69], s70, v83
	v_cmp_le_i32_e64 s[70:71], s70, v84
	v_cndmask_b32_e64 v42, v58, v55, s[14:15]
	v_cndmask_b32_e64 v32, 0, v92, s[68:69]
	;; [unrolled: 1-line block ×3, first 2 shown]
	v_pk_mul_f32 v[16:17], v[32:33], v[16:17] op_sel_hi:[0,1]
	v_pk_mul_f32 v[0:1], v[58:59], v[0:1] op_sel_hi:[0,1]
	v_cndmask_b32_e64 v35, v45, v55, s[30:31]
	v_cndmask_b32_e64 v36, v44, v55, s[28:29]
	;; [unrolled: 1-line block ×4, first 2 shown]
	v_pk_mul_f32 v[30:31], v[32:33], v[30:31] op_sel_hi:[0,1]
	v_pk_mul_f32 v[28:29], v[32:33], v[28:29] op_sel_hi:[0,1]
	;; [unrolled: 1-line block ×7, first 2 shown]
	v_cndmask_b32_e64 v32, v16, v17, s[60:61]
	v_pk_mul_f32 v[60:61], v[58:59], v[4:5] op_sel_hi:[0,1]
	v_pk_mul_f32 v[2:3], v[58:59], v[2:3] op_sel_hi:[0,1]
	v_cndmask_b32_e64 v4, v0, v1, s[60:61]
	v_cndmask_b32_e64 v32, v32, v18, s[26:27]
	;; [unrolled: 1-line block ×8, first 2 shown]
	v_pk_mul_f32 v[6:7], v[58:59], v[6:7] op_sel_hi:[0,1]
	v_cndmask_b32_e64 v4, v4, v61, s[44:45]
	v_cndmask_b32_e64 v32, v32, v22, s[46:47]
	v_cndmask_b32_e64 v4, v4, v6, s[46:47]
	v_cndmask_b32_e64 v32, v32, v23, s[48:49]
	v_pk_mul_f32 v[8:9], v[58:59], v[8:9] op_sel_hi:[0,1]
	v_cndmask_b32_e64 v4, v4, v7, s[48:49]
	v_cndmask_b32_e64 v32, v32, v24, s[50:51]
	v_cndmask_b32_e64 v4, v4, v8, s[50:51]
	v_cndmask_b32_e64 v32, v32, v25, s[52:53]
	;; [unrolled: 5-line block ×5, first 2 shown]
	v_cndmask_b32_e64 v4, v4, v15, s[66:67]
	ds_bpermute_b32 v32, v90, v32
	ds_bpermute_b32 v5, v90, v4
	v_cmp_eq_u32_e64 s[68:69], 0, v76
	v_cndmask_b32_e32 v47, v63, v55, vcc
	v_cmp_eq_u32_e64 s[70:71], 1, v77
	v_cndmask_b32_e64 v54, v54, v55, s[68:69]
	s_waitcnt lgkmcnt(1)
	v_cndmask_b32_e64 v18, v18, v32, s[26:27]
	s_waitcnt lgkmcnt(0)
	v_cndmask_b32_e64 v2, v2, v5, s[26:27]
	v_cmp_ne_u32_e64 s[26:27], 0, v75
	v_cndmask_b32_e64 v34, v46, v55, s[34:35]
	v_cndmask_b32_e64 v37, v43, v55, s[24:25]
	v_cndmask_b32_e64 v39, v41, v55, s[20:21]
	v_cndmask_b32_e64 v40, v40, v55, s[18:19]
	v_cndmask_b32_e64 v41, v57, v55, s[16:17]
	v_cndmask_b32_e64 v43, v59, v55, s[12:13]
	v_cndmask_b32_e64 v46, v62, v55, s[6:7]
	v_cndmask_b32_e64 v55, v54, v47, s[70:71]
	v_cndmask_b32_e64 v4, v17, v32, s[60:61]
	v_cmp_eq_u32_e64 s[60:61], 2, v77
	v_cndmask_b32_e64 v1, v1, v5, s[26:27]
	v_cndmask_b32_e64 v16, v16, v32, s[36:37]
	;; [unrolled: 1-line block ×6, first 2 shown]
	v_cmp_eq_u32_e64 s[66:67], 3, v77
	v_cndmask_b32_e64 v30, v30, v32, s[64:65]
	v_cndmask_b32_e64 v14, v14, v5, s[64:65]
	;; [unrolled: 1-line block ×24, first 2 shown]
	v_cndmask_b32_e32 v32, v16, v4, vcc
	v_cndmask_b32_e32 v5, v0, v1, vcc
	v_cndmask_b32_e64 v17, v17, v45, s[66:67]
	v_cmp_eq_u32_e64 s[64:65], 4, v77
	v_cndmask_b32_e64 v32, v32, v18, s[6:7]
	v_cndmask_b32_e64 v5, v5, v2, s[6:7]
	v_cndmask_b32_e64 v17, v17, v44, s[64:65]
	v_cmp_eq_u32_e64 s[62:63], 5, v77
	v_cndmask_b32_e64 v32, v32, v19, s[8:9]
	v_cndmask_b32_e64 v5, v5, v3, s[8:9]
	;; [unrolled: 4-line block ×12, first 2 shown]
	v_cndmask_b32_e64 v17, v17, v33, s[82:83]
	v_cndmask_b32_e64 v32, v32, v30, s[34:35]
	;; [unrolled: 1-line block ×3, first 2 shown]
	ds_bpermute_b32 v17, v90, v17
	v_cndmask_b32_e64 v32, v32, v31, s[38:39]
	v_cndmask_b32_e64 v5, v5, v15, s[38:39]
	ds_bpermute_b32 v32, v90, v32
	ds_bpermute_b32 v5, v90, v5
	v_cmp_eq_u32_e64 s[40:41], 0, v77
	s_waitcnt lgkmcnt(2)
	v_cndmask_b32_e64 v33, v33, v17, s[82:83]
	v_cndmask_b32_e64 v34, v34, v17, s[78:79]
	;; [unrolled: 1-line block ×16, first 2 shown]
	v_cmp_eq_u32_e64 s[26:27], 1, v78
	v_cmp_eq_u32_e64 s[36:37], 2, v78
	s_waitcnt lgkmcnt(1)
	v_cndmask_b32_e32 v4, v4, v32, vcc
	v_cndmask_b32_e64 v54, v17, v47, s[26:27]
	s_waitcnt lgkmcnt(0)
	v_cndmask_b32_e32 v1, v1, v5, vcc
	v_cndmask_b32_e64 v16, v16, v32, s[68:69]
	v_cndmask_b32_e64 v0, v0, v5, s[68:69]
	;; [unrolled: 1-line block ×7, first 2 shown]
	v_cmp_eq_u32_e64 s[34:35], 3, v78
	v_cndmask_b32_e64 v29, v29, v32, s[30:31]
	v_cndmask_b32_e64 v13, v13, v5, s[30:31]
	;; [unrolled: 1-line block ×27, first 2 shown]
	v_cmp_eq_u32_e64 s[30:31], 4, v78
	v_cndmask_b32_e64 v32, v32, v18, s[60:61]
	v_cndmask_b32_e64 v5, v5, v2, s[60:61]
	v_cndmask_b32_e64 v54, v54, v44, s[30:31]
	v_cmp_eq_u32_e64 s[28:29], 5, v78
	v_cndmask_b32_e64 v32, v32, v19, s[66:67]
	v_cndmask_b32_e64 v5, v5, v3, s[66:67]
	v_cndmask_b32_e64 v54, v54, v43, s[28:29]
	;; [unrolled: 4-line block ×12, first 2 shown]
	v_cndmask_b32_e64 v32, v32, v30, s[78:79]
	v_cndmask_b32_e64 v5, v5, v14, s[78:79]
	ds_bpermute_b32 v54, v90, v54
	v_cndmask_b32_e64 v32, v32, v31, s[82:83]
	v_cndmask_b32_e64 v5, v5, v15, s[82:83]
	ds_bpermute_b32 v32, v90, v32
	ds_bpermute_b32 v5, v90, v5
	v_cmp_eq_u32_e64 s[16:17], 0, v78
	s_waitcnt lgkmcnt(2)
	v_cndmask_b32_e64 v47, v47, v54, s[26:27]
	v_cmp_eq_u32_e64 s[6:7], 1, v79
	v_cndmask_b32_e64 v17, v17, v54, s[16:17]
	v_cndmask_b32_e64 v33, v33, v54, s[8:9]
	;; [unrolled: 1-line block ×16, first 2 shown]
	v_cmp_eq_u32_e64 s[14:15], 2, v79
	s_waitcnt lgkmcnt(1)
	v_cndmask_b32_e64 v4, v4, v32, s[70:71]
	s_waitcnt lgkmcnt(0)
	v_cndmask_b32_e64 v1, v1, v5, s[70:71]
	v_cndmask_b32_e64 v16, v16, v32, s[40:41]
	v_cndmask_b32_e64 v0, v0, v5, s[40:41]
	v_cndmask_b32_e64 v31, v31, v32, s[82:83]
	v_cndmask_b32_e64 v15, v15, v5, s[82:83]
	v_cndmask_b32_e64 v54, v54, v46, s[14:15]
	v_cndmask_b32_e64 v30, v30, v32, s[78:79]
	v_cndmask_b32_e64 v14, v14, v5, s[78:79]
	v_cmp_eq_u32_e64 s[18:19], 3, v79
	v_cndmask_b32_e64 v29, v29, v32, s[44:45]
	v_cndmask_b32_e64 v13, v13, v5, s[44:45]
	;; [unrolled: 1-line block ×27, first 2 shown]
	v_cmp_eq_u32_e64 s[24:25], 4, v79
	v_cndmask_b32_e64 v32, v32, v18, s[36:37]
	v_cndmask_b32_e64 v5, v5, v2, s[36:37]
	v_cndmask_b32_e64 v54, v54, v44, s[24:25]
	v_cmp_eq_u32_e64 s[38:39], 5, v79
	v_cndmask_b32_e64 v32, v32, v19, s[34:35]
	v_cndmask_b32_e64 v5, v5, v3, s[34:35]
	v_cndmask_b32_e64 v54, v54, v43, s[38:39]
	;; [unrolled: 4-line block ×12, first 2 shown]
	v_cndmask_b32_e64 v32, v32, v30, s[10:11]
	v_cndmask_b32_e64 v5, v5, v14, s[10:11]
	ds_bpermute_b32 v54, v90, v54
	v_cndmask_b32_e64 v32, v32, v31, s[8:9]
	v_cndmask_b32_e64 v5, v5, v15, s[8:9]
	ds_bpermute_b32 v32, v90, v32
	ds_bpermute_b32 v5, v90, v5
	v_cmp_eq_u32_e64 s[50:51], 0, v79
	s_waitcnt lgkmcnt(2)
	v_cndmask_b32_e64 v47, v47, v54, s[6:7]
	v_cmp_eq_u32_e32 vcc, 1, v80
	v_cndmask_b32_e64 v17, v17, v54, s[50:51]
	v_cndmask_b32_e64 v33, v33, v54, s[88:89]
	;; [unrolled: 1-line block ×15, first 2 shown]
	v_cndmask_b32_e32 v54, v17, v47, vcc
	s_waitcnt lgkmcnt(1)
	v_cndmask_b32_e64 v31, v31, v32, s[8:9]
	s_waitcnt lgkmcnt(0)
	v_cndmask_b32_e64 v15, v15, v5, s[8:9]
	v_cmp_eq_u32_e64 s[8:9], 2, v80
	v_cndmask_b32_e64 v30, v30, v32, s[10:11]
	v_cndmask_b32_e64 v14, v14, v5, s[10:11]
	;; [unrolled: 1-line block ×3, first 2 shown]
	v_cmp_eq_u32_e64 s[10:11], 3, v80
	v_cndmask_b32_e64 v29, v29, v32, s[12:13]
	v_cndmask_b32_e64 v13, v13, v5, s[12:13]
	;; [unrolled: 1-line block ×3, first 2 shown]
	v_cmp_eq_u32_e64 s[12:13], 4, v80
	v_cmp_eq_u32_e64 s[40:41], 5, v80
	v_cndmask_b32_e64 v27, v27, v32, s[46:47]
	v_cndmask_b32_e64 v54, v54, v44, s[12:13]
	;; [unrolled: 1-line block ×4, first 2 shown]
	v_cmp_eq_u32_e64 s[46:47], 6, v80
	v_cmp_eq_u32_e64 s[54:55], 7, v80
	v_cndmask_b32_e64 v59, v1, v5, s[26:27]
	v_cndmask_b32_e64 v54, v54, v42, s[46:47]
	;; [unrolled: 1-line block ×4, first 2 shown]
	v_cmp_eq_u32_e64 s[56:57], 8, v80
	v_cndmask_b32_e64 v2, v2, v5, s[36:37]
	v_cndmask_b32_e64 v0, v61, v59, s[6:7]
	;; [unrolled: 1-line block ×7, first 2 shown]
	v_cmp_eq_u32_e64 s[58:59], 9, v80
	v_cndmask_b32_e64 v23, v23, v32, s[22:23]
	v_cndmask_b32_e64 v22, v22, v32, s[42:43]
	;; [unrolled: 1-line block ×11, first 2 shown]
	v_cmp_eq_u32_e64 s[60:61], 10, v80
	v_cndmask_b32_e64 v57, v57, v5, s[30:31]
	v_cndmask_b32_e64 v1, v32, v58, s[6:7]
	v_cndmask_b32_e64 v0, v0, v3, s[18:19]
	v_cndmask_b32_e64 v54, v54, v38, s[60:61]
	v_cmp_eq_u32_e64 s[62:63], 11, v80
	v_cndmask_b32_e64 v55, v55, v5, s[28:29]
	v_cndmask_b32_e64 v1, v1, v18, s[14:15]
	;; [unrolled: 1-line block ×5, first 2 shown]
	v_cmp_eq_u32_e64 s[64:65], 12, v80
	v_cndmask_b32_e64 v1, v1, v19, s[18:19]
	v_cndmask_b32_e64 v0, v0, v55, s[38:39]
	v_cndmask_b32_e64 v7, v7, v5, s[22:23]
	v_cndmask_b32_e64 v54, v54, v36, s[64:65]
	v_cmp_eq_u32_e64 s[66:67], 13, v80
	v_cndmask_b32_e64 v1, v1, v20, s[24:25]
	v_cndmask_b32_e64 v0, v0, v6, s[44:45]
	v_cndmask_b32_e64 v8, v8, v5, s[20:21]
	v_cndmask_b32_e64 v54, v54, v35, s[66:67]
	;; [unrolled: 5-line block ×4, first 2 shown]
	v_cndmask_b32_e64 v1, v1, v23, s[52:53]
	v_cndmask_b32_e64 v0, v0, v9, s[68:69]
	ds_bpermute_b32 v54, v90, v54
	v_cndmask_b32_e64 v1, v1, v24, s[48:49]
	v_cndmask_b32_e64 v0, v0, v10, s[72:73]
	;; [unrolled: 1-line block ×9, first 2 shown]
	v_cmp_eq_u32_e64 s[20:21], 0, v80
	v_cndmask_b32_e64 v1, v1, v28, s[82:83]
	v_cndmask_b32_e64 v0, v0, v14, s[86:87]
	s_waitcnt lgkmcnt(0)
	v_cndmask_b32_e32 v47, v47, v54, vcc
	v_cndmask_b32_e64 v1, v1, v29, s[84:85]
	v_cndmask_b32_e64 v0, v0, v15, s[88:89]
	;; [unrolled: 1-line block ×3, first 2 shown]
	v_cmp_eq_u32_e64 s[16:17], 1, v81
	v_cndmask_b32_e64 v46, v46, v54, s[8:9]
	v_cndmask_b32_e64 v1, v1, v30, s[86:87]
	ds_bpermute_b32 v62, v90, v0
	v_cndmask_b32_e64 v0, v17, v47, s[16:17]
	v_cmp_eq_u32_e64 s[22:23], 2, v81
	v_cndmask_b32_e64 v45, v45, v54, s[10:11]
	v_cndmask_b32_e64 v1, v1, v31, s[88:89]
	;; [unrolled: 1-line block ×3, first 2 shown]
	v_cmp_eq_u32_e64 s[26:27], 3, v81
	v_cndmask_b32_e64 v44, v44, v54, s[12:13]
	ds_bpermute_b32 v60, v90, v1
	v_cndmask_b32_e64 v0, v0, v45, s[26:27]
	v_cmp_eq_u32_e64 s[28:29], 4, v81
	v_cndmask_b32_e64 v43, v43, v54, s[40:41]
	v_cmp_eq_u32_e64 s[30:31], 5, v81
	v_cndmask_b32_e64 v0, v0, v44, s[28:29]
	v_cndmask_b32_e64 v42, v42, v54, s[46:47]
	;; [unrolled: 1-line block ×3, first 2 shown]
	v_cmp_eq_u32_e64 s[34:35], 6, v81
	v_cndmask_b32_e64 v41, v41, v54, s[54:55]
	v_cmp_eq_u32_e64 s[36:37], 7, v81
	v_cndmask_b32_e64 v0, v0, v42, s[34:35]
	v_cndmask_b32_e64 v40, v40, v54, s[56:57]
	;; [unrolled: 1-line block ×3, first 2 shown]
	v_cmp_eq_u32_e64 s[42:43], 8, v81
	v_cndmask_b32_e64 v39, v39, v54, s[58:59]
	s_waitcnt lgkmcnt(0)
	v_cndmask_b32_e64 v24, v24, v60, s[48:49]
	v_cndmask_b32_e64 v0, v0, v40, s[42:43]
	;; [unrolled: 1-line block ×3, first 2 shown]
	v_cmp_eq_u32_e64 s[48:49], 9, v81
	v_cndmask_b32_e64 v38, v38, v54, s[60:61]
	v_cndmask_b32_e64 v23, v23, v60, s[52:53]
	;; [unrolled: 1-line block ×4, first 2 shown]
	v_cmp_eq_u32_e64 s[52:53], 10, v81
	v_cndmask_b32_e64 v33, v33, v54, s[74:75]
	v_cndmask_b32_e64 v34, v34, v54, s[70:71]
	;; [unrolled: 1-line block ×8, first 2 shown]
	v_cmp_eq_u32_e64 s[44:45], 11, v81
	v_cndmask_b32_e64 v21, v21, v60, s[38:39]
	v_cndmask_b32_e64 v55, v55, v62, s[38:39]
	v_cndmask_b32_e64 v0, v0, v37, s[44:45]
	v_cmp_eq_u32_e64 s[38:39], 12, v81
	v_cndmask_b32_e64 v20, v20, v60, s[24:25]
	v_cndmask_b32_e64 v57, v57, v62, s[24:25]
	v_cndmask_b32_e64 v0, v0, v36, s[38:39]
	;; [unrolled: 4-line block ×5, first 2 shown]
	ds_bpermute_b32 v18, v90, v0
	v_cndmask_b32_e64 v9, v9, v62, s[68:69]
	v_cndmask_b32_e64 v26, v26, v60, s[72:73]
	;; [unrolled: 1-line block ×4, first 2 shown]
	s_waitcnt lgkmcnt(0)
	v_cndmask_b32_e64 v1, v43, v18, s[30:31]
	v_cndmask_b32_e64 v2, v44, v18, s[28:29]
	;; [unrolled: 1-line block ×8, first 2 shown]
	v_cndmask_b32_e32 v45, v32, v43, vcc
	v_cndmask_b32_e32 v47, v46, v44, vcc
	v_cndmask_b32_e64 v45, v45, v5, s[8:9]
	v_cndmask_b32_e64 v47, v47, v6, s[8:9]
	;; [unrolled: 1-line block ×37, first 2 shown]
	ds_bpermute_b32 v45, v90, v45
	ds_bpermute_b32 v47, v90, v47
	v_cmp_eq_u32_e64 s[6:7], 0, v81
	v_cndmask_b32_e64 v33, v33, v18, s[14:15]
	v_cndmask_b32_e64 v34, v34, v18, s[18:19]
	;; [unrolled: 1-line block ×11, first 2 shown]
	v_cmp_eq_u32_e64 s[50:51], 1, v82
	v_cmp_eq_u32_e64 s[68:69], 2, v82
	s_waitcnt lgkmcnt(0)
	v_cndmask_b32_e64 v17, v15, v47, s[74:75]
	v_cndmask_b32_e64 v58, v18, v0, s[50:51]
	;; [unrolled: 1-line block ×5, first 2 shown]
	v_cmp_eq_u32_e64 s[70:71], 3, v82
	v_cndmask_b32_e64 v29, v29, v45, s[66:67]
	v_cndmask_b32_e64 v59, v13, v47, s[66:67]
	v_cndmask_b32_e64 v14, v15, v3, s[70:71]
	v_cmp_eq_u32_e64 s[66:67], 4, v82
	v_cndmask_b32_e64 v28, v28, v45, s[64:65]
	v_cndmask_b32_e64 v60, v12, v47, s[64:65]
	v_cndmask_b32_e64 v13, v14, v2, s[66:67]
	;; [unrolled: 4-line block ×12, first 2 shown]
	v_cmp_eq_u32_e64 s[8:9], 15, v82
	v_cndmask_b32_e32 v43, v43, v45, vcc
	v_cndmask_b32_e64 v32, v32, v45, s[20:21]
	v_cndmask_b32_e64 v4, v4, v33, s[8:9]
	ds_bpermute_b32 v69, v90, v4
	v_cndmask_b32_e64 v4, v32, v43, s[16:17]
	v_cndmask_b32_e64 v4, v4, v67, s[22:23]
	v_cndmask_b32_e64 v4, v4, v19, s[26:27]
	v_cndmask_b32_e64 v4, v4, v20, s[28:29]
	v_cndmask_b32_e64 v4, v4, v21, s[30:31]
	v_cndmask_b32_e64 v4, v4, v22, s[34:35]
	v_cndmask_b32_e64 v4, v4, v23, s[36:37]
	v_cndmask_b32_e64 v4, v4, v24, s[42:43]
	v_cndmask_b32_e64 v4, v4, v25, s[48:49]
	v_cndmask_b32_e64 v4, v4, v26, s[52:53]
	v_cndmask_b32_e64 v4, v4, v27, s[44:45]
	v_cndmask_b32_e64 v4, v4, v28, s[38:39]
	v_cndmask_b32_e64 v4, v4, v29, s[24:25]
	v_cndmask_b32_e64 v31, v31, v45, s[74:75]
	v_cndmask_b32_e64 v4, v4, v30, s[18:19]
	v_cndmask_b32_e64 v4, v4, v31, s[14:15]
	s_waitcnt lgkmcnt(0)
	v_cndmask_b32_e64 v15, v33, v69, s[8:9]
	ds_bpermute_b32 v33, v90, v4
	v_cndmask_b32_e64 v13, v35, v69, s[12:13]
	v_cndmask_b32_e64 v14, v34, v69, s[10:11]
	;; [unrolled: 1-line block ×4, first 2 shown]
	s_waitcnt lgkmcnt(0)
	v_cndmask_b32_e64 v35, v43, v33, s[16:17]
	v_cndmask_b32_e64 v32, v32, v33, s[6:7]
	;; [unrolled: 1-line block ×32, first 2 shown]
	ds_bpermute_b32 v33, v90, v1
	v_cndmask_b32_e32 v44, v44, v47, vcc
	v_cndmask_b32_e64 v12, v36, v69, s[40:41]
	v_cndmask_b32_e64 v36, v46, v47, s[20:21]
	;; [unrolled: 1-line block ×3, first 2 shown]
	s_waitcnt lgkmcnt(0)
	v_cndmask_b32_e64 v31, v16, v33, s[8:9]
	v_cndmask_b32_e64 v16, v36, v44, s[16:17]
	;; [unrolled: 1-line block ×16, first 2 shown]
	ds_bpermute_b32 v16, v90, v16
	v_cndmask_b32_e64 v9, v39, v69, s[56:57]
	v_cndmask_b32_e64 v11, v37, v69, s[46:47]
	;; [unrolled: 1-line block ×4, first 2 shown]
	s_waitcnt lgkmcnt(0)
	v_cndmask_b32_e64 v38, v58, v16, s[18:19]
	v_cndmask_b32_e64 v39, v59, v16, s[24:25]
	;; [unrolled: 1-line block ×32, first 2 shown]
	ds_bpermute_b32 v65, v90, v16
	v_readlane_b32 s6, v101, 29
	v_cmp_eq_u32_e32 vcc, 0, v82
	v_readlane_b32 s7, v101, 30
	v_readlane_b32 s24, v101, 10
	v_readlane_b32 s26, v101, 12
	v_readlane_b32 s34, v101, 17
	v_subrev_u32_e32 v91, s4, v91
	s_mov_b32 s1, 0
	v_cndmask_b32_e64 v3, v3, v69, s[70:71]
	v_cndmask_b32_e64 v1, v0, v69, s[50:51]
	v_cndmask_b32_e32 v0, v18, v69, vcc
	v_cndmask_b32_e64 v30, v30, v33, s[10:11]
	v_cndmask_b32_e64 v29, v29, v33, s[12:13]
	;; [unrolled: 1-line block ×14, first 2 shown]
	v_cndmask_b32_e32 v16, v32, v33, vcc
	s_waitcnt lgkmcnt(0)
	v_cndmask_b32_e64 v47, v37, v65, s[8:9]
	v_cndmask_b32_e64 v46, v38, v65, s[10:11]
	;; [unrolled: 1-line block ×15, first 2 shown]
	v_cndmask_b32_e32 v32, v64, v65, vcc
	v_lshl_add_u64 v[54:55], s[6:7], 0, v[48:49]
	s_mov_b64 s[6:7], 0
	s_mov_b32 s16, 0
	v_readlane_b32 s25, v101, 11
	v_readlane_b32 s27, v101, 13
	;; [unrolled: 1-line block ×10, first 2 shown]
	s_mov_b64 s[20:21], 0x80
                                        ; implicit-def: $sgpr8_sgpr9
	s_branch .LBB353_29
.LBB353_27:                             ;   in Loop: Header=BB353_29 Depth=2
	s_or_b64 exec, exec, s[12:13]
	s_andn2_b64 s[8:9], s[8:9], exec
	s_and_b64 s[12:13], s[14:15], exec
	s_or_b64 s[8:9], s[8:9], s[12:13]
.LBB353_28:                             ;   in Loop: Header=BB353_29 Depth=2
	s_or_b64 exec, exec, s[10:11]
	s_and_b64 s[10:11], exec, s[8:9]
	s_or_b64 s[6:7], s[10:11], s[6:7]
	s_andn2_b64 exec, exec, s[6:7]
	s_cbranch_execz .LBB353_32
.LBB353_29:                             ;   Parent Loop BB353_7 Depth=1
                                        ; =>  This Inner Loop Header: Depth=2
	s_and_b32 s12, s1, 24
	v_or_b32_e32 v57, s12, v88
	v_add_u32_e32 v58, s5, v57
	v_cmp_gt_u32_e32 vcc, 32, v58
	s_or_b64 s[8:9], s[8:9], exec
	s_and_saveexec_b64 s[10:11], vcc
	s_cbranch_execz .LBB353_28
; %bb.30:                               ;   in Loop: Header=BB353_29 Depth=2
	s_add_i32 s13, s16, 1
	s_set_gpr_idx_on s16, gpr_idx(SRC0)
	v_mov_b32_e32 v58, v0
	s_set_gpr_idx_off
	v_cvt_f16_f32_e32 v60, v58
	s_set_gpr_idx_on s13, gpr_idx(SRC0)
	v_mov_b32_e32 v58, v0
	s_set_gpr_idx_off
	v_cvt_f16_f32_sdwa v61, v58 dst_sel:WORD_1 dst_unused:UNUSED_PAD src0_sel:DWORD
	v_mul_lo_u32 v58, v57, s93
	v_ashrrev_i32_e32 v59, 31, v58
	v_lshl_add_u64 v[58:59], v[58:59], 1, v[54:55]
	v_or_b32_e32 v57, v61, v60
	;;#ASMSTART
	global_atomic_pk_add_f16 v[58:59], v57, off
	
	;;#ASMEND
	s_set_gpr_idx_on s16, gpr_idx(SRC0)
	v_mov_b32_e32 v57, v16
	s_set_gpr_idx_off
	v_cvt_f16_f32_e32 v57, v57
	s_set_gpr_idx_on s13, gpr_idx(SRC0)
	v_mov_b32_e32 v60, v16
	s_set_gpr_idx_off
	v_cvt_f16_f32_sdwa v62, v60 dst_sel:WORD_1 dst_unused:UNUSED_PAD src0_sel:DWORD
	v_lshl_add_u64 v[60:61], v[58:59], 0, 64
	v_lshl_add_u64 v[58:59], v[58:59], 0, s[20:21]
	s_mov_b64 s[14:15], -1
	v_or_b32_e32 v57, v62, v57
	;;#ASMSTART
	global_atomic_pk_add_f16 v[60:61], v57, off
	
	;;#ASMEND
	s_set_gpr_idx_on s16, gpr_idx(SRC0)
	v_mov_b32_e32 v57, v32
	s_set_gpr_idx_off
	v_cvt_f16_f32_e32 v57, v57
	s_set_gpr_idx_on s13, gpr_idx(SRC0)
	v_mov_b32_e32 v60, v32
	s_set_gpr_idx_off
	v_cvt_f16_f32_sdwa v60, v60 dst_sel:WORD_1 dst_unused:UNUSED_PAD src0_sel:DWORD
	s_nop 0
	v_or_b32_e32 v57, v60, v57
	;;#ASMSTART
	global_atomic_pk_add_f16 v[58:59], v57, off
	
	;;#ASMEND
	v_or_b32_e32 v57, s12, v89
	v_add_u32_e32 v58, s5, v57
	v_cmp_gt_u32_e32 vcc, 32, v58
	s_and_saveexec_b64 s[12:13], vcc
	s_cbranch_execz .LBB353_27
; %bb.31:                               ;   in Loop: Header=BB353_29 Depth=2
	s_add_i32 s14, s16, 2
	s_add_i32 s15, s16, 3
	s_set_gpr_idx_on s14, gpr_idx(SRC0)
	v_mov_b32_e32 v58, v0
	s_set_gpr_idx_off
	v_cvt_f16_f32_e32 v60, v58
	s_set_gpr_idx_on s15, gpr_idx(SRC0)
	v_mov_b32_e32 v58, v0
	s_set_gpr_idx_off
	v_cvt_f16_f32_sdwa v61, v58 dst_sel:WORD_1 dst_unused:UNUSED_PAD src0_sel:DWORD
	v_mul_lo_u32 v58, v57, s93
	v_ashrrev_i32_e32 v59, 31, v58
	v_lshl_add_u64 v[58:59], v[58:59], 1, v[54:55]
	v_or_b32_e32 v57, v61, v60
	;;#ASMSTART
	global_atomic_pk_add_f16 v[58:59], v57, off
	
	;;#ASMEND
	s_set_gpr_idx_on s14, gpr_idx(SRC0)
	v_mov_b32_e32 v57, v16
	s_set_gpr_idx_off
	v_cvt_f16_f32_e32 v57, v57
	s_set_gpr_idx_on s15, gpr_idx(SRC0)
	v_mov_b32_e32 v60, v16
	s_set_gpr_idx_off
	v_cvt_f16_f32_sdwa v62, v60 dst_sel:WORD_1 dst_unused:UNUSED_PAD src0_sel:DWORD
	v_lshl_add_u64 v[60:61], v[58:59], 0, 64
	s_add_i32 s16, s16, 4
	s_add_i32 s1, s1, 8
	v_or_b32_e32 v57, v62, v57
	;;#ASMSTART
	global_atomic_pk_add_f16 v[60:61], v57, off
	
	;;#ASMEND
	s_set_gpr_idx_on s14, gpr_idx(SRC0)
	v_mov_b32_e32 v57, v32
	s_set_gpr_idx_off
	v_cvt_f16_f32_e32 v57, v57
	s_set_gpr_idx_on s15, gpr_idx(SRC0)
	v_mov_b32_e32 v60, v32
	s_set_gpr_idx_off
	v_cvt_f16_f32_sdwa v60, v60 dst_sel:WORD_1 dst_unused:UNUSED_PAD src0_sel:DWORD
	s_cmp_eq_u32 s16, 16
	s_cselect_b64 s[14:15], -1, 0
	s_orn2_b64 s[14:15], s[14:15], exec
	v_lshl_add_u64 v[58:59], v[58:59], 0, s[20:21]
	v_or_b32_e32 v57, v60, v57
	;;#ASMSTART
	global_atomic_pk_add_f16 v[58:59], v57, off
	
	;;#ASMEND
	s_branch .LBB353_27
.LBB353_32:                             ;   in Loop: Header=BB353_7 Depth=1
	s_or_b64 exec, exec, s[6:7]
	v_readlane_b32 s16, v101, 2
	v_readlane_b32 s14, v101, 0
	;; [unrolled: 1-line block ×11, first 2 shown]
.LBB353_33:                             ;   in Loop: Header=BB353_7 Depth=1
	v_readlane_b32 s6, v101, 26
	v_readlane_b32 s7, v101, 27
	s_or_b64 exec, exec, s[6:7]
.LBB353_34:                             ;   in Loop: Header=BB353_7 Depth=1
	s_or_saveexec_b64 s[2:3], s[2:3]
	v_readlane_b32 s13, v101, 25
	s_xor_b64 exec, exec, s[2:3]
	s_cbranch_execz .LBB353_43
; %bb.35:                               ;   in Loop: Header=BB353_7 Depth=1
	s_mul_i32 s12, s4, 3
	v_cmp_gt_i32_e32 vcc, s12, v91
	s_and_saveexec_b64 s[6:7], vcc
	s_cbranch_execz .LBB353_42
; %bb.36:                               ;   in Loop: Header=BB353_7 Depth=1
	s_mul_i32 s0, s0, s95
	s_ashr_i32 s1, s0, 31
	s_add_u32 s0, s18, s0
	s_addc_u32 s1, s19, s1
	s_ashr_i32 s8, s13, 31
	s_add_u32 s0, s0, s13
	s_addc_u32 s1, s1, s8
	v_lshl_add_u64 v[0:1], s[0:1], 0, v[52:53]
	v_lshl_add_u64 v[16:17], v[0:1], 0, v[50:51]
	s_mov_b64 s[0:1], 0
	s_branch .LBB353_38
.LBB353_37:                             ;   in Loop: Header=BB353_38 Depth=2
	s_or_b64 exec, exec, s[8:9]
	v_lshl_add_u32 v20, v18, 12, v85
	;;#ASMSTART
	s_waitcnt vmcnt(3)
	;;#ASMEND
	ds_write2_b32 v20, v12, v13 offset1:32
	ds_write2_b32 v20, v14, v15 offset0:64 offset1:96
	v_add_u32_e32 v12, 0x400, v20
	;;#ASMSTART
	s_waitcnt vmcnt(2)
	;;#ASMEND
	ds_write2_b32 v12, v8, v9 offset1:32
	ds_write2_b32 v12, v10, v11 offset0:64 offset1:96
	v_add_u32_e32 v8, 0x800, v20
	;; [unrolled: 6-line block ×3, first 2 shown]
	v_add_u32_e32 v91, s98, v91
	;;#ASMSTART
	s_waitcnt vmcnt(0)
	;;#ASMEND
	ds_write2_b32 v4, v0, v1 offset1:32
	ds_write2_b32 v4, v2, v3 offset0:64 offset1:96
	v_add_u32_e32 v0, 1, v71
	v_add_u32_e32 v56, s98, v18
	v_cmp_le_i32_e32 vcc, s12, v91
	ds_write_b32 v19, v0 offset:32
	v_add_u32_e32 v0, 2, v71
	s_or_b64 s[0:1], vcc, s[0:1]
	v_cmp_lt_i32_e32 vcc, 5, v56
	s_nop 1
	v_cndmask_b32_e32 v71, v71, v0, vcc
	s_andn2_b64 exec, exec, s[0:1]
	s_cbranch_execz .LBB353_41
.LBB353_38:                             ;   Parent Loop BB353_7 Depth=1
                                        ; =>  This Loop Header: Depth=2
                                        ;       Child Loop BB353_40 Depth 3
	v_cmp_gt_i32_e32 vcc, 6, v56
	s_mov_b32 s8, 0x55555556
	s_nop 0
	v_cndmask_b32_e64 v0, -6, 0, vcc
	v_add_u32_e32 v18, v0, v56
	v_mul_hi_i32 v0, v91, s8
	v_lshrrev_b32_e32 v1, 31, v0
	v_add_u32_e32 v0, v0, v1
	v_lshl_add_u32 v1, v0, 1, v0
	v_sub_u32_e32 v2, v91, v1
	v_lshlrev_b32_e32 v0, 7, v0
	v_ashrrev_i32_e32 v1, 31, v0
	v_mul_lo_u32 v2, s91, v2
	v_lshl_add_u64 v[0:1], v[16:17], 0, v[0:1]
	v_ashrrev_i32_e32 v3, 31, v2
	v_lshl_add_u64 v[0:1], v[0:1], 0, v[2:3]
	v_lshlrev_b32_e32 v19, 2, v18
	;;#ASMSTART
	global_load_dwordx4 v[12:15], v[0:1], off offset:0   sc0 sc1 nt  
	global_load_dwordx4 v[8:11], v[0:1], off offset:32  sc0 sc1 nt  
	global_load_dwordx4 v[4:7], v[0:1], off offset:64  sc0 sc1 nt  
	global_load_dwordx4 v[0:3], v[0:1], off offset:96  sc0 sc1 nt  
	
	;;#ASMEND
	ds_read_b32 v20, v19 offset:57376
	v_add_u32_e32 v19, 0xe000, v19
	s_waitcnt lgkmcnt(0)
	v_cmp_ne_u32_e32 vcc, v20, v71
	s_and_saveexec_b64 s[8:9], vcc
	s_cbranch_execz .LBB353_37
; %bb.39:                               ;   in Loop: Header=BB353_38 Depth=2
	s_mov_b64 s[10:11], 0
.LBB353_40:                             ;   Parent Loop BB353_7 Depth=1
                                        ;     Parent Loop BB353_38 Depth=2
                                        ; =>    This Inner Loop Header: Depth=3
	;;#ASMSTART
	s_sleep 0
	;;#ASMEND
	ds_read_b32 v20, v19 offset:32
	s_waitcnt lgkmcnt(0)
	v_cmp_eq_u32_e32 vcc, v20, v71
	s_or_b64 s[10:11], vcc, s[10:11]
	s_andn2_b64 exec, exec, s[10:11]
	s_cbranch_execnz .LBB353_40
	s_branch .LBB353_37
.LBB353_41:                             ;   in Loop: Header=BB353_7 Depth=1
	s_or_b64 exec, exec, s[0:1]
.LBB353_42:                             ;   in Loop: Header=BB353_7 Depth=1
	s_or_b64 exec, exec, s[6:7]
	v_subrev_u32_e32 v91, s12, v91
.LBB353_43:                             ;   in Loop: Header=BB353_7 Depth=1
	s_or_b64 exec, exec, s[2:3]
.LBB353_44:                             ;   in Loop: Header=BB353_7 Depth=1
	v_readlane_b32 s0, v101, 23
	v_readlane_b32 s1, v101, 24
	s_andn2_saveexec_b64 s[0:1], s[0:1]
	s_cbranch_execz .LBB353_6
; %bb.45:                               ;   in Loop: Header=BB353_7 Depth=1
	s_lshl_b32 s10, s4, 2
	v_cmp_gt_i32_e32 vcc, s10, v91
	s_and_saveexec_b64 s[2:3], vcc
	s_cbranch_execz .LBB353_5
; %bb.46:                               ;   in Loop: Header=BB353_7 Depth=1
	s_mul_i32 s4, s39, s94
	s_ashr_i32 s6, s4, 31
	s_add_u32 s4, s16, s4
	s_addc_u32 s7, s17, s6
	s_ashr_i32 s8, s13, 31
	s_add_u32 s6, s4, s13
	v_add_u32_e32 v2, s5, v72
	s_movk_i32 s4, 0x80
	v_cmp_gt_u32_e32 vcc, s4, v2
	s_addc_u32 s7, s7, s8
	v_sub_u32_e32 v18, 0x7f, v2
	v_cndmask_b32_e32 v0, 0, v86, vcc
	v_ashrrev_i32_e32 v1, 31, v0
	v_lshl_add_u64 v[0:1], s[6:7], 0, v[0:1]
	v_lshl_add_u64 v[16:17], v[0:1], 0, v[50:51]
	s_mov_b64 s[4:5], 0
	s_branch .LBB353_48
.LBB353_47:                             ;   in Loop: Header=BB353_48 Depth=2
	s_or_b64 exec, exec, s[6:7]
	v_lshl_or_b32 v21, v19, 12, v87
	;;#ASMSTART
	s_waitcnt vmcnt(3)
	;;#ASMEND
	ds_write2_b32 v21, v12, v13 offset1:32
	ds_write2_b32 v21, v14, v15 offset0:64 offset1:96
	v_add_u32_e32 v12, 0x400, v21
	;;#ASMSTART
	s_waitcnt vmcnt(2)
	;;#ASMEND
	ds_write2_b32 v12, v8, v9 offset1:32
	ds_write2_b32 v12, v10, v11 offset0:64 offset1:96
	v_add_u32_e32 v8, 0x800, v21
	;; [unrolled: 6-line block ×3, first 2 shown]
	v_add_u32_e32 v91, s97, v91
	;;#ASMSTART
	s_waitcnt vmcnt(0)
	;;#ASMEND
	ds_write2_b32 v4, v0, v1 offset1:32
	ds_write2_b32 v4, v2, v3 offset0:64 offset1:96
	v_add_u32_e32 v0, 1, v71
	v_add_u32_e32 v56, s97, v19
	v_cmp_le_i32_e32 vcc, s10, v91
	ds_write_b32 v20, v0
	v_add_u32_e32 v0, 2, v71
	s_or_b64 s[4:5], vcc, s[4:5]
	v_cmp_lt_i32_e32 vcc, 7, v56
	s_nop 1
	v_cndmask_b32_e32 v71, v71, v0, vcc
	s_andn2_b64 exec, exec, s[4:5]
	s_cbranch_execz .LBB353_4
.LBB353_48:                             ;   Parent Loop BB353_7 Depth=1
                                        ; =>  This Loop Header: Depth=2
                                        ;       Child Loop BB353_50 Depth 3
	v_cmp_gt_i32_e32 vcc, 8, v56
	s_nop 1
	v_cndmask_b32_e64 v0, -8, 0, vcc
	v_add_u32_e32 v19, v0, v56
	v_ashrrev_i32_e32 v0, 31, v91
	v_lshrrev_b32_e32 v0, 30, v0
	v_add_u32_e32 v0, v91, v0
	v_and_b32_e32 v1, 0x7fffffc, v0
	v_sub_u32_e32 v1, v91, v1
	v_lshlrev_b32_e32 v1, 5, v1
	v_cmp_le_i32_e32 vcc, v1, v18
	v_lshlrev_b32_e32 v0, 5, v0
	v_and_b32_e32 v0, 0xffffff80, v0
	v_cndmask_b32_e32 v2, 0, v1, vcc
	v_ashrrev_i32_e32 v1, 31, v0
	v_mul_lo_u32 v2, v2, s94
	v_lshl_add_u64 v[0:1], v[16:17], 0, v[0:1]
	v_ashrrev_i32_e32 v3, 31, v2
	v_lshl_add_u64 v[0:1], v[0:1], 0, v[2:3]
	v_lshlrev_b32_e32 v20, 2, v19
	;;#ASMSTART
	global_load_dwordx4 v[12:15], v[0:1], off offset:0   
	global_load_dwordx4 v[8:11], v[0:1], off offset:32  
	;; [unrolled: 1-line block ×4, first 2 shown]
	
	;;#ASMEND
	ds_read_b32 v21, v20 offset:57344
	v_add_u32_e32 v20, 0xe000, v20
	s_waitcnt lgkmcnt(0)
	v_cmp_ne_u32_e32 vcc, v21, v71
	s_and_saveexec_b64 s[6:7], vcc
	s_cbranch_execz .LBB353_47
; %bb.49:                               ;   in Loop: Header=BB353_48 Depth=2
	s_mov_b64 s[8:9], 0
.LBB353_50:                             ;   Parent Loop BB353_7 Depth=1
                                        ;     Parent Loop BB353_48 Depth=2
                                        ; =>    This Inner Loop Header: Depth=3
	;;#ASMSTART
	s_sleep 0
	;;#ASMEND
	ds_read_b32 v21, v20
	s_waitcnt lgkmcnt(0)
	v_cmp_eq_u32_e32 vcc, v21, v71
	s_or_b64 s[8:9], vcc, s[8:9]
	s_andn2_b64 exec, exec, s[8:9]
	s_cbranch_execnz .LBB353_50
	s_branch .LBB353_47
.LBB353_51:
	s_endpgm
	.section	.rodata,"a",@progbits
	.p2align	6, 0x0
	.amdhsa_kernel _Z19_skinny_gemm_kernelILi4ELi3ELi2ELi32ELi8EEvPKhS1_P6__halfPKfiiiiiiii
		.amdhsa_group_segment_fixed_size 57400
		.amdhsa_private_segment_fixed_size 0
		.amdhsa_kernarg_size 64
		.amdhsa_user_sgpr_count 2
		.amdhsa_user_sgpr_dispatch_ptr 0
		.amdhsa_user_sgpr_queue_ptr 0
		.amdhsa_user_sgpr_kernarg_segment_ptr 1
		.amdhsa_user_sgpr_dispatch_id 0
		.amdhsa_user_sgpr_kernarg_preload_length 0
		.amdhsa_user_sgpr_kernarg_preload_offset 0
		.amdhsa_user_sgpr_private_segment_size 0
		.amdhsa_uses_dynamic_stack 0
		.amdhsa_enable_private_segment 0
		.amdhsa_system_sgpr_workgroup_id_x 1
		.amdhsa_system_sgpr_workgroup_id_y 0
		.amdhsa_system_sgpr_workgroup_id_z 0
		.amdhsa_system_sgpr_workgroup_info 0
		.amdhsa_system_vgpr_workitem_id 0
		.amdhsa_next_free_vgpr 102
		.amdhsa_next_free_sgpr 100
		.amdhsa_accum_offset 104
		.amdhsa_reserve_vcc 1
		.amdhsa_float_round_mode_32 0
		.amdhsa_float_round_mode_16_64 0
		.amdhsa_float_denorm_mode_32 3
		.amdhsa_float_denorm_mode_16_64 3
		.amdhsa_dx10_clamp 1
		.amdhsa_ieee_mode 1
		.amdhsa_fp16_overflow 0
		.amdhsa_tg_split 0
		.amdhsa_exception_fp_ieee_invalid_op 0
		.amdhsa_exception_fp_denorm_src 0
		.amdhsa_exception_fp_ieee_div_zero 0
		.amdhsa_exception_fp_ieee_overflow 0
		.amdhsa_exception_fp_ieee_underflow 0
		.amdhsa_exception_fp_ieee_inexact 0
		.amdhsa_exception_int_div_zero 0
	.end_amdhsa_kernel
	.section	.text._Z19_skinny_gemm_kernelILi4ELi3ELi2ELi32ELi8EEvPKhS1_P6__halfPKfiiiiiiii,"axG",@progbits,_Z19_skinny_gemm_kernelILi4ELi3ELi2ELi32ELi8EEvPKhS1_P6__halfPKfiiiiiiii,comdat
.Lfunc_end353:
	.size	_Z19_skinny_gemm_kernelILi4ELi3ELi2ELi32ELi8EEvPKhS1_P6__halfPKfiiiiiiii, .Lfunc_end353-_Z19_skinny_gemm_kernelILi4ELi3ELi2ELi32ELi8EEvPKhS1_P6__halfPKfiiiiiiii
                                        ; -- End function
	.set _Z19_skinny_gemm_kernelILi4ELi3ELi2ELi32ELi8EEvPKhS1_P6__halfPKfiiiiiiii.num_vgpr, 102
	.set _Z19_skinny_gemm_kernelILi4ELi3ELi2ELi32ELi8EEvPKhS1_P6__halfPKfiiiiiiii.num_agpr, 0
	.set _Z19_skinny_gemm_kernelILi4ELi3ELi2ELi32ELi8EEvPKhS1_P6__halfPKfiiiiiiii.numbered_sgpr, 100
	.set _Z19_skinny_gemm_kernelILi4ELi3ELi2ELi32ELi8EEvPKhS1_P6__halfPKfiiiiiiii.num_named_barrier, 0
	.set _Z19_skinny_gemm_kernelILi4ELi3ELi2ELi32ELi8EEvPKhS1_P6__halfPKfiiiiiiii.private_seg_size, 0
	.set _Z19_skinny_gemm_kernelILi4ELi3ELi2ELi32ELi8EEvPKhS1_P6__halfPKfiiiiiiii.uses_vcc, 1
	.set _Z19_skinny_gemm_kernelILi4ELi3ELi2ELi32ELi8EEvPKhS1_P6__halfPKfiiiiiiii.uses_flat_scratch, 0
	.set _Z19_skinny_gemm_kernelILi4ELi3ELi2ELi32ELi8EEvPKhS1_P6__halfPKfiiiiiiii.has_dyn_sized_stack, 0
	.set _Z19_skinny_gemm_kernelILi4ELi3ELi2ELi32ELi8EEvPKhS1_P6__halfPKfiiiiiiii.has_recursion, 0
	.set _Z19_skinny_gemm_kernelILi4ELi3ELi2ELi32ELi8EEvPKhS1_P6__halfPKfiiiiiiii.has_indirect_call, 0
	.section	.AMDGPU.csdata,"",@progbits
; Kernel info:
; codeLenInByte = 12184
; TotalNumSgprs: 106
; NumVgprs: 102
; NumAgprs: 0
; TotalNumVgprs: 102
; ScratchSize: 0
; MemoryBound: 0
; FloatMode: 240
; IeeeMode: 1
; LDSByteSize: 57400 bytes/workgroup (compile time only)
; SGPRBlocks: 13
; VGPRBlocks: 12
; NumSGPRsForWavesPerEU: 106
; NumVGPRsForWavesPerEU: 102
; AccumOffset: 104
; Occupancy: 4
; WaveLimiterHint : 0
; COMPUTE_PGM_RSRC2:SCRATCH_EN: 0
; COMPUTE_PGM_RSRC2:USER_SGPR: 2
; COMPUTE_PGM_RSRC2:TRAP_HANDLER: 0
; COMPUTE_PGM_RSRC2:TGID_X_EN: 1
; COMPUTE_PGM_RSRC2:TGID_Y_EN: 0
; COMPUTE_PGM_RSRC2:TGID_Z_EN: 0
; COMPUTE_PGM_RSRC2:TIDIG_COMP_CNT: 0
; COMPUTE_PGM_RSRC3_GFX90A:ACCUM_OFFSET: 25
; COMPUTE_PGM_RSRC3_GFX90A:TG_SPLIT: 0
	.section	.text._Z19_skinny_gemm_kernelILi4ELi3ELi3ELi16ELi4EEvPKhS1_P6__halfPKfiiiiiiii,"axG",@progbits,_Z19_skinny_gemm_kernelILi4ELi3ELi3ELi16ELi4EEvPKhS1_P6__halfPKfiiiiiiii,comdat
	.protected	_Z19_skinny_gemm_kernelILi4ELi3ELi3ELi16ELi4EEvPKhS1_P6__halfPKfiiiiiiii ; -- Begin function _Z19_skinny_gemm_kernelILi4ELi3ELi3ELi16ELi4EEvPKhS1_P6__halfPKfiiiiiiii
	.globl	_Z19_skinny_gemm_kernelILi4ELi3ELi3ELi16ELi4EEvPKhS1_P6__halfPKfiiiiiiii
	.p2align	8
	.type	_Z19_skinny_gemm_kernelILi4ELi3ELi3ELi16ELi4EEvPKhS1_P6__halfPKfiiiiiiii,@function
_Z19_skinny_gemm_kernelILi4ELi3ELi3ELi16ELi4EEvPKhS1_P6__halfPKfiiiiiiii: ; @_Z19_skinny_gemm_kernelILi4ELi3ELi3ELi16ELi4EEvPKhS1_P6__halfPKfiiiiiiii
; %bb.0:
	v_cmp_gt_u32_e32 vcc, 21, v0
	v_lshlrev_b32_e32 v1, 2, v0
	s_and_saveexec_b64 s[4:5], vcc
; %bb.1:
	v_mov_b32_e32 v2, 0
	ds_write_b32 v1, v2 offset:43008
; %bb.2:
	s_or_b64 exec, exec, s[4:5]
	s_load_dwordx8 s[20:27], s[0:1], 0x20
	s_waitcnt lgkmcnt(0)
	s_barrier
	s_add_i32 s3, s20, 63
	s_ashr_i32 s5, s3, 31
	s_add_i32 s4, s21, 47
	s_lshr_b32 s5, s5, 26
	s_mul_hi_i32 s4, s4, 0x2aaaaaab
	s_add_i32 s3, s3, s5
	s_ashr_i32 s33, s3, 6
	s_lshr_b32 s3, s4, 31
	s_ashr_i32 s50, s4, 3
	s_add_i32 s50, s50, s3
	s_mul_i32 s3, s50, s33
	s_mul_i32 s3, s3, s24
	s_add_i32 s4, s3, 0x12f
	s_mul_hi_i32 s4, s4, 0x6bca1af3
	s_lshr_b32 s5, s4, 31
	s_ashr_i32 s4, s4, 7
	s_add_i32 s4, s4, s5
	s_add_i32 s5, s2, 1
	s_mul_i32 s5, s4, s5
	v_cvt_f64_i32_e32 v[2:3], s3
	v_cvt_f64_u32_e32 v[4:5], s5
	v_min_f64 v[2:3], v[2:3], v[4:5]
	v_cvt_i32_f64_e32 v49, v[2:3]
	s_mul_i32 s51, s4, s2
	v_cmp_ge_i32_e32 vcc, s51, v49
	s_cbranch_vccnz .LBB354_63
; %bb.3:
	v_lshrrev_b32_e32 v2, 6, v0
	s_add_i32 s4, s26, s25
	s_load_dwordx8 s[36:43], s[0:1], 0x0
	v_cmp_le_i32_e64 s[0:1], s4, v2
	v_mov_b32_e32 v3, s25
	v_cmp_le_i32_e64 s[2:3], s25, v2
	v_mov_b32_e32 v4, s26
	v_cndmask_b32_e64 v4, 0, v4, s[0:1]
	v_cndmask_b32_e64 v3, 0, v3, s[2:3]
	s_abs_i32 s5, s24
	v_add_u32_e32 v3, v3, v4
	v_cvt_f32_u32_e32 v4, s5
	v_sub_u32_e32 v64, v2, v3
	s_ashr_i32 s6, s22, 31
	s_lshr_b32 s6, s6, 25
	v_rcp_iflag_f32_e32 v3, v4
	s_sub_i32 s9, 0, s5
	s_add_i32 s6, s22, s6
	s_ashr_i32 s6, s6, 7
	v_mul_f32_e32 v3, 0x4f7ffffe, v3
	v_cvt_u32_f32_e32 v3, v3
	s_abs_i32 s8, s6
	s_xor_b32 s7, s6, s24
	s_ashr_i32 s7, s7, 31
	v_readfirstlane_b32 s10, v3
	s_mul_i32 s9, s9, s10
	s_mul_hi_u32 s9, s10, s9
	s_add_i32 s10, s10, s9
	s_mul_hi_u32 s9, s8, s10
	s_mul_i32 s10, s9, s5
	s_sub_i32 s8, s8, s10
	s_add_i32 s10, s9, 1
	s_sub_i32 s11, s8, s5
	s_cmp_ge_u32 s8, s5
	s_cselect_b32 s9, s10, s9
	s_cselect_b32 s8, s11, s8
	s_add_i32 s10, s9, 1
	s_cmp_ge_u32 s8, s5
	s_cselect_b32 s5, s10, s9
	s_xor_b32 s5, s5, s7
	s_sub_i32 s52, s5, s7
	s_add_i32 s24, s24, -1
	s_mul_i32 s5, s52, s24
	s_add_i32 s4, s4, s27
	s_sub_i32 s53, s6, s5
	v_cmp_gt_i32_e64 s[4:5], s4, v2
	v_lshlrev_b32_e32 v2, 1, v0
	v_lshlrev_b32_e32 v3, 4, v0
	v_and_b32_e32 v1, 60, v1
	v_and_b32_e32 v2, 64, v2
	;; [unrolled: 1-line block ×3, first 2 shown]
	v_or3_b32 v101, v1, v2, v4
	v_and_b32_e32 v1, 1, v0
	v_lshrrev_b32_e32 v4, 2, v0
	s_abs_i32 s54, s33
	v_and_or_b32 v107, v4, 12, v1
	v_cvt_f32_u32_e32 v4, s54
	v_lshlrev_b32_e32 v2, 1, v1
	v_and_b32_e32 v48, 14, v0
	v_sub_u32_e32 v2, v0, v2
	v_bitop3_b32 v103, v0, 1, v0 bitop3:0xc
	v_bitop3_b32 v104, v0, 3, 1 bitop3:0x6c
	v_and_b32_e32 v58, 48, v3
	v_bfe_u32 v111, v0, 2, 4
	v_and_b32_e32 v1, 60, v0
	v_lshlrev_b32_e32 v3, 8, v0
	v_lshlrev_b32_e32 v0, 6, v0
	v_and_b32_e32 v3, 0x200, v3
	v_and_b32_e32 v0, 64, v0
	v_or3_b32 v112, v1, v3, v0
	v_rcp_iflag_f32_e32 v0, v4
	s_abs_i32 s56, s50
	v_cvt_f32_u32_e32 v1, s56
	v_mad_u64_u32 v[50:51], s[6:7], s21, v107, v[48:49]
	v_mul_f32_e32 v0, 0x4f7ffffe, v0
	v_cvt_u32_f32_e32 v0, v0
	v_rcp_iflag_f32_e32 v1, v1
	s_lshl_b32 s6, s21, 4
	v_add_u32_e32 v52, s6, v50
	v_readfirstlane_b32 s7, v0
	v_mul_f32_e32 v0, 0x4f7ffffe, v1
	v_add_u32_e32 v54, s6, v52
	v_cvt_u32_f32_e32 v0, v0
	v_add_u32_e32 v56, s6, v54
	s_sub_i32 s6, 0, s54
	s_mul_i32 s6, s6, s7
	s_mul_hi_u32 s6, s7, s6
	v_add_u32_e32 v2, 1, v2
	s_add_i32 s58, s7, s6
	s_sub_i32 s6, 0, s56
	v_readfirstlane_b32 s7, v0
	v_mbcnt_lo_u32_b32 v0, -1, 0
	v_and_b32_e32 v2, 63, v2
	s_mul_i32 s6, s6, s7
	v_mbcnt_hi_u32_b32 v0, -1, v0
	v_mul_lo_u32 v60, s23, v111
	s_mul_hi_u32 s6, s7, s6
	v_and_or_b32 v0, v0, 64, v2
	v_cndmask_b32_e64 v100, 0, 1, s[0:1]
	v_or_b32_e32 v102, 0x6000, v101
	s_ashr_i32 s29, s21, 31
	s_mov_b32 s28, s21
	v_or_b32_e32 v105, 16, v48
	v_or_b32_e32 v106, 32, v48
	v_ashrrev_i32_e32 v51, 31, v50
	v_or_b32_e32 v108, 16, v107
	v_ashrrev_i32_e32 v53, 31, v52
	;; [unrolled: 2-line block ×4, first 2 shown]
	v_ashrrev_i32_e32 v61, 31, v60
	v_mov_b32_e32 v59, 0
	v_or_b32_e32 v113, 0x6000, v112
	s_lshl_b32 s55, s23, 4
	v_mul_lo_u32 v114, s22, v111
	s_ashr_i32 s57, s33, 31
	s_ashr_i32 s59, s50, 31
	s_add_i32 s60, s7, s6
	s_movk_i32 s61, 0x1800
	s_mov_b32 s62, 0x55555556
	v_lshlrev_b32_e32 v115, 2, v0
	v_mov_b32_e32 v116, v64
	s_branch .LBB354_7
.LBB354_4:                              ;   in Loop: Header=BB354_7 Depth=1
	s_or_b64 exec, exec, s[10:11]
.LBB354_5:                              ;   in Loop: Header=BB354_7 Depth=1
	s_or_b64 exec, exec, s[8:9]
	v_subrev_u32_e32 v116, s16, v116
.LBB354_6:                              ;   in Loop: Header=BB354_7 Depth=1
	s_or_b64 exec, exec, s[6:7]
	s_add_i32 s51, s51, 1
	v_cmp_ge_i32_e32 vcc, s51, v49
	s_cbranch_vccnz .LBB354_63
.LBB354_7:                              ; =>This Loop Header: Depth=1
                                        ;     Child Loop BB354_13 Depth 2
                                        ;       Child Loop BB354_15 Depth 3
                                        ;       Child Loop BB354_18 Depth 3
	;; [unrolled: 1-line block ×7, first 2 shown]
                                        ;     Child Loop BB354_50 Depth 2
                                        ;       Child Loop BB354_52 Depth 3
                                        ;     Child Loop BB354_60 Depth 2
                                        ;       Child Loop BB354_62 Depth 3
	s_abs_i32 s7, s51
	s_mul_hi_u32 s8, s7, s58
	s_mul_i32 s9, s8, s54
	s_ashr_i32 s6, s51, 31
	s_sub_i32 s7, s7, s9
	s_xor_b32 s6, s6, s57
	s_add_i32 s9, s8, 1
	s_sub_i32 s10, s7, s54
	s_cmp_ge_u32 s7, s54
	s_cselect_b32 s8, s9, s8
	s_cselect_b32 s7, s10, s7
	s_add_i32 s9, s8, 1
	s_cmp_ge_u32 s7, s54
	s_cselect_b32 s7, s9, s8
	s_xor_b32 s7, s7, s6
	s_sub_i32 s6, s7, s6
	s_abs_i32 s8, s6
	s_mul_i32 s7, s6, s33
	s_mul_hi_u32 s9, s8, s60
	s_sub_i32 s7, s51, s7
	s_mul_i32 s10, s9, s56
	s_lshl_b32 s63, s7, 6
	s_ashr_i32 s7, s6, 31
	s_sub_i32 s8, s8, s10
	s_xor_b32 s7, s7, s59
	s_add_i32 s10, s9, 1
	s_sub_i32 s11, s8, s56
	s_cmp_ge_u32 s8, s56
	s_cselect_b32 s9, s10, s9
	s_cselect_b32 s8, s11, s8
	s_add_i32 s10, s9, 1
	s_cmp_ge_u32 s8, s56
	s_cselect_b32 s8, s10, s9
	s_xor_b32 s8, s8, s7
	s_sub_i32 s7, s8, s7
	s_mul_i32 s8, s7, s52
	s_lshl_b32 s64, s8, 7
	s_cmp_eq_u32 s7, s24
	s_cselect_b32 s66, s53, s52
	s_sub_i32 s8, s63, s20
	s_add_i32 s8, s8, 64
	s_max_i32 s65, s8, 0
	s_and_saveexec_b64 s[8:9], s[2:3]
	s_xor_b64 s[30:31], exec, s[8:9]
	s_cbranch_execz .LBB354_56
; %bb.8:                                ;   in Loop: Header=BB354_7 Depth=1
	s_mul_i32 s7, s7, s50
	s_sub_i32 s6, s6, s7
	s_mul_i32 s6, s6, 48
	s_sub_i32 s18, s6, s21
	s_add_i32 s18, s18, 48
	s_max_i32 s7, s18, 0
	s_sub_i32 s34, s6, s7
	s_and_saveexec_b64 s[6:7], s[0:1]
	s_xor_b64 s[44:45], exec, s[6:7]
	s_cbranch_execz .LBB354_46
; %bb.9:                                ;   in Loop: Header=BB354_7 Depth=1
	s_and_saveexec_b64 s[46:47], s[4:5]
	s_cbranch_execz .LBB354_45
; %bb.10:                               ;   in Loop: Header=BB354_7 Depth=1
	s_waitcnt lgkmcnt(0)
	global_load_dword v117, v59, s[42:43]
	v_mov_b32_e32 v47, 0
	v_cmp_gt_i32_e32 vcc, s66, v116
	v_mov_b32_e32 v46, v47
	v_mov_b32_e32 v45, v47
	;; [unrolled: 1-line block ×47, first 2 shown]
	s_and_saveexec_b64 s[6:7], vcc
	s_cbranch_execz .LBB354_35
; %bb.11:                               ;   in Loop: Header=BB354_7 Depth=1
	v_mov_b32_e32 v4, 0
	s_mov_b64 s[8:9], 0
	v_mov_b32_e32 v5, v4
	v_mov_b32_e32 v6, v4
	;; [unrolled: 1-line block ×47, first 2 shown]
	s_branch .LBB354_13
.LBB354_12:                             ;   in Loop: Header=BB354_13 Depth=2
	s_or_b64 exec, exec, s[10:11]
	v_add_u32_e32 v82, 0x1000, v121
	ds_read2_b32 v[80:81], v82 offset1:32
	v_add_u32_e32 v84, 0x1400, v121
	v_add_u32_e32 v116, s27, v116
	s_waitcnt lgkmcnt(0)
	v_mfma_f32_16x16x32_fp8_fp8 v[36:39], v[62:63], v[80:81], v[36:39]
	ds_read2_b32 v[62:63], v82 offset0:128 offset1:160
	ds_read2_b32 v[82:83], v84 offset1:32
	v_mfma_f32_16x16x32_fp8_fp8 v[24:27], v[70:71], v[80:81], v[24:27]
	v_mfma_f32_16x16x32_fp8_fp8 v[12:15], v[86:87], v[80:81], v[12:15]
	;; [unrolled: 1-line block ×3, first 2 shown]
	s_waitcnt lgkmcnt(1)
	v_mfma_f32_16x16x32_fp8_fp8 v[36:39], v[64:65], v[62:63], v[36:39]
	v_add_u32_e32 v64, s27, v118
	v_cmp_lt_i32_e32 vcc, 2, v64
	v_mfma_f32_16x16x32_fp8_fp8 v[24:27], v[72:73], v[62:63], v[24:27]
	v_mfma_f32_16x16x32_fp8_fp8 v[12:15], v[88:89], v[62:63], v[12:15]
	;; [unrolled: 1-line block ×3, first 2 shown]
	v_add_u32_e32 v62, 2, v100
	v_cndmask_b32_e32 v100, v100, v62, vcc
	v_cmp_le_i32_e32 vcc, s66, v116
	s_waitcnt lgkmcnt(0)
	v_mfma_f32_16x16x32_fp8_fp8 v[36:39], v[66:67], v[82:83], v[36:39]
	ds_read2_b32 v[66:67], v84 offset0:128 offset1:160
	s_or_b64 s[8:9], vcc, s[8:9]
	;;#ASMSTART
	s_waitcnt lgkmcnt(0)
	;;#ASMEND
	v_mfma_f32_16x16x32_fp8_fp8 v[24:27], v[74:75], v[82:83], v[24:27]
	ds_write_b32 v119, v120 offset:43064
	v_mfma_f32_16x16x32_fp8_fp8 v[12:15], v[90:91], v[82:83], v[12:15]
	v_mfma_f32_16x16x32_fp8_fp8 v[4:7], v[98:99], v[82:83], v[4:7]
	s_waitcnt lgkmcnt(1)
	v_mfma_f32_16x16x32_fp8_fp8 v[36:39], v[68:69], v[66:67], v[36:39]
	v_mfma_f32_16x16x32_fp8_fp8 v[24:27], v[76:77], v[66:67], v[24:27]
	v_mfma_f32_16x16x32_fp8_fp8 v[12:15], v[92:93], v[66:67], v[12:15]
	v_mfma_f32_16x16x32_fp8_fp8 v[4:7], v[78:79], v[66:67], v[4:7]
	s_andn2_b64 exec, exec, s[8:9]
	s_cbranch_execz .LBB354_34
.LBB354_13:                             ;   Parent Loop BB354_7 Depth=1
                                        ; =>  This Loop Header: Depth=2
                                        ;       Child Loop BB354_15 Depth 3
                                        ;       Child Loop BB354_18 Depth 3
	;; [unrolled: 1-line block ×7, first 2 shown]
	v_cmp_gt_i32_e32 vcc, 3, v64
	s_nop 1
	v_cndmask_b32_e64 v62, -3, 0, vcc
	v_add_u32_e32 v118, v62, v64
	v_mul_lo_u32 v119, v118, 12
	ds_read_b32 v62, v119 offset:43056
	s_waitcnt lgkmcnt(0)
	v_cmp_ne_u32_e32 vcc, v62, v100
	s_and_saveexec_b64 s[10:11], vcc
	s_cbranch_execz .LBB354_16
; %bb.14:                               ;   in Loop: Header=BB354_13 Depth=2
	s_mov_b64 s[12:13], 0
.LBB354_15:                             ;   Parent Loop BB354_7 Depth=1
                                        ;     Parent Loop BB354_13 Depth=2
                                        ; =>    This Inner Loop Header: Depth=3
	;;#ASMSTART
	s_sleep 0
	;;#ASMEND
	ds_read_b32 v62, v119 offset:43056
	s_waitcnt lgkmcnt(0)
	v_cmp_eq_u32_e32 vcc, v62, v100
	s_or_b64 s[12:13], vcc, s[12:13]
	s_andn2_b64 exec, exec, s[12:13]
	s_cbranch_execnz .LBB354_15
.LBB354_16:                             ;   in Loop: Header=BB354_13 Depth=2
	s_or_b64 exec, exec, s[10:11]
	v_mul_lo_u32 v62, v118, s61
	v_add_u32_e32 v121, v102, v62
	v_add_u32_e32 v62, 0x400, v121
	;; [unrolled: 1-line block ×3, first 2 shown]
	ds_read2_b32 v[78:79], v121 offset1:32
	ds_read2_b32 v[80:81], v121 offset0:128 offset1:160
	ds_read2_b32 v[84:85], v62 offset1:32
	ds_read2_b32 v[82:83], v62 offset0:128 offset1:160
	;;#ASMSTART
	s_waitcnt lgkmcnt(0)
	;;#ASMEND
	ds_write_b32 v119, v120 offset:43056
	v_lshlrev_b32_e32 v122, 4, v118
	ds_read_b32 v62, v122 offset:43008
	s_waitcnt lgkmcnt(0)
	v_cmp_ne_u32_e32 vcc, v62, v100
	s_and_saveexec_b64 s[10:11], vcc
	s_cbranch_execz .LBB354_19
; %bb.17:                               ;   in Loop: Header=BB354_13 Depth=2
	s_mov_b64 s[12:13], 0
.LBB354_18:                             ;   Parent Loop BB354_7 Depth=1
                                        ;     Parent Loop BB354_13 Depth=2
                                        ; =>    This Inner Loop Header: Depth=3
	;;#ASMSTART
	s_sleep 0
	;;#ASMEND
	ds_read_b32 v62, v122 offset:43008
	s_waitcnt lgkmcnt(0)
	v_cmp_eq_u32_e32 vcc, v62, v100
	s_or_b64 s[12:13], vcc, s[12:13]
	s_andn2_b64 exec, exec, s[12:13]
	s_cbranch_execnz .LBB354_18
.LBB354_19:                             ;   in Loop: Header=BB354_13 Depth=2
	s_or_b64 exec, exec, s[10:11]
	v_lshlrev_b32_e32 v70, 13, v118
	v_or_b32_e32 v66, v101, v70
	ds_read2_b32 v[62:63], v66 offset1:32
	ds_read2_b32 v[64:65], v66 offset0:128 offset1:160
	v_add_u32_e32 v68, 0x400, v66
	ds_read2_b32 v[66:67], v68 offset1:32
	ds_read2_b32 v[68:69], v68 offset0:128 offset1:160
	ds_read_b32 v71, v122 offset:43012
	ds_write_b32 v122, v120 offset:43008
	s_waitcnt lgkmcnt(5)
	v_mfma_f32_16x16x32_fp8_fp8 v[44:47], v[62:63], v[78:79], v[44:47]
	s_waitcnt lgkmcnt(1)
	v_cmp_ne_u32_e32 vcc, v71, v100
	v_mfma_f32_16x16x32_fp8_fp8 v[44:47], v[64:65], v[80:81], v[44:47]
	v_mfma_f32_16x16x32_fp8_fp8 v[44:47], v[66:67], v[84:85], v[44:47]
	;; [unrolled: 1-line block ×3, first 2 shown]
	s_and_saveexec_b64 s[10:11], vcc
	s_cbranch_execz .LBB354_22
; %bb.20:                               ;   in Loop: Header=BB354_13 Depth=2
	s_mov_b64 s[12:13], 0
.LBB354_21:                             ;   Parent Loop BB354_7 Depth=1
                                        ;     Parent Loop BB354_13 Depth=2
                                        ; =>    This Inner Loop Header: Depth=3
	;;#ASMSTART
	s_sleep 0
	;;#ASMEND
	ds_read_b32 v71, v122 offset:43012
	s_waitcnt lgkmcnt(0)
	v_cmp_eq_u32_e32 vcc, v71, v100
	s_or_b64 s[12:13], vcc, s[12:13]
	s_andn2_b64 exec, exec, s[12:13]
	s_cbranch_execnz .LBB354_21
.LBB354_22:                             ;   in Loop: Header=BB354_13 Depth=2
	s_or_b64 exec, exec, s[10:11]
	v_add_u32_e32 v98, v101, v70
	v_add_u32_e32 v72, 0x800, v98
	ds_read2_b32 v[70:71], v72 offset1:32
	ds_read2_b32 v[72:73], v72 offset0:128 offset1:160
	v_add_u32_e32 v76, 0xc00, v98
	ds_read2_b32 v[74:75], v76 offset1:32
	ds_read2_b32 v[76:77], v76 offset0:128 offset1:160
	ds_read_b32 v86, v122 offset:43016
	ds_write_b32 v122, v120 offset:43012
	s_waitcnt lgkmcnt(5)
	v_mfma_f32_16x16x32_fp8_fp8 v[32:35], v[70:71], v[78:79], v[32:35]
	s_waitcnt lgkmcnt(1)
	v_cmp_ne_u32_e32 vcc, v86, v100
	v_mfma_f32_16x16x32_fp8_fp8 v[32:35], v[72:73], v[80:81], v[32:35]
	v_mfma_f32_16x16x32_fp8_fp8 v[32:35], v[74:75], v[84:85], v[32:35]
	;; [unrolled: 1-line block ×3, first 2 shown]
	s_and_saveexec_b64 s[10:11], vcc
	s_cbranch_execz .LBB354_25
; %bb.23:                               ;   in Loop: Header=BB354_13 Depth=2
	s_mov_b64 s[12:13], 0
.LBB354_24:                             ;   Parent Loop BB354_7 Depth=1
                                        ;     Parent Loop BB354_13 Depth=2
                                        ; =>    This Inner Loop Header: Depth=3
	;;#ASMSTART
	s_sleep 0
	;;#ASMEND
	ds_read_b32 v86, v122 offset:43016
	s_waitcnt lgkmcnt(0)
	v_cmp_eq_u32_e32 vcc, v86, v100
	s_or_b64 s[12:13], vcc, s[12:13]
	s_andn2_b64 exec, exec, s[12:13]
	s_cbranch_execnz .LBB354_24
.LBB354_25:                             ;   in Loop: Header=BB354_13 Depth=2
	s_or_b64 exec, exec, s[10:11]
	v_add_u32_e32 v88, 0x1000, v98
	ds_read2_b32 v[86:87], v88 offset1:32
	ds_read2_b32 v[88:89], v88 offset0:128 offset1:160
	v_add_u32_e32 v92, 0x1400, v98
	ds_read2_b32 v[90:91], v92 offset1:32
	ds_read2_b32 v[92:93], v92 offset0:128 offset1:160
	ds_read_b32 v94, v122 offset:43020
	ds_write_b32 v122, v120 offset:43016
	s_waitcnt lgkmcnt(5)
	v_mfma_f32_16x16x32_fp8_fp8 v[20:23], v[86:87], v[78:79], v[20:23]
	s_waitcnt lgkmcnt(1)
	v_cmp_ne_u32_e32 vcc, v94, v100
	v_mfma_f32_16x16x32_fp8_fp8 v[20:23], v[88:89], v[80:81], v[20:23]
	v_mfma_f32_16x16x32_fp8_fp8 v[20:23], v[90:91], v[84:85], v[20:23]
	;; [unrolled: 1-line block ×3, first 2 shown]
	s_and_saveexec_b64 s[10:11], vcc
	s_cbranch_execz .LBB354_28
; %bb.26:                               ;   in Loop: Header=BB354_13 Depth=2
	s_mov_b64 s[12:13], 0
.LBB354_27:                             ;   Parent Loop BB354_7 Depth=1
                                        ;     Parent Loop BB354_13 Depth=2
                                        ; =>    This Inner Loop Header: Depth=3
	;;#ASMSTART
	s_sleep 0
	;;#ASMEND
	ds_read_b32 v94, v122 offset:43020
	s_waitcnt lgkmcnt(0)
	v_cmp_eq_u32_e32 vcc, v94, v100
	s_or_b64 s[12:13], vcc, s[12:13]
	s_andn2_b64 exec, exec, s[12:13]
	s_cbranch_execnz .LBB354_27
.LBB354_28:                             ;   in Loop: Header=BB354_13 Depth=2
	s_or_b64 exec, exec, s[10:11]
	v_add_u32_e32 v96, 0x1800, v98
	ds_read2_b32 v[94:95], v96 offset1:32
	ds_read2_b32 v[96:97], v96 offset0:128 offset1:160
	v_add_u32_e32 v123, 0x1c00, v98
	ds_read2_b32 v[98:99], v123 offset1:32
	ds_write_b32 v122, v120 offset:43020
	s_waitcnt lgkmcnt(3)
	v_mfma_f32_16x16x32_fp8_fp8 v[8:11], v[94:95], v[78:79], v[8:11]
	ds_read2_b32 v[78:79], v123 offset0:128 offset1:160
	s_waitcnt lgkmcnt(3)
	v_mfma_f32_16x16x32_fp8_fp8 v[8:11], v[96:97], v[80:81], v[8:11]
	ds_read_b32 v80, v119 offset:43060
	s_waitcnt lgkmcnt(0)
	v_cmp_ne_u32_e32 vcc, v80, v100
	v_mfma_f32_16x16x32_fp8_fp8 v[8:11], v[98:99], v[84:85], v[8:11]
	v_mfma_f32_16x16x32_fp8_fp8 v[8:11], v[78:79], v[82:83], v[8:11]
	s_and_saveexec_b64 s[10:11], vcc
	s_cbranch_execz .LBB354_31
; %bb.29:                               ;   in Loop: Header=BB354_13 Depth=2
	s_mov_b64 s[12:13], 0
.LBB354_30:                             ;   Parent Loop BB354_7 Depth=1
                                        ;     Parent Loop BB354_13 Depth=2
                                        ; =>    This Inner Loop Header: Depth=3
	;;#ASMSTART
	s_sleep 0
	;;#ASMEND
	ds_read_b32 v80, v119 offset:43060
	s_waitcnt lgkmcnt(0)
	v_cmp_eq_u32_e32 vcc, v80, v100
	s_or_b64 s[12:13], vcc, s[12:13]
	s_andn2_b64 exec, exec, s[12:13]
	s_cbranch_execnz .LBB354_30
.LBB354_31:                             ;   in Loop: Header=BB354_13 Depth=2
	s_or_b64 exec, exec, s[10:11]
	v_add_u32_e32 v82, 0x800, v121
	ds_read2_b32 v[80:81], v82 offset1:32
	ds_read2_b32 v[82:83], v82 offset0:128 offset1:160
	v_add_u32_e32 v122, 0xc00, v121
	ds_read2_b32 v[84:85], v122 offset1:32
	ds_read2_b32 v[122:123], v122 offset0:128 offset1:160
	s_waitcnt lgkmcnt(3)
	v_mfma_f32_16x16x32_fp8_fp8 v[40:43], v[62:63], v[80:81], v[40:43]
	;;#ASMSTART
	s_waitcnt lgkmcnt(0)
	;;#ASMEND
	ds_write_b32 v119, v120 offset:43060
	v_mfma_f32_16x16x32_fp8_fp8 v[28:31], v[70:71], v[80:81], v[28:31]
	v_mfma_f32_16x16x32_fp8_fp8 v[16:19], v[86:87], v[80:81], v[16:19]
	;; [unrolled: 1-line block ×3, first 2 shown]
	ds_read_b32 v80, v119 offset:43064
	s_waitcnt lgkmcnt(0)
	v_cmp_ne_u32_e32 vcc, v80, v100
	v_mfma_f32_16x16x32_fp8_fp8 v[40:43], v[64:65], v[82:83], v[40:43]
	v_mfma_f32_16x16x32_fp8_fp8 v[28:31], v[72:73], v[82:83], v[28:31]
	;; [unrolled: 1-line block ×12, first 2 shown]
	s_and_saveexec_b64 s[10:11], vcc
	s_cbranch_execz .LBB354_12
; %bb.32:                               ;   in Loop: Header=BB354_13 Depth=2
	s_mov_b64 s[12:13], 0
.LBB354_33:                             ;   Parent Loop BB354_7 Depth=1
                                        ;     Parent Loop BB354_13 Depth=2
                                        ; =>    This Inner Loop Header: Depth=3
	;;#ASMSTART
	s_sleep 0
	;;#ASMEND
	ds_read_b32 v80, v119 offset:43064
	s_waitcnt lgkmcnt(0)
	v_cmp_eq_u32_e32 vcc, v80, v100
	s_or_b64 s[12:13], vcc, s[12:13]
	s_andn2_b64 exec, exec, s[12:13]
	s_cbranch_execnz .LBB354_33
	s_branch .LBB354_12
.LBB354_34:                             ;   in Loop: Header=BB354_7 Depth=1
	s_or_b64 exec, exec, s[8:9]
.LBB354_35:                             ;   in Loop: Header=BB354_7 Depth=1
	s_or_b64 exec, exec, s[6:7]
	v_cmp_le_i32_e32 vcc, s18, v48
	v_cmp_eq_u32_e64 s[6:7], 2, v103
	v_cmp_eq_u32_e64 s[8:9], 3, v103
	s_waitcnt vmcnt(0)
	v_cndmask_b32_e32 v62, 0, v117, vcc
	v_pk_mul_f32 v[44:45], v[62:63], v[44:45] op_sel_hi:[0,1]
	v_cmp_eq_u32_e32 vcc, 1, v103
	v_pk_mul_f32 v[66:67], v[62:63], v[46:47] op_sel_hi:[0,1]
	v_cmp_eq_u32_e64 s[10:11], 0, v103
	v_cndmask_b32_e32 v46, v44, v45, vcc
	v_cndmask_b32_e64 v46, v46, v66, s[6:7]
	v_cndmask_b32_e64 v46, v46, v67, s[8:9]
	ds_bpermute_b32 v63, v115, v46
	v_cmp_le_i32_e64 s[14:15], s18, v105
	v_cmp_eq_u32_e64 s[12:13], 1, v104
	v_cmp_le_i32_e64 s[18:19], s18, v106
	v_cmp_eq_u32_e64 s[16:17], 3, v104
	s_waitcnt lgkmcnt(0)
	v_cndmask_b32_e64 v46, v67, v63, s[8:9]
	v_cndmask_b32_e64 v47, v66, v63, s[6:7]
	v_cndmask_b32_e32 v45, v45, v63, vcc
	v_cndmask_b32_e64 v63, v44, v63, s[10:11]
	v_cndmask_b32_e64 v44, 0, v117, s[14:15]
	v_pk_mul_f32 v[40:41], v[44:45], v[40:41] op_sel_hi:[0,1]
	v_pk_mul_f32 v[66:67], v[44:45], v[42:43] op_sel_hi:[0,1]
	v_cndmask_b32_e32 v42, v40, v41, vcc
	v_cndmask_b32_e64 v42, v42, v66, s[6:7]
	v_cndmask_b32_e64 v42, v42, v67, s[8:9]
	ds_bpermute_b32 v69, v115, v42
	v_cndmask_b32_e64 v65, v63, v45, s[12:13]
	v_cmp_eq_u32_e64 s[14:15], 2, v104
	s_waitcnt lgkmcnt(0)
	v_cndmask_b32_e64 v43, v67, v69, s[8:9]
	v_cndmask_b32_e64 v42, v65, v47, s[14:15]
	;; [unrolled: 1-line block ×3, first 2 shown]
	v_cndmask_b32_e32 v68, v41, v69, vcc
	v_cndmask_b32_e64 v69, v40, v69, s[10:11]
	v_cndmask_b32_e64 v40, 0, v117, s[18:19]
	v_pk_mul_f32 v[70:71], v[40:41], v[36:37] op_sel_hi:[0,1]
	v_pk_mul_f32 v[66:67], v[40:41], v[38:39] op_sel_hi:[0,1]
	v_cndmask_b32_e32 v36, v70, v71, vcc
	v_cndmask_b32_e64 v36, v36, v66, s[6:7]
	v_cndmask_b32_e64 v36, v36, v67, s[8:9]
	ds_bpermute_b32 v37, v115, v36
	v_cndmask_b32_e64 v36, v69, v68, s[12:13]
	v_cndmask_b32_e64 v36, v36, v65, s[14:15]
	;; [unrolled: 1-line block ×3, first 2 shown]
	v_cmp_ne_u32_e32 vcc, 0, v103
	ds_bpermute_b32 v38, v115, v36
	s_waitcnt lgkmcnt(1)
	v_cndmask_b32_e64 v39, v67, v37, s[8:9]
	v_cndmask_b32_e64 v66, v66, v37, s[6:7]
	v_cndmask_b32_e32 v36, v71, v37, vcc
	v_cndmask_b32_e64 v37, v70, v37, s[10:11]
	v_cndmask_b32_e64 v41, v37, v36, s[12:13]
	v_cndmask_b32_e64 v41, v41, v66, s[14:15]
	v_cndmask_b32_e64 v42, v42, v46, s[16:17]
	v_cndmask_b32_e64 v41, v41, v39, s[16:17]
	ds_bpermute_b32 v42, v115, v42
	ds_bpermute_b32 v67, v115, v41
	v_add_u32_e32 v41, s65, v107
	v_cmp_gt_u32_e32 vcc, 64, v41
	s_and_saveexec_b64 s[18:19], vcc
	s_cbranch_execz .LBB354_44
; %bb.36:                               ;   in Loop: Header=BB354_7 Depth=1
	v_cmp_eq_u32_e64 s[8:9], 1, v104
	v_cmp_eq_u32_e64 s[10:11], 0, v104
	v_cmp_eq_u32_e32 vcc, 3, v104
	s_waitcnt lgkmcnt(1)
	v_cndmask_b32_e64 v45, v45, v42, s[8:9]
	v_cndmask_b32_e64 v68, v68, v38, s[8:9]
	s_waitcnt lgkmcnt(0)
	v_cndmask_b32_e64 v70, v36, v67, s[8:9]
	s_mul_i32 s8, s63, s21
	s_ashr_i32 s9, s8, 31
	v_cndmask_b32_e64 v63, v63, v42, s[10:11]
	s_lshl_b64 s[8:9], s[8:9], 1
	v_cndmask_b32_e64 v69, v69, v38, s[10:11]
	v_cndmask_b32_e64 v71, v37, v67, s[10:11]
	s_add_u32 s10, s40, s8
	v_cvt_f16_f32_e32 v63, v63
	v_cvt_f16_f32_sdwa v45, v45 dst_sel:WORD_1 dst_unused:UNUSED_PAD src0_sel:DWORD
	s_addc_u32 s11, s41, s9
	s_ashr_i32 s35, s34, 31
	s_lshl_b64 s[8:9], s[34:35], 1
	s_add_u32 s48, s10, s8
	s_addc_u32 s49, s11, s9
	v_or_b32_e32 v45, v45, v63
	v_lshl_add_u64 v[36:37], v[50:51], 1, s[48:49]
	;;#ASMSTART
	global_atomic_pk_add_f16 v[36:37], v45, off
	
	;;#ASMEND
	v_cvt_f16_f32_e32 v45, v69
	v_cvt_f16_f32_sdwa v63, v68 dst_sel:WORD_1 dst_unused:UNUSED_PAD src0_sel:DWORD
	v_cvt_f16_f32_e32 v71, v71
	v_cvt_f16_f32_sdwa v70, v70 dst_sel:WORD_1 dst_unused:UNUSED_PAD src0_sel:DWORD
	v_cmp_eq_u32_e64 s[6:7], 2, v104
	v_lshl_add_u64 v[68:69], v[36:37], 0, 32
	v_or_b32_e32 v45, v63, v45
	v_cmp_gt_u32_e64 s[8:9], 62, v41
	;;#ASMSTART
	global_atomic_pk_add_f16 v[68:69], v45, off
	
	;;#ASMEND
	v_lshl_add_u64 v[68:69], v[36:37], 0, 64
	v_or_b32_e32 v45, v70, v71
	;;#ASMSTART
	global_atomic_pk_add_f16 v[68:69], v45, off
	
	;;#ASMEND
	s_and_b64 exec, exec, s[8:9]
	s_cbranch_execz .LBB354_44
; %bb.37:                               ;   in Loop: Header=BB354_7 Depth=1
	v_cndmask_b32_e32 v46, v46, v42, vcc
	v_cndmask_b32_e64 v42, v47, v42, s[6:7]
	v_cndmask_b32_e32 v43, v43, v38, vcc
	v_cndmask_b32_e64 v38, v65, v38, s[6:7]
	v_cndmask_b32_e32 v47, v39, v67, vcc
	v_cvt_f16_f32_e32 v39, v42
	v_cvt_f16_f32_sdwa v42, v46 dst_sel:WORD_1 dst_unused:UNUSED_PAD src0_sel:DWORD
	v_cvt_f16_f32_e32 v46, v38
	v_cvt_f16_f32_sdwa v43, v43 dst_sel:WORD_1 dst_unused:UNUSED_PAD src0_sel:DWORD
	v_mov_b32_e32 v63, v62
	v_or_b32_e32 v38, v42, v39
	v_mov_b32_e32 v42, v62
	v_or_b32_e32 v46, v43, v46
	v_mov_b32_e32 v43, v62
	v_pk_mul_f32 v[34:35], v[42:43], v[34:35]
	v_pk_mul_f32 v[42:43], v[62:63], v[32:33]
	v_cmp_eq_u32_e32 vcc, 1, v103
	v_cndmask_b32_e64 v65, v66, v67, s[6:7]
	v_cmp_eq_u32_e64 s[6:7], 2, v103
	v_cndmask_b32_e32 v32, v42, v43, vcc
	v_lshl_add_u64 v[36:37], s[28:29], 2, v[36:37]
	v_cndmask_b32_e64 v32, v32, v34, s[6:7]
	v_cmp_eq_u32_e64 s[8:9], 3, v103
	;;#ASMSTART
	global_atomic_pk_add_f16 v[36:37], v38, off
	
	;;#ASMEND
	v_lshl_add_u64 v[38:39], v[36:37], 0, 32
	v_mov_b32_e32 v45, v44
	v_cndmask_b32_e64 v32, v32, v35, s[8:9]
	ds_bpermute_b32 v66, v115, v32
	;;#ASMSTART
	global_atomic_pk_add_f16 v[38:39], v46, off
	
	;;#ASMEND
	v_cvt_f16_f32_e32 v39, v65
	v_cvt_f16_f32_sdwa v65, v47 dst_sel:WORD_1 dst_unused:UNUSED_PAD src0_sel:DWORD
	v_lshl_add_u64 v[46:47], v[36:37], 0, 64
	v_mov_b32_e32 v36, v44
	v_mov_b32_e32 v37, v44
	v_pk_mul_f32 v[30:31], v[36:37], v[30:31]
	v_pk_mul_f32 v[36:37], v[44:45], v[28:29]
	v_cmp_eq_u32_e64 s[10:11], 0, v103
	v_cndmask_b32_e32 v28, v36, v37, vcc
	v_cndmask_b32_e64 v28, v28, v30, s[6:7]
	v_cndmask_b32_e64 v28, v28, v31, s[8:9]
	s_waitcnt lgkmcnt(0)
	v_cndmask_b32_e64 v32, v35, v66, s[8:9]
	v_cndmask_b32_e64 v35, v42, v66, s[10:11]
	ds_bpermute_b32 v42, v115, v28
	v_cndmask_b32_e64 v33, v34, v66, s[6:7]
	v_cndmask_b32_e32 v34, v43, v66, vcc
	v_cmp_eq_u32_e64 s[12:13], 1, v104
	v_mov_b32_e32 v41, v40
	v_cmp_eq_u32_e64 s[14:15], 2, v104
	v_cndmask_b32_e64 v38, v35, v34, s[12:13]
	s_waitcnt lgkmcnt(0)
	v_cndmask_b32_e64 v29, v31, v42, s[8:9]
	v_cndmask_b32_e64 v28, v38, v33, s[14:15]
	;; [unrolled: 1-line block ×3, first 2 shown]
	v_cndmask_b32_e32 v37, v37, v42, vcc
	v_cndmask_b32_e64 v38, v36, v42, s[10:11]
	v_mov_b32_e32 v42, v40
	v_mov_b32_e32 v43, v40
	v_pk_mul_f32 v[66:67], v[40:41], v[24:25]
	v_pk_mul_f32 v[42:43], v[42:43], v[26:27]
	v_cndmask_b32_e32 v24, v66, v67, vcc
	v_cndmask_b32_e64 v24, v24, v42, s[6:7]
	v_cndmask_b32_e64 v24, v24, v43, s[8:9]
	ds_bpermute_b32 v25, v115, v24
	v_cndmask_b32_e64 v24, v38, v37, s[12:13]
	v_cmp_eq_u32_e64 s[16:17], 3, v104
	v_cndmask_b32_e64 v24, v24, v30, s[14:15]
	v_cmp_ne_u32_e32 vcc, 0, v103
	v_cndmask_b32_e64 v24, v24, v29, s[16:17]
	ds_bpermute_b32 v26, v115, v24
	s_waitcnt lgkmcnt(1)
	v_cndmask_b32_e64 v27, v43, v25, s[8:9]
	v_cndmask_b32_e64 v31, v42, v25, s[6:7]
	v_cndmask_b32_e32 v24, v67, v25, vcc
	v_cndmask_b32_e64 v25, v66, v25, s[10:11]
	v_cndmask_b32_e64 v36, v25, v24, s[12:13]
	;; [unrolled: 1-line block ×5, first 2 shown]
	ds_bpermute_b32 v28, v115, v28
	ds_bpermute_b32 v36, v115, v36
	v_or_b32_e32 v39, v65, v39
	;;#ASMSTART
	global_atomic_pk_add_f16 v[46:47], v39, off
	
	;;#ASMEND
	v_add_u32_e32 v39, s65, v108
	v_cmp_gt_u32_e32 vcc, 64, v39
	s_and_b64 exec, exec, vcc
	s_cbranch_execz .LBB354_44
; %bb.38:                               ;   in Loop: Header=BB354_7 Depth=1
	v_cmp_eq_u32_e64 s[8:9], 1, v104
	v_cmp_eq_u32_e64 s[10:11], 0, v104
	v_cmp_eq_u32_e32 vcc, 3, v104
	s_waitcnt lgkmcnt(1)
	v_cndmask_b32_e64 v34, v34, v28, s[8:9]
	v_cndmask_b32_e64 v35, v35, v28, s[10:11]
	;; [unrolled: 1-line block ×4, first 2 shown]
	v_cvt_f16_f32_e32 v35, v35
	v_cvt_f16_f32_sdwa v34, v34 dst_sel:WORD_1 dst_unused:UNUSED_PAD src0_sel:DWORD
	s_waitcnt lgkmcnt(0)
	v_cndmask_b32_e64 v42, v24, v36, s[8:9]
	v_cndmask_b32_e64 v43, v25, v36, s[10:11]
	v_cvt_f16_f32_e32 v38, v38
	v_cvt_f16_f32_sdwa v37, v37 dst_sel:WORD_1 dst_unused:UNUSED_PAD src0_sel:DWORD
	v_cvt_f16_f32_e32 v43, v43
	v_cvt_f16_f32_sdwa v42, v42 dst_sel:WORD_1 dst_unused:UNUSED_PAD src0_sel:DWORD
	v_lshl_add_u64 v[24:25], v[52:53], 1, s[48:49]
	v_or_b32_e32 v34, v34, v35
	v_cmp_eq_u32_e64 s[6:7], 2, v104
	;;#ASMSTART
	global_atomic_pk_add_f16 v[24:25], v34, off
	
	;;#ASMEND
	v_lshl_add_u64 v[34:35], v[24:25], 0, 32
	v_or_b32_e32 v37, v37, v38
	v_cmp_gt_u32_e64 s[8:9], 62, v39
	;;#ASMSTART
	global_atomic_pk_add_f16 v[34:35], v37, off
	
	;;#ASMEND
	v_lshl_add_u64 v[34:35], v[24:25], 0, 64
	v_or_b32_e32 v37, v42, v43
	;;#ASMSTART
	global_atomic_pk_add_f16 v[34:35], v37, off
	
	;;#ASMEND
	s_and_b64 exec, exec, s[8:9]
	s_cbranch_execz .LBB354_44
; %bb.39:                               ;   in Loop: Header=BB354_7 Depth=1
	v_cndmask_b32_e32 v32, v32, v28, vcc
	v_cndmask_b32_e64 v28, v33, v28, s[6:7]
	v_cndmask_b32_e32 v29, v29, v26, vcc
	v_cndmask_b32_e64 v26, v30, v26, s[6:7]
	v_cndmask_b32_e32 v30, v27, v36, vcc
	v_cvt_f16_f32_e32 v27, v28
	v_cvt_f16_f32_sdwa v28, v32 dst_sel:WORD_1 dst_unused:UNUSED_PAD src0_sel:DWORD
	v_cvt_f16_f32_e32 v32, v26
	v_cvt_f16_f32_sdwa v29, v29 dst_sel:WORD_1 dst_unused:UNUSED_PAD src0_sel:DWORD
	v_cmp_eq_u32_e32 vcc, 1, v103
	v_or_b32_e32 v26, v28, v27
	v_mov_b32_e32 v28, v62
	v_or_b32_e32 v32, v29, v32
	v_mov_b32_e32 v29, v62
	v_pk_mul_f32 v[22:23], v[28:29], v[22:23]
	v_pk_mul_f32 v[28:29], v[62:63], v[20:21]
	v_cndmask_b32_e64 v31, v31, v36, s[6:7]
	v_cndmask_b32_e32 v20, v28, v29, vcc
	v_cmp_eq_u32_e64 s[6:7], 2, v103
	v_lshl_add_u64 v[24:25], s[28:29], 2, v[24:25]
	v_cmp_eq_u32_e64 s[8:9], 3, v103
	v_cndmask_b32_e64 v20, v20, v22, s[6:7]
	;;#ASMSTART
	global_atomic_pk_add_f16 v[24:25], v26, off
	
	;;#ASMEND
	v_lshl_add_u64 v[26:27], v[24:25], 0, 32
	v_cndmask_b32_e64 v20, v20, v23, s[8:9]
	ds_bpermute_b32 v33, v115, v20
	;;#ASMSTART
	global_atomic_pk_add_f16 v[26:27], v32, off
	
	;;#ASMEND
	v_cvt_f16_f32_e32 v27, v31
	v_cvt_f16_f32_sdwa v34, v30 dst_sel:WORD_1 dst_unused:UNUSED_PAD src0_sel:DWORD
	v_lshl_add_u64 v[30:31], v[24:25], 0, 64
	v_mov_b32_e32 v24, v44
	v_mov_b32_e32 v25, v44
	v_pk_mul_f32 v[18:19], v[24:25], v[18:19]
	v_pk_mul_f32 v[24:25], v[44:45], v[16:17]
	v_cmp_eq_u32_e64 s[10:11], 0, v103
	v_cndmask_b32_e32 v16, v24, v25, vcc
	v_cndmask_b32_e64 v16, v16, v18, s[6:7]
	v_cndmask_b32_e64 v16, v16, v19, s[8:9]
	s_waitcnt lgkmcnt(0)
	v_cndmask_b32_e64 v20, v23, v33, s[8:9]
	v_cndmask_b32_e64 v23, v28, v33, s[10:11]
	ds_bpermute_b32 v28, v115, v16
	v_cndmask_b32_e64 v21, v22, v33, s[6:7]
	v_cndmask_b32_e32 v22, v29, v33, vcc
	v_cmp_eq_u32_e64 s[12:13], 1, v104
	v_cmp_eq_u32_e64 s[14:15], 2, v104
	s_waitcnt lgkmcnt(0)
	v_cndmask_b32_e64 v17, v19, v28, s[8:9]
	v_cndmask_b32_e64 v26, v23, v22, s[12:13]
	;; [unrolled: 1-line block ×4, first 2 shown]
	v_cndmask_b32_e32 v25, v25, v28, vcc
	v_cndmask_b32_e64 v26, v24, v28, s[10:11]
	v_mov_b32_e32 v28, v40
	v_mov_b32_e32 v29, v40
	v_pk_mul_f32 v[32:33], v[40:41], v[12:13]
	v_pk_mul_f32 v[28:29], v[28:29], v[14:15]
	v_cndmask_b32_e32 v12, v32, v33, vcc
	v_cndmask_b32_e64 v12, v12, v28, s[6:7]
	v_cndmask_b32_e64 v12, v12, v29, s[8:9]
	ds_bpermute_b32 v13, v115, v12
	v_cndmask_b32_e64 v12, v26, v25, s[12:13]
	v_cmp_eq_u32_e64 s[16:17], 3, v104
	v_cndmask_b32_e64 v12, v12, v18, s[14:15]
	v_cmp_ne_u32_e32 vcc, 0, v103
	v_cndmask_b32_e64 v12, v12, v17, s[16:17]
	ds_bpermute_b32 v14, v115, v12
	s_waitcnt lgkmcnt(1)
	v_cndmask_b32_e64 v15, v29, v13, s[8:9]
	v_cndmask_b32_e64 v19, v28, v13, s[6:7]
	v_cndmask_b32_e32 v12, v33, v13, vcc
	v_cndmask_b32_e64 v13, v32, v13, s[10:11]
	v_cndmask_b32_e64 v24, v13, v12, s[12:13]
	;; [unrolled: 1-line block ×5, first 2 shown]
	ds_bpermute_b32 v16, v115, v16
	ds_bpermute_b32 v24, v115, v24
	v_or_b32_e32 v27, v34, v27
	;;#ASMSTART
	global_atomic_pk_add_f16 v[30:31], v27, off
	
	;;#ASMEND
	v_add_u32_e32 v27, s65, v109
	v_cmp_gt_u32_e32 vcc, 64, v27
	s_and_b64 exec, exec, vcc
	s_cbranch_execz .LBB354_44
; %bb.40:                               ;   in Loop: Header=BB354_7 Depth=1
	v_cmp_eq_u32_e64 s[8:9], 1, v104
	v_cmp_eq_u32_e64 s[10:11], 0, v104
	v_cmp_eq_u32_e32 vcc, 3, v104
	s_waitcnt lgkmcnt(1)
	v_cndmask_b32_e64 v22, v22, v16, s[8:9]
	v_cndmask_b32_e64 v23, v23, v16, s[10:11]
	;; [unrolled: 1-line block ×4, first 2 shown]
	v_cvt_f16_f32_e32 v23, v23
	v_cvt_f16_f32_sdwa v22, v22 dst_sel:WORD_1 dst_unused:UNUSED_PAD src0_sel:DWORD
	s_waitcnt lgkmcnt(0)
	v_cndmask_b32_e64 v28, v12, v24, s[8:9]
	v_cndmask_b32_e64 v29, v13, v24, s[10:11]
	v_cvt_f16_f32_e32 v26, v26
	v_cvt_f16_f32_sdwa v25, v25 dst_sel:WORD_1 dst_unused:UNUSED_PAD src0_sel:DWORD
	v_cvt_f16_f32_e32 v29, v29
	v_cvt_f16_f32_sdwa v28, v28 dst_sel:WORD_1 dst_unused:UNUSED_PAD src0_sel:DWORD
	v_lshl_add_u64 v[12:13], v[54:55], 1, s[48:49]
	v_or_b32_e32 v22, v22, v23
	v_cmp_eq_u32_e64 s[6:7], 2, v104
	;;#ASMSTART
	global_atomic_pk_add_f16 v[12:13], v22, off
	
	;;#ASMEND
	v_lshl_add_u64 v[22:23], v[12:13], 0, 32
	v_or_b32_e32 v25, v25, v26
	v_cmp_gt_u32_e64 s[8:9], 62, v27
	;;#ASMSTART
	global_atomic_pk_add_f16 v[22:23], v25, off
	
	;;#ASMEND
	v_lshl_add_u64 v[22:23], v[12:13], 0, 64
	v_or_b32_e32 v25, v28, v29
	;;#ASMSTART
	global_atomic_pk_add_f16 v[22:23], v25, off
	
	;;#ASMEND
	s_and_b64 exec, exec, s[8:9]
	s_cbranch_execz .LBB354_44
; %bb.41:                               ;   in Loop: Header=BB354_7 Depth=1
	v_cndmask_b32_e32 v20, v20, v16, vcc
	v_cndmask_b32_e64 v16, v21, v16, s[6:7]
	v_cndmask_b32_e32 v17, v17, v14, vcc
	v_cndmask_b32_e64 v14, v18, v14, s[6:7]
	v_cndmask_b32_e32 v18, v15, v24, vcc
	v_cvt_f16_f32_e32 v15, v16
	v_cvt_f16_f32_sdwa v16, v20 dst_sel:WORD_1 dst_unused:UNUSED_PAD src0_sel:DWORD
	v_cvt_f16_f32_e32 v20, v14
	v_cvt_f16_f32_sdwa v17, v17 dst_sel:WORD_1 dst_unused:UNUSED_PAD src0_sel:DWORD
	v_cmp_eq_u32_e32 vcc, 1, v103
	v_or_b32_e32 v14, v16, v15
	v_mov_b32_e32 v16, v62
	v_or_b32_e32 v20, v17, v20
	v_mov_b32_e32 v17, v62
	v_pk_mul_f32 v[10:11], v[16:17], v[10:11]
	v_pk_mul_f32 v[16:17], v[62:63], v[8:9]
	v_cndmask_b32_e64 v19, v19, v24, s[6:7]
	v_cndmask_b32_e32 v8, v16, v17, vcc
	v_cmp_eq_u32_e64 s[6:7], 2, v103
	v_cmp_eq_u32_e64 s[8:9], 3, v103
	v_lshl_add_u64 v[12:13], s[28:29], 2, v[12:13]
	v_cndmask_b32_e64 v8, v8, v10, s[6:7]
	v_cndmask_b32_e64 v8, v8, v11, s[8:9]
	ds_bpermute_b32 v21, v115, v8
	;;#ASMSTART
	global_atomic_pk_add_f16 v[12:13], v14, off
	
	;;#ASMEND
	v_lshl_add_u64 v[14:15], v[12:13], 0, 32
	v_cmp_eq_u32_e64 s[10:11], 0, v103
	;;#ASMSTART
	global_atomic_pk_add_f16 v[14:15], v20, off
	
	;;#ASMEND
	v_cvt_f16_f32_e32 v20, v19
	v_cvt_f16_f32_sdwa v22, v18 dst_sel:WORD_1 dst_unused:UNUSED_PAD src0_sel:DWORD
	v_lshl_add_u64 v[18:19], v[12:13], 0, 64
	s_waitcnt lgkmcnt(0)
	v_cndmask_b32_e64 v8, v11, v21, s[8:9]
	v_cndmask_b32_e32 v11, v17, v21, vcc
	v_cndmask_b32_e64 v12, v16, v21, s[10:11]
	v_mov_b32_e32 v14, v44
	v_mov_b32_e32 v15, v44
	v_pk_mul_f32 v[16:17], v[44:45], v[0:1]
	v_pk_mul_f32 v[14:15], v[14:15], v[2:3]
	v_cndmask_b32_e32 v0, v16, v17, vcc
	v_cndmask_b32_e64 v0, v0, v14, s[6:7]
	v_cndmask_b32_e64 v0, v0, v15, s[8:9]
	ds_bpermute_b32 v1, v115, v0
	v_cmp_eq_u32_e64 s[12:13], 1, v104
	v_cndmask_b32_e64 v9, v10, v21, s[6:7]
	v_cmp_eq_u32_e64 s[14:15], 2, v104
	v_cndmask_b32_e64 v10, v12, v11, s[12:13]
	v_cmp_eq_u32_e64 s[16:17], 3, v104
	v_cndmask_b32_e64 v0, v10, v9, s[14:15]
	s_waitcnt lgkmcnt(0)
	v_cndmask_b32_e64 v3, v15, v1, s[8:9]
	v_cndmask_b32_e64 v0, v0, v8, s[16:17]
	ds_bpermute_b32 v2, v115, v0
	v_cndmask_b32_e64 v10, v14, v1, s[6:7]
	v_cndmask_b32_e32 v0, v17, v1, vcc
	v_cndmask_b32_e64 v1, v16, v1, s[10:11]
	v_mov_b32_e32 v14, v40
	v_mov_b32_e32 v15, v40
	v_pk_mul_f32 v[16:17], v[40:41], v[4:5]
	v_pk_mul_f32 v[14:15], v[14:15], v[6:7]
	v_cndmask_b32_e32 v4, v16, v17, vcc
	v_cndmask_b32_e64 v4, v4, v14, s[6:7]
	v_cndmask_b32_e64 v4, v4, v15, s[8:9]
	ds_bpermute_b32 v7, v115, v4
	v_cndmask_b32_e64 v4, v1, v0, s[12:13]
	v_cndmask_b32_e64 v4, v4, v10, s[14:15]
	;; [unrolled: 1-line block ×3, first 2 shown]
	v_cmp_ne_u32_e32 vcc, 0, v103
	ds_bpermute_b32 v6, v115, v4
	s_waitcnt lgkmcnt(1)
	v_cndmask_b32_e64 v4, v15, v7, s[8:9]
	v_cndmask_b32_e64 v5, v14, v7, s[6:7]
	v_cndmask_b32_e32 v14, v17, v7, vcc
	v_cndmask_b32_e64 v15, v16, v7, s[10:11]
	v_cndmask_b32_e64 v7, v15, v14, s[12:13]
	;; [unrolled: 1-line block ×4, first 2 shown]
	ds_bpermute_b32 v7, v115, v7
	v_or_b32_e32 v13, v22, v20
	;;#ASMSTART
	global_atomic_pk_add_f16 v[18:19], v13, off
	
	;;#ASMEND
	v_add_u32_e32 v13, s65, v110
	v_cmp_gt_u32_e32 vcc, 64, v13
	s_and_b64 exec, exec, vcc
	s_cbranch_execz .LBB354_44
; %bb.42:                               ;   in Loop: Header=BB354_7 Depth=1
	v_cmp_eq_u32_e64 s[8:9], 1, v104
	v_cmp_eq_u32_e64 s[10:11], 0, v104
	v_cmp_eq_u32_e32 vcc, 3, v104
	v_cndmask_b32_e64 v11, v11, v2, s[8:9]
	v_cndmask_b32_e64 v12, v12, v2, s[10:11]
	v_cvt_f16_f32_e32 v12, v12
	v_cvt_f16_f32_sdwa v11, v11 dst_sel:WORD_1 dst_unused:UNUSED_PAD src0_sel:DWORD
	s_waitcnt lgkmcnt(1)
	v_cndmask_b32_e64 v16, v0, v6, s[8:9]
	v_cndmask_b32_e64 v17, v1, v6, s[10:11]
	s_waitcnt lgkmcnt(0)
	v_cndmask_b32_e64 v18, v14, v7, s[8:9]
	v_or_b32_e32 v11, v11, v12
	v_cndmask_b32_e64 v19, v15, v7, s[10:11]
	v_lshl_add_u64 v[0:1], v[56:57], 1, s[48:49]
	;;#ASMSTART
	global_atomic_pk_add_f16 v[0:1], v11, off
	
	;;#ASMEND
	v_cvt_f16_f32_e32 v11, v17
	v_cvt_f16_f32_sdwa v12, v16 dst_sel:WORD_1 dst_unused:UNUSED_PAD src0_sel:DWORD
	v_cvt_f16_f32_e32 v16, v19
	v_cvt_f16_f32_sdwa v17, v18 dst_sel:WORD_1 dst_unused:UNUSED_PAD src0_sel:DWORD
	v_cmp_eq_u32_e64 s[6:7], 2, v104
	v_lshl_add_u64 v[14:15], v[0:1], 0, 32
	v_or_b32_e32 v11, v12, v11
	v_cmp_gt_u32_e64 s[8:9], 62, v13
	;;#ASMSTART
	global_atomic_pk_add_f16 v[14:15], v11, off
	
	;;#ASMEND
	v_lshl_add_u64 v[14:15], v[0:1], 0, 64
	v_or_b32_e32 v11, v17, v16
	;;#ASMSTART
	global_atomic_pk_add_f16 v[14:15], v11, off
	
	;;#ASMEND
	s_and_b64 exec, exec, s[8:9]
	s_cbranch_execz .LBB354_44
; %bb.43:                               ;   in Loop: Header=BB354_7 Depth=1
	v_cndmask_b32_e32 v8, v8, v2, vcc
	v_cndmask_b32_e64 v2, v9, v2, s[6:7]
	v_cvt_f16_f32_e32 v2, v2
	v_cvt_f16_f32_sdwa v8, v8 dst_sel:WORD_1 dst_unused:UNUSED_PAD src0_sel:DWORD
	v_cndmask_b32_e32 v3, v3, v6, vcc
	v_cndmask_b32_e64 v6, v10, v6, s[6:7]
	v_cndmask_b32_e32 v4, v4, v7, vcc
	v_cndmask_b32_e64 v5, v5, v7, s[6:7]
	v_cvt_f16_f32_e32 v6, v6
	v_cvt_f16_f32_sdwa v7, v3 dst_sel:WORD_1 dst_unused:UNUSED_PAD src0_sel:DWORD
	v_cvt_f16_f32_e32 v5, v5
	v_cvt_f16_f32_sdwa v4, v4 dst_sel:WORD_1 dst_unused:UNUSED_PAD src0_sel:DWORD
	v_lshl_add_u64 v[0:1], s[28:29], 2, v[0:1]
	v_or_b32_e32 v2, v8, v2
	;;#ASMSTART
	global_atomic_pk_add_f16 v[0:1], v2, off
	
	;;#ASMEND
	v_lshl_add_u64 v[2:3], v[0:1], 0, 32
	v_or_b32_e32 v6, v7, v6
	;;#ASMSTART
	global_atomic_pk_add_f16 v[2:3], v6, off
	
	;;#ASMEND
	;; [unrolled: 6-line block ×3, first 2 shown]
.LBB354_44:                             ;   in Loop: Header=BB354_7 Depth=1
	s_or_b64 exec, exec, s[18:19]
	v_subrev_u32_e32 v116, s66, v116
.LBB354_45:                             ;   in Loop: Header=BB354_7 Depth=1
	s_or_b64 exec, exec, s[46:47]
.LBB354_46:                             ;   in Loop: Header=BB354_7 Depth=1
	s_andn2_saveexec_b64 s[6:7], s[44:45]
	s_cbranch_execz .LBB354_55
; %bb.47:                               ;   in Loop: Header=BB354_7 Depth=1
	s_mul_i32 s16, s66, 3
	v_cmp_gt_i32_e32 vcc, s16, v116
	s_and_saveexec_b64 s[8:9], vcc
	s_cbranch_execz .LBB354_54
; %bb.48:                               ;   in Loop: Header=BB354_7 Depth=1
	s_mul_i32 s10, s34, s23
	s_ashr_i32 s11, s10, 31
	s_waitcnt lgkmcnt(0)
	s_add_u32 s10, s38, s10
	s_addc_u32 s11, s39, s11
	s_ashr_i32 s12, s64, 31
	s_add_u32 s10, s10, s64
	s_addc_u32 s11, s11, s12
	v_lshl_add_u64 v[0:1], s[10:11], 0, v[60:61]
	v_lshl_add_u64 v[8:9], v[0:1], 0, v[58:59]
	s_mov_b64 s[10:11], 0
	s_branch .LBB354_50
.LBB354_49:                             ;   in Loop: Header=BB354_50 Depth=2
	s_or_b64 exec, exec, s[12:13]
	v_lshl_add_u32 v12, v10, 11, v113
	;;#ASMSTART
	s_waitcnt vmcnt(1)
	;;#ASMEND
	ds_write2_b32 v12, v4, v5 offset1:32
	ds_write2_b32 v12, v6, v7 offset0:64 offset1:96
	v_add_u32_e32 v4, 0x400, v12
	v_add_u32_e32 v116, s26, v116
	;;#ASMSTART
	s_waitcnt vmcnt(0)
	;;#ASMEND
	ds_write2_b32 v4, v0, v1 offset1:32
	ds_write2_b32 v4, v2, v3 offset0:64 offset1:96
	v_add_u32_e32 v0, 1, v100
	v_add_u32_e32 v64, s26, v10
	v_cmp_le_i32_e32 vcc, s16, v116
	ds_write_b32 v11, v0 offset:48
	v_add_u32_e32 v0, 2, v100
	s_or_b64 s[10:11], vcc, s[10:11]
	v_cmp_lt_i32_e32 vcc, 8, v64
	s_nop 1
	v_cndmask_b32_e32 v100, v100, v0, vcc
	s_andn2_b64 exec, exec, s[10:11]
	s_cbranch_execz .LBB354_53
.LBB354_50:                             ;   Parent Loop BB354_7 Depth=1
                                        ; =>  This Loop Header: Depth=2
                                        ;       Child Loop BB354_52 Depth 3
	v_cmp_gt_i32_e32 vcc, 9, v64
	s_nop 1
	v_cndmask_b32_e64 v0, -9, 0, vcc
	v_add_u32_e32 v10, v0, v64
	v_mul_hi_i32 v0, v116, s62
	v_lshrrev_b32_e32 v1, 31, v0
	v_add_u32_e32 v0, v0, v1
	v_lshl_add_u32 v1, v0, 1, v0
	v_sub_u32_e32 v2, v116, v1
	v_lshlrev_b32_e32 v0, 7, v0
	v_ashrrev_i32_e32 v1, 31, v0
	v_mul_lo_u32 v2, s55, v2
	v_lshl_add_u64 v[0:1], v[8:9], 0, v[0:1]
	v_ashrrev_i32_e32 v3, 31, v2
	v_lshl_add_u64 v[0:1], v[0:1], 0, v[2:3]
	v_lshlrev_b32_e32 v11, 2, v10
	;;#ASMSTART
	global_load_dwordx4 v[4:7], v[0:1], off offset:0   sc0 sc1 nt  
	global_load_dwordx4 v[0:3], v[0:1], off offset:64  sc0 sc1 nt  
	
	;;#ASMEND
	ds_read_b32 v12, v11 offset:43056
	v_add_u32_e32 v11, 0xa800, v11
	s_waitcnt lgkmcnt(0)
	v_cmp_ne_u32_e32 vcc, v12, v100
	s_and_saveexec_b64 s[12:13], vcc
	s_cbranch_execz .LBB354_49
; %bb.51:                               ;   in Loop: Header=BB354_50 Depth=2
	s_mov_b64 s[14:15], 0
.LBB354_52:                             ;   Parent Loop BB354_7 Depth=1
                                        ;     Parent Loop BB354_50 Depth=2
                                        ; =>    This Inner Loop Header: Depth=3
	;;#ASMSTART
	s_sleep 0
	;;#ASMEND
	ds_read_b32 v12, v11 offset:48
	s_waitcnt lgkmcnt(0)
	v_cmp_eq_u32_e32 vcc, v12, v100
	s_or_b64 s[14:15], vcc, s[14:15]
	s_andn2_b64 exec, exec, s[14:15]
	s_cbranch_execnz .LBB354_52
	s_branch .LBB354_49
.LBB354_53:                             ;   in Loop: Header=BB354_7 Depth=1
	s_or_b64 exec, exec, s[10:11]
.LBB354_54:                             ;   in Loop: Header=BB354_7 Depth=1
	s_or_b64 exec, exec, s[8:9]
	v_subrev_u32_e32 v116, s16, v116
.LBB354_55:                             ;   in Loop: Header=BB354_7 Depth=1
	s_or_b64 exec, exec, s[6:7]
.LBB354_56:                             ;   in Loop: Header=BB354_7 Depth=1
	s_andn2_saveexec_b64 s[6:7], s[30:31]
	s_cbranch_execz .LBB354_6
; %bb.57:                               ;   in Loop: Header=BB354_7 Depth=1
	s_lshl_b32 s16, s66, 2
	v_cmp_gt_i32_e32 vcc, s16, v116
	s_and_saveexec_b64 s[8:9], vcc
	s_cbranch_execz .LBB354_5
; %bb.58:                               ;   in Loop: Header=BB354_7 Depth=1
	s_mul_i32 s63, s63, s22
	s_ashr_i32 s10, s63, 31
	s_waitcnt lgkmcnt(0)
	s_add_u32 s11, s36, s63
	v_add_u32_e32 v2, s65, v111
	s_addc_u32 s12, s37, s10
	s_ashr_i32 s13, s64, 31
	v_cmp_gt_u32_e32 vcc, 64, v2
	s_add_u32 s10, s11, s64
	s_addc_u32 s11, s12, s13
	v_cndmask_b32_e32 v0, 0, v114, vcc
	v_ashrrev_i32_e32 v1, 31, v0
	v_lshl_add_u64 v[0:1], s[10:11], 0, v[0:1]
	v_lshl_add_u64 v[8:9], v[0:1], 0, v[58:59]
	v_sub_u32_e32 v10, 63, v2
	s_mov_b64 s[10:11], 0
	s_branch .LBB354_60
.LBB354_59:                             ;   in Loop: Header=BB354_60 Depth=2
	s_or_b64 exec, exec, s[12:13]
	v_lshl_or_b32 v13, v11, 11, v112
	;;#ASMSTART
	s_waitcnt vmcnt(1)
	;;#ASMEND
	ds_write2_b32 v13, v4, v5 offset1:32
	ds_write2_b32 v13, v6, v7 offset0:64 offset1:96
	v_add_u32_e32 v4, 0x400, v13
	v_add_u32_e32 v116, s25, v116
	;;#ASMSTART
	s_waitcnt vmcnt(0)
	;;#ASMEND
	ds_write2_b32 v4, v0, v1 offset1:32
	ds_write2_b32 v4, v2, v3 offset0:64 offset1:96
	v_add_u32_e32 v0, 1, v100
	v_add_u32_e32 v64, s25, v11
	v_cmp_le_i32_e32 vcc, s16, v116
	ds_write_b32 v12, v0
	v_add_u32_e32 v0, 2, v100
	s_or_b64 s[10:11], vcc, s[10:11]
	v_cmp_lt_i32_e32 vcc, 11, v64
	s_nop 1
	v_cndmask_b32_e32 v100, v100, v0, vcc
	s_andn2_b64 exec, exec, s[10:11]
	s_cbranch_execz .LBB354_4
.LBB354_60:                             ;   Parent Loop BB354_7 Depth=1
                                        ; =>  This Loop Header: Depth=2
                                        ;       Child Loop BB354_62 Depth 3
	v_cmp_gt_i32_e32 vcc, 12, v64
	s_nop 1
	v_cndmask_b32_e64 v0, -12, 0, vcc
	v_add_u32_e32 v11, v0, v64
	v_ashrrev_i32_e32 v0, 31, v116
	v_lshrrev_b32_e32 v0, 30, v0
	v_add_u32_e32 v0, v116, v0
	v_and_b32_e32 v1, 0xffffffc, v0
	v_sub_u32_e32 v1, v116, v1
	v_lshlrev_b32_e32 v1, 4, v1
	v_cmp_le_i32_e32 vcc, v1, v10
	v_lshlrev_b32_e32 v0, 5, v0
	v_and_b32_e32 v0, 0xffffff80, v0
	v_cndmask_b32_e32 v2, 0, v1, vcc
	v_ashrrev_i32_e32 v1, 31, v0
	v_mul_lo_u32 v2, v2, s22
	v_lshl_add_u64 v[0:1], v[8:9], 0, v[0:1]
	v_ashrrev_i32_e32 v3, 31, v2
	v_lshl_add_u64 v[0:1], v[0:1], 0, v[2:3]
	v_lshlrev_b32_e32 v12, 2, v11
	;;#ASMSTART
	global_load_dwordx4 v[4:7], v[0:1], off offset:0   
	global_load_dwordx4 v[0:3], v[0:1], off offset:64  
	
	;;#ASMEND
	ds_read_b32 v13, v12 offset:43008
	v_add_u32_e32 v12, 0xa800, v12
	s_waitcnt lgkmcnt(0)
	v_cmp_ne_u32_e32 vcc, v13, v100
	s_and_saveexec_b64 s[12:13], vcc
	s_cbranch_execz .LBB354_59
; %bb.61:                               ;   in Loop: Header=BB354_60 Depth=2
	s_mov_b64 s[14:15], 0
.LBB354_62:                             ;   Parent Loop BB354_7 Depth=1
                                        ;     Parent Loop BB354_60 Depth=2
                                        ; =>    This Inner Loop Header: Depth=3
	;;#ASMSTART
	s_sleep 0
	;;#ASMEND
	ds_read_b32 v13, v12
	s_waitcnt lgkmcnt(0)
	v_cmp_eq_u32_e32 vcc, v13, v100
	s_or_b64 s[14:15], vcc, s[14:15]
	s_andn2_b64 exec, exec, s[14:15]
	s_cbranch_execnz .LBB354_62
	s_branch .LBB354_59
.LBB354_63:
	s_endpgm
	.section	.rodata,"a",@progbits
	.p2align	6, 0x0
	.amdhsa_kernel _Z19_skinny_gemm_kernelILi4ELi3ELi3ELi16ELi4EEvPKhS1_P6__halfPKfiiiiiiii
		.amdhsa_group_segment_fixed_size 43092
		.amdhsa_private_segment_fixed_size 0
		.amdhsa_kernarg_size 64
		.amdhsa_user_sgpr_count 2
		.amdhsa_user_sgpr_dispatch_ptr 0
		.amdhsa_user_sgpr_queue_ptr 0
		.amdhsa_user_sgpr_kernarg_segment_ptr 1
		.amdhsa_user_sgpr_dispatch_id 0
		.amdhsa_user_sgpr_kernarg_preload_length 0
		.amdhsa_user_sgpr_kernarg_preload_offset 0
		.amdhsa_user_sgpr_private_segment_size 0
		.amdhsa_uses_dynamic_stack 0
		.amdhsa_enable_private_segment 0
		.amdhsa_system_sgpr_workgroup_id_x 1
		.amdhsa_system_sgpr_workgroup_id_y 0
		.amdhsa_system_sgpr_workgroup_id_z 0
		.amdhsa_system_sgpr_workgroup_info 0
		.amdhsa_system_vgpr_workitem_id 0
		.amdhsa_next_free_vgpr 124
		.amdhsa_next_free_sgpr 67
		.amdhsa_accum_offset 124
		.amdhsa_reserve_vcc 1
		.amdhsa_float_round_mode_32 0
		.amdhsa_float_round_mode_16_64 0
		.amdhsa_float_denorm_mode_32 3
		.amdhsa_float_denorm_mode_16_64 3
		.amdhsa_dx10_clamp 1
		.amdhsa_ieee_mode 1
		.amdhsa_fp16_overflow 0
		.amdhsa_tg_split 0
		.amdhsa_exception_fp_ieee_invalid_op 0
		.amdhsa_exception_fp_denorm_src 0
		.amdhsa_exception_fp_ieee_div_zero 0
		.amdhsa_exception_fp_ieee_overflow 0
		.amdhsa_exception_fp_ieee_underflow 0
		.amdhsa_exception_fp_ieee_inexact 0
		.amdhsa_exception_int_div_zero 0
	.end_amdhsa_kernel
	.section	.text._Z19_skinny_gemm_kernelILi4ELi3ELi3ELi16ELi4EEvPKhS1_P6__halfPKfiiiiiiii,"axG",@progbits,_Z19_skinny_gemm_kernelILi4ELi3ELi3ELi16ELi4EEvPKhS1_P6__halfPKfiiiiiiii,comdat
.Lfunc_end354:
	.size	_Z19_skinny_gemm_kernelILi4ELi3ELi3ELi16ELi4EEvPKhS1_P6__halfPKfiiiiiiii, .Lfunc_end354-_Z19_skinny_gemm_kernelILi4ELi3ELi3ELi16ELi4EEvPKhS1_P6__halfPKfiiiiiiii
                                        ; -- End function
	.set _Z19_skinny_gemm_kernelILi4ELi3ELi3ELi16ELi4EEvPKhS1_P6__halfPKfiiiiiiii.num_vgpr, 124
	.set _Z19_skinny_gemm_kernelILi4ELi3ELi3ELi16ELi4EEvPKhS1_P6__halfPKfiiiiiiii.num_agpr, 0
	.set _Z19_skinny_gemm_kernelILi4ELi3ELi3ELi16ELi4EEvPKhS1_P6__halfPKfiiiiiiii.numbered_sgpr, 67
	.set _Z19_skinny_gemm_kernelILi4ELi3ELi3ELi16ELi4EEvPKhS1_P6__halfPKfiiiiiiii.num_named_barrier, 0
	.set _Z19_skinny_gemm_kernelILi4ELi3ELi3ELi16ELi4EEvPKhS1_P6__halfPKfiiiiiiii.private_seg_size, 0
	.set _Z19_skinny_gemm_kernelILi4ELi3ELi3ELi16ELi4EEvPKhS1_P6__halfPKfiiiiiiii.uses_vcc, 1
	.set _Z19_skinny_gemm_kernelILi4ELi3ELi3ELi16ELi4EEvPKhS1_P6__halfPKfiiiiiiii.uses_flat_scratch, 0
	.set _Z19_skinny_gemm_kernelILi4ELi3ELi3ELi16ELi4EEvPKhS1_P6__halfPKfiiiiiiii.has_dyn_sized_stack, 0
	.set _Z19_skinny_gemm_kernelILi4ELi3ELi3ELi16ELi4EEvPKhS1_P6__halfPKfiiiiiiii.has_recursion, 0
	.set _Z19_skinny_gemm_kernelILi4ELi3ELi3ELi16ELi4EEvPKhS1_P6__halfPKfiiiiiiii.has_indirect_call, 0
	.section	.AMDGPU.csdata,"",@progbits
; Kernel info:
; codeLenInByte = 7088
; TotalNumSgprs: 73
; NumVgprs: 124
; NumAgprs: 0
; TotalNumVgprs: 124
; ScratchSize: 0
; MemoryBound: 0
; FloatMode: 240
; IeeeMode: 1
; LDSByteSize: 43092 bytes/workgroup (compile time only)
; SGPRBlocks: 9
; VGPRBlocks: 15
; NumSGPRsForWavesPerEU: 73
; NumVGPRsForWavesPerEU: 124
; AccumOffset: 124
; Occupancy: 4
; WaveLimiterHint : 0
; COMPUTE_PGM_RSRC2:SCRATCH_EN: 0
; COMPUTE_PGM_RSRC2:USER_SGPR: 2
; COMPUTE_PGM_RSRC2:TRAP_HANDLER: 0
; COMPUTE_PGM_RSRC2:TGID_X_EN: 1
; COMPUTE_PGM_RSRC2:TGID_Y_EN: 0
; COMPUTE_PGM_RSRC2:TGID_Z_EN: 0
; COMPUTE_PGM_RSRC2:TIDIG_COMP_CNT: 0
; COMPUTE_PGM_RSRC3_GFX90A:ACCUM_OFFSET: 30
; COMPUTE_PGM_RSRC3_GFX90A:TG_SPLIT: 0
	.section	.text._Z19_skinny_gemm_kernelILi4ELi3ELi3ELi32ELi4EEvPKhS1_P6__halfPKfiiiiiiii,"axG",@progbits,_Z19_skinny_gemm_kernelILi4ELi3ELi3ELi32ELi4EEvPKhS1_P6__halfPKfiiiiiiii,comdat
	.protected	_Z19_skinny_gemm_kernelILi4ELi3ELi3ELi32ELi4EEvPKhS1_P6__halfPKfiiiiiiii ; -- Begin function _Z19_skinny_gemm_kernelILi4ELi3ELi3ELi32ELi4EEvPKhS1_P6__halfPKfiiiiiiii
	.globl	_Z19_skinny_gemm_kernelILi4ELi3ELi3ELi32ELi4EEvPKhS1_P6__halfPKfiiiiiiii
	.p2align	8
	.type	_Z19_skinny_gemm_kernelILi4ELi3ELi3ELi32ELi4EEvPKhS1_P6__halfPKfiiiiiiii,@function
_Z19_skinny_gemm_kernelILi4ELi3ELi3ELi32ELi4EEvPKhS1_P6__halfPKfiiiiiiii: ; @_Z19_skinny_gemm_kernelILi4ELi3ELi3ELi32ELi4EEvPKhS1_P6__halfPKfiiiiiiii
; %bb.0:
	v_cmp_gt_u32_e32 vcc, 21, v0
	s_and_saveexec_b64 s[4:5], vcc
; %bb.1:
	v_lshlrev_b32_e32 v1, 2, v0
	v_mov_b32_e32 v2, 0
	ds_write_b32 v1, v2 offset:43008
; %bb.2:
	s_or_b64 exec, exec, s[4:5]
	s_load_dwordx8 s[92:99], s[0:1], 0x20
	s_waitcnt lgkmcnt(0)
	s_barrier
	s_add_i32 s3, s92, 0x7f
	s_ashr_i32 s5, s3, 31
	s_add_i32 s4, s93, 0x5f
	s_lshr_b32 s5, s5, 25
	s_mul_hi_i32 s4, s4, 0x2aaaaaab
	s_add_i32 s3, s3, s5
	s_ashr_i32 s14, s3, 7
	s_lshr_b32 s3, s4, 31
	s_ashr_i32 s4, s4, 4
	s_add_i32 s15, s4, s3
	s_mul_i32 s3, s15, s14
	s_mul_i32 s3, s3, s96
	s_add_i32 s4, s3, 0x12f
	s_mul_hi_i32 s4, s4, 0x6bca1af3
	s_lshr_b32 s5, s4, 31
	s_ashr_i32 s4, s4, 7
	s_add_i32 s4, s4, s5
	s_add_i32 s5, s2, 1
	s_mul_i32 s5, s4, s5
	v_cvt_f64_i32_e32 v[2:3], s3
	v_cvt_f64_u32_e32 v[4:5], s5
	v_min_f64 v[2:3], v[2:3], v[4:5]
	v_cvt_i32_f64_e32 v62, v[2:3]
	s_mul_i32 s33, s4, s2
	v_cmp_ge_i32_e32 vcc, s33, v62
	s_cbranch_vccnz .LBB355_51
; %bb.3:
	s_load_dwordx8 s[16:23], s[0:1], 0x0
	v_lshrrev_b32_e32 v1, 6, v0
	s_add_i32 s0, s98, s97
	v_cmp_le_i32_e64 s[24:25], s0, v1
	v_mov_b32_e32 v2, s97
	v_cmp_le_i32_e64 s[26:27], s97, v1
	v_mov_b32_e32 v3, s98
	v_cndmask_b32_e64 v3, 0, v3, s[24:25]
	v_cndmask_b32_e64 v2, 0, v2, s[26:27]
	s_abs_i32 s1, s96
	v_add_u32_e32 v2, v2, v3
	v_cvt_f32_u32_e32 v3, s1
	v_sub_u32_e32 v56, v1, v2
	s_ashr_i32 s2, s94, 31
	s_lshr_b32 s2, s2, 26
	v_rcp_iflag_f32_e32 v2, v3
	s_sub_i32 s5, 0, s1
	s_add_i32 s2, s94, s2
	s_ashr_i32 s2, s2, 6
	v_mul_f32_e32 v2, 0x4f7ffffe, v2
	v_cvt_u32_f32_e32 v2, v2
	s_abs_i32 s4, s2
	s_xor_b32 s3, s2, s96
	s_ashr_i32 s3, s3, 31
	v_readfirstlane_b32 s6, v2
	s_mul_i32 s5, s5, s6
	s_mul_hi_u32 s5, s6, s5
	s_add_i32 s6, s6, s5
	s_mul_hi_u32 s5, s4, s6
	s_mul_i32 s6, s5, s1
	s_sub_i32 s4, s4, s6
	s_add_i32 s6, s5, 1
	s_sub_i32 s7, s4, s1
	s_cmp_ge_u32 s4, s1
	s_cselect_b32 s5, s6, s5
	s_cselect_b32 s4, s7, s4
	s_add_i32 s6, s5, 1
	s_cmp_ge_u32 s4, s1
	s_cselect_b32 s1, s6, s5
	s_add_i32 s0, s0, s99
	v_and_b32_e32 v64, 31, v0
	v_lshrrev_b32_e32 v2, 3, v0
	v_cmp_gt_i32_e64 s[34:35], s0, v1
	v_lshlrev_b32_e32 v1, 2, v64
	v_and_b32_e32 v3, 4, v2
	v_lshlrev_b32_e32 v2, 6, v3
	v_or_b32_e32 v4, 0x6000, v1
	v_and_b32_e32 v5, 1, v0
	s_add_i32 s29, s96, -1
	v_or_b32_e32 v65, v1, v2
	v_or_b32_e32 v66, v4, v2
	v_lshlrev_b32_e32 v2, 1, v5
	v_lshrrev_b32_e32 v7, 1, v0
	s_abs_i32 s96, s14
                                        ; implicit-def: $vgpr93 : SGPR spill to VGPR lane
	v_sub_u32_e32 v2, v0, v2
	v_and_b32_e32 v50, 16, v7
	v_cvt_f32_u32_e32 v7, s96
	v_writelane_b32 v93, s14, 0
	v_add_u32_e32 v2, 1, v2
	v_writelane_b32 v93, s15, 1
	v_and_b32_e32 v6, 63, v2
	v_bitop3_b32 v67, v0, 1, v0 bitop3:0xc
	v_bitop3_b32 v68, v0, 3, 1 bitop3:0x6c
	;; [unrolled: 1-line block ×8, first 2 shown]
	v_and_b32_e32 v2, 30, v0
	v_lshlrev_b32_e32 v0, 4, v0
	s_waitcnt lgkmcnt(0)
	v_writelane_b32 v93, s16, 2
	v_and_b32_e32 v0, 0x200, v0
	v_or_b32_e32 v77, v4, v0
	v_writelane_b32 v93, s17, 3
	v_rcp_iflag_f32_e32 v4, v7
	s_abs_i32 s90, s15
	v_writelane_b32 v93, s18, 4
	v_or_b32_e32 v79, v1, v0
	v_cvt_f32_u32_e32 v1, s90
	v_writelane_b32 v93, s19, 5
	v_writelane_b32 v93, s20, 6
	;; [unrolled: 1-line block ×3, first 2 shown]
	v_mul_f32_e32 v0, 0x4f7ffffe, v4
	v_writelane_b32 v93, s22, 8
	v_cvt_u32_f32_e32 v0, v0
	v_rcp_iflag_f32_e32 v1, v1
	v_writelane_b32 v93, s23, 9
	v_cndmask_b32_e64 v63, 0, 1, s[24:25]
	s_xor_b32 s1, s1, s3
	v_writelane_b32 v93, s24, 10
	s_sub_i32 s28, s1, s3
	s_mul_i32 s1, s28, s29
	v_writelane_b32 v93, s25, 11
	v_writelane_b32 v93, s26, 12
	s_sub_i32 s30, s2, s1
	v_readfirstlane_b32 s1, v0
	v_mul_f32_e32 v0, 0x4f7ffffe, v1
	v_writelane_b32 v93, s27, 13
	v_cvt_u32_f32_e32 v0, v0
	v_writelane_b32 v93, s28, 14
	s_sub_i32 s0, 0, s96
	v_writelane_b32 v93, s29, 15
	s_mul_i32 s0, s0, s1
	v_writelane_b32 v93, s30, 16
	s_mul_hi_u32 s0, s1, s0
	v_writelane_b32 v93, s34, 17
	s_ashr_i32 s31, s14, 31
	s_add_i32 s36, s1, s0
	s_sub_i32 s0, 0, s90
	v_readfirstlane_b32 s1, v0
	v_mbcnt_lo_u32_b32 v0, -1, 0
	v_writelane_b32 v93, s35, 18
	s_mul_i32 s0, s0, s1
	v_mbcnt_hi_u32_b32 v0, -1, v0
	v_writelane_b32 v93, s31, 19
	v_mov_b32_e32 v49, 0
	v_mul_lo_u32 v52, s95, v64
	v_or_b32_e32 v80, v5, v3
	s_ashr_i32 s37, s15, 31
	s_mul_hi_u32 s0, s1, s0
	v_and_or_b32 v0, v0, 64, v6
	v_writelane_b32 v93, s36, 20
	v_or_b32_e32 v75, 32, v64
	v_or_b32_e32 v76, 64, v64
	v_ashrrev_i32_e32 v53, 31, v52
	v_mov_b32_e32 v51, v49
	s_lshl_b32 s91, s95, 5
	v_mul_lo_u32 v78, s94, v64
	v_or_b32_e32 v81, 2, v80
	s_add_i32 s38, s1, s0
	v_lshlrev_b32_e32 v48, 1, v2
	v_lshlrev_b32_e32 v82, 2, v0
	v_mov_b32_e32 v83, v56
	v_writelane_b32 v93, s37, 21
	v_writelane_b32 v93, s38, 22
	s_branch .LBB355_7
.LBB355_4:                              ;   in Loop: Header=BB355_7 Depth=1
	s_or_b64 exec, exec, s[4:5]
.LBB355_5:                              ;   in Loop: Header=BB355_7 Depth=1
	s_or_b64 exec, exec, s[2:3]
	v_subrev_u32_e32 v83, s10, v83
.LBB355_6:                              ;   in Loop: Header=BB355_7 Depth=1
	s_or_b64 exec, exec, s[0:1]
	s_add_i32 s33, s33, 1
	v_cmp_ge_i32_e32 vcc, s33, v62
	s_cbranch_vccnz .LBB355_51
.LBB355_7:                              ; =>This Loop Header: Depth=1
                                        ;     Child Loop BB355_13 Depth 2
                                        ;       Child Loop BB355_15 Depth 3
                                        ;       Child Loop BB355_18 Depth 3
	;; [unrolled: 1-line block ×4, first 2 shown]
                                        ;     Child Loop BB355_29 Depth 2
                                        ;     Child Loop BB355_38 Depth 2
                                        ;       Child Loop BB355_40 Depth 3
                                        ;     Child Loop BB355_48 Depth 2
                                        ;       Child Loop BB355_50 Depth 3
	s_abs_i32 s1, s33
	s_mul_hi_u32 s2, s1, s36
	s_mul_i32 s3, s2, s96
	s_ashr_i32 s0, s33, 31
	s_sub_i32 s1, s1, s3
	s_xor_b32 s0, s0, s31
	s_add_i32 s3, s2, 1
	s_sub_i32 s4, s1, s96
	s_cmp_ge_u32 s1, s96
	s_cselect_b32 s2, s3, s2
	s_cselect_b32 s1, s4, s1
	s_add_i32 s3, s2, 1
	s_cmp_ge_u32 s1, s96
	s_cselect_b32 s1, s3, s2
	s_xor_b32 s1, s1, s0
	s_sub_i32 s0, s1, s0
	s_abs_i32 s2, s0
	s_mul_i32 s1, s0, s14
	s_mul_hi_u32 s3, s2, s38
	s_sub_i32 s1, s33, s1
	s_mul_i32 s4, s3, s90
	s_lshl_b32 s39, s1, 7
	s_ashr_i32 s1, s0, 31
	s_sub_i32 s2, s2, s4
	s_xor_b32 s1, s1, s37
	s_add_i32 s4, s3, 1
	s_sub_i32 s5, s2, s90
	s_cmp_ge_u32 s2, s90
	s_cselect_b32 s3, s4, s3
	s_cselect_b32 s2, s5, s2
	s_add_i32 s4, s3, 1
	s_cmp_ge_u32 s2, s90
	s_cselect_b32 s2, s4, s3
	s_xor_b32 s2, s2, s1
	s_sub_i32 s1, s2, s1
	s_mul_i32 s2, s1, s28
	s_lshl_b32 s13, s2, 6
	s_cmp_eq_u32 s1, s29
	s_cselect_b32 s4, s30, s28
	s_sub_i32 s2, s39, s92
	s_addk_i32 s2, 0x80
	s_max_i32 s5, s2, 0
	s_and_saveexec_b64 s[2:3], s[26:27]
	s_xor_b64 s[2:3], exec, s[2:3]
	v_writelane_b32 v93, s2, 23
	s_nop 1
	v_writelane_b32 v93, s3, 24
	s_cbranch_execz .LBB355_44
; %bb.8:                                ;   in Loop: Header=BB355_7 Depth=1
	s_mul_i32 s1, s1, s15
	s_sub_i32 s0, s0, s1
	s_mulk_i32 s0, 0x60
	s_sub_i32 s70, s0, s93
	s_addk_i32 s70, 0x60
	s_max_i32 s1, s70, 0
	s_sub_i32 s0, s0, s1
	v_writelane_b32 v93, s13, 25
	s_and_saveexec_b64 s[2:3], s[24:25]
	s_xor_b64 s[2:3], exec, s[2:3]
	s_cbranch_execz .LBB355_34
; %bb.9:                                ;   in Loop: Header=BB355_7 Depth=1
	s_mov_b64 s[6:7], exec
	v_writelane_b32 v93, s6, 26
	s_nop 1
	v_writelane_b32 v93, s7, 27
	s_and_b64 s[6:7], s[6:7], s[34:35]
	s_mov_b64 exec, s[6:7]
	s_cbranch_execz .LBB355_33
; %bb.10:                               ;   in Loop: Header=BB355_7 Depth=1
	global_load_dword v84, v49, s[22:23]
	v_mov_b32_e32 v47, 0
	v_cmp_gt_i32_e32 vcc, s4, v83
	v_mov_b32_e32 v46, v47
	v_mov_b32_e32 v45, v47
	;; [unrolled: 1-line block ×47, first 2 shown]
	s_and_saveexec_b64 s[6:7], vcc
	s_cbranch_execz .LBB355_26
; %bb.11:                               ;   in Loop: Header=BB355_7 Depth=1
	v_mov_b32_e32 v0, 0
	s_mov_b64 s[8:9], 0
	v_mov_b32_e32 v1, v0
	v_mov_b32_e32 v2, v0
	;; [unrolled: 1-line block ×47, first 2 shown]
	s_branch .LBB355_13
.LBB355_12:                             ;   in Loop: Header=BB355_13 Depth=2
	s_or_b64 exec, exec, s[10:11]
	v_add_u32_e32 v89, 0x1000, v88
	ds_read2_b32 v[90:91], v89 offset1:32
	v_add_u32_e32 v83, s99, v83
	s_waitcnt lgkmcnt(0)
	v_mfma_f32_32x32x16_fp8_fp8 v[0:15], v[60:61], v[90:91], v[0:15]
	ds_read2_b32 v[60:61], v89 offset0:128 offset1:160
	s_waitcnt lgkmcnt(0)
	v_mfma_f32_32x32x16_fp8_fp8 v[0:15], v[58:59], v[60:61], v[0:15]
	v_add_u32_e32 v60, 0x1400, v88
	ds_read2_b32 v[58:59], v60 offset1:32
	ds_read2_b32 v[60:61], v60 offset0:128 offset1:160
	ds_write_b32 v86, v87 offset:43028
	s_waitcnt lgkmcnt(2)
	v_mfma_f32_32x32x16_fp8_fp8 v[0:15], v[56:57], v[58:59], v[0:15]
	v_add_u32_e32 v56, s99, v85
	v_add_u32_e32 v57, 2, v63
	v_cmp_lt_i32_e32 vcc, 2, v56
	s_nop 1
	v_cndmask_b32_e32 v63, v63, v57, vcc
	v_cmp_le_i32_e32 vcc, s4, v83
	s_waitcnt lgkmcnt(1)
	v_mfma_f32_32x32x16_fp8_fp8 v[0:15], v[54:55], v[60:61], v[0:15]
	s_or_b64 s[8:9], vcc, s[8:9]
	s_andn2_b64 exec, exec, s[8:9]
	s_cbranch_execz .LBB355_25
.LBB355_13:                             ;   Parent Loop BB355_7 Depth=1
                                        ; =>  This Loop Header: Depth=2
                                        ;       Child Loop BB355_15 Depth 3
                                        ;       Child Loop BB355_18 Depth 3
	;; [unrolled: 1-line block ×4, first 2 shown]
	v_cmp_gt_i32_e32 vcc, 3, v56
	s_nop 1
	v_cndmask_b32_e64 v54, -3, 0, vcc
	v_add_u32_e32 v85, v54, v56
	v_mul_lo_u32 v86, v85, 24
	ds_read_b32 v54, v86 offset:43008
	s_waitcnt lgkmcnt(0)
	v_cmp_ne_u32_e32 vcc, v54, v63
	s_and_saveexec_b64 s[10:11], vcc
	s_cbranch_execz .LBB355_16
; %bb.14:                               ;   in Loop: Header=BB355_13 Depth=2
	s_mov_b64 s[12:13], 0
.LBB355_15:                             ;   Parent Loop BB355_7 Depth=1
                                        ;     Parent Loop BB355_13 Depth=2
                                        ; =>    This Inner Loop Header: Depth=3
	;;#ASMSTART
	s_sleep 0
	;;#ASMEND
	ds_read_b32 v54, v86 offset:43008
	s_waitcnt lgkmcnt(0)
	v_cmp_eq_u32_e32 vcc, v54, v63
	s_or_b64 s[12:13], vcc, s[12:13]
	s_andn2_b64 exec, exec, s[12:13]
	s_cbranch_execnz .LBB355_15
.LBB355_16:                             ;   in Loop: Header=BB355_13 Depth=2
	s_or_b64 exec, exec, s[10:11]
	v_lshl_or_b32 v54, v85, 11, v65
	ds_read2_b32 v[60:61], v54 offset1:32
	ds_read2_b32 v[58:59], v54 offset0:128 offset1:160
	v_add_u32_e32 v54, 0x400, v54
	ds_read2_b32 v[56:57], v54 offset1:32
	ds_read_b32 v88, v86 offset:43012
	ds_read2_b32 v[54:55], v54 offset0:128 offset1:160
	v_add_u32_e32 v87, 1, v63
	ds_write_b32 v86, v87 offset:43008
	s_waitcnt lgkmcnt(2)
	v_cmp_ne_u32_e32 vcc, v88, v63
	s_and_saveexec_b64 s[10:11], vcc
	s_cbranch_execz .LBB355_19
; %bb.17:                               ;   in Loop: Header=BB355_13 Depth=2
	s_mov_b64 s[12:13], 0
.LBB355_18:                             ;   Parent Loop BB355_7 Depth=1
                                        ;     Parent Loop BB355_13 Depth=2
                                        ; =>    This Inner Loop Header: Depth=3
	;;#ASMSTART
	s_sleep 0
	;;#ASMEND
	ds_read_b32 v88, v86 offset:43012
	s_waitcnt lgkmcnt(0)
	v_cmp_eq_u32_e32 vcc, v88, v63
	s_or_b64 s[12:13], vcc, s[12:13]
	s_andn2_b64 exec, exec, s[12:13]
	s_cbranch_execnz .LBB355_18
.LBB355_19:                             ;   in Loop: Header=BB355_13 Depth=2
	s_or_b64 exec, exec, s[10:11]
	s_movk_i32 s1, 0x1800
	v_mul_lo_u32 v88, v85, s1
	v_add_u32_e32 v88, v66, v88
	ds_read2_b32 v[90:91], v88 offset1:32
	v_add_u32_e32 v89, 0x400, v88
	ds_write_b32 v86, v87 offset:43012
	s_waitcnt lgkmcnt(1)
	v_mfma_f32_32x32x16_fp8_fp8 v[32:47], v[60:61], v[90:91], v[32:47]
	ds_read2_b32 v[90:91], v88 offset0:128 offset1:160
	s_waitcnt lgkmcnt(0)
	v_mfma_f32_32x32x16_fp8_fp8 v[32:47], v[58:59], v[90:91], v[32:47]
	ds_read2_b32 v[90:91], v89 offset1:32
	s_waitcnt lgkmcnt(0)
	v_mfma_f32_32x32x16_fp8_fp8 v[32:47], v[56:57], v[90:91], v[32:47]
	ds_read2_b32 v[90:91], v89 offset0:128 offset1:160
	ds_read_b32 v89, v86 offset:43020
	s_waitcnt lgkmcnt(0)
	v_cmp_ne_u32_e32 vcc, v89, v63
	v_mfma_f32_32x32x16_fp8_fp8 v[32:47], v[54:55], v[90:91], v[32:47]
	s_and_saveexec_b64 s[10:11], vcc
	s_cbranch_execz .LBB355_22
; %bb.20:                               ;   in Loop: Header=BB355_13 Depth=2
	s_mov_b64 s[12:13], 0
.LBB355_21:                             ;   Parent Loop BB355_7 Depth=1
                                        ;     Parent Loop BB355_13 Depth=2
                                        ; =>    This Inner Loop Header: Depth=3
	;;#ASMSTART
	s_sleep 0
	;;#ASMEND
	ds_read_b32 v89, v86 offset:43020
	s_waitcnt lgkmcnt(0)
	v_cmp_eq_u32_e32 vcc, v89, v63
	s_or_b64 s[12:13], vcc, s[12:13]
	s_andn2_b64 exec, exec, s[12:13]
	s_cbranch_execnz .LBB355_21
.LBB355_22:                             ;   in Loop: Header=BB355_13 Depth=2
	s_or_b64 exec, exec, s[10:11]
	v_add_u32_e32 v89, 0x800, v88
	ds_read2_b32 v[90:91], v89 offset1:32
	s_waitcnt lgkmcnt(0)
	v_mfma_f32_32x32x16_fp8_fp8 v[16:31], v[60:61], v[90:91], v[16:31]
	ds_read2_b32 v[90:91], v89 offset0:128 offset1:160
	v_add_u32_e32 v89, 0xc00, v88
	s_waitcnt lgkmcnt(0)
	v_mfma_f32_32x32x16_fp8_fp8 v[16:31], v[58:59], v[90:91], v[16:31]
	ds_read2_b32 v[90:91], v89 offset1:32
	s_waitcnt lgkmcnt(0)
	v_mfma_f32_32x32x16_fp8_fp8 v[16:31], v[56:57], v[90:91], v[16:31]
	ds_read_b32 v92, v86 offset:43028
	ds_read2_b32 v[90:91], v89 offset0:128 offset1:160
	ds_write_b32 v86, v87 offset:43020
	s_waitcnt lgkmcnt(2)
	v_cmp_ne_u32_e32 vcc, v92, v63
	s_waitcnt lgkmcnt(1)
	v_mfma_f32_32x32x16_fp8_fp8 v[16:31], v[54:55], v[90:91], v[16:31]
	s_and_saveexec_b64 s[10:11], vcc
	s_cbranch_execz .LBB355_12
; %bb.23:                               ;   in Loop: Header=BB355_13 Depth=2
	s_mov_b64 s[12:13], 0
.LBB355_24:                             ;   Parent Loop BB355_7 Depth=1
                                        ;     Parent Loop BB355_13 Depth=2
                                        ; =>    This Inner Loop Header: Depth=3
	;;#ASMSTART
	s_sleep 0
	;;#ASMEND
	ds_read_b32 v89, v86 offset:43028
	s_waitcnt lgkmcnt(0)
	v_cmp_eq_u32_e32 vcc, v89, v63
	s_or_b64 s[12:13], vcc, s[12:13]
	s_andn2_b64 exec, exec, s[12:13]
	s_cbranch_execnz .LBB355_24
	s_branch .LBB355_12
.LBB355_25:                             ;   in Loop: Header=BB355_7 Depth=1
	s_or_b64 exec, exec, s[8:9]
.LBB355_26:                             ;   in Loop: Header=BB355_7 Depth=1
	s_or_b64 exec, exec, s[6:7]
	v_cmp_le_i32_e32 vcc, s70, v64
	v_cmp_eq_u32_e64 s[60:61], 1, v67
	v_cmp_eq_u32_e64 s[26:27], 2, v67
	s_waitcnt vmcnt(0)
	v_cndmask_b32_e32 v54, 0, v84, vcc
	v_pk_mul_f32 v[32:33], v[54:55], v[32:33] op_sel_hi:[0,1]
	v_pk_mul_f32 v[46:47], v[54:55], v[46:47] op_sel_hi:[0,1]
	;; [unrolled: 1-line block ×8, first 2 shown]
	v_cndmask_b32_e64 v54, v32, v33, s[60:61]
	v_cndmask_b32_e64 v54, v54, v34, s[26:27]
	v_cmp_eq_u32_e64 s[40:41], 3, v67
	v_cmp_eq_u32_e64 s[42:43], 4, v67
	v_cmp_eq_u32_e64 s[44:45], 5, v67
	v_cndmask_b32_e64 v54, v54, v35, s[40:41]
	v_cndmask_b32_e64 v54, v54, v36, s[42:43]
	v_cndmask_b32_e64 v54, v54, v37, s[44:45]
	v_cmp_eq_u32_e64 s[46:47], 6, v67
	v_cmp_eq_u32_e64 s[48:49], 7, v67
	v_cmp_eq_u32_e64 s[50:51], 8, v67
	v_cndmask_b32_e64 v54, v54, v38, s[46:47]
	;; [unrolled: 6-line block ×4, first 2 shown]
	v_cndmask_b32_e64 v54, v54, v45, s[62:63]
	v_cndmask_b32_e64 v54, v54, v46, s[64:65]
	v_cmp_eq_u32_e64 s[66:67], 15, v67
	s_mul_i32 s6, s39, s93
	s_ashr_i32 s7, s6, 31
	v_cndmask_b32_e64 v54, v54, v47, s[66:67]
	ds_bpermute_b32 v54, v82, v54
	s_lshl_b64 s[6:7], s[6:7], 1
	v_cmp_eq_u32_e64 s[36:37], 0, v67
	s_add_u32 s71, s20, s6
	v_cmp_eq_u32_e32 vcc, 1, v68
	s_waitcnt lgkmcnt(0)
	v_cndmask_b32_e64 v47, v47, v54, s[66:67]
	v_cndmask_b32_e64 v46, v46, v54, s[64:65]
	v_cndmask_b32_e64 v45, v45, v54, s[62:63]
	v_cndmask_b32_e64 v44, v44, v54, s[58:59]
	v_cndmask_b32_e64 v43, v43, v54, s[56:57]
	v_cndmask_b32_e64 v42, v42, v54, s[54:55]
	v_cndmask_b32_e64 v41, v41, v54, s[52:53]
	v_cndmask_b32_e64 v40, v40, v54, s[50:51]
	v_cndmask_b32_e64 v57, v39, v54, s[48:49]
	v_cndmask_b32_e64 v58, v38, v54, s[46:47]
	v_cndmask_b32_e64 v59, v37, v54, s[44:45]
	v_cndmask_b32_e64 v60, v36, v54, s[42:43]
	v_cndmask_b32_e64 v61, v35, v54, s[40:41]
	v_cndmask_b32_e64 v85, v34, v54, s[26:27]
	v_cndmask_b32_e64 v86, v33, v54, s[60:61]
	v_cndmask_b32_e64 v54, v32, v54, s[36:37]
	s_addc_u32 s72, s21, s7
	v_cndmask_b32_e32 v32, v54, v86, vcc
	v_cmp_eq_u32_e64 s[6:7], 2, v68
	v_cmp_eq_u32_e64 s[8:9], 3, v68
	v_cmp_eq_u32_e64 s[10:11], 4, v68
	v_cndmask_b32_e64 v32, v32, v85, s[6:7]
	v_cndmask_b32_e64 v32, v32, v61, s[8:9]
	v_cndmask_b32_e64 v32, v32, v60, s[10:11]
	v_cmp_eq_u32_e64 s[12:13], 5, v68
	v_cmp_eq_u32_e64 s[14:15], 6, v68
	v_cmp_eq_u32_e64 s[16:17], 7, v68
	v_cndmask_b32_e64 v32, v32, v59, s[12:13]
	v_cndmask_b32_e64 v32, v32, v58, s[14:15]
	v_cndmask_b32_e64 v32, v32, v57, s[16:17]
	v_cmp_eq_u32_e64 s[18:19], 8, v68
	v_cmp_eq_u32_e64 s[20:21], 9, v68
	v_cmp_eq_u32_e64 s[22:23], 10, v68
	v_cndmask_b32_e64 v32, v32, v40, s[18:19]
	v_cndmask_b32_e64 v32, v32, v41, s[20:21]
	v_cndmask_b32_e64 v32, v32, v42, s[22:23]
	v_cmp_eq_u32_e64 s[24:25], 11, v68
	v_cmp_eq_u32_e64 s[28:29], 12, v68
	v_cmp_eq_u32_e64 s[30:31], 13, v68
	v_cndmask_b32_e64 v32, v32, v43, s[24:25]
	v_cndmask_b32_e64 v32, v32, v44, s[28:29]
	v_cndmask_b32_e64 v32, v32, v45, s[30:31]
	v_cmp_eq_u32_e64 s[34:35], 14, v68
	v_writelane_b32 v93, s39, 28
	v_cmp_eq_u32_e64 s[38:39], 15, v68
	v_cndmask_b32_e64 v32, v32, v46, s[34:35]
	s_ashr_i32 s1, s0, 31
	v_cndmask_b32_e64 v32, v32, v47, s[38:39]
	ds_bpermute_b32 v55, v82, v32
	s_lshl_b64 s[68:69], s[0:1], 1
	s_add_u32 s68, s71, s68
	s_addc_u32 s69, s72, s69
	v_writelane_b32 v93, s68, 29
	s_waitcnt lgkmcnt(0)
	v_cndmask_b32_e64 v33, v47, v55, s[38:39]
	v_cndmask_b32_e64 v38, v42, v55, s[22:23]
	v_writelane_b32 v93, s69, 30
	v_cmp_le_i32_e64 s[68:69], s70, v75
	v_cmp_le_i32_e64 s[70:71], s70, v76
	v_cndmask_b32_e64 v42, v58, v55, s[14:15]
	v_cndmask_b32_e64 v32, 0, v84, s[68:69]
	;; [unrolled: 1-line block ×3, first 2 shown]
	v_pk_mul_f32 v[16:17], v[32:33], v[16:17] op_sel_hi:[0,1]
	v_pk_mul_f32 v[0:1], v[58:59], v[0:1] op_sel_hi:[0,1]
	v_cndmask_b32_e64 v35, v45, v55, s[30:31]
	v_cndmask_b32_e64 v36, v44, v55, s[28:29]
	;; [unrolled: 1-line block ×4, first 2 shown]
	v_pk_mul_f32 v[30:31], v[32:33], v[30:31] op_sel_hi:[0,1]
	v_pk_mul_f32 v[28:29], v[32:33], v[28:29] op_sel_hi:[0,1]
	;; [unrolled: 1-line block ×7, first 2 shown]
	v_cndmask_b32_e64 v32, v16, v17, s[60:61]
	v_pk_mul_f32 v[60:61], v[58:59], v[4:5] op_sel_hi:[0,1]
	v_pk_mul_f32 v[2:3], v[58:59], v[2:3] op_sel_hi:[0,1]
	v_cndmask_b32_e64 v4, v0, v1, s[60:61]
	v_cndmask_b32_e64 v32, v32, v18, s[26:27]
	v_cndmask_b32_e64 v4, v4, v2, s[26:27]
	v_cndmask_b32_e64 v32, v32, v19, s[40:41]
	v_cndmask_b32_e64 v4, v4, v3, s[40:41]
	v_cndmask_b32_e64 v32, v32, v20, s[42:43]
	v_cndmask_b32_e64 v4, v4, v60, s[42:43]
	v_cndmask_b32_e64 v32, v32, v21, s[44:45]
	v_pk_mul_f32 v[6:7], v[58:59], v[6:7] op_sel_hi:[0,1]
	v_cndmask_b32_e64 v4, v4, v61, s[44:45]
	v_cndmask_b32_e64 v32, v32, v22, s[46:47]
	v_cndmask_b32_e64 v4, v4, v6, s[46:47]
	v_cndmask_b32_e64 v32, v32, v23, s[48:49]
	v_pk_mul_f32 v[8:9], v[58:59], v[8:9] op_sel_hi:[0,1]
	v_cndmask_b32_e64 v4, v4, v7, s[48:49]
	v_cndmask_b32_e64 v32, v32, v24, s[50:51]
	v_cndmask_b32_e64 v4, v4, v8, s[50:51]
	v_cndmask_b32_e64 v32, v32, v25, s[52:53]
	;; [unrolled: 5-line block ×5, first 2 shown]
	v_cndmask_b32_e64 v4, v4, v15, s[66:67]
	ds_bpermute_b32 v32, v82, v32
	ds_bpermute_b32 v5, v82, v4
	v_cmp_eq_u32_e64 s[68:69], 0, v68
	v_cndmask_b32_e32 v47, v86, v55, vcc
	v_cmp_eq_u32_e64 s[70:71], 1, v69
	v_cndmask_b32_e64 v54, v54, v55, s[68:69]
	v_cndmask_b32_e64 v34, v46, v55, s[34:35]
	;; [unrolled: 1-line block ×9, first 2 shown]
	s_waitcnt lgkmcnt(1)
	v_cndmask_b32_e64 v4, v17, v32, s[60:61]
	v_cmp_eq_u32_e64 s[60:61], 2, v69
	v_cndmask_b32_e64 v18, v18, v32, s[26:27]
	s_waitcnt lgkmcnt(0)
	v_cndmask_b32_e64 v2, v2, v5, s[26:27]
	v_cmp_ne_u32_e64 s[26:27], 0, v67
	v_cndmask_b32_e64 v17, v55, v46, s[60:61]
	v_cndmask_b32_e64 v31, v31, v32, s[66:67]
	;; [unrolled: 1-line block ×3, first 2 shown]
	v_cmp_eq_u32_e64 s[66:67], 3, v69
	v_cndmask_b32_e64 v1, v1, v5, s[26:27]
	v_cndmask_b32_e64 v16, v16, v32, s[36:37]
	;; [unrolled: 1-line block ×6, first 2 shown]
	v_cmp_eq_u32_e64 s[64:65], 4, v69
	v_cndmask_b32_e64 v29, v29, v32, s[62:63]
	v_cndmask_b32_e64 v13, v13, v5, s[62:63]
	;; [unrolled: 1-line block ×22, first 2 shown]
	v_cndmask_b32_e32 v32, v16, v4, vcc
	v_cndmask_b32_e32 v5, v0, v1, vcc
	v_cndmask_b32_e64 v17, v17, v44, s[64:65]
	v_cmp_eq_u32_e64 s[62:63], 5, v69
	v_cndmask_b32_e64 v32, v32, v18, s[6:7]
	v_cndmask_b32_e64 v5, v5, v2, s[6:7]
	v_cndmask_b32_e64 v17, v17, v43, s[62:63]
	v_cmp_eq_u32_e64 s[58:59], 6, v69
	v_cndmask_b32_e64 v32, v32, v19, s[8:9]
	v_cndmask_b32_e64 v5, v5, v3, s[8:9]
	v_cndmask_b32_e64 v17, v17, v42, s[58:59]
	v_cmp_eq_u32_e64 s[56:57], 7, v69
	v_cndmask_b32_e64 v32, v32, v20, s[10:11]
	v_cndmask_b32_e64 v5, v5, v57, s[10:11]
	v_cndmask_b32_e64 v17, v17, v41, s[56:57]
	v_cmp_eq_u32_e64 s[54:55], 8, v69
	v_cndmask_b32_e64 v32, v32, v21, s[12:13]
	v_cndmask_b32_e64 v5, v5, v55, s[12:13]
	v_cndmask_b32_e64 v17, v17, v40, s[54:55]
	v_cmp_eq_u32_e64 s[52:53], 9, v69
	v_cndmask_b32_e64 v32, v32, v22, s[14:15]
	v_cndmask_b32_e64 v5, v5, v6, s[14:15]
	v_cndmask_b32_e64 v17, v17, v39, s[52:53]
	v_cmp_eq_u32_e64 s[50:51], 10, v69
	v_cndmask_b32_e64 v32, v32, v23, s[16:17]
	v_cndmask_b32_e64 v5, v5, v7, s[16:17]
	v_cndmask_b32_e64 v17, v17, v38, s[50:51]
	v_cmp_eq_u32_e64 s[48:49], 11, v69
	v_cndmask_b32_e64 v32, v32, v24, s[18:19]
	v_cndmask_b32_e64 v5, v5, v8, s[18:19]
	v_cndmask_b32_e64 v17, v17, v37, s[48:49]
	v_cmp_eq_u32_e64 s[46:47], 12, v69
	v_cndmask_b32_e64 v32, v32, v25, s[20:21]
	v_cndmask_b32_e64 v5, v5, v9, s[20:21]
	v_cndmask_b32_e64 v17, v17, v36, s[46:47]
	v_cmp_eq_u32_e64 s[44:45], 13, v69
	v_cndmask_b32_e64 v32, v32, v26, s[22:23]
	v_cndmask_b32_e64 v5, v5, v10, s[22:23]
	v_cndmask_b32_e64 v17, v17, v35, s[44:45]
	v_cmp_eq_u32_e64 s[76:77], 14, v69
	v_cndmask_b32_e64 v32, v32, v27, s[24:25]
	v_cndmask_b32_e64 v5, v5, v11, s[24:25]
	v_cndmask_b32_e64 v17, v17, v34, s[76:77]
	v_cmp_eq_u32_e64 s[82:83], 15, v69
	v_cndmask_b32_e64 v32, v32, v28, s[28:29]
	v_cndmask_b32_e64 v5, v5, v12, s[28:29]
	v_cndmask_b32_e64 v17, v17, v33, s[82:83]
	v_cndmask_b32_e64 v32, v32, v29, s[30:31]
	;; [unrolled: 1-line block ×3, first 2 shown]
	ds_bpermute_b32 v17, v82, v17
	v_cndmask_b32_e64 v32, v32, v30, s[34:35]
	v_cndmask_b32_e64 v5, v5, v14, s[34:35]
	;; [unrolled: 1-line block ×4, first 2 shown]
	ds_bpermute_b32 v32, v82, v32
	ds_bpermute_b32 v5, v82, v5
	v_cmp_eq_u32_e64 s[42:43], 0, v69
	s_waitcnt lgkmcnt(2)
	v_cndmask_b32_e64 v33, v33, v17, s[82:83]
	v_cndmask_b32_e64 v34, v34, v17, s[76:77]
	;; [unrolled: 1-line block ×16, first 2 shown]
	v_cmp_eq_u32_e64 s[26:27], 1, v70
	v_cmp_eq_u32_e64 s[36:37], 2, v70
	s_waitcnt lgkmcnt(1)
	v_cndmask_b32_e64 v30, v30, v32, s[34:35]
	v_cndmask_b32_e64 v54, v17, v47, s[26:27]
	;; [unrolled: 1-line block ×3, first 2 shown]
	s_waitcnt lgkmcnt(0)
	v_cndmask_b32_e64 v14, v14, v5, s[34:35]
	v_cmp_eq_u32_e64 s[34:35], 3, v70
	v_cndmask_b32_e32 v4, v4, v32, vcc
	v_cndmask_b32_e32 v1, v1, v5, vcc
	v_cndmask_b32_e64 v16, v16, v32, s[68:69]
	v_cndmask_b32_e64 v0, v0, v5, s[68:69]
	;; [unrolled: 1-line block ×7, first 2 shown]
	v_cmp_eq_u32_e64 s[30:31], 4, v70
	v_cndmask_b32_e64 v28, v28, v32, s[28:29]
	v_cndmask_b32_e64 v12, v12, v5, s[28:29]
	;; [unrolled: 1-line block ×25, first 2 shown]
	v_cmp_eq_u32_e64 s[38:39], 5, v70
	v_cndmask_b32_e64 v32, v32, v18, s[60:61]
	v_cndmask_b32_e64 v5, v5, v2, s[60:61]
	v_cndmask_b32_e64 v54, v54, v43, s[38:39]
	v_cmp_eq_u32_e64 s[24:25], 6, v70
	v_cndmask_b32_e64 v32, v32, v19, s[66:67]
	v_cndmask_b32_e64 v5, v5, v3, s[66:67]
	v_cndmask_b32_e64 v54, v54, v42, s[24:25]
	;; [unrolled: 4-line block ×11, first 2 shown]
	v_cndmask_b32_e64 v32, v32, v29, s[44:45]
	v_cndmask_b32_e64 v5, v5, v13, s[44:45]
	ds_bpermute_b32 v54, v82, v54
	v_cndmask_b32_e64 v32, v32, v30, s[76:77]
	v_cndmask_b32_e64 v5, v5, v14, s[76:77]
	;; [unrolled: 1-line block ×4, first 2 shown]
	ds_bpermute_b32 v32, v82, v32
	ds_bpermute_b32 v5, v82, v5
	v_cmp_eq_u32_e64 s[16:17], 0, v70
	s_waitcnt lgkmcnt(2)
	v_cndmask_b32_e64 v47, v47, v54, s[26:27]
	v_cmp_eq_u32_e64 s[8:9], 1, v71
	v_cndmask_b32_e64 v17, v17, v54, s[16:17]
	v_cndmask_b32_e64 v33, v33, v54, s[86:87]
	;; [unrolled: 1-line block ×16, first 2 shown]
	v_cmp_eq_u32_e64 s[14:15], 2, v71
	v_cmp_eq_u32_e64 s[18:19], 3, v71
	s_waitcnt lgkmcnt(1)
	v_cndmask_b32_e64 v4, v4, v32, s[70:71]
	v_cndmask_b32_e64 v54, v54, v46, s[14:15]
	s_waitcnt lgkmcnt(0)
	v_cndmask_b32_e64 v1, v1, v5, s[70:71]
	v_cndmask_b32_e64 v16, v16, v32, s[42:43]
	;; [unrolled: 1-line block ×10, first 2 shown]
	v_cmp_eq_u32_e64 s[28:29], 4, v71
	v_cndmask_b32_e64 v28, v28, v32, s[46:47]
	v_cndmask_b32_e64 v12, v12, v5, s[46:47]
	;; [unrolled: 1-line block ×25, first 2 shown]
	v_cmp_eq_u32_e64 s[40:41], 5, v71
	v_cndmask_b32_e64 v32, v32, v18, s[36:37]
	v_cndmask_b32_e64 v5, v5, v2, s[36:37]
	v_cndmask_b32_e64 v54, v54, v43, s[40:41]
	v_cmp_eq_u32_e64 s[48:49], 6, v71
	v_cndmask_b32_e64 v32, v32, v19, s[34:35]
	v_cndmask_b32_e64 v5, v5, v3, s[34:35]
	v_cndmask_b32_e64 v54, v54, v42, s[48:49]
	;; [unrolled: 4-line block ×11, first 2 shown]
	v_cndmask_b32_e64 v32, v32, v29, s[12:13]
	v_cndmask_b32_e64 v5, v5, v13, s[12:13]
	ds_bpermute_b32 v54, v82, v54
	v_cndmask_b32_e64 v32, v32, v30, s[10:11]
	v_cndmask_b32_e64 v5, v5, v14, s[10:11]
	;; [unrolled: 1-line block ×4, first 2 shown]
	ds_bpermute_b32 v32, v82, v32
	ds_bpermute_b32 v5, v82, v5
	v_cmp_eq_u32_e64 s[60:61], 0, v71
	s_waitcnt lgkmcnt(2)
	v_cndmask_b32_e64 v47, v47, v54, s[8:9]
	v_cmp_eq_u32_e32 vcc, 1, v72
	v_cndmask_b32_e64 v17, v17, v54, s[60:61]
	v_cndmask_b32_e64 v33, v33, v54, s[88:89]
	;; [unrolled: 1-line block ×15, first 2 shown]
	v_cndmask_b32_e32 v54, v17, v47, vcc
	v_cmp_eq_u32_e64 s[6:7], 2, v72
	s_waitcnt lgkmcnt(1)
	v_cndmask_b32_e64 v30, v30, v32, s[10:11]
	s_waitcnt lgkmcnt(0)
	v_cndmask_b32_e64 v14, v14, v5, s[10:11]
	v_cndmask_b32_e64 v54, v54, v46, s[6:7]
	v_cmp_eq_u32_e64 s[10:11], 3, v72
	v_cndmask_b32_e64 v29, v29, v32, s[12:13]
	v_cndmask_b32_e64 v13, v13, v5, s[12:13]
	;; [unrolled: 1-line block ×3, first 2 shown]
	v_cmp_eq_u32_e64 s[12:13], 4, v72
	v_cmp_eq_u32_e64 s[42:43], 5, v72
	;; [unrolled: 1-line block ×3, first 2 shown]
	v_cndmask_b32_e64 v54, v54, v44, s[12:13]
	v_cndmask_b32_e64 v54, v54, v43, s[42:43]
	;; [unrolled: 1-line block ×7, first 2 shown]
	v_cmp_eq_u32_e64 s[52:53], 7, v72
	v_cndmask_b32_e64 v9, v9, v5, s[72:73]
	v_cndmask_b32_e64 v8, v8, v5, s[20:21]
	v_cndmask_b32_e64 v7, v7, v5, s[22:23]
	v_cndmask_b32_e64 v6, v6, v5, s[24:25]
	v_cndmask_b32_e64 v55, v55, v5, s[38:39]
	v_cndmask_b32_e64 v57, v57, v5, s[30:31]
	v_cndmask_b32_e64 v3, v3, v5, s[34:35]
	v_cndmask_b32_e64 v2, v2, v5, s[36:37]
	v_cndmask_b32_e64 v58, v1, v5, s[26:27]
	v_cndmask_b32_e64 v5, v0, v5, s[16:17]
	v_cndmask_b32_e64 v54, v54, v41, s[52:53]
	v_cmp_eq_u32_e64 s[54:55], 8, v72
	v_cndmask_b32_e64 v0, v5, v58, s[8:9]
	v_cndmask_b32_e64 v31, v31, v32, s[86:87]
	;; [unrolled: 1-line block ×8, first 2 shown]
	v_cmp_eq_u32_e64 s[56:57], 9, v72
	v_cndmask_b32_e64 v23, v23, v32, s[22:23]
	v_cndmask_b32_e64 v22, v22, v32, s[24:25]
	;; [unrolled: 1-line block ×10, first 2 shown]
	v_cmp_eq_u32_e64 s[62:63], 10, v72
	v_cndmask_b32_e64 v1, v32, v4, s[8:9]
	v_cndmask_b32_e64 v0, v0, v3, s[18:19]
	v_cndmask_b32_e64 v54, v54, v38, s[62:63]
	v_cmp_eq_u32_e64 s[66:67], 11, v72
	v_cndmask_b32_e64 v1, v1, v18, s[14:15]
	v_cndmask_b32_e64 v0, v0, v57, s[28:29]
	v_cndmask_b32_e64 v54, v54, v37, s[66:67]
	;; [unrolled: 4-line block ×6, first 2 shown]
	v_cndmask_b32_e64 v1, v1, v23, s[46:47]
	v_cndmask_b32_e64 v0, v0, v9, s[68:69]
	ds_bpermute_b32 v54, v82, v54
	v_cndmask_b32_e64 v1, v1, v24, s[44:45]
	v_cndmask_b32_e64 v0, v0, v10, s[76:77]
	;; [unrolled: 1-line block ×10, first 2 shown]
	v_cmp_eq_u32_e64 s[34:35], 0, v72
	s_waitcnt lgkmcnt(0)
	v_cndmask_b32_e32 v47, v47, v54, vcc
	v_cndmask_b32_e64 v1, v1, v29, s[64:65]
	v_cndmask_b32_e64 v0, v0, v15, s[88:89]
	;; [unrolled: 1-line block ×3, first 2 shown]
	v_cmp_eq_u32_e64 s[16:17], 1, v73
	v_cndmask_b32_e64 v46, v46, v54, s[6:7]
	v_cndmask_b32_e64 v1, v1, v30, s[84:85]
	ds_bpermute_b32 v60, v82, v0
	v_cndmask_b32_e64 v0, v17, v47, s[16:17]
	v_cmp_eq_u32_e64 s[20:21], 2, v73
	v_cndmask_b32_e64 v45, v45, v54, s[10:11]
	v_cndmask_b32_e64 v1, v1, v31, s[88:89]
	;; [unrolled: 1-line block ×3, first 2 shown]
	v_cmp_eq_u32_e64 s[22:23], 3, v73
	v_cndmask_b32_e64 v44, v44, v54, s[12:13]
	ds_bpermute_b32 v59, v82, v1
	v_cndmask_b32_e64 v0, v0, v45, s[22:23]
	v_cmp_eq_u32_e64 s[24:25], 4, v73
	v_cndmask_b32_e64 v43, v43, v54, s[42:43]
	v_cmp_eq_u32_e64 s[26:27], 5, v73
	v_cndmask_b32_e64 v0, v0, v44, s[24:25]
	v_cndmask_b32_e64 v42, v42, v54, s[50:51]
	;; [unrolled: 1-line block ×3, first 2 shown]
	v_cmp_eq_u32_e64 s[30:31], 6, v73
	v_cndmask_b32_e64 v41, v41, v54, s[52:53]
	v_cmp_eq_u32_e64 s[36:37], 7, v73
	v_cndmask_b32_e64 v0, v0, v42, s[30:31]
	v_cndmask_b32_e64 v40, v40, v54, s[54:55]
	;; [unrolled: 1-line block ×3, first 2 shown]
	v_cmp_eq_u32_e64 s[38:39], 8, v73
	v_cndmask_b32_e64 v39, v39, v54, s[56:57]
	s_waitcnt lgkmcnt(0)
	v_cndmask_b32_e64 v24, v24, v59, s[44:45]
	v_cndmask_b32_e64 v0, v0, v40, s[38:39]
	v_cndmask_b32_e64 v8, v8, v60, s[44:45]
	v_cmp_eq_u32_e64 s[44:45], 9, v73
	v_cndmask_b32_e64 v38, v38, v54, s[62:63]
	v_cndmask_b32_e64 v23, v23, v59, s[46:47]
	v_cndmask_b32_e64 v0, v0, v39, s[44:45]
	v_cndmask_b32_e64 v7, v7, v60, s[46:47]
	v_cmp_eq_u32_e64 s[46:47], 10, v73
	v_cndmask_b32_e64 v37, v37, v54, s[66:67]
	;; [unrolled: 5-line block ×3, first 2 shown]
	v_cndmask_b32_e64 v34, v34, v54, s[74:75]
	v_cndmask_b32_e64 v35, v35, v54, s[72:73]
	;; [unrolled: 1-line block ×6, first 2 shown]
	v_cmp_eq_u32_e64 s[40:41], 12, v73
	v_cndmask_b32_e64 v20, v20, v59, s[28:29]
	v_cndmask_b32_e64 v55, v57, v60, s[28:29]
	v_cndmask_b32_e64 v0, v0, v36, s[40:41]
	v_cmp_eq_u32_e64 s[28:29], 13, v73
	v_cndmask_b32_e64 v27, v27, v59, s[58:59]
	v_cndmask_b32_e64 v11, v11, v60, s[58:59]
	v_cndmask_b32_e64 v0, v0, v35, s[28:29]
	;; [unrolled: 4-line block ×4, first 2 shown]
	ds_bpermute_b32 v57, v82, v0
	v_cndmask_b32_e64 v32, v32, v59, s[60:61]
	v_cndmask_b32_e64 v18, v18, v59, s[14:15]
	;; [unrolled: 1-line block ×4, first 2 shown]
	s_waitcnt lgkmcnt(0)
	v_cndmask_b32_e64 v1, v43, v57, s[26:27]
	v_cndmask_b32_e64 v3, v45, v57, s[22:23]
	;; [unrolled: 1-line block ×5, first 2 shown]
	v_cndmask_b32_e32 v44, v32, v4, vcc
	v_cndmask_b32_e32 v5, v45, v43, vcc
	v_cndmask_b32_e64 v44, v44, v18, s[6:7]
	v_cndmask_b32_e64 v5, v5, v84, s[6:7]
	;; [unrolled: 1-line block ×38, first 2 shown]
	v_cmp_eq_u32_e64 s[76:77], 0, v73
	v_cndmask_b32_e64 v16, v46, v57, s[20:21]
	v_cndmask_b32_e64 v0, v47, v57, s[16:17]
	ds_bpermute_b32 v44, v82, v44
	ds_bpermute_b32 v46, v82, v5
	v_cndmask_b32_e64 v47, v17, v57, s[76:77]
	v_cmp_eq_u32_e64 s[8:9], 1, v74
	v_cmp_eq_u32_e64 s[14:15], 2, v74
	;; [unrolled: 1-line block ×3, first 2 shown]
	v_cndmask_b32_e64 v5, v47, v0, s[8:9]
	v_cndmask_b32_e64 v5, v5, v16, s[14:15]
	;; [unrolled: 1-line block ×3, first 2 shown]
	v_cmp_eq_u32_e64 s[60:61], 4, v74
	v_cmp_eq_u32_e64 s[68:69], 5, v74
	v_cndmask_b32_e64 v42, v42, v57, s[30:31]
	v_cndmask_b32_e64 v5, v5, v2, s[60:61]
	;; [unrolled: 1-line block ×3, first 2 shown]
	s_waitcnt lgkmcnt(1)
	v_cndmask_b32_e64 v27, v27, v44, s[66:67]
	s_waitcnt lgkmcnt(0)
	v_cndmask_b32_e64 v60, v11, v46, s[66:67]
	v_cmp_eq_u32_e64 s[66:67], 6, v74
	v_cndmask_b32_e32 v91, v4, v44, vcc
	v_cndmask_b32_e64 v32, v32, v44, s[34:35]
	v_cndmask_b32_e64 v41, v41, v57, s[36:37]
	v_cndmask_b32_e64 v5, v5, v42, s[66:67]
	v_cndmask_b32_e64 v26, v26, v44, s[62:63]
	v_cndmask_b32_e64 v85, v10, v46, s[62:63]
	v_cmp_eq_u32_e64 s[62:63], 7, v74
	v_cndmask_b32_e64 v18, v18, v44, s[6:7]
	v_cndmask_b32_e64 v4, v32, v91, s[16:17]
	v_cndmask_b32_e64 v40, v40, v57, s[38:39]
	v_cndmask_b32_e64 v5, v5, v41, s[62:63]
	v_cndmask_b32_e64 v25, v25, v44, s[56:57]
	v_cndmask_b32_e64 v86, v9, v46, s[56:57]
	v_cmp_eq_u32_e64 s[56:57], 8, v74
	v_cndmask_b32_e64 v19, v19, v44, s[10:11]
	;; [unrolled: 7-line block ×5, first 2 shown]
	v_cndmask_b32_e64 v36, v36, v57, s[40:41]
	v_cndmask_b32_e64 v5, v5, v37, s[50:51]
	v_cndmask_b32_e64 v54, v54, v46, s[42:43]
	v_cmp_eq_u32_e64 s[42:43], 12, v74
	v_cndmask_b32_e64 v4, v4, v22, s[30:31]
	v_cndmask_b32_e64 v35, v35, v57, s[28:29]
	v_cndmask_b32_e64 v5, v5, v36, s[42:43]
	v_cndmask_b32_e64 v55, v55, v46, s[12:13]
	v_cmp_eq_u32_e64 s[12:13], 13, v74
	v_cndmask_b32_e64 v4, v4, v23, s[36:37]
	;; [unrolled: 5-line block ×4, first 2 shown]
	v_cndmask_b32_e64 v4, v4, v26, s[46:47]
	v_cndmask_b32_e64 v5, v5, v33, s[6:7]
	;; [unrolled: 1-line block ×3, first 2 shown]
	ds_bpermute_b32 v90, v82, v5
	v_cndmask_b32_e64 v4, v4, v27, s[48:49]
	v_cndmask_b32_e64 v29, v29, v44, s[72:73]
	;; [unrolled: 1-line block ×9, first 2 shown]
	s_waitcnt lgkmcnt(0)
	v_cndmask_b32_e64 v15, v33, v90, s[6:7]
	ds_bpermute_b32 v33, v82, v4
	v_cndmask_b32_e64 v57, v14, v46, s[74:75]
	v_cndmask_b32_e64 v14, v34, v90, s[10:11]
	;; [unrolled: 1-line block ×4, first 2 shown]
	s_waitcnt lgkmcnt(0)
	v_cndmask_b32_e64 v34, v91, v33, s[16:17]
	v_cndmask_b32_e64 v32, v32, v33, s[76:77]
	v_cndmask_b32_e64 v18, v18, v33, s[20:21]
	v_cndmask_b32_e64 v1, v32, v34, s[8:9]
	v_cndmask_b32_e64 v19, v19, v33, s[22:23]
	v_cndmask_b32_e64 v1, v1, v18, s[14:15]
	v_cndmask_b32_e64 v20, v20, v33, s[24:25]
	v_cndmask_b32_e64 v1, v1, v19, s[18:19]
	v_cndmask_b32_e64 v21, v21, v33, s[26:27]
	v_cndmask_b32_e64 v1, v1, v20, s[60:61]
	v_cndmask_b32_e64 v22, v22, v33, s[30:31]
	v_cndmask_b32_e64 v1, v1, v21, s[68:69]
	v_cndmask_b32_e64 v23, v23, v33, s[36:37]
	v_cndmask_b32_e64 v1, v1, v22, s[66:67]
	v_cndmask_b32_e64 v24, v24, v33, s[38:39]
	v_cndmask_b32_e64 v1, v1, v23, s[62:63]
	v_cndmask_b32_e64 v25, v25, v33, s[44:45]
	v_cndmask_b32_e64 v1, v1, v24, s[56:57]
	v_cndmask_b32_e64 v26, v26, v33, s[46:47]
	v_cndmask_b32_e64 v1, v1, v25, s[54:55]
	v_cndmask_b32_e64 v27, v27, v33, s[48:49]
	v_cndmask_b32_e64 v1, v1, v26, s[52:53]
	v_cndmask_b32_e64 v28, v28, v33, s[40:41]
	v_cndmask_b32_e64 v1, v1, v27, s[50:51]
	v_cndmask_b32_e64 v29, v29, v33, s[28:29]
	v_cndmask_b32_e64 v1, v1, v28, s[42:43]
	v_cndmask_b32_e64 v30, v30, v33, s[58:59]
	v_cndmask_b32_e64 v1, v1, v29, s[12:13]
	v_cndmask_b32_e64 v2, v16, v90, s[14:15]
	v_cndmask_b32_e64 v16, v31, v33, s[64:65]
	v_cndmask_b32_e64 v1, v1, v30, s[10:11]
	v_cndmask_b32_e64 v1, v1, v16, s[6:7]
	ds_bpermute_b32 v33, v82, v1
	v_cndmask_b32_e64 v58, v13, v46, s[72:73]
	v_cndmask_b32_e32 v43, v43, v46, vcc
	v_cndmask_b32_e64 v13, v35, v90, s[12:13]
	v_cndmask_b32_e64 v35, v45, v46, s[34:35]
	s_waitcnt lgkmcnt(0)
	v_cndmask_b32_e64 v31, v16, v33, s[6:7]
	v_cndmask_b32_e64 v16, v35, v43, s[16:17]
	;; [unrolled: 1-line block ×17, first 2 shown]
	ds_bpermute_b32 v16, v82, v16
	v_cndmask_b32_e64 v11, v37, v90, s[50:51]
	v_cndmask_b32_e64 v7, v41, v90, s[62:63]
	;; [unrolled: 1-line block ×4, first 2 shown]
	s_waitcnt lgkmcnt(0)
	v_cndmask_b32_e64 v37, v57, v16, s[58:59]
	v_cndmask_b32_e64 v41, v85, v16, s[46:47]
	;; [unrolled: 1-line block ×33, first 2 shown]
	ds_bpermute_b32 v87, v82, v16
	v_cmp_eq_u32_e32 vcc, 0, v74
	v_cndmask_b32_e64 v1, v0, v90, s[8:9]
	v_readlane_b32 s24, v93, 10
	v_cndmask_b32_e32 v0, v47, v90, vcc
	s_waitcnt lgkmcnt(0)
	v_cndmask_b32_e64 v47, v36, v87, s[6:7]
	v_readlane_b32 s6, v93, 29
	v_readlane_b32 s7, v93, 30
	;; [unrolled: 1-line block ×4, first 2 shown]
	v_subrev_u32_e32 v83, s4, v83
	s_mov_b32 s1, 0
	v_cndmask_b32_e64 v6, v42, v90, s[66:67]
	v_cndmask_b32_e64 v3, v3, v90, s[18:19]
	;; [unrolled: 1-line block ×16, first 2 shown]
	v_cndmask_b32_e32 v16, v32, v33, vcc
	v_cndmask_b32_e64 v46, v37, v87, s[10:11]
	v_cndmask_b32_e64 v45, v38, v87, s[12:13]
	v_cndmask_b32_e64 v44, v39, v87, s[42:43]
	v_cndmask_b32_e64 v43, v40, v87, s[50:51]
	v_cndmask_b32_e64 v42, v41, v87, s[52:53]
	v_cndmask_b32_e64 v41, v57, v87, s[54:55]
	v_cndmask_b32_e64 v40, v58, v87, s[56:57]
	v_cndmask_b32_e64 v39, v59, v87, s[62:63]
	v_cndmask_b32_e64 v38, v60, v87, s[66:67]
	v_cndmask_b32_e64 v37, v54, v87, s[68:69]
	v_cndmask_b32_e64 v36, v55, v87, s[60:61]
	v_cndmask_b32_e64 v35, v61, v87, s[18:19]
	v_cndmask_b32_e64 v34, v84, v87, s[14:15]
	v_cndmask_b32_e64 v33, v85, v87, s[8:9]
	v_cndmask_b32_e32 v32, v86, v87, vcc
	v_lshl_add_u64 v[54:55], s[6:7], 0, v[48:49]
	s_mov_b64 s[6:7], 0
	s_mov_b32 s16, 0
	v_readlane_b32 s25, v93, 11
	v_readlane_b32 s27, v93, 13
	;; [unrolled: 1-line block ×10, first 2 shown]
	s_mov_b64 s[20:21], 0x80
                                        ; implicit-def: $sgpr8_sgpr9
	s_branch .LBB355_29
.LBB355_27:                             ;   in Loop: Header=BB355_29 Depth=2
	s_or_b64 exec, exec, s[12:13]
	s_andn2_b64 s[8:9], s[8:9], exec
	s_and_b64 s[12:13], s[14:15], exec
	s_or_b64 s[8:9], s[8:9], s[12:13]
.LBB355_28:                             ;   in Loop: Header=BB355_29 Depth=2
	s_or_b64 exec, exec, s[10:11]
	s_and_b64 s[10:11], exec, s[8:9]
	s_or_b64 s[6:7], s[10:11], s[6:7]
	s_andn2_b64 exec, exec, s[6:7]
	s_cbranch_execz .LBB355_32
.LBB355_29:                             ;   Parent Loop BB355_7 Depth=1
                                        ; =>  This Inner Loop Header: Depth=2
	s_and_b32 s12, s1, 24
	v_or_b32_e32 v57, s12, v80
	v_add_u32_e32 v58, s5, v57
	v_cmp_gt_u32_e32 vcc, 32, v58
	s_or_b64 s[8:9], s[8:9], exec
	s_and_saveexec_b64 s[10:11], vcc
	s_cbranch_execz .LBB355_28
; %bb.30:                               ;   in Loop: Header=BB355_29 Depth=2
	s_add_i32 s13, s16, 1
	s_set_gpr_idx_on s16, gpr_idx(SRC0)
	v_mov_b32_e32 v58, v0
	s_set_gpr_idx_off
	v_cvt_f16_f32_e32 v60, v58
	s_set_gpr_idx_on s13, gpr_idx(SRC0)
	v_mov_b32_e32 v58, v0
	s_set_gpr_idx_off
	v_cvt_f16_f32_sdwa v61, v58 dst_sel:WORD_1 dst_unused:UNUSED_PAD src0_sel:DWORD
	v_mul_lo_u32 v58, v57, s93
	v_ashrrev_i32_e32 v59, 31, v58
	v_lshl_add_u64 v[58:59], v[58:59], 1, v[54:55]
	v_or_b32_e32 v57, v61, v60
	;;#ASMSTART
	global_atomic_pk_add_f16 v[58:59], v57, off
	
	;;#ASMEND
	s_set_gpr_idx_on s16, gpr_idx(SRC0)
	v_mov_b32_e32 v57, v16
	s_set_gpr_idx_off
	v_cvt_f16_f32_e32 v57, v57
	s_set_gpr_idx_on s13, gpr_idx(SRC0)
	v_mov_b32_e32 v60, v16
	s_set_gpr_idx_off
	v_cvt_f16_f32_sdwa v84, v60 dst_sel:WORD_1 dst_unused:UNUSED_PAD src0_sel:DWORD
	v_lshl_add_u64 v[60:61], v[58:59], 0, 64
	v_lshl_add_u64 v[58:59], v[58:59], 0, s[20:21]
	s_mov_b64 s[14:15], -1
	v_or_b32_e32 v57, v84, v57
	;;#ASMSTART
	global_atomic_pk_add_f16 v[60:61], v57, off
	
	;;#ASMEND
	s_set_gpr_idx_on s16, gpr_idx(SRC0)
	v_mov_b32_e32 v57, v32
	s_set_gpr_idx_off
	v_cvt_f16_f32_e32 v57, v57
	s_set_gpr_idx_on s13, gpr_idx(SRC0)
	v_mov_b32_e32 v60, v32
	s_set_gpr_idx_off
	v_cvt_f16_f32_sdwa v60, v60 dst_sel:WORD_1 dst_unused:UNUSED_PAD src0_sel:DWORD
	s_nop 0
	v_or_b32_e32 v57, v60, v57
	;;#ASMSTART
	global_atomic_pk_add_f16 v[58:59], v57, off
	
	;;#ASMEND
	v_or_b32_e32 v57, s12, v81
	v_add_u32_e32 v58, s5, v57
	v_cmp_gt_u32_e32 vcc, 32, v58
	s_and_saveexec_b64 s[12:13], vcc
	s_cbranch_execz .LBB355_27
; %bb.31:                               ;   in Loop: Header=BB355_29 Depth=2
	s_add_i32 s14, s16, 2
	s_add_i32 s15, s16, 3
	s_set_gpr_idx_on s14, gpr_idx(SRC0)
	v_mov_b32_e32 v58, v0
	s_set_gpr_idx_off
	v_cvt_f16_f32_e32 v60, v58
	s_set_gpr_idx_on s15, gpr_idx(SRC0)
	v_mov_b32_e32 v58, v0
	s_set_gpr_idx_off
	v_cvt_f16_f32_sdwa v61, v58 dst_sel:WORD_1 dst_unused:UNUSED_PAD src0_sel:DWORD
	v_mul_lo_u32 v58, v57, s93
	v_ashrrev_i32_e32 v59, 31, v58
	v_lshl_add_u64 v[58:59], v[58:59], 1, v[54:55]
	v_or_b32_e32 v57, v61, v60
	;;#ASMSTART
	global_atomic_pk_add_f16 v[58:59], v57, off
	
	;;#ASMEND
	s_set_gpr_idx_on s14, gpr_idx(SRC0)
	v_mov_b32_e32 v57, v16
	s_set_gpr_idx_off
	v_cvt_f16_f32_e32 v57, v57
	s_set_gpr_idx_on s15, gpr_idx(SRC0)
	v_mov_b32_e32 v60, v16
	s_set_gpr_idx_off
	v_cvt_f16_f32_sdwa v84, v60 dst_sel:WORD_1 dst_unused:UNUSED_PAD src0_sel:DWORD
	v_lshl_add_u64 v[60:61], v[58:59], 0, 64
	s_add_i32 s16, s16, 4
	s_add_i32 s1, s1, 8
	v_or_b32_e32 v57, v84, v57
	;;#ASMSTART
	global_atomic_pk_add_f16 v[60:61], v57, off
	
	;;#ASMEND
	s_set_gpr_idx_on s14, gpr_idx(SRC0)
	v_mov_b32_e32 v57, v32
	s_set_gpr_idx_off
	v_cvt_f16_f32_e32 v57, v57
	s_set_gpr_idx_on s15, gpr_idx(SRC0)
	v_mov_b32_e32 v60, v32
	s_set_gpr_idx_off
	v_cvt_f16_f32_sdwa v60, v60 dst_sel:WORD_1 dst_unused:UNUSED_PAD src0_sel:DWORD
	s_cmp_eq_u32 s16, 16
	s_cselect_b64 s[14:15], -1, 0
	s_orn2_b64 s[14:15], s[14:15], exec
	v_lshl_add_u64 v[58:59], v[58:59], 0, s[20:21]
	v_or_b32_e32 v57, v60, v57
	;;#ASMSTART
	global_atomic_pk_add_f16 v[58:59], v57, off
	
	;;#ASMEND
	s_branch .LBB355_27
.LBB355_32:                             ;   in Loop: Header=BB355_7 Depth=1
	s_or_b64 exec, exec, s[6:7]
	v_readlane_b32 s16, v93, 2
	v_readlane_b32 s14, v93, 0
	;; [unrolled: 1-line block ×11, first 2 shown]
.LBB355_33:                             ;   in Loop: Header=BB355_7 Depth=1
	v_readlane_b32 s6, v93, 26
	v_readlane_b32 s7, v93, 27
	s_or_b64 exec, exec, s[6:7]
.LBB355_34:                             ;   in Loop: Header=BB355_7 Depth=1
	s_or_saveexec_b64 s[2:3], s[2:3]
	v_readlane_b32 s13, v93, 25
	s_xor_b64 exec, exec, s[2:3]
	s_cbranch_execz .LBB355_43
; %bb.35:                               ;   in Loop: Header=BB355_7 Depth=1
	s_mul_i32 s12, s4, 3
	v_cmp_gt_i32_e32 vcc, s12, v83
	s_and_saveexec_b64 s[6:7], vcc
	s_cbranch_execz .LBB355_42
; %bb.36:                               ;   in Loop: Header=BB355_7 Depth=1
	s_mul_i32 s0, s0, s95
	s_ashr_i32 s1, s0, 31
	s_add_u32 s0, s18, s0
	s_addc_u32 s1, s19, s1
	s_ashr_i32 s8, s13, 31
	s_add_u32 s0, s0, s13
	s_addc_u32 s1, s1, s8
	v_lshl_add_u64 v[0:1], s[0:1], 0, v[52:53]
	v_lshl_add_u64 v[8:9], v[0:1], 0, v[50:51]
	s_mov_b64 s[0:1], 0
	s_branch .LBB355_38
.LBB355_37:                             ;   in Loop: Header=BB355_38 Depth=2
	s_or_b64 exec, exec, s[8:9]
	v_lshl_add_u32 v12, v10, 11, v77
	;;#ASMSTART
	s_waitcnt vmcnt(1)
	;;#ASMEND
	ds_write2_b32 v12, v4, v5 offset1:32
	ds_write2_b32 v12, v6, v7 offset0:64 offset1:96
	v_add_u32_e32 v4, 0x400, v12
	v_add_u32_e32 v83, s98, v83
	;;#ASMSTART
	s_waitcnt vmcnt(0)
	;;#ASMEND
	ds_write2_b32 v4, v0, v1 offset1:32
	ds_write2_b32 v4, v2, v3 offset0:64 offset1:96
	v_add_u32_e32 v0, 1, v63
	v_add_u32_e32 v56, s98, v10
	v_cmp_le_i32_e32 vcc, s12, v83
	ds_write_b32 v11, v0 offset:48
	v_add_u32_e32 v0, 2, v63
	s_or_b64 s[0:1], vcc, s[0:1]
	v_cmp_lt_i32_e32 vcc, 8, v56
	s_nop 1
	v_cndmask_b32_e32 v63, v63, v0, vcc
	s_andn2_b64 exec, exec, s[0:1]
	s_cbranch_execz .LBB355_41
.LBB355_38:                             ;   Parent Loop BB355_7 Depth=1
                                        ; =>  This Loop Header: Depth=2
                                        ;       Child Loop BB355_40 Depth 3
	v_cmp_gt_i32_e32 vcc, 9, v56
	s_mov_b32 s8, 0x55555556
	s_nop 0
	v_cndmask_b32_e64 v0, -9, 0, vcc
	v_add_u32_e32 v10, v0, v56
	v_mul_hi_i32 v0, v83, s8
	v_lshrrev_b32_e32 v1, 31, v0
	v_add_u32_e32 v0, v0, v1
	v_lshl_add_u32 v1, v0, 1, v0
	v_sub_u32_e32 v2, v83, v1
	v_lshlrev_b32_e32 v0, 6, v0
	v_ashrrev_i32_e32 v1, 31, v0
	v_mul_lo_u32 v2, s91, v2
	v_lshl_add_u64 v[0:1], v[8:9], 0, v[0:1]
	v_ashrrev_i32_e32 v3, 31, v2
	v_lshl_add_u64 v[0:1], v[0:1], 0, v[2:3]
	v_lshlrev_b32_e32 v11, 2, v10
	;;#ASMSTART
	global_load_dwordx4 v[4:7], v[0:1], off offset:0   sc0 sc1 nt  
	global_load_dwordx4 v[0:3], v[0:1], off offset:32  sc0 sc1 nt  
	
	;;#ASMEND
	ds_read_b32 v12, v11 offset:43056
	v_add_u32_e32 v11, 0xa800, v11
	s_waitcnt lgkmcnt(0)
	v_cmp_ne_u32_e32 vcc, v12, v63
	s_and_saveexec_b64 s[8:9], vcc
	s_cbranch_execz .LBB355_37
; %bb.39:                               ;   in Loop: Header=BB355_38 Depth=2
	s_mov_b64 s[10:11], 0
.LBB355_40:                             ;   Parent Loop BB355_7 Depth=1
                                        ;     Parent Loop BB355_38 Depth=2
                                        ; =>    This Inner Loop Header: Depth=3
	;;#ASMSTART
	s_sleep 0
	;;#ASMEND
	ds_read_b32 v12, v11 offset:48
	s_waitcnt lgkmcnt(0)
	v_cmp_eq_u32_e32 vcc, v12, v63
	s_or_b64 s[10:11], vcc, s[10:11]
	s_andn2_b64 exec, exec, s[10:11]
	s_cbranch_execnz .LBB355_40
	s_branch .LBB355_37
.LBB355_41:                             ;   in Loop: Header=BB355_7 Depth=1
	s_or_b64 exec, exec, s[0:1]
.LBB355_42:                             ;   in Loop: Header=BB355_7 Depth=1
	s_or_b64 exec, exec, s[6:7]
	v_subrev_u32_e32 v83, s12, v83
.LBB355_43:                             ;   in Loop: Header=BB355_7 Depth=1
	s_or_b64 exec, exec, s[2:3]
.LBB355_44:                             ;   in Loop: Header=BB355_7 Depth=1
	v_readlane_b32 s0, v93, 23
	v_readlane_b32 s1, v93, 24
	s_andn2_saveexec_b64 s[0:1], s[0:1]
	s_cbranch_execz .LBB355_6
; %bb.45:                               ;   in Loop: Header=BB355_7 Depth=1
	s_lshl_b32 s10, s4, 2
	v_cmp_gt_i32_e32 vcc, s10, v83
	s_and_saveexec_b64 s[2:3], vcc
	s_cbranch_execz .LBB355_5
; %bb.46:                               ;   in Loop: Header=BB355_7 Depth=1
	s_mul_i32 s4, s39, s94
	s_ashr_i32 s6, s4, 31
	s_add_u32 s4, s16, s4
	s_addc_u32 s7, s17, s6
	s_ashr_i32 s8, s13, 31
	s_add_u32 s6, s4, s13
	v_add_u32_e32 v2, s5, v64
	s_movk_i32 s4, 0x80
	v_cmp_gt_u32_e32 vcc, s4, v2
	s_addc_u32 s7, s7, s8
	v_sub_u32_e32 v10, 0x7f, v2
	v_cndmask_b32_e32 v0, 0, v78, vcc
	v_ashrrev_i32_e32 v1, 31, v0
	v_lshl_add_u64 v[0:1], s[6:7], 0, v[0:1]
	v_lshl_add_u64 v[8:9], v[0:1], 0, v[50:51]
	s_mov_b64 s[4:5], 0
	s_branch .LBB355_48
.LBB355_47:                             ;   in Loop: Header=BB355_48 Depth=2
	s_or_b64 exec, exec, s[6:7]
	v_lshl_or_b32 v13, v11, 11, v79
	;;#ASMSTART
	s_waitcnt vmcnt(1)
	;;#ASMEND
	ds_write2_b32 v13, v4, v5 offset1:32
	ds_write2_b32 v13, v6, v7 offset0:64 offset1:96
	v_add_u32_e32 v4, 0x400, v13
	v_add_u32_e32 v83, s97, v83
	;;#ASMSTART
	s_waitcnt vmcnt(0)
	;;#ASMEND
	ds_write2_b32 v4, v0, v1 offset1:32
	ds_write2_b32 v4, v2, v3 offset0:64 offset1:96
	v_add_u32_e32 v0, 1, v63
	v_add_u32_e32 v56, s97, v11
	v_cmp_le_i32_e32 vcc, s10, v83
	ds_write_b32 v12, v0
	v_add_u32_e32 v0, 2, v63
	s_or_b64 s[4:5], vcc, s[4:5]
	v_cmp_lt_i32_e32 vcc, 11, v56
	s_nop 1
	v_cndmask_b32_e32 v63, v63, v0, vcc
	s_andn2_b64 exec, exec, s[4:5]
	s_cbranch_execz .LBB355_4
.LBB355_48:                             ;   Parent Loop BB355_7 Depth=1
                                        ; =>  This Loop Header: Depth=2
                                        ;       Child Loop BB355_50 Depth 3
	v_cmp_gt_i32_e32 vcc, 12, v56
	s_nop 1
	v_cndmask_b32_e64 v0, -12, 0, vcc
	v_add_u32_e32 v11, v0, v56
	v_ashrrev_i32_e32 v0, 31, v83
	v_lshrrev_b32_e32 v0, 30, v0
	v_add_u32_e32 v0, v83, v0
	v_and_b32_e32 v1, 0x7fffffc, v0
	v_sub_u32_e32 v1, v83, v1
	v_lshlrev_b32_e32 v1, 5, v1
	v_cmp_le_i32_e32 vcc, v1, v10
	v_lshlrev_b32_e32 v0, 4, v0
	v_and_b32_e32 v0, 0xffffffc0, v0
	v_cndmask_b32_e32 v2, 0, v1, vcc
	v_ashrrev_i32_e32 v1, 31, v0
	v_mul_lo_u32 v2, v2, s94
	v_lshl_add_u64 v[0:1], v[8:9], 0, v[0:1]
	v_ashrrev_i32_e32 v3, 31, v2
	v_lshl_add_u64 v[0:1], v[0:1], 0, v[2:3]
	v_lshlrev_b32_e32 v12, 2, v11
	;;#ASMSTART
	global_load_dwordx4 v[4:7], v[0:1], off offset:0   
	global_load_dwordx4 v[0:3], v[0:1], off offset:32  
	
	;;#ASMEND
	ds_read_b32 v13, v12 offset:43008
	v_add_u32_e32 v12, 0xa800, v12
	s_waitcnt lgkmcnt(0)
	v_cmp_ne_u32_e32 vcc, v13, v63
	s_and_saveexec_b64 s[6:7], vcc
	s_cbranch_execz .LBB355_47
; %bb.49:                               ;   in Loop: Header=BB355_48 Depth=2
	s_mov_b64 s[8:9], 0
.LBB355_50:                             ;   Parent Loop BB355_7 Depth=1
                                        ;     Parent Loop BB355_48 Depth=2
                                        ; =>    This Inner Loop Header: Depth=3
	;;#ASMSTART
	s_sleep 0
	;;#ASMEND
	ds_read_b32 v13, v12
	s_waitcnt lgkmcnt(0)
	v_cmp_eq_u32_e32 vcc, v13, v63
	s_or_b64 s[8:9], vcc, s[8:9]
	s_andn2_b64 exec, exec, s[8:9]
	s_cbranch_execnz .LBB355_50
	s_branch .LBB355_47
.LBB355_51:
	s_endpgm
	.section	.rodata,"a",@progbits
	.p2align	6, 0x0
	.amdhsa_kernel _Z19_skinny_gemm_kernelILi4ELi3ELi3ELi32ELi4EEvPKhS1_P6__halfPKfiiiiiiii
		.amdhsa_group_segment_fixed_size 43092
		.amdhsa_private_segment_fixed_size 0
		.amdhsa_kernarg_size 64
		.amdhsa_user_sgpr_count 2
		.amdhsa_user_sgpr_dispatch_ptr 0
		.amdhsa_user_sgpr_queue_ptr 0
		.amdhsa_user_sgpr_kernarg_segment_ptr 1
		.amdhsa_user_sgpr_dispatch_id 0
		.amdhsa_user_sgpr_kernarg_preload_length 0
		.amdhsa_user_sgpr_kernarg_preload_offset 0
		.amdhsa_user_sgpr_private_segment_size 0
		.amdhsa_uses_dynamic_stack 0
		.amdhsa_enable_private_segment 0
		.amdhsa_system_sgpr_workgroup_id_x 1
		.amdhsa_system_sgpr_workgroup_id_y 0
		.amdhsa_system_sgpr_workgroup_id_z 0
		.amdhsa_system_sgpr_workgroup_info 0
		.amdhsa_system_vgpr_workitem_id 0
		.amdhsa_next_free_vgpr 94
		.amdhsa_next_free_sgpr 100
		.amdhsa_accum_offset 96
		.amdhsa_reserve_vcc 1
		.amdhsa_float_round_mode_32 0
		.amdhsa_float_round_mode_16_64 0
		.amdhsa_float_denorm_mode_32 3
		.amdhsa_float_denorm_mode_16_64 3
		.amdhsa_dx10_clamp 1
		.amdhsa_ieee_mode 1
		.amdhsa_fp16_overflow 0
		.amdhsa_tg_split 0
		.amdhsa_exception_fp_ieee_invalid_op 0
		.amdhsa_exception_fp_denorm_src 0
		.amdhsa_exception_fp_ieee_div_zero 0
		.amdhsa_exception_fp_ieee_overflow 0
		.amdhsa_exception_fp_ieee_underflow 0
		.amdhsa_exception_fp_ieee_inexact 0
		.amdhsa_exception_int_div_zero 0
	.end_amdhsa_kernel
	.section	.text._Z19_skinny_gemm_kernelILi4ELi3ELi3ELi32ELi4EEvPKhS1_P6__halfPKfiiiiiiii,"axG",@progbits,_Z19_skinny_gemm_kernelILi4ELi3ELi3ELi32ELi4EEvPKhS1_P6__halfPKfiiiiiiii,comdat
.Lfunc_end355:
	.size	_Z19_skinny_gemm_kernelILi4ELi3ELi3ELi32ELi4EEvPKhS1_P6__halfPKfiiiiiiii, .Lfunc_end355-_Z19_skinny_gemm_kernelILi4ELi3ELi3ELi32ELi4EEvPKhS1_P6__halfPKfiiiiiiii
                                        ; -- End function
	.set _Z19_skinny_gemm_kernelILi4ELi3ELi3ELi32ELi4EEvPKhS1_P6__halfPKfiiiiiiii.num_vgpr, 94
	.set _Z19_skinny_gemm_kernelILi4ELi3ELi3ELi32ELi4EEvPKhS1_P6__halfPKfiiiiiiii.num_agpr, 0
	.set _Z19_skinny_gemm_kernelILi4ELi3ELi3ELi32ELi4EEvPKhS1_P6__halfPKfiiiiiiii.numbered_sgpr, 100
	.set _Z19_skinny_gemm_kernelILi4ELi3ELi3ELi32ELi4EEvPKhS1_P6__halfPKfiiiiiiii.num_named_barrier, 0
	.set _Z19_skinny_gemm_kernelILi4ELi3ELi3ELi32ELi4EEvPKhS1_P6__halfPKfiiiiiiii.private_seg_size, 0
	.set _Z19_skinny_gemm_kernelILi4ELi3ELi3ELi32ELi4EEvPKhS1_P6__halfPKfiiiiiiii.uses_vcc, 1
	.set _Z19_skinny_gemm_kernelILi4ELi3ELi3ELi32ELi4EEvPKhS1_P6__halfPKfiiiiiiii.uses_flat_scratch, 0
	.set _Z19_skinny_gemm_kernelILi4ELi3ELi3ELi32ELi4EEvPKhS1_P6__halfPKfiiiiiiii.has_dyn_sized_stack, 0
	.set _Z19_skinny_gemm_kernelILi4ELi3ELi3ELi32ELi4EEvPKhS1_P6__halfPKfiiiiiiii.has_recursion, 0
	.set _Z19_skinny_gemm_kernelILi4ELi3ELi3ELi32ELi4EEvPKhS1_P6__halfPKfiiiiiiii.has_indirect_call, 0
	.section	.AMDGPU.csdata,"",@progbits
; Kernel info:
; codeLenInByte = 11628
; TotalNumSgprs: 106
; NumVgprs: 94
; NumAgprs: 0
; TotalNumVgprs: 94
; ScratchSize: 0
; MemoryBound: 0
; FloatMode: 240
; IeeeMode: 1
; LDSByteSize: 43092 bytes/workgroup (compile time only)
; SGPRBlocks: 13
; VGPRBlocks: 11
; NumSGPRsForWavesPerEU: 106
; NumVGPRsForWavesPerEU: 94
; AccumOffset: 96
; Occupancy: 5
; WaveLimiterHint : 0
; COMPUTE_PGM_RSRC2:SCRATCH_EN: 0
; COMPUTE_PGM_RSRC2:USER_SGPR: 2
; COMPUTE_PGM_RSRC2:TRAP_HANDLER: 0
; COMPUTE_PGM_RSRC2:TGID_X_EN: 1
; COMPUTE_PGM_RSRC2:TGID_Y_EN: 0
; COMPUTE_PGM_RSRC2:TGID_Z_EN: 0
; COMPUTE_PGM_RSRC2:TIDIG_COMP_CNT: 0
; COMPUTE_PGM_RSRC3_GFX90A:ACCUM_OFFSET: 23
; COMPUTE_PGM_RSRC3_GFX90A:TG_SPLIT: 0
	.section	.text._Z19_skinny_gemm_kernelILi4ELi3ELi4ELi16ELi4EEvPKhS1_P6__halfPKfiiiiiiii,"axG",@progbits,_Z19_skinny_gemm_kernelILi4ELi3ELi4ELi16ELi4EEvPKhS1_P6__halfPKfiiiiiiii,comdat
	.protected	_Z19_skinny_gemm_kernelILi4ELi3ELi4ELi16ELi4EEvPKhS1_P6__halfPKfiiiiiiii ; -- Begin function _Z19_skinny_gemm_kernelILi4ELi3ELi4ELi16ELi4EEvPKhS1_P6__halfPKfiiiiiiii
	.globl	_Z19_skinny_gemm_kernelILi4ELi3ELi4ELi16ELi4EEvPKhS1_P6__halfPKfiiiiiiii
	.p2align	8
	.type	_Z19_skinny_gemm_kernelILi4ELi3ELi4ELi16ELi4EEvPKhS1_P6__halfPKfiiiiiiii,@function
_Z19_skinny_gemm_kernelILi4ELi3ELi4ELi16ELi4EEvPKhS1_P6__halfPKfiiiiiiii: ; @_Z19_skinny_gemm_kernelILi4ELi3ELi4ELi16ELi4EEvPKhS1_P6__halfPKfiiiiiiii
; %bb.0:
	v_cmp_gt_u32_e32 vcc, 28, v0
	v_lshlrev_b32_e32 v1, 2, v0
	s_and_saveexec_b64 s[4:5], vcc
; %bb.1:
	v_mov_b32_e32 v2, 0
	ds_write_b32 v1, v2 offset:57344
; %bb.2:
	s_or_b64 exec, exec, s[4:5]
	s_load_dwordx8 s[20:27], s[0:1], 0x20
	s_waitcnt lgkmcnt(0)
	s_barrier
	s_add_i32 s3, s20, 63
	s_ashr_i32 s5, s3, 31
	s_add_i32 s4, s21, 47
	s_lshr_b32 s5, s5, 26
	s_mul_hi_i32 s4, s4, 0x2aaaaaab
	s_add_i32 s3, s3, s5
	s_ashr_i32 s33, s3, 6
	s_lshr_b32 s3, s4, 31
	s_ashr_i32 s50, s4, 3
	s_add_i32 s50, s50, s3
	s_mul_i32 s3, s50, s33
	s_mul_i32 s3, s3, s24
	s_add_i32 s4, s3, 0x12f
	s_mul_hi_i32 s4, s4, 0x6bca1af3
	s_lshr_b32 s5, s4, 31
	s_ashr_i32 s4, s4, 7
	s_add_i32 s4, s4, s5
	s_add_i32 s5, s2, 1
	s_mul_i32 s5, s4, s5
	v_cvt_f64_i32_e32 v[2:3], s3
	v_cvt_f64_u32_e32 v[4:5], s5
	v_min_f64 v[2:3], v[2:3], v[4:5]
	v_cvt_i32_f64_e32 v49, v[2:3]
	s_mul_i32 s51, s4, s2
	v_cmp_ge_i32_e32 vcc, s51, v49
	s_cbranch_vccnz .LBB356_63
; %bb.3:
	v_lshrrev_b32_e32 v2, 6, v0
	s_add_i32 s4, s26, s25
	s_load_dwordx8 s[36:43], s[0:1], 0x0
	v_cmp_le_i32_e64 s[0:1], s4, v2
	v_mov_b32_e32 v3, s25
	v_cmp_le_i32_e64 s[2:3], s25, v2
	v_mov_b32_e32 v4, s26
	v_cndmask_b32_e64 v4, 0, v4, s[0:1]
	v_cndmask_b32_e64 v3, 0, v3, s[2:3]
	s_abs_i32 s5, s24
	v_add_u32_e32 v3, v3, v4
	v_cvt_f32_u32_e32 v4, s5
	v_sub_u32_e32 v64, v2, v3
	s_ashr_i32 s6, s22, 31
	s_lshr_b32 s6, s6, 25
	v_rcp_iflag_f32_e32 v3, v4
	s_sub_i32 s9, 0, s5
	s_add_i32 s6, s22, s6
	s_ashr_i32 s6, s6, 7
	v_mul_f32_e32 v3, 0x4f7ffffe, v3
	v_cvt_u32_f32_e32 v3, v3
	s_abs_i32 s8, s6
	s_xor_b32 s7, s6, s24
	s_ashr_i32 s7, s7, 31
	v_readfirstlane_b32 s10, v3
	s_mul_i32 s9, s9, s10
	s_mul_hi_u32 s9, s10, s9
	s_add_i32 s10, s10, s9
	s_mul_hi_u32 s9, s8, s10
	s_mul_i32 s10, s9, s5
	s_sub_i32 s8, s8, s10
	s_add_i32 s10, s9, 1
	s_sub_i32 s11, s8, s5
	s_cmp_ge_u32 s8, s5
	s_cselect_b32 s9, s10, s9
	s_cselect_b32 s8, s11, s8
	s_add_i32 s10, s9, 1
	s_cmp_ge_u32 s8, s5
	s_cselect_b32 s5, s10, s9
	s_xor_b32 s5, s5, s7
	s_sub_i32 s52, s5, s7
	s_add_i32 s24, s24, -1
	s_mul_i32 s5, s52, s24
	s_add_i32 s4, s4, s27
	s_sub_i32 s53, s6, s5
	v_cmp_gt_i32_e64 s[4:5], s4, v2
	v_lshlrev_b32_e32 v2, 1, v0
	v_lshlrev_b32_e32 v3, 4, v0
	v_and_b32_e32 v1, 60, v1
	v_and_b32_e32 v2, 64, v2
	;; [unrolled: 1-line block ×3, first 2 shown]
	v_or3_b32 v101, v1, v2, v4
	v_and_b32_e32 v1, 1, v0
	v_lshrrev_b32_e32 v4, 2, v0
	s_abs_i32 s54, s33
	v_and_or_b32 v107, v4, 12, v1
	v_cvt_f32_u32_e32 v4, s54
	v_lshlrev_b32_e32 v2, 1, v1
	v_and_b32_e32 v48, 14, v0
	v_sub_u32_e32 v2, v0, v2
	v_bitop3_b32 v103, v0, 1, v0 bitop3:0xc
	v_bitop3_b32 v104, v0, 3, 1 bitop3:0x6c
	v_and_b32_e32 v58, 48, v3
	v_bfe_u32 v111, v0, 2, 4
	v_and_b32_e32 v1, 60, v0
	v_lshlrev_b32_e32 v3, 8, v0
	v_lshlrev_b32_e32 v0, 6, v0
	v_and_b32_e32 v3, 0x200, v3
	v_and_b32_e32 v0, 64, v0
	v_or3_b32 v112, v1, v3, v0
	v_rcp_iflag_f32_e32 v0, v4
	s_abs_i32 s56, s50
	v_cvt_f32_u32_e32 v1, s56
	v_mad_u64_u32 v[50:51], s[6:7], s21, v107, v[48:49]
	v_mul_f32_e32 v0, 0x4f7ffffe, v0
	v_cvt_u32_f32_e32 v0, v0
	v_rcp_iflag_f32_e32 v1, v1
	s_lshl_b32 s6, s21, 4
	v_add_u32_e32 v52, s6, v50
	v_readfirstlane_b32 s7, v0
	v_mul_f32_e32 v0, 0x4f7ffffe, v1
	v_add_u32_e32 v54, s6, v52
	v_cvt_u32_f32_e32 v0, v0
	v_add_u32_e32 v56, s6, v54
	s_sub_i32 s6, 0, s54
	s_mul_i32 s6, s6, s7
	s_mul_hi_u32 s6, s7, s6
	v_add_u32_e32 v2, 1, v2
	s_add_i32 s58, s7, s6
	s_sub_i32 s6, 0, s56
	v_readfirstlane_b32 s7, v0
	v_mbcnt_lo_u32_b32 v0, -1, 0
	v_and_b32_e32 v2, 63, v2
	s_mul_i32 s6, s6, s7
	v_mbcnt_hi_u32_b32 v0, -1, v0
	v_mul_lo_u32 v60, s23, v111
	s_mul_hi_u32 s6, s7, s6
	v_and_or_b32 v0, v0, 64, v2
	v_cndmask_b32_e64 v100, 0, 1, s[0:1]
	v_or_b32_e32 v102, 0x8000, v101
	s_ashr_i32 s29, s21, 31
	s_mov_b32 s28, s21
	v_or_b32_e32 v105, 16, v48
	v_or_b32_e32 v106, 32, v48
	v_ashrrev_i32_e32 v51, 31, v50
	v_or_b32_e32 v108, 16, v107
	v_ashrrev_i32_e32 v53, 31, v52
	;; [unrolled: 2-line block ×4, first 2 shown]
	v_ashrrev_i32_e32 v61, 31, v60
	v_mov_b32_e32 v59, 0
	v_or_b32_e32 v113, 0x8000, v112
	s_lshl_b32 s55, s23, 4
	v_mul_lo_u32 v114, s22, v111
	s_ashr_i32 s57, s33, 31
	s_ashr_i32 s59, s50, 31
	s_add_i32 s60, s7, s6
	s_movk_i32 s61, 0x1800
	s_mov_b32 s62, 0x55555556
	v_lshlrev_b32_e32 v115, 2, v0
	v_mov_b32_e32 v116, v64
	s_branch .LBB356_7
.LBB356_4:                              ;   in Loop: Header=BB356_7 Depth=1
	s_or_b64 exec, exec, s[10:11]
.LBB356_5:                              ;   in Loop: Header=BB356_7 Depth=1
	s_or_b64 exec, exec, s[8:9]
	v_subrev_u32_e32 v116, s16, v116
.LBB356_6:                              ;   in Loop: Header=BB356_7 Depth=1
	s_or_b64 exec, exec, s[6:7]
	s_add_i32 s51, s51, 1
	v_cmp_ge_i32_e32 vcc, s51, v49
	s_cbranch_vccnz .LBB356_63
.LBB356_7:                              ; =>This Loop Header: Depth=1
                                        ;     Child Loop BB356_13 Depth 2
                                        ;       Child Loop BB356_15 Depth 3
                                        ;       Child Loop BB356_18 Depth 3
	;; [unrolled: 1-line block ×7, first 2 shown]
                                        ;     Child Loop BB356_50 Depth 2
                                        ;       Child Loop BB356_52 Depth 3
                                        ;     Child Loop BB356_60 Depth 2
                                        ;       Child Loop BB356_62 Depth 3
	s_abs_i32 s7, s51
	s_mul_hi_u32 s8, s7, s58
	s_mul_i32 s9, s8, s54
	s_ashr_i32 s6, s51, 31
	s_sub_i32 s7, s7, s9
	s_xor_b32 s6, s6, s57
	s_add_i32 s9, s8, 1
	s_sub_i32 s10, s7, s54
	s_cmp_ge_u32 s7, s54
	s_cselect_b32 s8, s9, s8
	s_cselect_b32 s7, s10, s7
	s_add_i32 s9, s8, 1
	s_cmp_ge_u32 s7, s54
	s_cselect_b32 s7, s9, s8
	s_xor_b32 s7, s7, s6
	s_sub_i32 s6, s7, s6
	s_abs_i32 s8, s6
	s_mul_i32 s7, s6, s33
	s_mul_hi_u32 s9, s8, s60
	s_sub_i32 s7, s51, s7
	s_mul_i32 s10, s9, s56
	s_lshl_b32 s63, s7, 6
	s_ashr_i32 s7, s6, 31
	s_sub_i32 s8, s8, s10
	s_xor_b32 s7, s7, s59
	s_add_i32 s10, s9, 1
	s_sub_i32 s11, s8, s56
	s_cmp_ge_u32 s8, s56
	s_cselect_b32 s9, s10, s9
	s_cselect_b32 s8, s11, s8
	s_add_i32 s10, s9, 1
	s_cmp_ge_u32 s8, s56
	s_cselect_b32 s8, s10, s9
	s_xor_b32 s8, s8, s7
	s_sub_i32 s7, s8, s7
	s_mul_i32 s8, s7, s52
	s_lshl_b32 s64, s8, 7
	s_cmp_eq_u32 s7, s24
	s_cselect_b32 s66, s53, s52
	s_sub_i32 s8, s63, s20
	s_add_i32 s8, s8, 64
	s_max_i32 s65, s8, 0
	s_and_saveexec_b64 s[8:9], s[2:3]
	s_xor_b64 s[30:31], exec, s[8:9]
	s_cbranch_execz .LBB356_56
; %bb.8:                                ;   in Loop: Header=BB356_7 Depth=1
	s_mul_i32 s7, s7, s50
	s_sub_i32 s6, s6, s7
	s_mul_i32 s6, s6, 48
	s_sub_i32 s18, s6, s21
	s_add_i32 s18, s18, 48
	s_max_i32 s7, s18, 0
	s_sub_i32 s34, s6, s7
	s_and_saveexec_b64 s[6:7], s[0:1]
	s_xor_b64 s[44:45], exec, s[6:7]
	s_cbranch_execz .LBB356_46
; %bb.9:                                ;   in Loop: Header=BB356_7 Depth=1
	s_and_saveexec_b64 s[46:47], s[4:5]
	s_cbranch_execz .LBB356_45
; %bb.10:                               ;   in Loop: Header=BB356_7 Depth=1
	s_waitcnt lgkmcnt(0)
	global_load_dword v117, v59, s[42:43]
	v_mov_b32_e32 v47, 0
	v_cmp_gt_i32_e32 vcc, s66, v116
	v_mov_b32_e32 v46, v47
	v_mov_b32_e32 v45, v47
	;; [unrolled: 1-line block ×47, first 2 shown]
	s_and_saveexec_b64 s[6:7], vcc
	s_cbranch_execz .LBB356_35
; %bb.11:                               ;   in Loop: Header=BB356_7 Depth=1
	v_mov_b32_e32 v4, 0
	s_mov_b64 s[8:9], 0
	v_mov_b32_e32 v5, v4
	v_mov_b32_e32 v6, v4
	;; [unrolled: 1-line block ×47, first 2 shown]
	s_branch .LBB356_13
.LBB356_12:                             ;   in Loop: Header=BB356_13 Depth=2
	s_or_b64 exec, exec, s[10:11]
	v_add_u32_e32 v82, 0x1000, v121
	ds_read2_b32 v[80:81], v82 offset1:32
	v_add_u32_e32 v84, 0x1400, v121
	v_add_u32_e32 v116, s27, v116
	s_waitcnt lgkmcnt(0)
	v_mfma_f32_16x16x32_fp8_fp8 v[36:39], v[62:63], v[80:81], v[36:39]
	ds_read2_b32 v[62:63], v82 offset0:128 offset1:160
	ds_read2_b32 v[82:83], v84 offset1:32
	v_mfma_f32_16x16x32_fp8_fp8 v[24:27], v[70:71], v[80:81], v[24:27]
	v_mfma_f32_16x16x32_fp8_fp8 v[12:15], v[86:87], v[80:81], v[12:15]
	;; [unrolled: 1-line block ×3, first 2 shown]
	s_waitcnt lgkmcnt(1)
	v_mfma_f32_16x16x32_fp8_fp8 v[36:39], v[64:65], v[62:63], v[36:39]
	v_add_u32_e32 v64, s27, v118
	v_cmp_lt_i32_e32 vcc, 3, v64
	v_mfma_f32_16x16x32_fp8_fp8 v[24:27], v[72:73], v[62:63], v[24:27]
	v_mfma_f32_16x16x32_fp8_fp8 v[12:15], v[88:89], v[62:63], v[12:15]
	;; [unrolled: 1-line block ×3, first 2 shown]
	v_add_u32_e32 v62, 2, v100
	v_cndmask_b32_e32 v100, v100, v62, vcc
	v_cmp_le_i32_e32 vcc, s66, v116
	s_waitcnt lgkmcnt(0)
	v_mfma_f32_16x16x32_fp8_fp8 v[36:39], v[66:67], v[82:83], v[36:39]
	ds_read2_b32 v[66:67], v84 offset0:128 offset1:160
	s_or_b64 s[8:9], vcc, s[8:9]
	;;#ASMSTART
	s_waitcnt lgkmcnt(0)
	;;#ASMEND
	v_mfma_f32_16x16x32_fp8_fp8 v[24:27], v[74:75], v[82:83], v[24:27]
	ds_write_b32 v119, v120 offset:57416
	v_mfma_f32_16x16x32_fp8_fp8 v[12:15], v[90:91], v[82:83], v[12:15]
	v_mfma_f32_16x16x32_fp8_fp8 v[4:7], v[98:99], v[82:83], v[4:7]
	s_waitcnt lgkmcnt(1)
	v_mfma_f32_16x16x32_fp8_fp8 v[36:39], v[68:69], v[66:67], v[36:39]
	v_mfma_f32_16x16x32_fp8_fp8 v[24:27], v[76:77], v[66:67], v[24:27]
	;; [unrolled: 1-line block ×4, first 2 shown]
	s_andn2_b64 exec, exec, s[8:9]
	s_cbranch_execz .LBB356_34
.LBB356_13:                             ;   Parent Loop BB356_7 Depth=1
                                        ; =>  This Loop Header: Depth=2
                                        ;       Child Loop BB356_15 Depth 3
                                        ;       Child Loop BB356_18 Depth 3
	;; [unrolled: 1-line block ×7, first 2 shown]
	v_cmp_gt_i32_e32 vcc, 4, v64
	s_nop 1
	v_cndmask_b32_e64 v62, -4, 0, vcc
	v_add_u32_e32 v118, v62, v64
	v_mul_lo_u32 v119, v118, 12
	ds_read_b32 v62, v119 offset:57408
	s_waitcnt lgkmcnt(0)
	v_cmp_ne_u32_e32 vcc, v62, v100
	s_and_saveexec_b64 s[10:11], vcc
	s_cbranch_execz .LBB356_16
; %bb.14:                               ;   in Loop: Header=BB356_13 Depth=2
	s_mov_b64 s[12:13], 0
.LBB356_15:                             ;   Parent Loop BB356_7 Depth=1
                                        ;     Parent Loop BB356_13 Depth=2
                                        ; =>    This Inner Loop Header: Depth=3
	;;#ASMSTART
	s_sleep 0
	;;#ASMEND
	ds_read_b32 v62, v119 offset:57408
	s_waitcnt lgkmcnt(0)
	v_cmp_eq_u32_e32 vcc, v62, v100
	s_or_b64 s[12:13], vcc, s[12:13]
	s_andn2_b64 exec, exec, s[12:13]
	s_cbranch_execnz .LBB356_15
.LBB356_16:                             ;   in Loop: Header=BB356_13 Depth=2
	s_or_b64 exec, exec, s[10:11]
	v_mul_lo_u32 v62, v118, s61
	v_add_u32_e32 v121, v102, v62
	v_add_u32_e32 v62, 0x400, v121
	;; [unrolled: 1-line block ×3, first 2 shown]
	ds_read2_b32 v[78:79], v121 offset1:32
	ds_read2_b32 v[80:81], v121 offset0:128 offset1:160
	ds_read2_b32 v[84:85], v62 offset1:32
	ds_read2_b32 v[82:83], v62 offset0:128 offset1:160
	;;#ASMSTART
	s_waitcnt lgkmcnt(0)
	;;#ASMEND
	ds_write_b32 v119, v120 offset:57408
	v_lshlrev_b32_e32 v122, 4, v118
	ds_read_b32 v62, v122 offset:57344
	s_waitcnt lgkmcnt(0)
	v_cmp_ne_u32_e32 vcc, v62, v100
	s_and_saveexec_b64 s[10:11], vcc
	s_cbranch_execz .LBB356_19
; %bb.17:                               ;   in Loop: Header=BB356_13 Depth=2
	s_mov_b64 s[12:13], 0
.LBB356_18:                             ;   Parent Loop BB356_7 Depth=1
                                        ;     Parent Loop BB356_13 Depth=2
                                        ; =>    This Inner Loop Header: Depth=3
	;;#ASMSTART
	s_sleep 0
	;;#ASMEND
	ds_read_b32 v62, v122 offset:57344
	s_waitcnt lgkmcnt(0)
	v_cmp_eq_u32_e32 vcc, v62, v100
	s_or_b64 s[12:13], vcc, s[12:13]
	s_andn2_b64 exec, exec, s[12:13]
	s_cbranch_execnz .LBB356_18
.LBB356_19:                             ;   in Loop: Header=BB356_13 Depth=2
	s_or_b64 exec, exec, s[10:11]
	v_lshlrev_b32_e32 v70, 13, v118
	v_or_b32_e32 v66, v101, v70
	ds_read2_b32 v[62:63], v66 offset1:32
	ds_read2_b32 v[64:65], v66 offset0:128 offset1:160
	v_add_u32_e32 v68, 0x400, v66
	ds_read2_b32 v[66:67], v68 offset1:32
	ds_read2_b32 v[68:69], v68 offset0:128 offset1:160
	ds_read_b32 v71, v122 offset:57348
	ds_write_b32 v122, v120 offset:57344
	s_waitcnt lgkmcnt(5)
	v_mfma_f32_16x16x32_fp8_fp8 v[44:47], v[62:63], v[78:79], v[44:47]
	s_waitcnt lgkmcnt(1)
	v_cmp_ne_u32_e32 vcc, v71, v100
	v_mfma_f32_16x16x32_fp8_fp8 v[44:47], v[64:65], v[80:81], v[44:47]
	v_mfma_f32_16x16x32_fp8_fp8 v[44:47], v[66:67], v[84:85], v[44:47]
	;; [unrolled: 1-line block ×3, first 2 shown]
	s_and_saveexec_b64 s[10:11], vcc
	s_cbranch_execz .LBB356_22
; %bb.20:                               ;   in Loop: Header=BB356_13 Depth=2
	s_mov_b64 s[12:13], 0
.LBB356_21:                             ;   Parent Loop BB356_7 Depth=1
                                        ;     Parent Loop BB356_13 Depth=2
                                        ; =>    This Inner Loop Header: Depth=3
	;;#ASMSTART
	s_sleep 0
	;;#ASMEND
	ds_read_b32 v71, v122 offset:57348
	s_waitcnt lgkmcnt(0)
	v_cmp_eq_u32_e32 vcc, v71, v100
	s_or_b64 s[12:13], vcc, s[12:13]
	s_andn2_b64 exec, exec, s[12:13]
	s_cbranch_execnz .LBB356_21
.LBB356_22:                             ;   in Loop: Header=BB356_13 Depth=2
	s_or_b64 exec, exec, s[10:11]
	v_add_u32_e32 v98, v101, v70
	v_add_u32_e32 v72, 0x800, v98
	ds_read2_b32 v[70:71], v72 offset1:32
	ds_read2_b32 v[72:73], v72 offset0:128 offset1:160
	v_add_u32_e32 v76, 0xc00, v98
	ds_read2_b32 v[74:75], v76 offset1:32
	ds_read2_b32 v[76:77], v76 offset0:128 offset1:160
	ds_read_b32 v86, v122 offset:57352
	ds_write_b32 v122, v120 offset:57348
	s_waitcnt lgkmcnt(5)
	v_mfma_f32_16x16x32_fp8_fp8 v[32:35], v[70:71], v[78:79], v[32:35]
	s_waitcnt lgkmcnt(1)
	v_cmp_ne_u32_e32 vcc, v86, v100
	v_mfma_f32_16x16x32_fp8_fp8 v[32:35], v[72:73], v[80:81], v[32:35]
	v_mfma_f32_16x16x32_fp8_fp8 v[32:35], v[74:75], v[84:85], v[32:35]
	;; [unrolled: 1-line block ×3, first 2 shown]
	s_and_saveexec_b64 s[10:11], vcc
	s_cbranch_execz .LBB356_25
; %bb.23:                               ;   in Loop: Header=BB356_13 Depth=2
	s_mov_b64 s[12:13], 0
.LBB356_24:                             ;   Parent Loop BB356_7 Depth=1
                                        ;     Parent Loop BB356_13 Depth=2
                                        ; =>    This Inner Loop Header: Depth=3
	;;#ASMSTART
	s_sleep 0
	;;#ASMEND
	ds_read_b32 v86, v122 offset:57352
	s_waitcnt lgkmcnt(0)
	v_cmp_eq_u32_e32 vcc, v86, v100
	s_or_b64 s[12:13], vcc, s[12:13]
	s_andn2_b64 exec, exec, s[12:13]
	s_cbranch_execnz .LBB356_24
.LBB356_25:                             ;   in Loop: Header=BB356_13 Depth=2
	s_or_b64 exec, exec, s[10:11]
	v_add_u32_e32 v88, 0x1000, v98
	ds_read2_b32 v[86:87], v88 offset1:32
	ds_read2_b32 v[88:89], v88 offset0:128 offset1:160
	v_add_u32_e32 v92, 0x1400, v98
	ds_read2_b32 v[90:91], v92 offset1:32
	ds_read2_b32 v[92:93], v92 offset0:128 offset1:160
	ds_read_b32 v94, v122 offset:57356
	ds_write_b32 v122, v120 offset:57352
	s_waitcnt lgkmcnt(5)
	v_mfma_f32_16x16x32_fp8_fp8 v[20:23], v[86:87], v[78:79], v[20:23]
	s_waitcnt lgkmcnt(1)
	v_cmp_ne_u32_e32 vcc, v94, v100
	v_mfma_f32_16x16x32_fp8_fp8 v[20:23], v[88:89], v[80:81], v[20:23]
	v_mfma_f32_16x16x32_fp8_fp8 v[20:23], v[90:91], v[84:85], v[20:23]
	;; [unrolled: 1-line block ×3, first 2 shown]
	s_and_saveexec_b64 s[10:11], vcc
	s_cbranch_execz .LBB356_28
; %bb.26:                               ;   in Loop: Header=BB356_13 Depth=2
	s_mov_b64 s[12:13], 0
.LBB356_27:                             ;   Parent Loop BB356_7 Depth=1
                                        ;     Parent Loop BB356_13 Depth=2
                                        ; =>    This Inner Loop Header: Depth=3
	;;#ASMSTART
	s_sleep 0
	;;#ASMEND
	ds_read_b32 v94, v122 offset:57356
	s_waitcnt lgkmcnt(0)
	v_cmp_eq_u32_e32 vcc, v94, v100
	s_or_b64 s[12:13], vcc, s[12:13]
	s_andn2_b64 exec, exec, s[12:13]
	s_cbranch_execnz .LBB356_27
.LBB356_28:                             ;   in Loop: Header=BB356_13 Depth=2
	s_or_b64 exec, exec, s[10:11]
	v_add_u32_e32 v96, 0x1800, v98
	ds_read2_b32 v[94:95], v96 offset1:32
	ds_read2_b32 v[96:97], v96 offset0:128 offset1:160
	v_add_u32_e32 v123, 0x1c00, v98
	ds_read2_b32 v[98:99], v123 offset1:32
	ds_write_b32 v122, v120 offset:57356
	s_waitcnt lgkmcnt(3)
	v_mfma_f32_16x16x32_fp8_fp8 v[8:11], v[94:95], v[78:79], v[8:11]
	ds_read2_b32 v[78:79], v123 offset0:128 offset1:160
	s_waitcnt lgkmcnt(3)
	v_mfma_f32_16x16x32_fp8_fp8 v[8:11], v[96:97], v[80:81], v[8:11]
	ds_read_b32 v80, v119 offset:57412
	s_waitcnt lgkmcnt(0)
	v_cmp_ne_u32_e32 vcc, v80, v100
	v_mfma_f32_16x16x32_fp8_fp8 v[8:11], v[98:99], v[84:85], v[8:11]
	v_mfma_f32_16x16x32_fp8_fp8 v[8:11], v[78:79], v[82:83], v[8:11]
	s_and_saveexec_b64 s[10:11], vcc
	s_cbranch_execz .LBB356_31
; %bb.29:                               ;   in Loop: Header=BB356_13 Depth=2
	s_mov_b64 s[12:13], 0
.LBB356_30:                             ;   Parent Loop BB356_7 Depth=1
                                        ;     Parent Loop BB356_13 Depth=2
                                        ; =>    This Inner Loop Header: Depth=3
	;;#ASMSTART
	s_sleep 0
	;;#ASMEND
	ds_read_b32 v80, v119 offset:57412
	s_waitcnt lgkmcnt(0)
	v_cmp_eq_u32_e32 vcc, v80, v100
	s_or_b64 s[12:13], vcc, s[12:13]
	s_andn2_b64 exec, exec, s[12:13]
	s_cbranch_execnz .LBB356_30
.LBB356_31:                             ;   in Loop: Header=BB356_13 Depth=2
	s_or_b64 exec, exec, s[10:11]
	v_add_u32_e32 v82, 0x800, v121
	ds_read2_b32 v[80:81], v82 offset1:32
	ds_read2_b32 v[82:83], v82 offset0:128 offset1:160
	v_add_u32_e32 v122, 0xc00, v121
	ds_read2_b32 v[84:85], v122 offset1:32
	ds_read2_b32 v[122:123], v122 offset0:128 offset1:160
	s_waitcnt lgkmcnt(3)
	v_mfma_f32_16x16x32_fp8_fp8 v[40:43], v[62:63], v[80:81], v[40:43]
	;;#ASMSTART
	s_waitcnt lgkmcnt(0)
	;;#ASMEND
	ds_write_b32 v119, v120 offset:57412
	v_mfma_f32_16x16x32_fp8_fp8 v[28:31], v[70:71], v[80:81], v[28:31]
	v_mfma_f32_16x16x32_fp8_fp8 v[16:19], v[86:87], v[80:81], v[16:19]
	v_mfma_f32_16x16x32_fp8_fp8 v[0:3], v[94:95], v[80:81], v[0:3]
	ds_read_b32 v80, v119 offset:57416
	s_waitcnt lgkmcnt(0)
	v_cmp_ne_u32_e32 vcc, v80, v100
	v_mfma_f32_16x16x32_fp8_fp8 v[40:43], v[64:65], v[82:83], v[40:43]
	v_mfma_f32_16x16x32_fp8_fp8 v[28:31], v[72:73], v[82:83], v[28:31]
	;; [unrolled: 1-line block ×12, first 2 shown]
	s_and_saveexec_b64 s[10:11], vcc
	s_cbranch_execz .LBB356_12
; %bb.32:                               ;   in Loop: Header=BB356_13 Depth=2
	s_mov_b64 s[12:13], 0
.LBB356_33:                             ;   Parent Loop BB356_7 Depth=1
                                        ;     Parent Loop BB356_13 Depth=2
                                        ; =>    This Inner Loop Header: Depth=3
	;;#ASMSTART
	s_sleep 0
	;;#ASMEND
	ds_read_b32 v80, v119 offset:57416
	s_waitcnt lgkmcnt(0)
	v_cmp_eq_u32_e32 vcc, v80, v100
	s_or_b64 s[12:13], vcc, s[12:13]
	s_andn2_b64 exec, exec, s[12:13]
	s_cbranch_execnz .LBB356_33
	s_branch .LBB356_12
.LBB356_34:                             ;   in Loop: Header=BB356_7 Depth=1
	s_or_b64 exec, exec, s[8:9]
.LBB356_35:                             ;   in Loop: Header=BB356_7 Depth=1
	s_or_b64 exec, exec, s[6:7]
	v_cmp_le_i32_e32 vcc, s18, v48
	v_cmp_eq_u32_e64 s[6:7], 2, v103
	v_cmp_eq_u32_e64 s[8:9], 3, v103
	s_waitcnt vmcnt(0)
	v_cndmask_b32_e32 v62, 0, v117, vcc
	v_pk_mul_f32 v[44:45], v[62:63], v[44:45] op_sel_hi:[0,1]
	v_cmp_eq_u32_e32 vcc, 1, v103
	v_pk_mul_f32 v[66:67], v[62:63], v[46:47] op_sel_hi:[0,1]
	v_cmp_eq_u32_e64 s[10:11], 0, v103
	v_cndmask_b32_e32 v46, v44, v45, vcc
	v_cndmask_b32_e64 v46, v46, v66, s[6:7]
	v_cndmask_b32_e64 v46, v46, v67, s[8:9]
	ds_bpermute_b32 v63, v115, v46
	v_cmp_le_i32_e64 s[14:15], s18, v105
	v_cmp_eq_u32_e64 s[12:13], 1, v104
	v_cmp_le_i32_e64 s[18:19], s18, v106
	v_cmp_eq_u32_e64 s[16:17], 3, v104
	s_waitcnt lgkmcnt(0)
	v_cndmask_b32_e64 v46, v67, v63, s[8:9]
	v_cndmask_b32_e64 v47, v66, v63, s[6:7]
	v_cndmask_b32_e32 v45, v45, v63, vcc
	v_cndmask_b32_e64 v63, v44, v63, s[10:11]
	v_cndmask_b32_e64 v44, 0, v117, s[14:15]
	v_pk_mul_f32 v[40:41], v[44:45], v[40:41] op_sel_hi:[0,1]
	v_pk_mul_f32 v[66:67], v[44:45], v[42:43] op_sel_hi:[0,1]
	v_cndmask_b32_e32 v42, v40, v41, vcc
	v_cndmask_b32_e64 v42, v42, v66, s[6:7]
	v_cndmask_b32_e64 v42, v42, v67, s[8:9]
	ds_bpermute_b32 v69, v115, v42
	v_cndmask_b32_e64 v65, v63, v45, s[12:13]
	v_cmp_eq_u32_e64 s[14:15], 2, v104
	s_waitcnt lgkmcnt(0)
	v_cndmask_b32_e64 v43, v67, v69, s[8:9]
	v_cndmask_b32_e64 v42, v65, v47, s[14:15]
	;; [unrolled: 1-line block ×3, first 2 shown]
	v_cndmask_b32_e32 v68, v41, v69, vcc
	v_cndmask_b32_e64 v69, v40, v69, s[10:11]
	v_cndmask_b32_e64 v40, 0, v117, s[18:19]
	v_pk_mul_f32 v[70:71], v[40:41], v[36:37] op_sel_hi:[0,1]
	v_pk_mul_f32 v[66:67], v[40:41], v[38:39] op_sel_hi:[0,1]
	v_cndmask_b32_e32 v36, v70, v71, vcc
	v_cndmask_b32_e64 v36, v36, v66, s[6:7]
	v_cndmask_b32_e64 v36, v36, v67, s[8:9]
	ds_bpermute_b32 v37, v115, v36
	v_cndmask_b32_e64 v36, v69, v68, s[12:13]
	v_cndmask_b32_e64 v36, v36, v65, s[14:15]
	;; [unrolled: 1-line block ×3, first 2 shown]
	v_cmp_ne_u32_e32 vcc, 0, v103
	ds_bpermute_b32 v38, v115, v36
	s_waitcnt lgkmcnt(1)
	v_cndmask_b32_e64 v39, v67, v37, s[8:9]
	v_cndmask_b32_e64 v66, v66, v37, s[6:7]
	v_cndmask_b32_e32 v36, v71, v37, vcc
	v_cndmask_b32_e64 v37, v70, v37, s[10:11]
	v_cndmask_b32_e64 v41, v37, v36, s[12:13]
	;; [unrolled: 1-line block ×5, first 2 shown]
	ds_bpermute_b32 v42, v115, v42
	ds_bpermute_b32 v67, v115, v41
	v_add_u32_e32 v41, s65, v107
	v_cmp_gt_u32_e32 vcc, 64, v41
	s_and_saveexec_b64 s[18:19], vcc
	s_cbranch_execz .LBB356_44
; %bb.36:                               ;   in Loop: Header=BB356_7 Depth=1
	v_cmp_eq_u32_e64 s[8:9], 1, v104
	v_cmp_eq_u32_e64 s[10:11], 0, v104
	v_cmp_eq_u32_e32 vcc, 3, v104
	s_waitcnt lgkmcnt(1)
	v_cndmask_b32_e64 v45, v45, v42, s[8:9]
	v_cndmask_b32_e64 v68, v68, v38, s[8:9]
	s_waitcnt lgkmcnt(0)
	v_cndmask_b32_e64 v70, v36, v67, s[8:9]
	s_mul_i32 s8, s63, s21
	s_ashr_i32 s9, s8, 31
	v_cndmask_b32_e64 v63, v63, v42, s[10:11]
	s_lshl_b64 s[8:9], s[8:9], 1
	v_cndmask_b32_e64 v69, v69, v38, s[10:11]
	v_cndmask_b32_e64 v71, v37, v67, s[10:11]
	s_add_u32 s10, s40, s8
	v_cvt_f16_f32_e32 v63, v63
	v_cvt_f16_f32_sdwa v45, v45 dst_sel:WORD_1 dst_unused:UNUSED_PAD src0_sel:DWORD
	s_addc_u32 s11, s41, s9
	s_ashr_i32 s35, s34, 31
	s_lshl_b64 s[8:9], s[34:35], 1
	s_add_u32 s48, s10, s8
	s_addc_u32 s49, s11, s9
	v_or_b32_e32 v45, v45, v63
	v_lshl_add_u64 v[36:37], v[50:51], 1, s[48:49]
	;;#ASMSTART
	global_atomic_pk_add_f16 v[36:37], v45, off
	
	;;#ASMEND
	v_cvt_f16_f32_e32 v45, v69
	v_cvt_f16_f32_sdwa v63, v68 dst_sel:WORD_1 dst_unused:UNUSED_PAD src0_sel:DWORD
	v_cvt_f16_f32_e32 v71, v71
	v_cvt_f16_f32_sdwa v70, v70 dst_sel:WORD_1 dst_unused:UNUSED_PAD src0_sel:DWORD
	v_cmp_eq_u32_e64 s[6:7], 2, v104
	v_lshl_add_u64 v[68:69], v[36:37], 0, 32
	v_or_b32_e32 v45, v63, v45
	v_cmp_gt_u32_e64 s[8:9], 62, v41
	;;#ASMSTART
	global_atomic_pk_add_f16 v[68:69], v45, off
	
	;;#ASMEND
	v_lshl_add_u64 v[68:69], v[36:37], 0, 64
	v_or_b32_e32 v45, v70, v71
	;;#ASMSTART
	global_atomic_pk_add_f16 v[68:69], v45, off
	
	;;#ASMEND
	s_and_b64 exec, exec, s[8:9]
	s_cbranch_execz .LBB356_44
; %bb.37:                               ;   in Loop: Header=BB356_7 Depth=1
	v_cndmask_b32_e32 v46, v46, v42, vcc
	v_cndmask_b32_e64 v42, v47, v42, s[6:7]
	v_cndmask_b32_e32 v43, v43, v38, vcc
	v_cndmask_b32_e64 v38, v65, v38, s[6:7]
	v_cndmask_b32_e32 v47, v39, v67, vcc
	v_cvt_f16_f32_e32 v39, v42
	v_cvt_f16_f32_sdwa v42, v46 dst_sel:WORD_1 dst_unused:UNUSED_PAD src0_sel:DWORD
	v_cvt_f16_f32_e32 v46, v38
	v_cvt_f16_f32_sdwa v43, v43 dst_sel:WORD_1 dst_unused:UNUSED_PAD src0_sel:DWORD
	v_mov_b32_e32 v63, v62
	v_or_b32_e32 v38, v42, v39
	v_mov_b32_e32 v42, v62
	v_or_b32_e32 v46, v43, v46
	v_mov_b32_e32 v43, v62
	v_pk_mul_f32 v[34:35], v[42:43], v[34:35]
	v_pk_mul_f32 v[42:43], v[62:63], v[32:33]
	v_cmp_eq_u32_e32 vcc, 1, v103
	v_cndmask_b32_e64 v65, v66, v67, s[6:7]
	v_cmp_eq_u32_e64 s[6:7], 2, v103
	v_cndmask_b32_e32 v32, v42, v43, vcc
	v_lshl_add_u64 v[36:37], s[28:29], 2, v[36:37]
	v_cndmask_b32_e64 v32, v32, v34, s[6:7]
	v_cmp_eq_u32_e64 s[8:9], 3, v103
	;;#ASMSTART
	global_atomic_pk_add_f16 v[36:37], v38, off
	
	;;#ASMEND
	v_lshl_add_u64 v[38:39], v[36:37], 0, 32
	v_mov_b32_e32 v45, v44
	v_cndmask_b32_e64 v32, v32, v35, s[8:9]
	ds_bpermute_b32 v66, v115, v32
	;;#ASMSTART
	global_atomic_pk_add_f16 v[38:39], v46, off
	
	;;#ASMEND
	v_cvt_f16_f32_e32 v39, v65
	v_cvt_f16_f32_sdwa v65, v47 dst_sel:WORD_1 dst_unused:UNUSED_PAD src0_sel:DWORD
	v_lshl_add_u64 v[46:47], v[36:37], 0, 64
	v_mov_b32_e32 v36, v44
	v_mov_b32_e32 v37, v44
	v_pk_mul_f32 v[30:31], v[36:37], v[30:31]
	v_pk_mul_f32 v[36:37], v[44:45], v[28:29]
	v_cmp_eq_u32_e64 s[10:11], 0, v103
	v_cndmask_b32_e32 v28, v36, v37, vcc
	v_cndmask_b32_e64 v28, v28, v30, s[6:7]
	v_cndmask_b32_e64 v28, v28, v31, s[8:9]
	s_waitcnt lgkmcnt(0)
	v_cndmask_b32_e64 v32, v35, v66, s[8:9]
	v_cndmask_b32_e64 v35, v42, v66, s[10:11]
	ds_bpermute_b32 v42, v115, v28
	v_cndmask_b32_e64 v33, v34, v66, s[6:7]
	v_cndmask_b32_e32 v34, v43, v66, vcc
	v_cmp_eq_u32_e64 s[12:13], 1, v104
	v_mov_b32_e32 v41, v40
	v_cmp_eq_u32_e64 s[14:15], 2, v104
	v_cndmask_b32_e64 v38, v35, v34, s[12:13]
	s_waitcnt lgkmcnt(0)
	v_cndmask_b32_e64 v29, v31, v42, s[8:9]
	v_cndmask_b32_e64 v28, v38, v33, s[14:15]
	;; [unrolled: 1-line block ×3, first 2 shown]
	v_cndmask_b32_e32 v37, v37, v42, vcc
	v_cndmask_b32_e64 v38, v36, v42, s[10:11]
	v_mov_b32_e32 v42, v40
	v_mov_b32_e32 v43, v40
	v_pk_mul_f32 v[66:67], v[40:41], v[24:25]
	v_pk_mul_f32 v[42:43], v[42:43], v[26:27]
	v_cndmask_b32_e32 v24, v66, v67, vcc
	v_cndmask_b32_e64 v24, v24, v42, s[6:7]
	v_cndmask_b32_e64 v24, v24, v43, s[8:9]
	ds_bpermute_b32 v25, v115, v24
	v_cndmask_b32_e64 v24, v38, v37, s[12:13]
	v_cmp_eq_u32_e64 s[16:17], 3, v104
	v_cndmask_b32_e64 v24, v24, v30, s[14:15]
	v_cmp_ne_u32_e32 vcc, 0, v103
	v_cndmask_b32_e64 v24, v24, v29, s[16:17]
	ds_bpermute_b32 v26, v115, v24
	s_waitcnt lgkmcnt(1)
	v_cndmask_b32_e64 v27, v43, v25, s[8:9]
	v_cndmask_b32_e64 v31, v42, v25, s[6:7]
	v_cndmask_b32_e32 v24, v67, v25, vcc
	v_cndmask_b32_e64 v25, v66, v25, s[10:11]
	v_cndmask_b32_e64 v36, v25, v24, s[12:13]
	v_cndmask_b32_e64 v36, v36, v31, s[14:15]
	v_cndmask_b32_e64 v28, v28, v32, s[16:17]
	v_cndmask_b32_e64 v36, v36, v27, s[16:17]
	ds_bpermute_b32 v28, v115, v28
	ds_bpermute_b32 v36, v115, v36
	v_or_b32_e32 v39, v65, v39
	;;#ASMSTART
	global_atomic_pk_add_f16 v[46:47], v39, off
	
	;;#ASMEND
	v_add_u32_e32 v39, s65, v108
	v_cmp_gt_u32_e32 vcc, 64, v39
	s_and_b64 exec, exec, vcc
	s_cbranch_execz .LBB356_44
; %bb.38:                               ;   in Loop: Header=BB356_7 Depth=1
	v_cmp_eq_u32_e64 s[8:9], 1, v104
	v_cmp_eq_u32_e64 s[10:11], 0, v104
	v_cmp_eq_u32_e32 vcc, 3, v104
	s_waitcnt lgkmcnt(1)
	v_cndmask_b32_e64 v34, v34, v28, s[8:9]
	v_cndmask_b32_e64 v35, v35, v28, s[10:11]
	;; [unrolled: 1-line block ×4, first 2 shown]
	v_cvt_f16_f32_e32 v35, v35
	v_cvt_f16_f32_sdwa v34, v34 dst_sel:WORD_1 dst_unused:UNUSED_PAD src0_sel:DWORD
	s_waitcnt lgkmcnt(0)
	v_cndmask_b32_e64 v42, v24, v36, s[8:9]
	v_cndmask_b32_e64 v43, v25, v36, s[10:11]
	v_cvt_f16_f32_e32 v38, v38
	v_cvt_f16_f32_sdwa v37, v37 dst_sel:WORD_1 dst_unused:UNUSED_PAD src0_sel:DWORD
	v_cvt_f16_f32_e32 v43, v43
	v_cvt_f16_f32_sdwa v42, v42 dst_sel:WORD_1 dst_unused:UNUSED_PAD src0_sel:DWORD
	v_lshl_add_u64 v[24:25], v[52:53], 1, s[48:49]
	v_or_b32_e32 v34, v34, v35
	v_cmp_eq_u32_e64 s[6:7], 2, v104
	;;#ASMSTART
	global_atomic_pk_add_f16 v[24:25], v34, off
	
	;;#ASMEND
	v_lshl_add_u64 v[34:35], v[24:25], 0, 32
	v_or_b32_e32 v37, v37, v38
	v_cmp_gt_u32_e64 s[8:9], 62, v39
	;;#ASMSTART
	global_atomic_pk_add_f16 v[34:35], v37, off
	
	;;#ASMEND
	v_lshl_add_u64 v[34:35], v[24:25], 0, 64
	v_or_b32_e32 v37, v42, v43
	;;#ASMSTART
	global_atomic_pk_add_f16 v[34:35], v37, off
	
	;;#ASMEND
	s_and_b64 exec, exec, s[8:9]
	s_cbranch_execz .LBB356_44
; %bb.39:                               ;   in Loop: Header=BB356_7 Depth=1
	v_cndmask_b32_e32 v32, v32, v28, vcc
	v_cndmask_b32_e64 v28, v33, v28, s[6:7]
	v_cndmask_b32_e32 v29, v29, v26, vcc
	v_cndmask_b32_e64 v26, v30, v26, s[6:7]
	v_cndmask_b32_e32 v30, v27, v36, vcc
	v_cvt_f16_f32_e32 v27, v28
	v_cvt_f16_f32_sdwa v28, v32 dst_sel:WORD_1 dst_unused:UNUSED_PAD src0_sel:DWORD
	v_cvt_f16_f32_e32 v32, v26
	v_cvt_f16_f32_sdwa v29, v29 dst_sel:WORD_1 dst_unused:UNUSED_PAD src0_sel:DWORD
	v_cmp_eq_u32_e32 vcc, 1, v103
	v_or_b32_e32 v26, v28, v27
	v_mov_b32_e32 v28, v62
	v_or_b32_e32 v32, v29, v32
	v_mov_b32_e32 v29, v62
	v_pk_mul_f32 v[22:23], v[28:29], v[22:23]
	v_pk_mul_f32 v[28:29], v[62:63], v[20:21]
	v_cndmask_b32_e64 v31, v31, v36, s[6:7]
	v_cndmask_b32_e32 v20, v28, v29, vcc
	v_cmp_eq_u32_e64 s[6:7], 2, v103
	v_lshl_add_u64 v[24:25], s[28:29], 2, v[24:25]
	v_cmp_eq_u32_e64 s[8:9], 3, v103
	v_cndmask_b32_e64 v20, v20, v22, s[6:7]
	;;#ASMSTART
	global_atomic_pk_add_f16 v[24:25], v26, off
	
	;;#ASMEND
	v_lshl_add_u64 v[26:27], v[24:25], 0, 32
	v_cndmask_b32_e64 v20, v20, v23, s[8:9]
	ds_bpermute_b32 v33, v115, v20
	;;#ASMSTART
	global_atomic_pk_add_f16 v[26:27], v32, off
	
	;;#ASMEND
	v_cvt_f16_f32_e32 v27, v31
	v_cvt_f16_f32_sdwa v34, v30 dst_sel:WORD_1 dst_unused:UNUSED_PAD src0_sel:DWORD
	v_lshl_add_u64 v[30:31], v[24:25], 0, 64
	v_mov_b32_e32 v24, v44
	v_mov_b32_e32 v25, v44
	v_pk_mul_f32 v[18:19], v[24:25], v[18:19]
	v_pk_mul_f32 v[24:25], v[44:45], v[16:17]
	v_cmp_eq_u32_e64 s[10:11], 0, v103
	v_cndmask_b32_e32 v16, v24, v25, vcc
	v_cndmask_b32_e64 v16, v16, v18, s[6:7]
	v_cndmask_b32_e64 v16, v16, v19, s[8:9]
	s_waitcnt lgkmcnt(0)
	v_cndmask_b32_e64 v20, v23, v33, s[8:9]
	v_cndmask_b32_e64 v23, v28, v33, s[10:11]
	ds_bpermute_b32 v28, v115, v16
	v_cndmask_b32_e64 v21, v22, v33, s[6:7]
	v_cndmask_b32_e32 v22, v29, v33, vcc
	v_cmp_eq_u32_e64 s[12:13], 1, v104
	v_cmp_eq_u32_e64 s[14:15], 2, v104
	s_waitcnt lgkmcnt(0)
	v_cndmask_b32_e64 v17, v19, v28, s[8:9]
	v_cndmask_b32_e64 v26, v23, v22, s[12:13]
	;; [unrolled: 1-line block ×4, first 2 shown]
	v_cndmask_b32_e32 v25, v25, v28, vcc
	v_cndmask_b32_e64 v26, v24, v28, s[10:11]
	v_mov_b32_e32 v28, v40
	v_mov_b32_e32 v29, v40
	v_pk_mul_f32 v[32:33], v[40:41], v[12:13]
	v_pk_mul_f32 v[28:29], v[28:29], v[14:15]
	v_cndmask_b32_e32 v12, v32, v33, vcc
	v_cndmask_b32_e64 v12, v12, v28, s[6:7]
	v_cndmask_b32_e64 v12, v12, v29, s[8:9]
	ds_bpermute_b32 v13, v115, v12
	v_cndmask_b32_e64 v12, v26, v25, s[12:13]
	v_cmp_eq_u32_e64 s[16:17], 3, v104
	v_cndmask_b32_e64 v12, v12, v18, s[14:15]
	v_cmp_ne_u32_e32 vcc, 0, v103
	v_cndmask_b32_e64 v12, v12, v17, s[16:17]
	ds_bpermute_b32 v14, v115, v12
	s_waitcnt lgkmcnt(1)
	v_cndmask_b32_e64 v15, v29, v13, s[8:9]
	v_cndmask_b32_e64 v19, v28, v13, s[6:7]
	v_cndmask_b32_e32 v12, v33, v13, vcc
	v_cndmask_b32_e64 v13, v32, v13, s[10:11]
	v_cndmask_b32_e64 v24, v13, v12, s[12:13]
	;; [unrolled: 1-line block ×5, first 2 shown]
	ds_bpermute_b32 v16, v115, v16
	ds_bpermute_b32 v24, v115, v24
	v_or_b32_e32 v27, v34, v27
	;;#ASMSTART
	global_atomic_pk_add_f16 v[30:31], v27, off
	
	;;#ASMEND
	v_add_u32_e32 v27, s65, v109
	v_cmp_gt_u32_e32 vcc, 64, v27
	s_and_b64 exec, exec, vcc
	s_cbranch_execz .LBB356_44
; %bb.40:                               ;   in Loop: Header=BB356_7 Depth=1
	v_cmp_eq_u32_e64 s[8:9], 1, v104
	v_cmp_eq_u32_e64 s[10:11], 0, v104
	v_cmp_eq_u32_e32 vcc, 3, v104
	s_waitcnt lgkmcnt(1)
	v_cndmask_b32_e64 v22, v22, v16, s[8:9]
	v_cndmask_b32_e64 v23, v23, v16, s[10:11]
	;; [unrolled: 1-line block ×4, first 2 shown]
	v_cvt_f16_f32_e32 v23, v23
	v_cvt_f16_f32_sdwa v22, v22 dst_sel:WORD_1 dst_unused:UNUSED_PAD src0_sel:DWORD
	s_waitcnt lgkmcnt(0)
	v_cndmask_b32_e64 v28, v12, v24, s[8:9]
	v_cndmask_b32_e64 v29, v13, v24, s[10:11]
	v_cvt_f16_f32_e32 v26, v26
	v_cvt_f16_f32_sdwa v25, v25 dst_sel:WORD_1 dst_unused:UNUSED_PAD src0_sel:DWORD
	v_cvt_f16_f32_e32 v29, v29
	v_cvt_f16_f32_sdwa v28, v28 dst_sel:WORD_1 dst_unused:UNUSED_PAD src0_sel:DWORD
	v_lshl_add_u64 v[12:13], v[54:55], 1, s[48:49]
	v_or_b32_e32 v22, v22, v23
	v_cmp_eq_u32_e64 s[6:7], 2, v104
	;;#ASMSTART
	global_atomic_pk_add_f16 v[12:13], v22, off
	
	;;#ASMEND
	v_lshl_add_u64 v[22:23], v[12:13], 0, 32
	v_or_b32_e32 v25, v25, v26
	v_cmp_gt_u32_e64 s[8:9], 62, v27
	;;#ASMSTART
	global_atomic_pk_add_f16 v[22:23], v25, off
	
	;;#ASMEND
	v_lshl_add_u64 v[22:23], v[12:13], 0, 64
	v_or_b32_e32 v25, v28, v29
	;;#ASMSTART
	global_atomic_pk_add_f16 v[22:23], v25, off
	
	;;#ASMEND
	s_and_b64 exec, exec, s[8:9]
	s_cbranch_execz .LBB356_44
; %bb.41:                               ;   in Loop: Header=BB356_7 Depth=1
	v_cndmask_b32_e32 v20, v20, v16, vcc
	v_cndmask_b32_e64 v16, v21, v16, s[6:7]
	v_cndmask_b32_e32 v17, v17, v14, vcc
	v_cndmask_b32_e64 v14, v18, v14, s[6:7]
	v_cndmask_b32_e32 v18, v15, v24, vcc
	v_cvt_f16_f32_e32 v15, v16
	v_cvt_f16_f32_sdwa v16, v20 dst_sel:WORD_1 dst_unused:UNUSED_PAD src0_sel:DWORD
	v_cvt_f16_f32_e32 v20, v14
	v_cvt_f16_f32_sdwa v17, v17 dst_sel:WORD_1 dst_unused:UNUSED_PAD src0_sel:DWORD
	v_cmp_eq_u32_e32 vcc, 1, v103
	v_or_b32_e32 v14, v16, v15
	v_mov_b32_e32 v16, v62
	v_or_b32_e32 v20, v17, v20
	v_mov_b32_e32 v17, v62
	v_pk_mul_f32 v[10:11], v[16:17], v[10:11]
	v_pk_mul_f32 v[16:17], v[62:63], v[8:9]
	v_cndmask_b32_e64 v19, v19, v24, s[6:7]
	v_cndmask_b32_e32 v8, v16, v17, vcc
	v_cmp_eq_u32_e64 s[6:7], 2, v103
	v_cmp_eq_u32_e64 s[8:9], 3, v103
	v_lshl_add_u64 v[12:13], s[28:29], 2, v[12:13]
	v_cndmask_b32_e64 v8, v8, v10, s[6:7]
	v_cndmask_b32_e64 v8, v8, v11, s[8:9]
	ds_bpermute_b32 v21, v115, v8
	;;#ASMSTART
	global_atomic_pk_add_f16 v[12:13], v14, off
	
	;;#ASMEND
	v_lshl_add_u64 v[14:15], v[12:13], 0, 32
	v_cmp_eq_u32_e64 s[10:11], 0, v103
	;;#ASMSTART
	global_atomic_pk_add_f16 v[14:15], v20, off
	
	;;#ASMEND
	v_cvt_f16_f32_e32 v20, v19
	v_cvt_f16_f32_sdwa v22, v18 dst_sel:WORD_1 dst_unused:UNUSED_PAD src0_sel:DWORD
	v_lshl_add_u64 v[18:19], v[12:13], 0, 64
	s_waitcnt lgkmcnt(0)
	v_cndmask_b32_e64 v8, v11, v21, s[8:9]
	v_cndmask_b32_e32 v11, v17, v21, vcc
	v_cndmask_b32_e64 v12, v16, v21, s[10:11]
	v_mov_b32_e32 v14, v44
	v_mov_b32_e32 v15, v44
	v_pk_mul_f32 v[16:17], v[44:45], v[0:1]
	v_pk_mul_f32 v[14:15], v[14:15], v[2:3]
	v_cndmask_b32_e32 v0, v16, v17, vcc
	v_cndmask_b32_e64 v0, v0, v14, s[6:7]
	v_cndmask_b32_e64 v0, v0, v15, s[8:9]
	ds_bpermute_b32 v1, v115, v0
	v_cmp_eq_u32_e64 s[12:13], 1, v104
	v_cndmask_b32_e64 v9, v10, v21, s[6:7]
	v_cmp_eq_u32_e64 s[14:15], 2, v104
	v_cndmask_b32_e64 v10, v12, v11, s[12:13]
	;; [unrolled: 2-line block ×3, first 2 shown]
	s_waitcnt lgkmcnt(0)
	v_cndmask_b32_e64 v3, v15, v1, s[8:9]
	v_cndmask_b32_e64 v0, v0, v8, s[16:17]
	ds_bpermute_b32 v2, v115, v0
	v_cndmask_b32_e64 v10, v14, v1, s[6:7]
	v_cndmask_b32_e32 v0, v17, v1, vcc
	v_cndmask_b32_e64 v1, v16, v1, s[10:11]
	v_mov_b32_e32 v14, v40
	v_mov_b32_e32 v15, v40
	v_pk_mul_f32 v[16:17], v[40:41], v[4:5]
	v_pk_mul_f32 v[14:15], v[14:15], v[6:7]
	v_cndmask_b32_e32 v4, v16, v17, vcc
	v_cndmask_b32_e64 v4, v4, v14, s[6:7]
	v_cndmask_b32_e64 v4, v4, v15, s[8:9]
	ds_bpermute_b32 v7, v115, v4
	v_cndmask_b32_e64 v4, v1, v0, s[12:13]
	v_cndmask_b32_e64 v4, v4, v10, s[14:15]
	v_cndmask_b32_e64 v4, v4, v3, s[16:17]
	v_cmp_ne_u32_e32 vcc, 0, v103
	ds_bpermute_b32 v6, v115, v4
	s_waitcnt lgkmcnt(1)
	v_cndmask_b32_e64 v4, v15, v7, s[8:9]
	v_cndmask_b32_e64 v5, v14, v7, s[6:7]
	v_cndmask_b32_e32 v14, v17, v7, vcc
	v_cndmask_b32_e64 v15, v16, v7, s[10:11]
	v_cndmask_b32_e64 v7, v15, v14, s[12:13]
	;; [unrolled: 1-line block ×4, first 2 shown]
	ds_bpermute_b32 v7, v115, v7
	v_or_b32_e32 v13, v22, v20
	;;#ASMSTART
	global_atomic_pk_add_f16 v[18:19], v13, off
	
	;;#ASMEND
	v_add_u32_e32 v13, s65, v110
	v_cmp_gt_u32_e32 vcc, 64, v13
	s_and_b64 exec, exec, vcc
	s_cbranch_execz .LBB356_44
; %bb.42:                               ;   in Loop: Header=BB356_7 Depth=1
	v_cmp_eq_u32_e64 s[8:9], 1, v104
	v_cmp_eq_u32_e64 s[10:11], 0, v104
	v_cmp_eq_u32_e32 vcc, 3, v104
	v_cndmask_b32_e64 v11, v11, v2, s[8:9]
	v_cndmask_b32_e64 v12, v12, v2, s[10:11]
	v_cvt_f16_f32_e32 v12, v12
	v_cvt_f16_f32_sdwa v11, v11 dst_sel:WORD_1 dst_unused:UNUSED_PAD src0_sel:DWORD
	s_waitcnt lgkmcnt(1)
	v_cndmask_b32_e64 v16, v0, v6, s[8:9]
	v_cndmask_b32_e64 v17, v1, v6, s[10:11]
	s_waitcnt lgkmcnt(0)
	v_cndmask_b32_e64 v18, v14, v7, s[8:9]
	v_or_b32_e32 v11, v11, v12
	v_cndmask_b32_e64 v19, v15, v7, s[10:11]
	v_lshl_add_u64 v[0:1], v[56:57], 1, s[48:49]
	;;#ASMSTART
	global_atomic_pk_add_f16 v[0:1], v11, off
	
	;;#ASMEND
	v_cvt_f16_f32_e32 v11, v17
	v_cvt_f16_f32_sdwa v12, v16 dst_sel:WORD_1 dst_unused:UNUSED_PAD src0_sel:DWORD
	v_cvt_f16_f32_e32 v16, v19
	v_cvt_f16_f32_sdwa v17, v18 dst_sel:WORD_1 dst_unused:UNUSED_PAD src0_sel:DWORD
	v_cmp_eq_u32_e64 s[6:7], 2, v104
	v_lshl_add_u64 v[14:15], v[0:1], 0, 32
	v_or_b32_e32 v11, v12, v11
	v_cmp_gt_u32_e64 s[8:9], 62, v13
	;;#ASMSTART
	global_atomic_pk_add_f16 v[14:15], v11, off
	
	;;#ASMEND
	v_lshl_add_u64 v[14:15], v[0:1], 0, 64
	v_or_b32_e32 v11, v17, v16
	;;#ASMSTART
	global_atomic_pk_add_f16 v[14:15], v11, off
	
	;;#ASMEND
	s_and_b64 exec, exec, s[8:9]
	s_cbranch_execz .LBB356_44
; %bb.43:                               ;   in Loop: Header=BB356_7 Depth=1
	v_cndmask_b32_e32 v8, v8, v2, vcc
	v_cndmask_b32_e64 v2, v9, v2, s[6:7]
	v_cvt_f16_f32_e32 v2, v2
	v_cvt_f16_f32_sdwa v8, v8 dst_sel:WORD_1 dst_unused:UNUSED_PAD src0_sel:DWORD
	v_cndmask_b32_e32 v3, v3, v6, vcc
	v_cndmask_b32_e64 v6, v10, v6, s[6:7]
	v_cndmask_b32_e32 v4, v4, v7, vcc
	v_cndmask_b32_e64 v5, v5, v7, s[6:7]
	v_cvt_f16_f32_e32 v6, v6
	v_cvt_f16_f32_sdwa v7, v3 dst_sel:WORD_1 dst_unused:UNUSED_PAD src0_sel:DWORD
	v_cvt_f16_f32_e32 v5, v5
	v_cvt_f16_f32_sdwa v4, v4 dst_sel:WORD_1 dst_unused:UNUSED_PAD src0_sel:DWORD
	v_lshl_add_u64 v[0:1], s[28:29], 2, v[0:1]
	v_or_b32_e32 v2, v8, v2
	;;#ASMSTART
	global_atomic_pk_add_f16 v[0:1], v2, off
	
	;;#ASMEND
	v_lshl_add_u64 v[2:3], v[0:1], 0, 32
	v_or_b32_e32 v6, v7, v6
	;;#ASMSTART
	global_atomic_pk_add_f16 v[2:3], v6, off
	
	;;#ASMEND
	;; [unrolled: 6-line block ×3, first 2 shown]
.LBB356_44:                             ;   in Loop: Header=BB356_7 Depth=1
	s_or_b64 exec, exec, s[18:19]
	v_subrev_u32_e32 v116, s66, v116
.LBB356_45:                             ;   in Loop: Header=BB356_7 Depth=1
	s_or_b64 exec, exec, s[46:47]
.LBB356_46:                             ;   in Loop: Header=BB356_7 Depth=1
	s_andn2_saveexec_b64 s[6:7], s[44:45]
	s_cbranch_execz .LBB356_55
; %bb.47:                               ;   in Loop: Header=BB356_7 Depth=1
	s_mul_i32 s16, s66, 3
	v_cmp_gt_i32_e32 vcc, s16, v116
	s_and_saveexec_b64 s[8:9], vcc
	s_cbranch_execz .LBB356_54
; %bb.48:                               ;   in Loop: Header=BB356_7 Depth=1
	s_mul_i32 s10, s34, s23
	s_ashr_i32 s11, s10, 31
	s_waitcnt lgkmcnt(0)
	s_add_u32 s10, s38, s10
	s_addc_u32 s11, s39, s11
	s_ashr_i32 s12, s64, 31
	s_add_u32 s10, s10, s64
	s_addc_u32 s11, s11, s12
	v_lshl_add_u64 v[0:1], s[10:11], 0, v[60:61]
	v_lshl_add_u64 v[8:9], v[0:1], 0, v[58:59]
	s_mov_b64 s[10:11], 0
	s_branch .LBB356_50
.LBB356_49:                             ;   in Loop: Header=BB356_50 Depth=2
	s_or_b64 exec, exec, s[12:13]
	v_lshl_add_u32 v12, v10, 11, v113
	;;#ASMSTART
	s_waitcnt vmcnt(1)
	;;#ASMEND
	ds_write2_b32 v12, v4, v5 offset1:32
	ds_write2_b32 v12, v6, v7 offset0:64 offset1:96
	v_add_u32_e32 v4, 0x400, v12
	v_add_u32_e32 v116, s26, v116
	;;#ASMSTART
	s_waitcnt vmcnt(0)
	;;#ASMEND
	ds_write2_b32 v4, v0, v1 offset1:32
	ds_write2_b32 v4, v2, v3 offset0:64 offset1:96
	v_add_u32_e32 v0, 1, v100
	v_add_u32_e32 v64, s26, v10
	v_cmp_le_i32_e32 vcc, s16, v116
	ds_write_b32 v11, v0 offset:64
	v_add_u32_e32 v0, 2, v100
	s_or_b64 s[10:11], vcc, s[10:11]
	v_cmp_lt_i32_e32 vcc, 11, v64
	s_nop 1
	v_cndmask_b32_e32 v100, v100, v0, vcc
	s_andn2_b64 exec, exec, s[10:11]
	s_cbranch_execz .LBB356_53
.LBB356_50:                             ;   Parent Loop BB356_7 Depth=1
                                        ; =>  This Loop Header: Depth=2
                                        ;       Child Loop BB356_52 Depth 3
	v_cmp_gt_i32_e32 vcc, 12, v64
	s_nop 1
	v_cndmask_b32_e64 v0, -12, 0, vcc
	v_add_u32_e32 v10, v0, v64
	v_mul_hi_i32 v0, v116, s62
	v_lshrrev_b32_e32 v1, 31, v0
	v_add_u32_e32 v0, v0, v1
	v_lshl_add_u32 v1, v0, 1, v0
	v_sub_u32_e32 v2, v116, v1
	v_lshlrev_b32_e32 v0, 7, v0
	v_ashrrev_i32_e32 v1, 31, v0
	v_mul_lo_u32 v2, s55, v2
	v_lshl_add_u64 v[0:1], v[8:9], 0, v[0:1]
	v_ashrrev_i32_e32 v3, 31, v2
	v_lshl_add_u64 v[0:1], v[0:1], 0, v[2:3]
	v_lshlrev_b32_e32 v11, 2, v10
	;;#ASMSTART
	global_load_dwordx4 v[4:7], v[0:1], off offset:0   sc0 sc1 nt  
	global_load_dwordx4 v[0:3], v[0:1], off offset:64  sc0 sc1 nt  
	
	;;#ASMEND
	ds_read_b32 v12, v11 offset:57408
	v_add_u32_e32 v11, 0xe000, v11
	s_waitcnt lgkmcnt(0)
	v_cmp_ne_u32_e32 vcc, v12, v100
	s_and_saveexec_b64 s[12:13], vcc
	s_cbranch_execz .LBB356_49
; %bb.51:                               ;   in Loop: Header=BB356_50 Depth=2
	s_mov_b64 s[14:15], 0
.LBB356_52:                             ;   Parent Loop BB356_7 Depth=1
                                        ;     Parent Loop BB356_50 Depth=2
                                        ; =>    This Inner Loop Header: Depth=3
	;;#ASMSTART
	s_sleep 0
	;;#ASMEND
	ds_read_b32 v12, v11 offset:64
	s_waitcnt lgkmcnt(0)
	v_cmp_eq_u32_e32 vcc, v12, v100
	s_or_b64 s[14:15], vcc, s[14:15]
	s_andn2_b64 exec, exec, s[14:15]
	s_cbranch_execnz .LBB356_52
	s_branch .LBB356_49
.LBB356_53:                             ;   in Loop: Header=BB356_7 Depth=1
	s_or_b64 exec, exec, s[10:11]
.LBB356_54:                             ;   in Loop: Header=BB356_7 Depth=1
	s_or_b64 exec, exec, s[8:9]
	v_subrev_u32_e32 v116, s16, v116
.LBB356_55:                             ;   in Loop: Header=BB356_7 Depth=1
	s_or_b64 exec, exec, s[6:7]
.LBB356_56:                             ;   in Loop: Header=BB356_7 Depth=1
	s_andn2_saveexec_b64 s[6:7], s[30:31]
	s_cbranch_execz .LBB356_6
; %bb.57:                               ;   in Loop: Header=BB356_7 Depth=1
	s_lshl_b32 s16, s66, 2
	v_cmp_gt_i32_e32 vcc, s16, v116
	s_and_saveexec_b64 s[8:9], vcc
	s_cbranch_execz .LBB356_5
; %bb.58:                               ;   in Loop: Header=BB356_7 Depth=1
	s_mul_i32 s63, s63, s22
	s_ashr_i32 s10, s63, 31
	s_waitcnt lgkmcnt(0)
	s_add_u32 s11, s36, s63
	v_add_u32_e32 v2, s65, v111
	s_addc_u32 s12, s37, s10
	s_ashr_i32 s13, s64, 31
	v_cmp_gt_u32_e32 vcc, 64, v2
	s_add_u32 s10, s11, s64
	s_addc_u32 s11, s12, s13
	v_cndmask_b32_e32 v0, 0, v114, vcc
	v_ashrrev_i32_e32 v1, 31, v0
	v_lshl_add_u64 v[0:1], s[10:11], 0, v[0:1]
	v_lshl_add_u64 v[8:9], v[0:1], 0, v[58:59]
	v_sub_u32_e32 v10, 63, v2
	s_mov_b64 s[10:11], 0
	s_branch .LBB356_60
.LBB356_59:                             ;   in Loop: Header=BB356_60 Depth=2
	s_or_b64 exec, exec, s[12:13]
	v_lshl_or_b32 v13, v11, 11, v112
	;;#ASMSTART
	s_waitcnt vmcnt(1)
	;;#ASMEND
	ds_write2_b32 v13, v4, v5 offset1:32
	ds_write2_b32 v13, v6, v7 offset0:64 offset1:96
	v_add_u32_e32 v4, 0x400, v13
	v_add_u32_e32 v116, s25, v116
	;;#ASMSTART
	s_waitcnt vmcnt(0)
	;;#ASMEND
	ds_write2_b32 v4, v0, v1 offset1:32
	ds_write2_b32 v4, v2, v3 offset0:64 offset1:96
	v_add_u32_e32 v0, 1, v100
	v_add_u32_e32 v64, s25, v11
	v_cmp_le_i32_e32 vcc, s16, v116
	ds_write_b32 v12, v0
	v_add_u32_e32 v0, 2, v100
	s_or_b64 s[10:11], vcc, s[10:11]
	v_cmp_lt_i32_e32 vcc, 15, v64
	s_nop 1
	v_cndmask_b32_e32 v100, v100, v0, vcc
	s_andn2_b64 exec, exec, s[10:11]
	s_cbranch_execz .LBB356_4
.LBB356_60:                             ;   Parent Loop BB356_7 Depth=1
                                        ; =>  This Loop Header: Depth=2
                                        ;       Child Loop BB356_62 Depth 3
	v_cmp_gt_i32_e32 vcc, 16, v64
	s_nop 1
	v_cndmask_b32_e64 v0, -16, 0, vcc
	v_add_u32_e32 v11, v0, v64
	v_ashrrev_i32_e32 v0, 31, v116
	v_lshrrev_b32_e32 v0, 30, v0
	v_add_u32_e32 v0, v116, v0
	v_and_b32_e32 v1, 0xffffffc, v0
	v_sub_u32_e32 v1, v116, v1
	v_lshlrev_b32_e32 v1, 4, v1
	v_cmp_le_i32_e32 vcc, v1, v10
	v_lshlrev_b32_e32 v0, 5, v0
	v_and_b32_e32 v0, 0xffffff80, v0
	v_cndmask_b32_e32 v2, 0, v1, vcc
	v_ashrrev_i32_e32 v1, 31, v0
	v_mul_lo_u32 v2, v2, s22
	v_lshl_add_u64 v[0:1], v[8:9], 0, v[0:1]
	v_ashrrev_i32_e32 v3, 31, v2
	v_lshl_add_u64 v[0:1], v[0:1], 0, v[2:3]
	v_lshlrev_b32_e32 v12, 2, v11
	;;#ASMSTART
	global_load_dwordx4 v[4:7], v[0:1], off offset:0   
	global_load_dwordx4 v[0:3], v[0:1], off offset:64  
	
	;;#ASMEND
	ds_read_b32 v13, v12 offset:57344
	v_add_u32_e32 v12, 0xe000, v12
	s_waitcnt lgkmcnt(0)
	v_cmp_ne_u32_e32 vcc, v13, v100
	s_and_saveexec_b64 s[12:13], vcc
	s_cbranch_execz .LBB356_59
; %bb.61:                               ;   in Loop: Header=BB356_60 Depth=2
	s_mov_b64 s[14:15], 0
.LBB356_62:                             ;   Parent Loop BB356_7 Depth=1
                                        ;     Parent Loop BB356_60 Depth=2
                                        ; =>    This Inner Loop Header: Depth=3
	;;#ASMSTART
	s_sleep 0
	;;#ASMEND
	ds_read_b32 v13, v12
	s_waitcnt lgkmcnt(0)
	v_cmp_eq_u32_e32 vcc, v13, v100
	s_or_b64 s[14:15], vcc, s[14:15]
	s_andn2_b64 exec, exec, s[14:15]
	s_cbranch_execnz .LBB356_62
	s_branch .LBB356_59
.LBB356_63:
	s_endpgm
	.section	.rodata,"a",@progbits
	.p2align	6, 0x0
	.amdhsa_kernel _Z19_skinny_gemm_kernelILi4ELi3ELi4ELi16ELi4EEvPKhS1_P6__halfPKfiiiiiiii
		.amdhsa_group_segment_fixed_size 57456
		.amdhsa_private_segment_fixed_size 0
		.amdhsa_kernarg_size 64
		.amdhsa_user_sgpr_count 2
		.amdhsa_user_sgpr_dispatch_ptr 0
		.amdhsa_user_sgpr_queue_ptr 0
		.amdhsa_user_sgpr_kernarg_segment_ptr 1
		.amdhsa_user_sgpr_dispatch_id 0
		.amdhsa_user_sgpr_kernarg_preload_length 0
		.amdhsa_user_sgpr_kernarg_preload_offset 0
		.amdhsa_user_sgpr_private_segment_size 0
		.amdhsa_uses_dynamic_stack 0
		.amdhsa_enable_private_segment 0
		.amdhsa_system_sgpr_workgroup_id_x 1
		.amdhsa_system_sgpr_workgroup_id_y 0
		.amdhsa_system_sgpr_workgroup_id_z 0
		.amdhsa_system_sgpr_workgroup_info 0
		.amdhsa_system_vgpr_workitem_id 0
		.amdhsa_next_free_vgpr 124
		.amdhsa_next_free_sgpr 67
		.amdhsa_accum_offset 124
		.amdhsa_reserve_vcc 1
		.amdhsa_float_round_mode_32 0
		.amdhsa_float_round_mode_16_64 0
		.amdhsa_float_denorm_mode_32 3
		.amdhsa_float_denorm_mode_16_64 3
		.amdhsa_dx10_clamp 1
		.amdhsa_ieee_mode 1
		.amdhsa_fp16_overflow 0
		.amdhsa_tg_split 0
		.amdhsa_exception_fp_ieee_invalid_op 0
		.amdhsa_exception_fp_denorm_src 0
		.amdhsa_exception_fp_ieee_div_zero 0
		.amdhsa_exception_fp_ieee_overflow 0
		.amdhsa_exception_fp_ieee_underflow 0
		.amdhsa_exception_fp_ieee_inexact 0
		.amdhsa_exception_int_div_zero 0
	.end_amdhsa_kernel
	.section	.text._Z19_skinny_gemm_kernelILi4ELi3ELi4ELi16ELi4EEvPKhS1_P6__halfPKfiiiiiiii,"axG",@progbits,_Z19_skinny_gemm_kernelILi4ELi3ELi4ELi16ELi4EEvPKhS1_P6__halfPKfiiiiiiii,comdat
.Lfunc_end356:
	.size	_Z19_skinny_gemm_kernelILi4ELi3ELi4ELi16ELi4EEvPKhS1_P6__halfPKfiiiiiiii, .Lfunc_end356-_Z19_skinny_gemm_kernelILi4ELi3ELi4ELi16ELi4EEvPKhS1_P6__halfPKfiiiiiiii
                                        ; -- End function
	.set _Z19_skinny_gemm_kernelILi4ELi3ELi4ELi16ELi4EEvPKhS1_P6__halfPKfiiiiiiii.num_vgpr, 124
	.set _Z19_skinny_gemm_kernelILi4ELi3ELi4ELi16ELi4EEvPKhS1_P6__halfPKfiiiiiiii.num_agpr, 0
	.set _Z19_skinny_gemm_kernelILi4ELi3ELi4ELi16ELi4EEvPKhS1_P6__halfPKfiiiiiiii.numbered_sgpr, 67
	.set _Z19_skinny_gemm_kernelILi4ELi3ELi4ELi16ELi4EEvPKhS1_P6__halfPKfiiiiiiii.num_named_barrier, 0
	.set _Z19_skinny_gemm_kernelILi4ELi3ELi4ELi16ELi4EEvPKhS1_P6__halfPKfiiiiiiii.private_seg_size, 0
	.set _Z19_skinny_gemm_kernelILi4ELi3ELi4ELi16ELi4EEvPKhS1_P6__halfPKfiiiiiiii.uses_vcc, 1
	.set _Z19_skinny_gemm_kernelILi4ELi3ELi4ELi16ELi4EEvPKhS1_P6__halfPKfiiiiiiii.uses_flat_scratch, 0
	.set _Z19_skinny_gemm_kernelILi4ELi3ELi4ELi16ELi4EEvPKhS1_P6__halfPKfiiiiiiii.has_dyn_sized_stack, 0
	.set _Z19_skinny_gemm_kernelILi4ELi3ELi4ELi16ELi4EEvPKhS1_P6__halfPKfiiiiiiii.has_recursion, 0
	.set _Z19_skinny_gemm_kernelILi4ELi3ELi4ELi16ELi4EEvPKhS1_P6__halfPKfiiiiiiii.has_indirect_call, 0
	.section	.AMDGPU.csdata,"",@progbits
; Kernel info:
; codeLenInByte = 7088
; TotalNumSgprs: 73
; NumVgprs: 124
; NumAgprs: 0
; TotalNumVgprs: 124
; ScratchSize: 0
; MemoryBound: 0
; FloatMode: 240
; IeeeMode: 1
; LDSByteSize: 57456 bytes/workgroup (compile time only)
; SGPRBlocks: 9
; VGPRBlocks: 15
; NumSGPRsForWavesPerEU: 73
; NumVGPRsForWavesPerEU: 124
; AccumOffset: 124
; Occupancy: 4
; WaveLimiterHint : 0
; COMPUTE_PGM_RSRC2:SCRATCH_EN: 0
; COMPUTE_PGM_RSRC2:USER_SGPR: 2
; COMPUTE_PGM_RSRC2:TRAP_HANDLER: 0
; COMPUTE_PGM_RSRC2:TGID_X_EN: 1
; COMPUTE_PGM_RSRC2:TGID_Y_EN: 0
; COMPUTE_PGM_RSRC2:TGID_Z_EN: 0
; COMPUTE_PGM_RSRC2:TIDIG_COMP_CNT: 0
; COMPUTE_PGM_RSRC3_GFX90A:ACCUM_OFFSET: 30
; COMPUTE_PGM_RSRC3_GFX90A:TG_SPLIT: 0
	.section	.text._Z19_skinny_gemm_kernelILi4ELi3ELi4ELi32ELi4EEvPKhS1_P6__halfPKfiiiiiiii,"axG",@progbits,_Z19_skinny_gemm_kernelILi4ELi3ELi4ELi32ELi4EEvPKhS1_P6__halfPKfiiiiiiii,comdat
	.protected	_Z19_skinny_gemm_kernelILi4ELi3ELi4ELi32ELi4EEvPKhS1_P6__halfPKfiiiiiiii ; -- Begin function _Z19_skinny_gemm_kernelILi4ELi3ELi4ELi32ELi4EEvPKhS1_P6__halfPKfiiiiiiii
	.globl	_Z19_skinny_gemm_kernelILi4ELi3ELi4ELi32ELi4EEvPKhS1_P6__halfPKfiiiiiiii
	.p2align	8
	.type	_Z19_skinny_gemm_kernelILi4ELi3ELi4ELi32ELi4EEvPKhS1_P6__halfPKfiiiiiiii,@function
_Z19_skinny_gemm_kernelILi4ELi3ELi4ELi32ELi4EEvPKhS1_P6__halfPKfiiiiiiii: ; @_Z19_skinny_gemm_kernelILi4ELi3ELi4ELi32ELi4EEvPKhS1_P6__halfPKfiiiiiiii
; %bb.0:
	v_cmp_gt_u32_e32 vcc, 28, v0
	s_and_saveexec_b64 s[4:5], vcc
; %bb.1:
	v_lshlrev_b32_e32 v1, 2, v0
	v_mov_b32_e32 v2, 0
	ds_write_b32 v1, v2 offset:57344
; %bb.2:
	s_or_b64 exec, exec, s[4:5]
	s_load_dwordx8 s[92:99], s[0:1], 0x20
	s_waitcnt lgkmcnt(0)
	s_barrier
	s_add_i32 s3, s92, 0x7f
	s_ashr_i32 s5, s3, 31
	s_add_i32 s4, s93, 0x5f
	s_lshr_b32 s5, s5, 25
	s_mul_hi_i32 s4, s4, 0x2aaaaaab
	s_add_i32 s3, s3, s5
	s_ashr_i32 s14, s3, 7
	s_lshr_b32 s3, s4, 31
	s_ashr_i32 s4, s4, 4
	s_add_i32 s15, s4, s3
	s_mul_i32 s3, s15, s14
	s_mul_i32 s3, s3, s96
	s_add_i32 s4, s3, 0x12f
	s_mul_hi_i32 s4, s4, 0x6bca1af3
	s_lshr_b32 s5, s4, 31
	s_ashr_i32 s4, s4, 7
	s_add_i32 s4, s4, s5
	s_add_i32 s5, s2, 1
	s_mul_i32 s5, s4, s5
	v_cvt_f64_i32_e32 v[2:3], s3
	v_cvt_f64_u32_e32 v[4:5], s5
	v_min_f64 v[2:3], v[2:3], v[4:5]
	v_cvt_i32_f64_e32 v62, v[2:3]
	s_mul_i32 s33, s4, s2
	v_cmp_ge_i32_e32 vcc, s33, v62
	s_cbranch_vccnz .LBB357_51
; %bb.3:
	s_load_dwordx8 s[16:23], s[0:1], 0x0
	v_lshrrev_b32_e32 v1, 6, v0
	s_add_i32 s0, s98, s97
	v_cmp_le_i32_e64 s[24:25], s0, v1
	v_mov_b32_e32 v2, s97
	v_cmp_le_i32_e64 s[26:27], s97, v1
	v_mov_b32_e32 v3, s98
	v_cndmask_b32_e64 v3, 0, v3, s[24:25]
	v_cndmask_b32_e64 v2, 0, v2, s[26:27]
	s_abs_i32 s1, s96
	v_add_u32_e32 v2, v2, v3
	v_cvt_f32_u32_e32 v3, s1
	v_sub_u32_e32 v56, v1, v2
	s_ashr_i32 s2, s94, 31
	s_lshr_b32 s2, s2, 26
	v_rcp_iflag_f32_e32 v2, v3
	s_sub_i32 s5, 0, s1
	s_add_i32 s2, s94, s2
	s_ashr_i32 s2, s2, 6
	v_mul_f32_e32 v2, 0x4f7ffffe, v2
	v_cvt_u32_f32_e32 v2, v2
	s_abs_i32 s4, s2
	s_xor_b32 s3, s2, s96
	s_ashr_i32 s3, s3, 31
	v_readfirstlane_b32 s6, v2
	s_mul_i32 s5, s5, s6
	s_mul_hi_u32 s5, s6, s5
	s_add_i32 s6, s6, s5
	s_mul_hi_u32 s5, s4, s6
	s_mul_i32 s6, s5, s1
	s_sub_i32 s4, s4, s6
	s_add_i32 s6, s5, 1
	s_sub_i32 s7, s4, s1
	s_cmp_ge_u32 s4, s1
	s_cselect_b32 s5, s6, s5
	s_cselect_b32 s4, s7, s4
	s_add_i32 s6, s5, 1
	s_cmp_ge_u32 s4, s1
	s_cselect_b32 s1, s6, s5
	s_add_i32 s0, s0, s99
	v_and_b32_e32 v64, 31, v0
	v_lshrrev_b32_e32 v2, 3, v0
	v_cmp_gt_i32_e64 s[34:35], s0, v1
	v_lshlrev_b32_e32 v1, 2, v64
	v_and_b32_e32 v3, 4, v2
	v_lshlrev_b32_e32 v2, 6, v3
	v_or_b32_e32 v4, 0x8000, v1
	v_and_b32_e32 v5, 1, v0
	s_add_i32 s29, s96, -1
	v_or_b32_e32 v65, v1, v2
	v_or_b32_e32 v66, v4, v2
	v_lshlrev_b32_e32 v2, 1, v5
	v_lshrrev_b32_e32 v7, 1, v0
	s_abs_i32 s96, s14
                                        ; implicit-def: $vgpr93 : SGPR spill to VGPR lane
	v_sub_u32_e32 v2, v0, v2
	v_and_b32_e32 v50, 16, v7
	v_cvt_f32_u32_e32 v7, s96
	v_writelane_b32 v93, s14, 0
	v_add_u32_e32 v2, 1, v2
	v_writelane_b32 v93, s15, 1
	v_and_b32_e32 v6, 63, v2
	v_bitop3_b32 v67, v0, 1, v0 bitop3:0xc
	v_bitop3_b32 v68, v0, 3, 1 bitop3:0x6c
	v_bitop3_b32 v69, v0, 5, 1 bitop3:0x6c
	v_bitop3_b32 v70, v0, 7, 1 bitop3:0x6c
	v_bitop3_b32 v71, v0, 9, 1 bitop3:0x6c
	v_bitop3_b32 v72, v0, 11, 1 bitop3:0x6c
	v_bitop3_b32 v73, v0, 13, 1 bitop3:0x6c
	v_bitop3_b32 v74, v0, 15, 1 bitop3:0x6c
	v_and_b32_e32 v2, 30, v0
	v_lshlrev_b32_e32 v0, 4, v0
	s_waitcnt lgkmcnt(0)
	v_writelane_b32 v93, s16, 2
	v_and_b32_e32 v0, 0x200, v0
	v_or_b32_e32 v77, v4, v0
	v_writelane_b32 v93, s17, 3
	v_rcp_iflag_f32_e32 v4, v7
	s_abs_i32 s90, s15
	v_writelane_b32 v93, s18, 4
	v_or_b32_e32 v79, v1, v0
	v_cvt_f32_u32_e32 v1, s90
	v_writelane_b32 v93, s19, 5
	v_writelane_b32 v93, s20, 6
	;; [unrolled: 1-line block ×3, first 2 shown]
	v_mul_f32_e32 v0, 0x4f7ffffe, v4
	v_writelane_b32 v93, s22, 8
	v_cvt_u32_f32_e32 v0, v0
	v_rcp_iflag_f32_e32 v1, v1
	v_writelane_b32 v93, s23, 9
	v_cndmask_b32_e64 v63, 0, 1, s[24:25]
	s_xor_b32 s1, s1, s3
	v_writelane_b32 v93, s24, 10
	s_sub_i32 s28, s1, s3
	s_mul_i32 s1, s28, s29
	v_writelane_b32 v93, s25, 11
	v_writelane_b32 v93, s26, 12
	s_sub_i32 s30, s2, s1
	v_readfirstlane_b32 s1, v0
	v_mul_f32_e32 v0, 0x4f7ffffe, v1
	v_writelane_b32 v93, s27, 13
	v_cvt_u32_f32_e32 v0, v0
	v_writelane_b32 v93, s28, 14
	s_sub_i32 s0, 0, s96
	v_writelane_b32 v93, s29, 15
	s_mul_i32 s0, s0, s1
	v_writelane_b32 v93, s30, 16
	s_mul_hi_u32 s0, s1, s0
	v_writelane_b32 v93, s34, 17
	s_ashr_i32 s31, s14, 31
	s_add_i32 s36, s1, s0
	s_sub_i32 s0, 0, s90
	v_readfirstlane_b32 s1, v0
	v_mbcnt_lo_u32_b32 v0, -1, 0
	v_writelane_b32 v93, s35, 18
	s_mul_i32 s0, s0, s1
	v_mbcnt_hi_u32_b32 v0, -1, v0
	v_writelane_b32 v93, s31, 19
	v_mov_b32_e32 v49, 0
	v_mul_lo_u32 v52, s95, v64
	v_or_b32_e32 v80, v5, v3
	s_ashr_i32 s37, s15, 31
	s_mul_hi_u32 s0, s1, s0
	v_and_or_b32 v0, v0, 64, v6
	v_writelane_b32 v93, s36, 20
	v_or_b32_e32 v75, 32, v64
	v_or_b32_e32 v76, 64, v64
	v_ashrrev_i32_e32 v53, 31, v52
	v_mov_b32_e32 v51, v49
	s_lshl_b32 s91, s95, 5
	v_mul_lo_u32 v78, s94, v64
	v_or_b32_e32 v81, 2, v80
	s_add_i32 s38, s1, s0
	v_lshlrev_b32_e32 v48, 1, v2
	v_lshlrev_b32_e32 v82, 2, v0
	v_mov_b32_e32 v83, v56
	v_writelane_b32 v93, s37, 21
	v_writelane_b32 v93, s38, 22
	s_branch .LBB357_7
.LBB357_4:                              ;   in Loop: Header=BB357_7 Depth=1
	s_or_b64 exec, exec, s[4:5]
.LBB357_5:                              ;   in Loop: Header=BB357_7 Depth=1
	s_or_b64 exec, exec, s[2:3]
	v_subrev_u32_e32 v83, s10, v83
.LBB357_6:                              ;   in Loop: Header=BB357_7 Depth=1
	s_or_b64 exec, exec, s[0:1]
	s_add_i32 s33, s33, 1
	v_cmp_ge_i32_e32 vcc, s33, v62
	s_cbranch_vccnz .LBB357_51
.LBB357_7:                              ; =>This Loop Header: Depth=1
                                        ;     Child Loop BB357_13 Depth 2
                                        ;       Child Loop BB357_15 Depth 3
                                        ;       Child Loop BB357_18 Depth 3
                                        ;       Child Loop BB357_21 Depth 3
                                        ;       Child Loop BB357_24 Depth 3
                                        ;     Child Loop BB357_29 Depth 2
                                        ;     Child Loop BB357_38 Depth 2
                                        ;       Child Loop BB357_40 Depth 3
                                        ;     Child Loop BB357_48 Depth 2
                                        ;       Child Loop BB357_50 Depth 3
	s_abs_i32 s1, s33
	s_mul_hi_u32 s2, s1, s36
	s_mul_i32 s3, s2, s96
	s_ashr_i32 s0, s33, 31
	s_sub_i32 s1, s1, s3
	s_xor_b32 s0, s0, s31
	s_add_i32 s3, s2, 1
	s_sub_i32 s4, s1, s96
	s_cmp_ge_u32 s1, s96
	s_cselect_b32 s2, s3, s2
	s_cselect_b32 s1, s4, s1
	s_add_i32 s3, s2, 1
	s_cmp_ge_u32 s1, s96
	s_cselect_b32 s1, s3, s2
	s_xor_b32 s1, s1, s0
	s_sub_i32 s0, s1, s0
	s_abs_i32 s2, s0
	s_mul_i32 s1, s0, s14
	s_mul_hi_u32 s3, s2, s38
	s_sub_i32 s1, s33, s1
	s_mul_i32 s4, s3, s90
	s_lshl_b32 s39, s1, 7
	s_ashr_i32 s1, s0, 31
	s_sub_i32 s2, s2, s4
	s_xor_b32 s1, s1, s37
	s_add_i32 s4, s3, 1
	s_sub_i32 s5, s2, s90
	s_cmp_ge_u32 s2, s90
	s_cselect_b32 s3, s4, s3
	s_cselect_b32 s2, s5, s2
	s_add_i32 s4, s3, 1
	s_cmp_ge_u32 s2, s90
	s_cselect_b32 s2, s4, s3
	s_xor_b32 s2, s2, s1
	s_sub_i32 s1, s2, s1
	s_mul_i32 s2, s1, s28
	s_lshl_b32 s13, s2, 6
	s_cmp_eq_u32 s1, s29
	s_cselect_b32 s4, s30, s28
	s_sub_i32 s2, s39, s92
	s_addk_i32 s2, 0x80
	s_max_i32 s5, s2, 0
	s_and_saveexec_b64 s[2:3], s[26:27]
	s_xor_b64 s[2:3], exec, s[2:3]
	v_writelane_b32 v93, s2, 23
	s_nop 1
	v_writelane_b32 v93, s3, 24
	s_cbranch_execz .LBB357_44
; %bb.8:                                ;   in Loop: Header=BB357_7 Depth=1
	s_mul_i32 s1, s1, s15
	s_sub_i32 s0, s0, s1
	s_mulk_i32 s0, 0x60
	s_sub_i32 s70, s0, s93
	s_addk_i32 s70, 0x60
	s_max_i32 s1, s70, 0
	s_sub_i32 s0, s0, s1
	v_writelane_b32 v93, s13, 25
	s_and_saveexec_b64 s[2:3], s[24:25]
	s_xor_b64 s[2:3], exec, s[2:3]
	s_cbranch_execz .LBB357_34
; %bb.9:                                ;   in Loop: Header=BB357_7 Depth=1
	s_mov_b64 s[6:7], exec
	v_writelane_b32 v93, s6, 26
	s_nop 1
	v_writelane_b32 v93, s7, 27
	s_and_b64 s[6:7], s[6:7], s[34:35]
	s_mov_b64 exec, s[6:7]
	s_cbranch_execz .LBB357_33
; %bb.10:                               ;   in Loop: Header=BB357_7 Depth=1
	global_load_dword v84, v49, s[22:23]
	v_mov_b32_e32 v47, 0
	v_cmp_gt_i32_e32 vcc, s4, v83
	v_mov_b32_e32 v46, v47
	v_mov_b32_e32 v45, v47
	;; [unrolled: 1-line block ×47, first 2 shown]
	s_and_saveexec_b64 s[6:7], vcc
	s_cbranch_execz .LBB357_26
; %bb.11:                               ;   in Loop: Header=BB357_7 Depth=1
	v_mov_b32_e32 v0, 0
	s_mov_b64 s[8:9], 0
	v_mov_b32_e32 v1, v0
	v_mov_b32_e32 v2, v0
	;; [unrolled: 1-line block ×47, first 2 shown]
	s_branch .LBB357_13
.LBB357_12:                             ;   in Loop: Header=BB357_13 Depth=2
	s_or_b64 exec, exec, s[10:11]
	v_add_u32_e32 v89, 0x1000, v88
	ds_read2_b32 v[90:91], v89 offset1:32
	v_add_u32_e32 v83, s99, v83
	s_waitcnt lgkmcnt(0)
	v_mfma_f32_32x32x16_fp8_fp8 v[0:15], v[60:61], v[90:91], v[0:15]
	ds_read2_b32 v[60:61], v89 offset0:128 offset1:160
	s_waitcnt lgkmcnt(0)
	v_mfma_f32_32x32x16_fp8_fp8 v[0:15], v[58:59], v[60:61], v[0:15]
	v_add_u32_e32 v60, 0x1400, v88
	ds_read2_b32 v[58:59], v60 offset1:32
	ds_read2_b32 v[60:61], v60 offset0:128 offset1:160
	ds_write_b32 v86, v87 offset:57364
	s_waitcnt lgkmcnt(2)
	v_mfma_f32_32x32x16_fp8_fp8 v[0:15], v[56:57], v[58:59], v[0:15]
	v_add_u32_e32 v56, s99, v85
	v_add_u32_e32 v57, 2, v63
	v_cmp_lt_i32_e32 vcc, 3, v56
	s_nop 1
	v_cndmask_b32_e32 v63, v63, v57, vcc
	v_cmp_le_i32_e32 vcc, s4, v83
	s_waitcnt lgkmcnt(1)
	v_mfma_f32_32x32x16_fp8_fp8 v[0:15], v[54:55], v[60:61], v[0:15]
	s_or_b64 s[8:9], vcc, s[8:9]
	s_andn2_b64 exec, exec, s[8:9]
	s_cbranch_execz .LBB357_25
.LBB357_13:                             ;   Parent Loop BB357_7 Depth=1
                                        ; =>  This Loop Header: Depth=2
                                        ;       Child Loop BB357_15 Depth 3
                                        ;       Child Loop BB357_18 Depth 3
                                        ;       Child Loop BB357_21 Depth 3
                                        ;       Child Loop BB357_24 Depth 3
	v_cmp_gt_i32_e32 vcc, 4, v56
	s_nop 1
	v_cndmask_b32_e64 v54, -4, 0, vcc
	v_add_u32_e32 v85, v54, v56
	v_mul_lo_u32 v86, v85, 24
	ds_read_b32 v54, v86 offset:57344
	s_waitcnt lgkmcnt(0)
	v_cmp_ne_u32_e32 vcc, v54, v63
	s_and_saveexec_b64 s[10:11], vcc
	s_cbranch_execz .LBB357_16
; %bb.14:                               ;   in Loop: Header=BB357_13 Depth=2
	s_mov_b64 s[12:13], 0
.LBB357_15:                             ;   Parent Loop BB357_7 Depth=1
                                        ;     Parent Loop BB357_13 Depth=2
                                        ; =>    This Inner Loop Header: Depth=3
	;;#ASMSTART
	s_sleep 0
	;;#ASMEND
	ds_read_b32 v54, v86 offset:57344
	s_waitcnt lgkmcnt(0)
	v_cmp_eq_u32_e32 vcc, v54, v63
	s_or_b64 s[12:13], vcc, s[12:13]
	s_andn2_b64 exec, exec, s[12:13]
	s_cbranch_execnz .LBB357_15
.LBB357_16:                             ;   in Loop: Header=BB357_13 Depth=2
	s_or_b64 exec, exec, s[10:11]
	v_lshl_or_b32 v54, v85, 11, v65
	ds_read2_b32 v[60:61], v54 offset1:32
	ds_read2_b32 v[58:59], v54 offset0:128 offset1:160
	v_add_u32_e32 v54, 0x400, v54
	ds_read2_b32 v[56:57], v54 offset1:32
	ds_read_b32 v88, v86 offset:57348
	ds_read2_b32 v[54:55], v54 offset0:128 offset1:160
	v_add_u32_e32 v87, 1, v63
	ds_write_b32 v86, v87 offset:57344
	s_waitcnt lgkmcnt(2)
	v_cmp_ne_u32_e32 vcc, v88, v63
	s_and_saveexec_b64 s[10:11], vcc
	s_cbranch_execz .LBB357_19
; %bb.17:                               ;   in Loop: Header=BB357_13 Depth=2
	s_mov_b64 s[12:13], 0
.LBB357_18:                             ;   Parent Loop BB357_7 Depth=1
                                        ;     Parent Loop BB357_13 Depth=2
                                        ; =>    This Inner Loop Header: Depth=3
	;;#ASMSTART
	s_sleep 0
	;;#ASMEND
	ds_read_b32 v88, v86 offset:57348
	s_waitcnt lgkmcnt(0)
	v_cmp_eq_u32_e32 vcc, v88, v63
	s_or_b64 s[12:13], vcc, s[12:13]
	s_andn2_b64 exec, exec, s[12:13]
	s_cbranch_execnz .LBB357_18
.LBB357_19:                             ;   in Loop: Header=BB357_13 Depth=2
	s_or_b64 exec, exec, s[10:11]
	s_movk_i32 s1, 0x1800
	v_mul_lo_u32 v88, v85, s1
	v_add_u32_e32 v88, v66, v88
	ds_read2_b32 v[90:91], v88 offset1:32
	v_add_u32_e32 v89, 0x400, v88
	ds_write_b32 v86, v87 offset:57348
	s_waitcnt lgkmcnt(1)
	v_mfma_f32_32x32x16_fp8_fp8 v[32:47], v[60:61], v[90:91], v[32:47]
	ds_read2_b32 v[90:91], v88 offset0:128 offset1:160
	s_waitcnt lgkmcnt(0)
	v_mfma_f32_32x32x16_fp8_fp8 v[32:47], v[58:59], v[90:91], v[32:47]
	ds_read2_b32 v[90:91], v89 offset1:32
	s_waitcnt lgkmcnt(0)
	v_mfma_f32_32x32x16_fp8_fp8 v[32:47], v[56:57], v[90:91], v[32:47]
	ds_read2_b32 v[90:91], v89 offset0:128 offset1:160
	ds_read_b32 v89, v86 offset:57356
	s_waitcnt lgkmcnt(0)
	v_cmp_ne_u32_e32 vcc, v89, v63
	v_mfma_f32_32x32x16_fp8_fp8 v[32:47], v[54:55], v[90:91], v[32:47]
	s_and_saveexec_b64 s[10:11], vcc
	s_cbranch_execz .LBB357_22
; %bb.20:                               ;   in Loop: Header=BB357_13 Depth=2
	s_mov_b64 s[12:13], 0
.LBB357_21:                             ;   Parent Loop BB357_7 Depth=1
                                        ;     Parent Loop BB357_13 Depth=2
                                        ; =>    This Inner Loop Header: Depth=3
	;;#ASMSTART
	s_sleep 0
	;;#ASMEND
	ds_read_b32 v89, v86 offset:57356
	s_waitcnt lgkmcnt(0)
	v_cmp_eq_u32_e32 vcc, v89, v63
	s_or_b64 s[12:13], vcc, s[12:13]
	s_andn2_b64 exec, exec, s[12:13]
	s_cbranch_execnz .LBB357_21
.LBB357_22:                             ;   in Loop: Header=BB357_13 Depth=2
	s_or_b64 exec, exec, s[10:11]
	v_add_u32_e32 v89, 0x800, v88
	ds_read2_b32 v[90:91], v89 offset1:32
	s_waitcnt lgkmcnt(0)
	v_mfma_f32_32x32x16_fp8_fp8 v[16:31], v[60:61], v[90:91], v[16:31]
	ds_read2_b32 v[90:91], v89 offset0:128 offset1:160
	v_add_u32_e32 v89, 0xc00, v88
	s_waitcnt lgkmcnt(0)
	v_mfma_f32_32x32x16_fp8_fp8 v[16:31], v[58:59], v[90:91], v[16:31]
	ds_read2_b32 v[90:91], v89 offset1:32
	s_waitcnt lgkmcnt(0)
	v_mfma_f32_32x32x16_fp8_fp8 v[16:31], v[56:57], v[90:91], v[16:31]
	ds_read_b32 v92, v86 offset:57364
	ds_read2_b32 v[90:91], v89 offset0:128 offset1:160
	ds_write_b32 v86, v87 offset:57356
	s_waitcnt lgkmcnt(2)
	v_cmp_ne_u32_e32 vcc, v92, v63
	s_waitcnt lgkmcnt(1)
	v_mfma_f32_32x32x16_fp8_fp8 v[16:31], v[54:55], v[90:91], v[16:31]
	s_and_saveexec_b64 s[10:11], vcc
	s_cbranch_execz .LBB357_12
; %bb.23:                               ;   in Loop: Header=BB357_13 Depth=2
	s_mov_b64 s[12:13], 0
.LBB357_24:                             ;   Parent Loop BB357_7 Depth=1
                                        ;     Parent Loop BB357_13 Depth=2
                                        ; =>    This Inner Loop Header: Depth=3
	;;#ASMSTART
	s_sleep 0
	;;#ASMEND
	ds_read_b32 v89, v86 offset:57364
	s_waitcnt lgkmcnt(0)
	v_cmp_eq_u32_e32 vcc, v89, v63
	s_or_b64 s[12:13], vcc, s[12:13]
	s_andn2_b64 exec, exec, s[12:13]
	s_cbranch_execnz .LBB357_24
	s_branch .LBB357_12
.LBB357_25:                             ;   in Loop: Header=BB357_7 Depth=1
	s_or_b64 exec, exec, s[8:9]
.LBB357_26:                             ;   in Loop: Header=BB357_7 Depth=1
	s_or_b64 exec, exec, s[6:7]
	v_cmp_le_i32_e32 vcc, s70, v64
	v_cmp_eq_u32_e64 s[60:61], 1, v67
	v_cmp_eq_u32_e64 s[26:27], 2, v67
	s_waitcnt vmcnt(0)
	v_cndmask_b32_e32 v54, 0, v84, vcc
	v_pk_mul_f32 v[32:33], v[54:55], v[32:33] op_sel_hi:[0,1]
	v_pk_mul_f32 v[46:47], v[54:55], v[46:47] op_sel_hi:[0,1]
	;; [unrolled: 1-line block ×8, first 2 shown]
	v_cndmask_b32_e64 v54, v32, v33, s[60:61]
	v_cndmask_b32_e64 v54, v54, v34, s[26:27]
	v_cmp_eq_u32_e64 s[40:41], 3, v67
	v_cmp_eq_u32_e64 s[42:43], 4, v67
	v_cmp_eq_u32_e64 s[44:45], 5, v67
	v_cndmask_b32_e64 v54, v54, v35, s[40:41]
	v_cndmask_b32_e64 v54, v54, v36, s[42:43]
	v_cndmask_b32_e64 v54, v54, v37, s[44:45]
	v_cmp_eq_u32_e64 s[46:47], 6, v67
	v_cmp_eq_u32_e64 s[48:49], 7, v67
	v_cmp_eq_u32_e64 s[50:51], 8, v67
	v_cndmask_b32_e64 v54, v54, v38, s[46:47]
	;; [unrolled: 6-line block ×4, first 2 shown]
	v_cndmask_b32_e64 v54, v54, v45, s[62:63]
	v_cndmask_b32_e64 v54, v54, v46, s[64:65]
	v_cmp_eq_u32_e64 s[66:67], 15, v67
	s_mul_i32 s6, s39, s93
	s_ashr_i32 s7, s6, 31
	v_cndmask_b32_e64 v54, v54, v47, s[66:67]
	ds_bpermute_b32 v54, v82, v54
	s_lshl_b64 s[6:7], s[6:7], 1
	v_cmp_eq_u32_e64 s[36:37], 0, v67
	s_add_u32 s71, s20, s6
	v_cmp_eq_u32_e32 vcc, 1, v68
	s_waitcnt lgkmcnt(0)
	v_cndmask_b32_e64 v47, v47, v54, s[66:67]
	v_cndmask_b32_e64 v46, v46, v54, s[64:65]
	;; [unrolled: 1-line block ×16, first 2 shown]
	s_addc_u32 s72, s21, s7
	v_cndmask_b32_e32 v32, v54, v86, vcc
	v_cmp_eq_u32_e64 s[6:7], 2, v68
	v_cmp_eq_u32_e64 s[8:9], 3, v68
	v_cmp_eq_u32_e64 s[10:11], 4, v68
	v_cndmask_b32_e64 v32, v32, v85, s[6:7]
	v_cndmask_b32_e64 v32, v32, v61, s[8:9]
	v_cndmask_b32_e64 v32, v32, v60, s[10:11]
	v_cmp_eq_u32_e64 s[12:13], 5, v68
	v_cmp_eq_u32_e64 s[14:15], 6, v68
	v_cmp_eq_u32_e64 s[16:17], 7, v68
	v_cndmask_b32_e64 v32, v32, v59, s[12:13]
	v_cndmask_b32_e64 v32, v32, v58, s[14:15]
	v_cndmask_b32_e64 v32, v32, v57, s[16:17]
	;; [unrolled: 6-line block ×4, first 2 shown]
	v_cmp_eq_u32_e64 s[34:35], 14, v68
	v_writelane_b32 v93, s39, 28
	v_cmp_eq_u32_e64 s[38:39], 15, v68
	v_cndmask_b32_e64 v32, v32, v46, s[34:35]
	s_ashr_i32 s1, s0, 31
	v_cndmask_b32_e64 v32, v32, v47, s[38:39]
	ds_bpermute_b32 v55, v82, v32
	s_lshl_b64 s[68:69], s[0:1], 1
	s_add_u32 s68, s71, s68
	s_addc_u32 s69, s72, s69
	v_writelane_b32 v93, s68, 29
	s_waitcnt lgkmcnt(0)
	v_cndmask_b32_e64 v33, v47, v55, s[38:39]
	v_cndmask_b32_e64 v38, v42, v55, s[22:23]
	v_writelane_b32 v93, s69, 30
	v_cmp_le_i32_e64 s[68:69], s70, v75
	v_cmp_le_i32_e64 s[70:71], s70, v76
	v_cndmask_b32_e64 v42, v58, v55, s[14:15]
	v_cndmask_b32_e64 v32, 0, v84, s[68:69]
	;; [unrolled: 1-line block ×3, first 2 shown]
	v_pk_mul_f32 v[16:17], v[32:33], v[16:17] op_sel_hi:[0,1]
	v_pk_mul_f32 v[0:1], v[58:59], v[0:1] op_sel_hi:[0,1]
	v_cndmask_b32_e64 v35, v45, v55, s[30:31]
	v_cndmask_b32_e64 v36, v44, v55, s[28:29]
	v_cndmask_b32_e64 v44, v60, v55, s[10:11]
	v_cndmask_b32_e64 v45, v61, v55, s[8:9]
	v_pk_mul_f32 v[30:31], v[32:33], v[30:31] op_sel_hi:[0,1]
	v_pk_mul_f32 v[28:29], v[32:33], v[28:29] op_sel_hi:[0,1]
	;; [unrolled: 1-line block ×7, first 2 shown]
	v_cndmask_b32_e64 v32, v16, v17, s[60:61]
	v_pk_mul_f32 v[60:61], v[58:59], v[4:5] op_sel_hi:[0,1]
	v_pk_mul_f32 v[2:3], v[58:59], v[2:3] op_sel_hi:[0,1]
	v_cndmask_b32_e64 v4, v0, v1, s[60:61]
	v_cndmask_b32_e64 v32, v32, v18, s[26:27]
	;; [unrolled: 1-line block ×8, first 2 shown]
	v_pk_mul_f32 v[6:7], v[58:59], v[6:7] op_sel_hi:[0,1]
	v_cndmask_b32_e64 v4, v4, v61, s[44:45]
	v_cndmask_b32_e64 v32, v32, v22, s[46:47]
	v_cndmask_b32_e64 v4, v4, v6, s[46:47]
	v_cndmask_b32_e64 v32, v32, v23, s[48:49]
	v_pk_mul_f32 v[8:9], v[58:59], v[8:9] op_sel_hi:[0,1]
	v_cndmask_b32_e64 v4, v4, v7, s[48:49]
	v_cndmask_b32_e64 v32, v32, v24, s[50:51]
	v_cndmask_b32_e64 v4, v4, v8, s[50:51]
	v_cndmask_b32_e64 v32, v32, v25, s[52:53]
	v_pk_mul_f32 v[10:11], v[58:59], v[10:11] op_sel_hi:[0,1]
	v_cndmask_b32_e64 v4, v4, v9, s[52:53]
	v_cndmask_b32_e64 v32, v32, v26, s[54:55]
	v_cndmask_b32_e64 v4, v4, v10, s[54:55]
	v_cndmask_b32_e64 v32, v32, v27, s[56:57]
	v_pk_mul_f32 v[12:13], v[58:59], v[12:13] op_sel_hi:[0,1]
	v_cndmask_b32_e64 v4, v4, v11, s[56:57]
	v_cndmask_b32_e64 v32, v32, v28, s[58:59]
	v_cndmask_b32_e64 v4, v4, v12, s[58:59]
	v_cndmask_b32_e64 v32, v32, v29, s[62:63]
	v_pk_mul_f32 v[14:15], v[58:59], v[14:15] op_sel_hi:[0,1]
	v_cndmask_b32_e64 v4, v4, v13, s[62:63]
	v_cndmask_b32_e64 v32, v32, v30, s[64:65]
	v_cndmask_b32_e64 v4, v4, v14, s[64:65]
	v_cndmask_b32_e64 v32, v32, v31, s[66:67]
	v_cndmask_b32_e64 v4, v4, v15, s[66:67]
	ds_bpermute_b32 v32, v82, v32
	ds_bpermute_b32 v5, v82, v4
	v_cmp_eq_u32_e64 s[68:69], 0, v68
	v_cndmask_b32_e32 v47, v86, v55, vcc
	v_cmp_eq_u32_e64 s[70:71], 1, v69
	v_cndmask_b32_e64 v54, v54, v55, s[68:69]
	v_cndmask_b32_e64 v34, v46, v55, s[34:35]
	;; [unrolled: 1-line block ×9, first 2 shown]
	s_waitcnt lgkmcnt(1)
	v_cndmask_b32_e64 v4, v17, v32, s[60:61]
	v_cmp_eq_u32_e64 s[60:61], 2, v69
	v_cndmask_b32_e64 v18, v18, v32, s[26:27]
	s_waitcnt lgkmcnt(0)
	v_cndmask_b32_e64 v2, v2, v5, s[26:27]
	v_cmp_ne_u32_e64 s[26:27], 0, v67
	v_cndmask_b32_e64 v17, v55, v46, s[60:61]
	v_cndmask_b32_e64 v31, v31, v32, s[66:67]
	;; [unrolled: 1-line block ×3, first 2 shown]
	v_cmp_eq_u32_e64 s[66:67], 3, v69
	v_cndmask_b32_e64 v1, v1, v5, s[26:27]
	v_cndmask_b32_e64 v16, v16, v32, s[36:37]
	;; [unrolled: 1-line block ×6, first 2 shown]
	v_cmp_eq_u32_e64 s[64:65], 4, v69
	v_cndmask_b32_e64 v29, v29, v32, s[62:63]
	v_cndmask_b32_e64 v13, v13, v5, s[62:63]
	;; [unrolled: 1-line block ×22, first 2 shown]
	v_cndmask_b32_e32 v32, v16, v4, vcc
	v_cndmask_b32_e32 v5, v0, v1, vcc
	v_cndmask_b32_e64 v17, v17, v44, s[64:65]
	v_cmp_eq_u32_e64 s[62:63], 5, v69
	v_cndmask_b32_e64 v32, v32, v18, s[6:7]
	v_cndmask_b32_e64 v5, v5, v2, s[6:7]
	v_cndmask_b32_e64 v17, v17, v43, s[62:63]
	v_cmp_eq_u32_e64 s[58:59], 6, v69
	v_cndmask_b32_e64 v32, v32, v19, s[8:9]
	v_cndmask_b32_e64 v5, v5, v3, s[8:9]
	;; [unrolled: 4-line block ×11, first 2 shown]
	v_cndmask_b32_e64 v17, v17, v33, s[82:83]
	v_cndmask_b32_e64 v32, v32, v29, s[30:31]
	;; [unrolled: 1-line block ×3, first 2 shown]
	ds_bpermute_b32 v17, v82, v17
	v_cndmask_b32_e64 v32, v32, v30, s[34:35]
	v_cndmask_b32_e64 v5, v5, v14, s[34:35]
	;; [unrolled: 1-line block ×4, first 2 shown]
	ds_bpermute_b32 v32, v82, v32
	ds_bpermute_b32 v5, v82, v5
	v_cmp_eq_u32_e64 s[42:43], 0, v69
	s_waitcnt lgkmcnt(2)
	v_cndmask_b32_e64 v33, v33, v17, s[82:83]
	v_cndmask_b32_e64 v34, v34, v17, s[76:77]
	;; [unrolled: 1-line block ×16, first 2 shown]
	v_cmp_eq_u32_e64 s[26:27], 1, v70
	v_cmp_eq_u32_e64 s[36:37], 2, v70
	s_waitcnt lgkmcnt(1)
	v_cndmask_b32_e64 v30, v30, v32, s[34:35]
	v_cndmask_b32_e64 v54, v17, v47, s[26:27]
	;; [unrolled: 1-line block ×3, first 2 shown]
	s_waitcnt lgkmcnt(0)
	v_cndmask_b32_e64 v14, v14, v5, s[34:35]
	v_cmp_eq_u32_e64 s[34:35], 3, v70
	v_cndmask_b32_e32 v4, v4, v32, vcc
	v_cndmask_b32_e32 v1, v1, v5, vcc
	v_cndmask_b32_e64 v16, v16, v32, s[68:69]
	v_cndmask_b32_e64 v0, v0, v5, s[68:69]
	;; [unrolled: 1-line block ×7, first 2 shown]
	v_cmp_eq_u32_e64 s[30:31], 4, v70
	v_cndmask_b32_e64 v28, v28, v32, s[28:29]
	v_cndmask_b32_e64 v12, v12, v5, s[28:29]
	;; [unrolled: 1-line block ×25, first 2 shown]
	v_cmp_eq_u32_e64 s[38:39], 5, v70
	v_cndmask_b32_e64 v32, v32, v18, s[60:61]
	v_cndmask_b32_e64 v5, v5, v2, s[60:61]
	v_cndmask_b32_e64 v54, v54, v43, s[38:39]
	v_cmp_eq_u32_e64 s[24:25], 6, v70
	v_cndmask_b32_e64 v32, v32, v19, s[66:67]
	v_cndmask_b32_e64 v5, v5, v3, s[66:67]
	v_cndmask_b32_e64 v54, v54, v42, s[24:25]
	v_cmp_eq_u32_e64 s[22:23], 7, v70
	v_cndmask_b32_e64 v32, v32, v20, s[64:65]
	v_cndmask_b32_e64 v5, v5, v57, s[64:65]
	v_cndmask_b32_e64 v54, v54, v41, s[22:23]
	v_cmp_eq_u32_e64 s[20:21], 8, v70
	v_cndmask_b32_e64 v32, v32, v21, s[62:63]
	v_cndmask_b32_e64 v5, v5, v55, s[62:63]
	v_cndmask_b32_e64 v54, v54, v40, s[20:21]
	v_cmp_eq_u32_e64 s[72:73], 9, v70
	v_cndmask_b32_e64 v32, v32, v22, s[58:59]
	v_cndmask_b32_e64 v5, v5, v6, s[58:59]
	v_cndmask_b32_e64 v54, v54, v39, s[72:73]
	v_cmp_eq_u32_e64 s[74:75], 10, v70
	v_cndmask_b32_e64 v32, v32, v23, s[56:57]
	v_cndmask_b32_e64 v5, v5, v7, s[56:57]
	v_cndmask_b32_e64 v54, v54, v38, s[74:75]
	v_cmp_eq_u32_e64 s[78:79], 11, v70
	v_cndmask_b32_e64 v32, v32, v24, s[54:55]
	v_cndmask_b32_e64 v5, v5, v8, s[54:55]
	v_cndmask_b32_e64 v54, v54, v37, s[78:79]
	v_cmp_eq_u32_e64 s[80:81], 12, v70
	v_cndmask_b32_e64 v32, v32, v25, s[52:53]
	v_cndmask_b32_e64 v5, v5, v9, s[52:53]
	v_cndmask_b32_e64 v54, v54, v36, s[80:81]
	v_cmp_eq_u32_e64 s[12:13], 13, v70
	v_cndmask_b32_e64 v32, v32, v26, s[50:51]
	v_cndmask_b32_e64 v5, v5, v10, s[50:51]
	v_cndmask_b32_e64 v54, v54, v35, s[12:13]
	v_cmp_eq_u32_e64 s[10:11], 14, v70
	v_cndmask_b32_e64 v32, v32, v27, s[48:49]
	v_cndmask_b32_e64 v5, v5, v11, s[48:49]
	v_cndmask_b32_e64 v54, v54, v34, s[10:11]
	v_cmp_eq_u32_e64 s[86:87], 15, v70
	v_cndmask_b32_e64 v32, v32, v28, s[46:47]
	v_cndmask_b32_e64 v5, v5, v12, s[46:47]
	v_cndmask_b32_e64 v54, v54, v33, s[86:87]
	v_cndmask_b32_e64 v32, v32, v29, s[44:45]
	v_cndmask_b32_e64 v5, v5, v13, s[44:45]
	ds_bpermute_b32 v54, v82, v54
	v_cndmask_b32_e64 v32, v32, v30, s[76:77]
	v_cndmask_b32_e64 v5, v5, v14, s[76:77]
	v_cndmask_b32_e64 v32, v32, v31, s[82:83]
	v_cndmask_b32_e64 v5, v5, v15, s[82:83]
	ds_bpermute_b32 v32, v82, v32
	ds_bpermute_b32 v5, v82, v5
	v_cmp_eq_u32_e64 s[16:17], 0, v70
	s_waitcnt lgkmcnt(2)
	v_cndmask_b32_e64 v47, v47, v54, s[26:27]
	v_cmp_eq_u32_e64 s[8:9], 1, v71
	v_cndmask_b32_e64 v17, v17, v54, s[16:17]
	v_cndmask_b32_e64 v33, v33, v54, s[86:87]
	;; [unrolled: 1-line block ×16, first 2 shown]
	v_cmp_eq_u32_e64 s[14:15], 2, v71
	v_cmp_eq_u32_e64 s[18:19], 3, v71
	s_waitcnt lgkmcnt(1)
	v_cndmask_b32_e64 v4, v4, v32, s[70:71]
	v_cndmask_b32_e64 v54, v54, v46, s[14:15]
	s_waitcnt lgkmcnt(0)
	v_cndmask_b32_e64 v1, v1, v5, s[70:71]
	v_cndmask_b32_e64 v16, v16, v32, s[42:43]
	;; [unrolled: 1-line block ×10, first 2 shown]
	v_cmp_eq_u32_e64 s[28:29], 4, v71
	v_cndmask_b32_e64 v28, v28, v32, s[46:47]
	v_cndmask_b32_e64 v12, v12, v5, s[46:47]
	;; [unrolled: 1-line block ×25, first 2 shown]
	v_cmp_eq_u32_e64 s[40:41], 5, v71
	v_cndmask_b32_e64 v32, v32, v18, s[36:37]
	v_cndmask_b32_e64 v5, v5, v2, s[36:37]
	v_cndmask_b32_e64 v54, v54, v43, s[40:41]
	v_cmp_eq_u32_e64 s[48:49], 6, v71
	v_cndmask_b32_e64 v32, v32, v19, s[34:35]
	v_cndmask_b32_e64 v5, v5, v3, s[34:35]
	v_cndmask_b32_e64 v54, v54, v42, s[48:49]
	;; [unrolled: 4-line block ×11, first 2 shown]
	v_cndmask_b32_e64 v32, v32, v29, s[12:13]
	v_cndmask_b32_e64 v5, v5, v13, s[12:13]
	ds_bpermute_b32 v54, v82, v54
	v_cndmask_b32_e64 v32, v32, v30, s[10:11]
	v_cndmask_b32_e64 v5, v5, v14, s[10:11]
	;; [unrolled: 1-line block ×4, first 2 shown]
	ds_bpermute_b32 v32, v82, v32
	ds_bpermute_b32 v5, v82, v5
	v_cmp_eq_u32_e64 s[60:61], 0, v71
	s_waitcnt lgkmcnt(2)
	v_cndmask_b32_e64 v47, v47, v54, s[8:9]
	v_cmp_eq_u32_e32 vcc, 1, v72
	v_cndmask_b32_e64 v17, v17, v54, s[60:61]
	v_cndmask_b32_e64 v33, v33, v54, s[88:89]
	;; [unrolled: 1-line block ×15, first 2 shown]
	v_cndmask_b32_e32 v54, v17, v47, vcc
	v_cmp_eq_u32_e64 s[6:7], 2, v72
	s_waitcnt lgkmcnt(1)
	v_cndmask_b32_e64 v30, v30, v32, s[10:11]
	s_waitcnt lgkmcnt(0)
	v_cndmask_b32_e64 v14, v14, v5, s[10:11]
	v_cndmask_b32_e64 v54, v54, v46, s[6:7]
	v_cmp_eq_u32_e64 s[10:11], 3, v72
	v_cndmask_b32_e64 v29, v29, v32, s[12:13]
	v_cndmask_b32_e64 v13, v13, v5, s[12:13]
	;; [unrolled: 1-line block ×3, first 2 shown]
	v_cmp_eq_u32_e64 s[12:13], 4, v72
	v_cmp_eq_u32_e64 s[42:43], 5, v72
	;; [unrolled: 1-line block ×3, first 2 shown]
	v_cndmask_b32_e64 v54, v54, v44, s[12:13]
	v_cndmask_b32_e64 v54, v54, v43, s[42:43]
	;; [unrolled: 1-line block ×7, first 2 shown]
	v_cmp_eq_u32_e64 s[52:53], 7, v72
	v_cndmask_b32_e64 v9, v9, v5, s[72:73]
	v_cndmask_b32_e64 v8, v8, v5, s[20:21]
	;; [unrolled: 1-line block ×11, first 2 shown]
	v_cmp_eq_u32_e64 s[54:55], 8, v72
	v_cndmask_b32_e64 v0, v5, v58, s[8:9]
	v_cndmask_b32_e64 v31, v31, v32, s[86:87]
	;; [unrolled: 1-line block ×8, first 2 shown]
	v_cmp_eq_u32_e64 s[56:57], 9, v72
	v_cndmask_b32_e64 v23, v23, v32, s[22:23]
	v_cndmask_b32_e64 v22, v22, v32, s[24:25]
	v_cndmask_b32_e64 v21, v21, v32, s[38:39]
	v_cndmask_b32_e64 v20, v20, v32, s[30:31]
	v_cndmask_b32_e64 v19, v19, v32, s[34:35]
	v_cndmask_b32_e64 v18, v18, v32, s[36:37]
	v_cndmask_b32_e64 v4, v4, v32, s[26:27]
	v_cndmask_b32_e64 v32, v16, v32, s[16:17]
	v_cndmask_b32_e64 v0, v0, v2, s[14:15]
	v_cndmask_b32_e64 v54, v54, v39, s[56:57]
	v_cmp_eq_u32_e64 s[62:63], 10, v72
	v_cndmask_b32_e64 v1, v32, v4, s[8:9]
	v_cndmask_b32_e64 v0, v0, v3, s[18:19]
	v_cndmask_b32_e64 v54, v54, v38, s[62:63]
	v_cmp_eq_u32_e64 s[66:67], 11, v72
	v_cndmask_b32_e64 v1, v1, v18, s[14:15]
	v_cndmask_b32_e64 v0, v0, v57, s[28:29]
	v_cndmask_b32_e64 v54, v54, v37, s[66:67]
	;; [unrolled: 4-line block ×6, first 2 shown]
	v_cndmask_b32_e64 v1, v1, v23, s[46:47]
	v_cndmask_b32_e64 v0, v0, v9, s[68:69]
	ds_bpermute_b32 v54, v82, v54
	v_cndmask_b32_e64 v1, v1, v24, s[44:45]
	v_cndmask_b32_e64 v0, v0, v10, s[76:77]
	;; [unrolled: 1-line block ×10, first 2 shown]
	v_cmp_eq_u32_e64 s[34:35], 0, v72
	s_waitcnt lgkmcnt(0)
	v_cndmask_b32_e32 v47, v47, v54, vcc
	v_cndmask_b32_e64 v1, v1, v29, s[64:65]
	v_cndmask_b32_e64 v0, v0, v15, s[88:89]
	;; [unrolled: 1-line block ×3, first 2 shown]
	v_cmp_eq_u32_e64 s[16:17], 1, v73
	v_cndmask_b32_e64 v46, v46, v54, s[6:7]
	v_cndmask_b32_e64 v1, v1, v30, s[84:85]
	ds_bpermute_b32 v60, v82, v0
	v_cndmask_b32_e64 v0, v17, v47, s[16:17]
	v_cmp_eq_u32_e64 s[20:21], 2, v73
	v_cndmask_b32_e64 v45, v45, v54, s[10:11]
	v_cndmask_b32_e64 v1, v1, v31, s[88:89]
	;; [unrolled: 1-line block ×3, first 2 shown]
	v_cmp_eq_u32_e64 s[22:23], 3, v73
	v_cndmask_b32_e64 v44, v44, v54, s[12:13]
	ds_bpermute_b32 v59, v82, v1
	v_cndmask_b32_e64 v0, v0, v45, s[22:23]
	v_cmp_eq_u32_e64 s[24:25], 4, v73
	v_cndmask_b32_e64 v43, v43, v54, s[42:43]
	v_cmp_eq_u32_e64 s[26:27], 5, v73
	v_cndmask_b32_e64 v0, v0, v44, s[24:25]
	v_cndmask_b32_e64 v42, v42, v54, s[50:51]
	;; [unrolled: 1-line block ×3, first 2 shown]
	v_cmp_eq_u32_e64 s[30:31], 6, v73
	v_cndmask_b32_e64 v41, v41, v54, s[52:53]
	v_cmp_eq_u32_e64 s[36:37], 7, v73
	v_cndmask_b32_e64 v0, v0, v42, s[30:31]
	v_cndmask_b32_e64 v40, v40, v54, s[54:55]
	;; [unrolled: 1-line block ×3, first 2 shown]
	v_cmp_eq_u32_e64 s[38:39], 8, v73
	v_cndmask_b32_e64 v39, v39, v54, s[56:57]
	s_waitcnt lgkmcnt(0)
	v_cndmask_b32_e64 v24, v24, v59, s[44:45]
	v_cndmask_b32_e64 v0, v0, v40, s[38:39]
	v_cndmask_b32_e64 v8, v8, v60, s[44:45]
	v_cmp_eq_u32_e64 s[44:45], 9, v73
	v_cndmask_b32_e64 v38, v38, v54, s[62:63]
	v_cndmask_b32_e64 v23, v23, v59, s[46:47]
	v_cndmask_b32_e64 v0, v0, v39, s[44:45]
	v_cndmask_b32_e64 v7, v7, v60, s[46:47]
	v_cmp_eq_u32_e64 s[46:47], 10, v73
	v_cndmask_b32_e64 v37, v37, v54, s[66:67]
	;; [unrolled: 5-line block ×3, first 2 shown]
	v_cndmask_b32_e64 v34, v34, v54, s[74:75]
	v_cndmask_b32_e64 v35, v35, v54, s[72:73]
	;; [unrolled: 1-line block ×6, first 2 shown]
	v_cmp_eq_u32_e64 s[40:41], 12, v73
	v_cndmask_b32_e64 v20, v20, v59, s[28:29]
	v_cndmask_b32_e64 v55, v57, v60, s[28:29]
	v_cndmask_b32_e64 v0, v0, v36, s[40:41]
	v_cmp_eq_u32_e64 s[28:29], 13, v73
	v_cndmask_b32_e64 v27, v27, v59, s[58:59]
	v_cndmask_b32_e64 v11, v11, v60, s[58:59]
	v_cndmask_b32_e64 v0, v0, v35, s[28:29]
	;; [unrolled: 4-line block ×4, first 2 shown]
	ds_bpermute_b32 v57, v82, v0
	v_cndmask_b32_e64 v32, v32, v59, s[60:61]
	v_cndmask_b32_e64 v18, v18, v59, s[14:15]
	;; [unrolled: 1-line block ×4, first 2 shown]
	s_waitcnt lgkmcnt(0)
	v_cndmask_b32_e64 v1, v43, v57, s[26:27]
	v_cndmask_b32_e64 v3, v45, v57, s[22:23]
	;; [unrolled: 1-line block ×5, first 2 shown]
	v_cndmask_b32_e32 v44, v32, v4, vcc
	v_cndmask_b32_e32 v5, v45, v43, vcc
	v_cndmask_b32_e64 v44, v44, v18, s[6:7]
	v_cndmask_b32_e64 v5, v5, v84, s[6:7]
	;; [unrolled: 1-line block ×38, first 2 shown]
	v_cmp_eq_u32_e64 s[76:77], 0, v73
	v_cndmask_b32_e64 v16, v46, v57, s[20:21]
	v_cndmask_b32_e64 v0, v47, v57, s[16:17]
	ds_bpermute_b32 v44, v82, v44
	ds_bpermute_b32 v46, v82, v5
	v_cndmask_b32_e64 v47, v17, v57, s[76:77]
	v_cmp_eq_u32_e64 s[8:9], 1, v74
	v_cmp_eq_u32_e64 s[14:15], 2, v74
	v_cmp_eq_u32_e64 s[18:19], 3, v74
	v_cndmask_b32_e64 v5, v47, v0, s[8:9]
	v_cndmask_b32_e64 v5, v5, v16, s[14:15]
	;; [unrolled: 1-line block ×3, first 2 shown]
	v_cmp_eq_u32_e64 s[60:61], 4, v74
	v_cmp_eq_u32_e64 s[68:69], 5, v74
	v_cndmask_b32_e64 v42, v42, v57, s[30:31]
	v_cndmask_b32_e64 v5, v5, v2, s[60:61]
	;; [unrolled: 1-line block ×3, first 2 shown]
	s_waitcnt lgkmcnt(1)
	v_cndmask_b32_e64 v27, v27, v44, s[66:67]
	s_waitcnt lgkmcnt(0)
	v_cndmask_b32_e64 v60, v11, v46, s[66:67]
	v_cmp_eq_u32_e64 s[66:67], 6, v74
	v_cndmask_b32_e32 v91, v4, v44, vcc
	v_cndmask_b32_e64 v32, v32, v44, s[34:35]
	v_cndmask_b32_e64 v41, v41, v57, s[36:37]
	v_cndmask_b32_e64 v5, v5, v42, s[66:67]
	v_cndmask_b32_e64 v26, v26, v44, s[62:63]
	v_cndmask_b32_e64 v85, v10, v46, s[62:63]
	v_cmp_eq_u32_e64 s[62:63], 7, v74
	v_cndmask_b32_e64 v18, v18, v44, s[6:7]
	v_cndmask_b32_e64 v4, v32, v91, s[16:17]
	v_cndmask_b32_e64 v40, v40, v57, s[38:39]
	v_cndmask_b32_e64 v5, v5, v41, s[62:63]
	v_cndmask_b32_e64 v25, v25, v44, s[56:57]
	v_cndmask_b32_e64 v86, v9, v46, s[56:57]
	v_cmp_eq_u32_e64 s[56:57], 8, v74
	v_cndmask_b32_e64 v19, v19, v44, s[10:11]
	;; [unrolled: 7-line block ×5, first 2 shown]
	v_cndmask_b32_e64 v36, v36, v57, s[40:41]
	v_cndmask_b32_e64 v5, v5, v37, s[50:51]
	v_cndmask_b32_e64 v54, v54, v46, s[42:43]
	v_cmp_eq_u32_e64 s[42:43], 12, v74
	v_cndmask_b32_e64 v4, v4, v22, s[30:31]
	v_cndmask_b32_e64 v35, v35, v57, s[28:29]
	v_cndmask_b32_e64 v5, v5, v36, s[42:43]
	v_cndmask_b32_e64 v55, v55, v46, s[12:13]
	v_cmp_eq_u32_e64 s[12:13], 13, v74
	v_cndmask_b32_e64 v4, v4, v23, s[36:37]
	;; [unrolled: 5-line block ×4, first 2 shown]
	v_cndmask_b32_e64 v4, v4, v26, s[46:47]
	v_cndmask_b32_e64 v5, v5, v33, s[6:7]
	;; [unrolled: 1-line block ×3, first 2 shown]
	ds_bpermute_b32 v90, v82, v5
	v_cndmask_b32_e64 v4, v4, v27, s[48:49]
	v_cndmask_b32_e64 v29, v29, v44, s[72:73]
	;; [unrolled: 1-line block ×9, first 2 shown]
	s_waitcnt lgkmcnt(0)
	v_cndmask_b32_e64 v15, v33, v90, s[6:7]
	ds_bpermute_b32 v33, v82, v4
	v_cndmask_b32_e64 v57, v14, v46, s[74:75]
	v_cndmask_b32_e64 v14, v34, v90, s[10:11]
	;; [unrolled: 1-line block ×4, first 2 shown]
	s_waitcnt lgkmcnt(0)
	v_cndmask_b32_e64 v34, v91, v33, s[16:17]
	v_cndmask_b32_e64 v32, v32, v33, s[76:77]
	;; [unrolled: 1-line block ×32, first 2 shown]
	ds_bpermute_b32 v33, v82, v1
	v_cndmask_b32_e64 v58, v13, v46, s[72:73]
	v_cndmask_b32_e32 v43, v43, v46, vcc
	v_cndmask_b32_e64 v13, v35, v90, s[12:13]
	v_cndmask_b32_e64 v35, v45, v46, s[34:35]
	s_waitcnt lgkmcnt(0)
	v_cndmask_b32_e64 v31, v16, v33, s[6:7]
	v_cndmask_b32_e64 v16, v35, v43, s[16:17]
	;; [unrolled: 1-line block ×17, first 2 shown]
	ds_bpermute_b32 v16, v82, v16
	v_cndmask_b32_e64 v11, v37, v90, s[50:51]
	v_cndmask_b32_e64 v7, v41, v90, s[62:63]
	v_cndmask_b32_e64 v12, v36, v90, s[42:43]
	v_cndmask_b32_e64 v10, v38, v90, s[52:53]
	s_waitcnt lgkmcnt(0)
	v_cndmask_b32_e64 v37, v57, v16, s[58:59]
	v_cndmask_b32_e64 v41, v85, v16, s[46:47]
	;; [unrolled: 1-line block ×33, first 2 shown]
	ds_bpermute_b32 v87, v82, v16
	v_cmp_eq_u32_e32 vcc, 0, v74
	v_cndmask_b32_e64 v1, v0, v90, s[8:9]
	v_readlane_b32 s24, v93, 10
	v_cndmask_b32_e32 v0, v47, v90, vcc
	s_waitcnt lgkmcnt(0)
	v_cndmask_b32_e64 v47, v36, v87, s[6:7]
	v_readlane_b32 s6, v93, 29
	v_readlane_b32 s7, v93, 30
	;; [unrolled: 1-line block ×4, first 2 shown]
	v_subrev_u32_e32 v83, s4, v83
	s_mov_b32 s1, 0
	v_cndmask_b32_e64 v6, v42, v90, s[66:67]
	v_cndmask_b32_e64 v3, v3, v90, s[18:19]
	;; [unrolled: 1-line block ×16, first 2 shown]
	v_cndmask_b32_e32 v16, v32, v33, vcc
	v_cndmask_b32_e64 v46, v37, v87, s[10:11]
	v_cndmask_b32_e64 v45, v38, v87, s[12:13]
	;; [unrolled: 1-line block ×14, first 2 shown]
	v_cndmask_b32_e32 v32, v86, v87, vcc
	v_lshl_add_u64 v[54:55], s[6:7], 0, v[48:49]
	s_mov_b64 s[6:7], 0
	s_mov_b32 s16, 0
	v_readlane_b32 s25, v93, 11
	v_readlane_b32 s27, v93, 13
	;; [unrolled: 1-line block ×10, first 2 shown]
	s_mov_b64 s[20:21], 0x80
                                        ; implicit-def: $sgpr8_sgpr9
	s_branch .LBB357_29
.LBB357_27:                             ;   in Loop: Header=BB357_29 Depth=2
	s_or_b64 exec, exec, s[12:13]
	s_andn2_b64 s[8:9], s[8:9], exec
	s_and_b64 s[12:13], s[14:15], exec
	s_or_b64 s[8:9], s[8:9], s[12:13]
.LBB357_28:                             ;   in Loop: Header=BB357_29 Depth=2
	s_or_b64 exec, exec, s[10:11]
	s_and_b64 s[10:11], exec, s[8:9]
	s_or_b64 s[6:7], s[10:11], s[6:7]
	s_andn2_b64 exec, exec, s[6:7]
	s_cbranch_execz .LBB357_32
.LBB357_29:                             ;   Parent Loop BB357_7 Depth=1
                                        ; =>  This Inner Loop Header: Depth=2
	s_and_b32 s12, s1, 24
	v_or_b32_e32 v57, s12, v80
	v_add_u32_e32 v58, s5, v57
	v_cmp_gt_u32_e32 vcc, 32, v58
	s_or_b64 s[8:9], s[8:9], exec
	s_and_saveexec_b64 s[10:11], vcc
	s_cbranch_execz .LBB357_28
; %bb.30:                               ;   in Loop: Header=BB357_29 Depth=2
	s_add_i32 s13, s16, 1
	s_set_gpr_idx_on s16, gpr_idx(SRC0)
	v_mov_b32_e32 v58, v0
	s_set_gpr_idx_off
	v_cvt_f16_f32_e32 v60, v58
	s_set_gpr_idx_on s13, gpr_idx(SRC0)
	v_mov_b32_e32 v58, v0
	s_set_gpr_idx_off
	v_cvt_f16_f32_sdwa v61, v58 dst_sel:WORD_1 dst_unused:UNUSED_PAD src0_sel:DWORD
	v_mul_lo_u32 v58, v57, s93
	v_ashrrev_i32_e32 v59, 31, v58
	v_lshl_add_u64 v[58:59], v[58:59], 1, v[54:55]
	v_or_b32_e32 v57, v61, v60
	;;#ASMSTART
	global_atomic_pk_add_f16 v[58:59], v57, off
	
	;;#ASMEND
	s_set_gpr_idx_on s16, gpr_idx(SRC0)
	v_mov_b32_e32 v57, v16
	s_set_gpr_idx_off
	v_cvt_f16_f32_e32 v57, v57
	s_set_gpr_idx_on s13, gpr_idx(SRC0)
	v_mov_b32_e32 v60, v16
	s_set_gpr_idx_off
	v_cvt_f16_f32_sdwa v84, v60 dst_sel:WORD_1 dst_unused:UNUSED_PAD src0_sel:DWORD
	v_lshl_add_u64 v[60:61], v[58:59], 0, 64
	v_lshl_add_u64 v[58:59], v[58:59], 0, s[20:21]
	s_mov_b64 s[14:15], -1
	v_or_b32_e32 v57, v84, v57
	;;#ASMSTART
	global_atomic_pk_add_f16 v[60:61], v57, off
	
	;;#ASMEND
	s_set_gpr_idx_on s16, gpr_idx(SRC0)
	v_mov_b32_e32 v57, v32
	s_set_gpr_idx_off
	v_cvt_f16_f32_e32 v57, v57
	s_set_gpr_idx_on s13, gpr_idx(SRC0)
	v_mov_b32_e32 v60, v32
	s_set_gpr_idx_off
	v_cvt_f16_f32_sdwa v60, v60 dst_sel:WORD_1 dst_unused:UNUSED_PAD src0_sel:DWORD
	s_nop 0
	v_or_b32_e32 v57, v60, v57
	;;#ASMSTART
	global_atomic_pk_add_f16 v[58:59], v57, off
	
	;;#ASMEND
	v_or_b32_e32 v57, s12, v81
	v_add_u32_e32 v58, s5, v57
	v_cmp_gt_u32_e32 vcc, 32, v58
	s_and_saveexec_b64 s[12:13], vcc
	s_cbranch_execz .LBB357_27
; %bb.31:                               ;   in Loop: Header=BB357_29 Depth=2
	s_add_i32 s14, s16, 2
	s_add_i32 s15, s16, 3
	s_set_gpr_idx_on s14, gpr_idx(SRC0)
	v_mov_b32_e32 v58, v0
	s_set_gpr_idx_off
	v_cvt_f16_f32_e32 v60, v58
	s_set_gpr_idx_on s15, gpr_idx(SRC0)
	v_mov_b32_e32 v58, v0
	s_set_gpr_idx_off
	v_cvt_f16_f32_sdwa v61, v58 dst_sel:WORD_1 dst_unused:UNUSED_PAD src0_sel:DWORD
	v_mul_lo_u32 v58, v57, s93
	v_ashrrev_i32_e32 v59, 31, v58
	v_lshl_add_u64 v[58:59], v[58:59], 1, v[54:55]
	v_or_b32_e32 v57, v61, v60
	;;#ASMSTART
	global_atomic_pk_add_f16 v[58:59], v57, off
	
	;;#ASMEND
	s_set_gpr_idx_on s14, gpr_idx(SRC0)
	v_mov_b32_e32 v57, v16
	s_set_gpr_idx_off
	v_cvt_f16_f32_e32 v57, v57
	s_set_gpr_idx_on s15, gpr_idx(SRC0)
	v_mov_b32_e32 v60, v16
	s_set_gpr_idx_off
	v_cvt_f16_f32_sdwa v84, v60 dst_sel:WORD_1 dst_unused:UNUSED_PAD src0_sel:DWORD
	v_lshl_add_u64 v[60:61], v[58:59], 0, 64
	s_add_i32 s16, s16, 4
	s_add_i32 s1, s1, 8
	v_or_b32_e32 v57, v84, v57
	;;#ASMSTART
	global_atomic_pk_add_f16 v[60:61], v57, off
	
	;;#ASMEND
	s_set_gpr_idx_on s14, gpr_idx(SRC0)
	v_mov_b32_e32 v57, v32
	s_set_gpr_idx_off
	v_cvt_f16_f32_e32 v57, v57
	s_set_gpr_idx_on s15, gpr_idx(SRC0)
	v_mov_b32_e32 v60, v32
	s_set_gpr_idx_off
	v_cvt_f16_f32_sdwa v60, v60 dst_sel:WORD_1 dst_unused:UNUSED_PAD src0_sel:DWORD
	s_cmp_eq_u32 s16, 16
	s_cselect_b64 s[14:15], -1, 0
	s_orn2_b64 s[14:15], s[14:15], exec
	v_lshl_add_u64 v[58:59], v[58:59], 0, s[20:21]
	v_or_b32_e32 v57, v60, v57
	;;#ASMSTART
	global_atomic_pk_add_f16 v[58:59], v57, off
	
	;;#ASMEND
	s_branch .LBB357_27
.LBB357_32:                             ;   in Loop: Header=BB357_7 Depth=1
	s_or_b64 exec, exec, s[6:7]
	v_readlane_b32 s16, v93, 2
	v_readlane_b32 s14, v93, 0
	;; [unrolled: 1-line block ×11, first 2 shown]
.LBB357_33:                             ;   in Loop: Header=BB357_7 Depth=1
	v_readlane_b32 s6, v93, 26
	v_readlane_b32 s7, v93, 27
	s_or_b64 exec, exec, s[6:7]
.LBB357_34:                             ;   in Loop: Header=BB357_7 Depth=1
	s_or_saveexec_b64 s[2:3], s[2:3]
	v_readlane_b32 s13, v93, 25
	s_xor_b64 exec, exec, s[2:3]
	s_cbranch_execz .LBB357_43
; %bb.35:                               ;   in Loop: Header=BB357_7 Depth=1
	s_mul_i32 s12, s4, 3
	v_cmp_gt_i32_e32 vcc, s12, v83
	s_and_saveexec_b64 s[6:7], vcc
	s_cbranch_execz .LBB357_42
; %bb.36:                               ;   in Loop: Header=BB357_7 Depth=1
	s_mul_i32 s0, s0, s95
	s_ashr_i32 s1, s0, 31
	s_add_u32 s0, s18, s0
	s_addc_u32 s1, s19, s1
	s_ashr_i32 s8, s13, 31
	s_add_u32 s0, s0, s13
	s_addc_u32 s1, s1, s8
	v_lshl_add_u64 v[0:1], s[0:1], 0, v[52:53]
	v_lshl_add_u64 v[8:9], v[0:1], 0, v[50:51]
	s_mov_b64 s[0:1], 0
	s_branch .LBB357_38
.LBB357_37:                             ;   in Loop: Header=BB357_38 Depth=2
	s_or_b64 exec, exec, s[8:9]
	v_lshl_add_u32 v12, v10, 11, v77
	;;#ASMSTART
	s_waitcnt vmcnt(1)
	;;#ASMEND
	ds_write2_b32 v12, v4, v5 offset1:32
	ds_write2_b32 v12, v6, v7 offset0:64 offset1:96
	v_add_u32_e32 v4, 0x400, v12
	v_add_u32_e32 v83, s98, v83
	;;#ASMSTART
	s_waitcnt vmcnt(0)
	;;#ASMEND
	ds_write2_b32 v4, v0, v1 offset1:32
	ds_write2_b32 v4, v2, v3 offset0:64 offset1:96
	v_add_u32_e32 v0, 1, v63
	v_add_u32_e32 v56, s98, v10
	v_cmp_le_i32_e32 vcc, s12, v83
	ds_write_b32 v11, v0 offset:64
	v_add_u32_e32 v0, 2, v63
	s_or_b64 s[0:1], vcc, s[0:1]
	v_cmp_lt_i32_e32 vcc, 11, v56
	s_nop 1
	v_cndmask_b32_e32 v63, v63, v0, vcc
	s_andn2_b64 exec, exec, s[0:1]
	s_cbranch_execz .LBB357_41
.LBB357_38:                             ;   Parent Loop BB357_7 Depth=1
                                        ; =>  This Loop Header: Depth=2
                                        ;       Child Loop BB357_40 Depth 3
	v_cmp_gt_i32_e32 vcc, 12, v56
	s_mov_b32 s8, 0x55555556
	s_nop 0
	v_cndmask_b32_e64 v0, -12, 0, vcc
	v_add_u32_e32 v10, v0, v56
	v_mul_hi_i32 v0, v83, s8
	v_lshrrev_b32_e32 v1, 31, v0
	v_add_u32_e32 v0, v0, v1
	v_lshl_add_u32 v1, v0, 1, v0
	v_sub_u32_e32 v2, v83, v1
	v_lshlrev_b32_e32 v0, 6, v0
	v_ashrrev_i32_e32 v1, 31, v0
	v_mul_lo_u32 v2, s91, v2
	v_lshl_add_u64 v[0:1], v[8:9], 0, v[0:1]
	v_ashrrev_i32_e32 v3, 31, v2
	v_lshl_add_u64 v[0:1], v[0:1], 0, v[2:3]
	v_lshlrev_b32_e32 v11, 2, v10
	;;#ASMSTART
	global_load_dwordx4 v[4:7], v[0:1], off offset:0   sc0 sc1 nt  
	global_load_dwordx4 v[0:3], v[0:1], off offset:32  sc0 sc1 nt  
	
	;;#ASMEND
	ds_read_b32 v12, v11 offset:57408
	v_add_u32_e32 v11, 0xe000, v11
	s_waitcnt lgkmcnt(0)
	v_cmp_ne_u32_e32 vcc, v12, v63
	s_and_saveexec_b64 s[8:9], vcc
	s_cbranch_execz .LBB357_37
; %bb.39:                               ;   in Loop: Header=BB357_38 Depth=2
	s_mov_b64 s[10:11], 0
.LBB357_40:                             ;   Parent Loop BB357_7 Depth=1
                                        ;     Parent Loop BB357_38 Depth=2
                                        ; =>    This Inner Loop Header: Depth=3
	;;#ASMSTART
	s_sleep 0
	;;#ASMEND
	ds_read_b32 v12, v11 offset:64
	s_waitcnt lgkmcnt(0)
	v_cmp_eq_u32_e32 vcc, v12, v63
	s_or_b64 s[10:11], vcc, s[10:11]
	s_andn2_b64 exec, exec, s[10:11]
	s_cbranch_execnz .LBB357_40
	s_branch .LBB357_37
.LBB357_41:                             ;   in Loop: Header=BB357_7 Depth=1
	s_or_b64 exec, exec, s[0:1]
.LBB357_42:                             ;   in Loop: Header=BB357_7 Depth=1
	s_or_b64 exec, exec, s[6:7]
	v_subrev_u32_e32 v83, s12, v83
.LBB357_43:                             ;   in Loop: Header=BB357_7 Depth=1
	s_or_b64 exec, exec, s[2:3]
.LBB357_44:                             ;   in Loop: Header=BB357_7 Depth=1
	v_readlane_b32 s0, v93, 23
	v_readlane_b32 s1, v93, 24
	s_andn2_saveexec_b64 s[0:1], s[0:1]
	s_cbranch_execz .LBB357_6
; %bb.45:                               ;   in Loop: Header=BB357_7 Depth=1
	s_lshl_b32 s10, s4, 2
	v_cmp_gt_i32_e32 vcc, s10, v83
	s_and_saveexec_b64 s[2:3], vcc
	s_cbranch_execz .LBB357_5
; %bb.46:                               ;   in Loop: Header=BB357_7 Depth=1
	s_mul_i32 s4, s39, s94
	s_ashr_i32 s6, s4, 31
	s_add_u32 s4, s16, s4
	s_addc_u32 s7, s17, s6
	s_ashr_i32 s8, s13, 31
	s_add_u32 s6, s4, s13
	v_add_u32_e32 v2, s5, v64
	s_movk_i32 s4, 0x80
	v_cmp_gt_u32_e32 vcc, s4, v2
	s_addc_u32 s7, s7, s8
	v_sub_u32_e32 v10, 0x7f, v2
	v_cndmask_b32_e32 v0, 0, v78, vcc
	v_ashrrev_i32_e32 v1, 31, v0
	v_lshl_add_u64 v[0:1], s[6:7], 0, v[0:1]
	v_lshl_add_u64 v[8:9], v[0:1], 0, v[50:51]
	s_mov_b64 s[4:5], 0
	s_branch .LBB357_48
.LBB357_47:                             ;   in Loop: Header=BB357_48 Depth=2
	s_or_b64 exec, exec, s[6:7]
	v_lshl_or_b32 v13, v11, 11, v79
	;;#ASMSTART
	s_waitcnt vmcnt(1)
	;;#ASMEND
	ds_write2_b32 v13, v4, v5 offset1:32
	ds_write2_b32 v13, v6, v7 offset0:64 offset1:96
	v_add_u32_e32 v4, 0x400, v13
	v_add_u32_e32 v83, s97, v83
	;;#ASMSTART
	s_waitcnt vmcnt(0)
	;;#ASMEND
	ds_write2_b32 v4, v0, v1 offset1:32
	ds_write2_b32 v4, v2, v3 offset0:64 offset1:96
	v_add_u32_e32 v0, 1, v63
	v_add_u32_e32 v56, s97, v11
	v_cmp_le_i32_e32 vcc, s10, v83
	ds_write_b32 v12, v0
	v_add_u32_e32 v0, 2, v63
	s_or_b64 s[4:5], vcc, s[4:5]
	v_cmp_lt_i32_e32 vcc, 15, v56
	s_nop 1
	v_cndmask_b32_e32 v63, v63, v0, vcc
	s_andn2_b64 exec, exec, s[4:5]
	s_cbranch_execz .LBB357_4
.LBB357_48:                             ;   Parent Loop BB357_7 Depth=1
                                        ; =>  This Loop Header: Depth=2
                                        ;       Child Loop BB357_50 Depth 3
	v_cmp_gt_i32_e32 vcc, 16, v56
	s_nop 1
	v_cndmask_b32_e64 v0, -16, 0, vcc
	v_add_u32_e32 v11, v0, v56
	v_ashrrev_i32_e32 v0, 31, v83
	v_lshrrev_b32_e32 v0, 30, v0
	v_add_u32_e32 v0, v83, v0
	v_and_b32_e32 v1, 0x7fffffc, v0
	v_sub_u32_e32 v1, v83, v1
	v_lshlrev_b32_e32 v1, 5, v1
	v_cmp_le_i32_e32 vcc, v1, v10
	v_lshlrev_b32_e32 v0, 4, v0
	v_and_b32_e32 v0, 0xffffffc0, v0
	v_cndmask_b32_e32 v2, 0, v1, vcc
	v_ashrrev_i32_e32 v1, 31, v0
	v_mul_lo_u32 v2, v2, s94
	v_lshl_add_u64 v[0:1], v[8:9], 0, v[0:1]
	v_ashrrev_i32_e32 v3, 31, v2
	v_lshl_add_u64 v[0:1], v[0:1], 0, v[2:3]
	v_lshlrev_b32_e32 v12, 2, v11
	;;#ASMSTART
	global_load_dwordx4 v[4:7], v[0:1], off offset:0   
	global_load_dwordx4 v[0:3], v[0:1], off offset:32  
	
	;;#ASMEND
	ds_read_b32 v13, v12 offset:57344
	v_add_u32_e32 v12, 0xe000, v12
	s_waitcnt lgkmcnt(0)
	v_cmp_ne_u32_e32 vcc, v13, v63
	s_and_saveexec_b64 s[6:7], vcc
	s_cbranch_execz .LBB357_47
; %bb.49:                               ;   in Loop: Header=BB357_48 Depth=2
	s_mov_b64 s[8:9], 0
.LBB357_50:                             ;   Parent Loop BB357_7 Depth=1
                                        ;     Parent Loop BB357_48 Depth=2
                                        ; =>    This Inner Loop Header: Depth=3
	;;#ASMSTART
	s_sleep 0
	;;#ASMEND
	ds_read_b32 v13, v12
	s_waitcnt lgkmcnt(0)
	v_cmp_eq_u32_e32 vcc, v13, v63
	s_or_b64 s[8:9], vcc, s[8:9]
	s_andn2_b64 exec, exec, s[8:9]
	s_cbranch_execnz .LBB357_50
	s_branch .LBB357_47
.LBB357_51:
	s_endpgm
	.section	.rodata,"a",@progbits
	.p2align	6, 0x0
	.amdhsa_kernel _Z19_skinny_gemm_kernelILi4ELi3ELi4ELi32ELi4EEvPKhS1_P6__halfPKfiiiiiiii
		.amdhsa_group_segment_fixed_size 57456
		.amdhsa_private_segment_fixed_size 0
		.amdhsa_kernarg_size 64
		.amdhsa_user_sgpr_count 2
		.amdhsa_user_sgpr_dispatch_ptr 0
		.amdhsa_user_sgpr_queue_ptr 0
		.amdhsa_user_sgpr_kernarg_segment_ptr 1
		.amdhsa_user_sgpr_dispatch_id 0
		.amdhsa_user_sgpr_kernarg_preload_length 0
		.amdhsa_user_sgpr_kernarg_preload_offset 0
		.amdhsa_user_sgpr_private_segment_size 0
		.amdhsa_uses_dynamic_stack 0
		.amdhsa_enable_private_segment 0
		.amdhsa_system_sgpr_workgroup_id_x 1
		.amdhsa_system_sgpr_workgroup_id_y 0
		.amdhsa_system_sgpr_workgroup_id_z 0
		.amdhsa_system_sgpr_workgroup_info 0
		.amdhsa_system_vgpr_workitem_id 0
		.amdhsa_next_free_vgpr 94
		.amdhsa_next_free_sgpr 100
		.amdhsa_accum_offset 96
		.amdhsa_reserve_vcc 1
		.amdhsa_float_round_mode_32 0
		.amdhsa_float_round_mode_16_64 0
		.amdhsa_float_denorm_mode_32 3
		.amdhsa_float_denorm_mode_16_64 3
		.amdhsa_dx10_clamp 1
		.amdhsa_ieee_mode 1
		.amdhsa_fp16_overflow 0
		.amdhsa_tg_split 0
		.amdhsa_exception_fp_ieee_invalid_op 0
		.amdhsa_exception_fp_denorm_src 0
		.amdhsa_exception_fp_ieee_div_zero 0
		.amdhsa_exception_fp_ieee_overflow 0
		.amdhsa_exception_fp_ieee_underflow 0
		.amdhsa_exception_fp_ieee_inexact 0
		.amdhsa_exception_int_div_zero 0
	.end_amdhsa_kernel
	.section	.text._Z19_skinny_gemm_kernelILi4ELi3ELi4ELi32ELi4EEvPKhS1_P6__halfPKfiiiiiiii,"axG",@progbits,_Z19_skinny_gemm_kernelILi4ELi3ELi4ELi32ELi4EEvPKhS1_P6__halfPKfiiiiiiii,comdat
.Lfunc_end357:
	.size	_Z19_skinny_gemm_kernelILi4ELi3ELi4ELi32ELi4EEvPKhS1_P6__halfPKfiiiiiiii, .Lfunc_end357-_Z19_skinny_gemm_kernelILi4ELi3ELi4ELi32ELi4EEvPKhS1_P6__halfPKfiiiiiiii
                                        ; -- End function
	.set _Z19_skinny_gemm_kernelILi4ELi3ELi4ELi32ELi4EEvPKhS1_P6__halfPKfiiiiiiii.num_vgpr, 94
	.set _Z19_skinny_gemm_kernelILi4ELi3ELi4ELi32ELi4EEvPKhS1_P6__halfPKfiiiiiiii.num_agpr, 0
	.set _Z19_skinny_gemm_kernelILi4ELi3ELi4ELi32ELi4EEvPKhS1_P6__halfPKfiiiiiiii.numbered_sgpr, 100
	.set _Z19_skinny_gemm_kernelILi4ELi3ELi4ELi32ELi4EEvPKhS1_P6__halfPKfiiiiiiii.num_named_barrier, 0
	.set _Z19_skinny_gemm_kernelILi4ELi3ELi4ELi32ELi4EEvPKhS1_P6__halfPKfiiiiiiii.private_seg_size, 0
	.set _Z19_skinny_gemm_kernelILi4ELi3ELi4ELi32ELi4EEvPKhS1_P6__halfPKfiiiiiiii.uses_vcc, 1
	.set _Z19_skinny_gemm_kernelILi4ELi3ELi4ELi32ELi4EEvPKhS1_P6__halfPKfiiiiiiii.uses_flat_scratch, 0
	.set _Z19_skinny_gemm_kernelILi4ELi3ELi4ELi32ELi4EEvPKhS1_P6__halfPKfiiiiiiii.has_dyn_sized_stack, 0
	.set _Z19_skinny_gemm_kernelILi4ELi3ELi4ELi32ELi4EEvPKhS1_P6__halfPKfiiiiiiii.has_recursion, 0
	.set _Z19_skinny_gemm_kernelILi4ELi3ELi4ELi32ELi4EEvPKhS1_P6__halfPKfiiiiiiii.has_indirect_call, 0
	.section	.AMDGPU.csdata,"",@progbits
; Kernel info:
; codeLenInByte = 11628
; TotalNumSgprs: 106
; NumVgprs: 94
; NumAgprs: 0
; TotalNumVgprs: 94
; ScratchSize: 0
; MemoryBound: 0
; FloatMode: 240
; IeeeMode: 1
; LDSByteSize: 57456 bytes/workgroup (compile time only)
; SGPRBlocks: 13
; VGPRBlocks: 11
; NumSGPRsForWavesPerEU: 106
; NumVGPRsForWavesPerEU: 94
; AccumOffset: 96
; Occupancy: 5
; WaveLimiterHint : 0
; COMPUTE_PGM_RSRC2:SCRATCH_EN: 0
; COMPUTE_PGM_RSRC2:USER_SGPR: 2
; COMPUTE_PGM_RSRC2:TRAP_HANDLER: 0
; COMPUTE_PGM_RSRC2:TGID_X_EN: 1
; COMPUTE_PGM_RSRC2:TGID_Y_EN: 0
; COMPUTE_PGM_RSRC2:TGID_Z_EN: 0
; COMPUTE_PGM_RSRC2:TIDIG_COMP_CNT: 0
; COMPUTE_PGM_RSRC3_GFX90A:ACCUM_OFFSET: 23
; COMPUTE_PGM_RSRC3_GFX90A:TG_SPLIT: 0
	.section	.text._Z19_skinny_gemm_kernelILi4ELi4ELi1ELi16ELi4EEvPKhS1_P6__halfPKfiiiiiiii,"axG",@progbits,_Z19_skinny_gemm_kernelILi4ELi4ELi1ELi16ELi4EEvPKhS1_P6__halfPKfiiiiiiii,comdat
	.protected	_Z19_skinny_gemm_kernelILi4ELi4ELi1ELi16ELi4EEvPKhS1_P6__halfPKfiiiiiiii ; -- Begin function _Z19_skinny_gemm_kernelILi4ELi4ELi1ELi16ELi4EEvPKhS1_P6__halfPKfiiiiiiii
	.globl	_Z19_skinny_gemm_kernelILi4ELi4ELi1ELi16ELi4EEvPKhS1_P6__halfPKfiiiiiiii
	.p2align	8
	.type	_Z19_skinny_gemm_kernelILi4ELi4ELi1ELi16ELi4EEvPKhS1_P6__halfPKfiiiiiiii,@function
_Z19_skinny_gemm_kernelILi4ELi4ELi1ELi16ELi4EEvPKhS1_P6__halfPKfiiiiiiii: ; @_Z19_skinny_gemm_kernelILi4ELi4ELi1ELi16ELi4EEvPKhS1_P6__halfPKfiiiiiiii
; %bb.0:
	v_cmp_gt_u32_e32 vcc, 8, v0
	v_lshlrev_b32_e32 v1, 2, v0
	s_and_saveexec_b64 s[4:5], vcc
; %bb.1:
	v_mov_b32_e32 v2, 0
	ds_write_b32 v1, v2 offset:16384
; %bb.2:
	s_or_b64 exec, exec, s[4:5]
	s_load_dwordx8 s[20:27], s[0:1], 0x20
	s_waitcnt lgkmcnt(0)
	s_barrier
	s_add_i32 s3, s20, 63
	s_ashr_i32 s5, s3, 31
	s_add_i32 s4, s21, 63
	s_lshr_b32 s5, s5, 26
	s_ashr_i32 s6, s4, 31
	s_add_i32 s3, s3, s5
	s_ashr_i32 s33, s3, 6
	s_lshr_b32 s3, s6, 26
	s_add_i32 s4, s4, s3
	s_ashr_i32 s52, s4, 6
	s_mul_i32 s3, s52, s33
	s_mul_i32 s3, s3, s24
	s_add_i32 s4, s3, 0x12f
	s_mul_hi_i32 s4, s4, 0x6bca1af3
	s_lshr_b32 s5, s4, 31
	s_ashr_i32 s4, s4, 7
	s_add_i32 s4, s4, s5
	s_add_i32 s5, s2, 1
	s_mul_i32 s5, s4, s5
	v_cvt_f64_i32_e32 v[2:3], s3
	v_cvt_f64_u32_e32 v[4:5], s5
	v_min_f64 v[2:3], v[2:3], v[4:5]
	v_cvt_i32_f64_e32 v65, v[2:3]
	s_mul_i32 s53, s4, s2
	v_cmp_ge_i32_e32 vcc, s53, v65
	s_cbranch_vccnz .LBB358_66
; %bb.3:
	v_lshrrev_b32_e32 v2, 6, v0
	s_add_i32 s4, s26, s25
	s_load_dwordx8 s[36:43], s[0:1], 0x0
	v_cmp_le_i32_e64 s[0:1], s4, v2
	v_mov_b32_e32 v3, s25
	v_cmp_le_i32_e64 s[2:3], s25, v2
	v_mov_b32_e32 v4, s26
	v_cndmask_b32_e64 v4, 0, v4, s[0:1]
	v_cndmask_b32_e64 v3, 0, v3, s[2:3]
	s_abs_i32 s5, s24
	v_add_u32_e32 v3, v3, v4
	v_cvt_f32_u32_e32 v4, s5
	v_sub_u32_e32 v80, v2, v3
	s_ashr_i32 s6, s22, 31
	s_lshr_b32 s6, s6, 25
	v_rcp_iflag_f32_e32 v3, v4
	s_sub_i32 s9, 0, s5
	s_add_i32 s6, s22, s6
	s_ashr_i32 s6, s6, 7
	v_mul_f32_e32 v3, 0x4f7ffffe, v3
	v_cvt_u32_f32_e32 v3, v3
	s_abs_i32 s8, s6
	s_xor_b32 s7, s6, s24
	s_ashr_i32 s7, s7, 31
	v_readfirstlane_b32 s10, v3
	s_mul_i32 s9, s9, s10
	s_mul_hi_u32 s9, s10, s9
	s_add_i32 s10, s10, s9
	s_mul_hi_u32 s9, s8, s10
	s_mul_i32 s10, s9, s5
	s_sub_i32 s8, s8, s10
	s_add_i32 s10, s9, 1
	s_sub_i32 s11, s8, s5
	s_cmp_ge_u32 s8, s5
	s_cselect_b32 s9, s10, s9
	s_cselect_b32 s8, s11, s8
	s_add_i32 s10, s9, 1
	s_cmp_ge_u32 s8, s5
	s_cselect_b32 s5, s10, s9
	s_xor_b32 s5, s5, s7
	s_sub_i32 s54, s5, s7
	s_add_i32 s24, s24, -1
	s_mul_i32 s5, s54, s24
	s_add_i32 s4, s4, s27
	s_sub_i32 s55, s6, s5
	v_cmp_gt_i32_e64 s[4:5], s4, v2
	v_lshlrev_b32_e32 v2, 1, v0
	v_lshlrev_b32_e32 v3, 4, v0
	v_and_b32_e32 v1, 60, v1
	v_and_b32_e32 v2, 64, v2
	;; [unrolled: 1-line block ×3, first 2 shown]
	v_or3_b32 v115, v1, v2, v4
	v_and_b32_e32 v1, 1, v0
	v_lshrrev_b32_e32 v4, 2, v0
	v_and_b32_e32 v64, 14, v0
	v_and_or_b32 v118, v4, 12, v1
	v_mad_u64_u32 v[66:67], s[6:7], s21, v118, v[64:65]
	s_lshl_b32 s6, s21, 4
	s_nop 0
	v_add_u32_e32 v68, s6, v66
	v_add_u32_e32 v4, s6, v68
	s_abs_i32 s56, s33
	v_ashrrev_i32_e32 v5, 31, v4
	v_and_b32_e32 v74, 48, v3
	v_cvt_f32_u32_e32 v3, s56
	scratch_store_dwordx2 off, v[4:5], off  ; 8-byte Folded Spill
	v_add_u32_e32 v4, s6, v4
	v_lshlrev_b32_e32 v2, 1, v1
	v_ashrrev_i32_e32 v5, 31, v4
	v_sub_u32_e32 v2, v0, v2
	v_bitop3_b32 v116, v0, 1, v0 bitop3:0xc
	v_bitop3_b32 v117, v0, 3, 1 bitop3:0x6c
	scratch_store_dwordx2 off, v[4:5], off offset:8 ; 8-byte Folded Spill
	v_bfe_u32 v119, v0, 2, 4
	v_and_b32_e32 v1, 60, v0
	v_lshlrev_b32_e32 v4, 8, v0
	v_lshlrev_b32_e32 v0, 6, v0
	v_and_b32_e32 v4, 0x200, v4
	v_rcp_iflag_f32_e32 v3, v3
	v_and_b32_e32 v0, 64, v0
	s_abs_i32 s58, s52
	v_or3_b32 v120, v1, v4, v0
	v_cvt_f32_u32_e32 v1, s58
	v_mul_f32_e32 v0, 0x4f7ffffe, v3
	v_cvt_u32_f32_e32 v0, v0
	s_sub_i32 s6, 0, s56
	v_rcp_iflag_f32_e32 v1, v1
	v_add_u32_e32 v2, 1, v2
	v_readfirstlane_b32 s7, v0
	s_mul_i32 s6, s6, s7
	v_mul_f32_e32 v0, 0x4f7ffffe, v1
	v_cvt_u32_f32_e32 v0, v0
	s_mul_hi_u32 s6, s7, s6
	s_add_i32 s60, s7, s6
	s_sub_i32 s6, 0, s58
	v_readfirstlane_b32 s7, v0
	v_mbcnt_lo_u32_b32 v0, -1, 0
	v_and_b32_e32 v2, 63, v2
	s_mul_i32 s6, s6, s7
	v_mbcnt_hi_u32_b32 v0, -1, v0
	v_mul_lo_u32 v76, s23, v119
	s_mul_hi_u32 s6, s7, s6
	v_and_or_b32 v0, v0, 64, v2
	v_cndmask_b32_e64 v114, 0, 1, s[0:1]
	s_ashr_i32 s29, s21, 31
	s_mov_b32 s28, s21
	v_ashrrev_i32_e32 v67, 31, v66
	v_ashrrev_i32_e32 v69, 31, v68
	;; [unrolled: 1-line block ×3, first 2 shown]
	v_mov_b32_e32 v75, 0
	s_lshl_b32 s57, s23, 4
	s_ashr_i32 s59, s33, 31
	s_ashr_i32 s61, s52, 31
	s_add_i32 s62, s7, s6
	s_mov_b64 s[30:31], 0x60
	v_lshlrev_b32_e32 v121, 2, v0
	v_mov_b32_e32 v122, v80
	s_branch .LBB358_7
.LBB358_4:                              ;   in Loop: Header=BB358_7 Depth=1
	s_or_b64 exec, exec, s[10:11]
.LBB358_5:                              ;   in Loop: Header=BB358_7 Depth=1
	s_or_b64 exec, exec, s[8:9]
	v_subrev_u32_e32 v122, s16, v122
.LBB358_6:                              ;   in Loop: Header=BB358_7 Depth=1
	s_or_b64 exec, exec, s[6:7]
	s_add_i32 s53, s53, 1
	v_cmp_ge_i32_e32 vcc, s53, v65
	s_cbranch_vccnz .LBB358_66
.LBB358_7:                              ; =>This Loop Header: Depth=1
                                        ;     Child Loop BB358_13 Depth 2
                                        ;       Child Loop BB358_15 Depth 3
                                        ;       Child Loop BB358_18 Depth 3
	;; [unrolled: 1-line block ×8, first 2 shown]
                                        ;     Child Loop BB358_53 Depth 2
                                        ;       Child Loop BB358_55 Depth 3
                                        ;     Child Loop BB358_63 Depth 2
                                        ;       Child Loop BB358_65 Depth 3
	s_abs_i32 s7, s53
	s_mul_hi_u32 s8, s7, s60
	s_mul_i32 s9, s8, s56
	s_ashr_i32 s6, s53, 31
	s_sub_i32 s7, s7, s9
	s_xor_b32 s6, s6, s59
	s_add_i32 s9, s8, 1
	s_sub_i32 s10, s7, s56
	s_cmp_ge_u32 s7, s56
	s_cselect_b32 s8, s9, s8
	s_cselect_b32 s7, s10, s7
	s_add_i32 s9, s8, 1
	s_cmp_ge_u32 s7, s56
	s_cselect_b32 s7, s9, s8
	s_xor_b32 s7, s7, s6
	s_sub_i32 s6, s7, s6
	s_abs_i32 s8, s6
	s_mul_i32 s7, s6, s33
	s_mul_hi_u32 s9, s8, s62
	s_sub_i32 s7, s53, s7
	s_mul_i32 s10, s9, s58
	s_lshl_b32 s63, s7, 6
	s_ashr_i32 s7, s6, 31
	s_sub_i32 s8, s8, s10
	s_xor_b32 s7, s7, s61
	s_add_i32 s10, s9, 1
	s_sub_i32 s11, s8, s58
	s_cmp_ge_u32 s8, s58
	s_cselect_b32 s9, s10, s9
	s_cselect_b32 s8, s11, s8
	s_add_i32 s10, s9, 1
	s_cmp_ge_u32 s8, s58
	s_cselect_b32 s8, s10, s9
	s_xor_b32 s8, s8, s7
	s_sub_i32 s7, s8, s7
	s_mul_i32 s8, s7, s54
	s_lshl_b32 s64, s8, 7
	s_cmp_eq_u32 s7, s24
	s_cselect_b32 s66, s55, s54
	s_sub_i32 s8, s63, s20
	s_add_i32 s8, s8, 64
	s_max_i32 s65, s8, 0
	s_and_saveexec_b64 s[8:9], s[2:3]
	s_xor_b64 s[34:35], exec, s[8:9]
	s_cbranch_execz .LBB358_59
; %bb.8:                                ;   in Loop: Header=BB358_7 Depth=1
	s_mul_i32 s7, s7, s52
	s_sub_i32 s6, s6, s7
	s_lshl_b32 s6, s6, 6
	s_sub_i32 s45, s6, s21
	s_add_i32 s45, s45, 64
	s_max_i32 s7, s45, 0
	s_sub_i32 s44, s6, s7
	s_and_saveexec_b64 s[6:7], s[0:1]
	s_xor_b64 s[46:47], exec, s[6:7]
	s_cbranch_execz .LBB358_49
; %bb.9:                                ;   in Loop: Header=BB358_7 Depth=1
	s_and_saveexec_b64 s[48:49], s[4:5]
	s_cbranch_execz .LBB358_48
; %bb.10:                               ;   in Loop: Header=BB358_7 Depth=1
	s_waitcnt lgkmcnt(0)
	global_load_dword v123, v75, s[42:43]
	v_mov_b32_e32 v63, 0
	v_cmp_gt_i32_e32 vcc, s66, v122
	v_mov_b32_e32 v62, v63
	v_mov_b32_e32 v61, v63
	;; [unrolled: 1-line block ×63, first 2 shown]
	s_and_saveexec_b64 s[6:7], vcc
	s_cbranch_execz .LBB358_38
; %bb.11:                               ;   in Loop: Header=BB358_7 Depth=1
	v_mov_b32_e32 v8, 0
	s_mov_b64 s[8:9], 0
	v_mov_b32_e32 v9, v8
	v_mov_b32_e32 v10, v8
	;; [unrolled: 1-line block ×63, first 2 shown]
	s_branch .LBB358_13
.LBB358_12:                             ;   in Loop: Header=BB358_13 Depth=2
	s_or_b64 exec, exec, s[10:11]
	v_add_u32_e32 v72, 0x1800, v127
	ds_read2_b32 v[70:71], v72 offset1:32
	ds_read2_b32 v[72:73], v72 offset0:128 offset1:160
	v_add_u32_e32 v104, 0x1c00, v127
	v_add_u32_e32 v122, s27, v122
	s_waitcnt lgkmcnt(1)
	v_mfma_f32_16x16x32_fp8_fp8 v[48:51], v[78:79], v[70:71], v[48:51]
	ds_read2_b32 v[78:79], v104 offset1:32
	v_mfma_f32_16x16x32_fp8_fp8 v[32:35], v[86:87], v[70:71], v[32:35]
	v_mfma_f32_16x16x32_fp8_fp8 v[16:19], v[94:95], v[70:71], v[16:19]
	;; [unrolled: 1-line block ×3, first 2 shown]
	v_add_u32_e32 v70, 2, v114
	s_waitcnt lgkmcnt(1)
	v_mfma_f32_16x16x32_fp8_fp8 v[48:51], v[80:81], v[72:73], v[48:51]
	v_add_u32_e32 v80, s27, v124
	v_cmp_lt_i32_e32 vcc, 0, v80
	v_mfma_f32_16x16x32_fp8_fp8 v[32:35], v[88:89], v[72:73], v[32:35]
	s_nop 0
	v_cndmask_b32_e32 v114, v114, v70, vcc
	v_cmp_le_i32_e32 vcc, s66, v122
	s_or_b64 s[8:9], vcc, s[8:9]
	v_mfma_f32_16x16x32_fp8_fp8 v[16:19], v[96:97], v[72:73], v[16:19]
	v_mfma_f32_16x16x32_fp8_fp8 v[8:11], v[112:113], v[72:73], v[8:11]
	s_waitcnt lgkmcnt(0)
	v_mfma_f32_16x16x32_fp8_fp8 v[48:51], v[82:83], v[78:79], v[48:51]
	ds_read2_b32 v[82:83], v104 offset0:128 offset1:160
	;;#ASMSTART
	s_waitcnt lgkmcnt(0)
	;;#ASMEND
	ds_write_b32 v125, v126 offset:16412
	v_mfma_f32_16x16x32_fp8_fp8 v[32:35], v[90:91], v[78:79], v[32:35]
	v_mfma_f32_16x16x32_fp8_fp8 v[16:19], v[98:99], v[78:79], v[16:19]
	;; [unrolled: 1-line block ×3, first 2 shown]
	s_waitcnt lgkmcnt(1)
	v_mfma_f32_16x16x32_fp8_fp8 v[48:51], v[84:85], v[82:83], v[48:51]
	v_mfma_f32_16x16x32_fp8_fp8 v[32:35], v[92:93], v[82:83], v[32:35]
	;; [unrolled: 1-line block ×4, first 2 shown]
	s_andn2_b64 exec, exec, s[8:9]
	s_cbranch_execz .LBB358_37
.LBB358_13:                             ;   Parent Loop BB358_7 Depth=1
                                        ; =>  This Loop Header: Depth=2
                                        ;       Child Loop BB358_15 Depth 3
                                        ;       Child Loop BB358_18 Depth 3
	;; [unrolled: 1-line block ×8, first 2 shown]
	v_cmp_lt_i32_e32 vcc, 0, v80
	s_nop 1
	v_subbrev_co_u32_e32 v124, vcc, 0, v80, vcc
	v_lshlrev_b32_e32 v125, 4, v124
	ds_read_b32 v70, v125 offset:16400
	s_waitcnt lgkmcnt(0)
	v_cmp_ne_u32_e32 vcc, v70, v114
	s_and_saveexec_b64 s[10:11], vcc
	s_cbranch_execz .LBB358_16
; %bb.14:                               ;   in Loop: Header=BB358_13 Depth=2
	s_mov_b64 s[12:13], 0
.LBB358_15:                             ;   Parent Loop BB358_7 Depth=1
                                        ;     Parent Loop BB358_13 Depth=2
                                        ; =>    This Inner Loop Header: Depth=3
	;;#ASMSTART
	s_sleep 0
	;;#ASMEND
	ds_read_b32 v70, v125 offset:16400
	s_waitcnt lgkmcnt(0)
	v_cmp_eq_u32_e32 vcc, v70, v114
	s_or_b64 s[12:13], vcc, s[12:13]
	s_andn2_b64 exec, exec, s[12:13]
	s_cbranch_execnz .LBB358_15
.LBB358_16:                             ;   in Loop: Header=BB358_13 Depth=2
	s_or_b64 exec, exec, s[10:11]
	v_lshlrev_b32_e32 v72, 13, v124
	v_or_b32_e32 v70, 0x2000, v115
	v_add_u32_e32 v127, v70, v72
	v_add_u32_e32 v70, 0x400, v127
	ds_read2_b32 v[106:107], v127 offset1:32
	ds_read2_b32 v[102:103], v127 offset0:128 offset1:160
	ds_read2_b32 v[108:109], v70 offset1:32
	ds_read2_b32 v[104:105], v70 offset0:128 offset1:160
	;;#ASMSTART
	s_waitcnt lgkmcnt(0)
	;;#ASMEND
	ds_read_b32 v70, v125 offset:16384
	v_add_u32_e32 v126, 1, v114
	ds_write_b32 v125, v126 offset:16400
	s_waitcnt lgkmcnt(1)
	v_cmp_ne_u32_e32 vcc, v70, v114
	s_and_saveexec_b64 s[10:11], vcc
	s_cbranch_execz .LBB358_19
; %bb.17:                               ;   in Loop: Header=BB358_13 Depth=2
	s_mov_b64 s[12:13], 0
.LBB358_18:                             ;   Parent Loop BB358_7 Depth=1
                                        ;     Parent Loop BB358_13 Depth=2
                                        ; =>    This Inner Loop Header: Depth=3
	;;#ASMSTART
	s_sleep 0
	;;#ASMEND
	ds_read_b32 v70, v125 offset:16384
	s_waitcnt lgkmcnt(0)
	v_cmp_eq_u32_e32 vcc, v70, v114
	s_or_b64 s[12:13], vcc, s[12:13]
	s_andn2_b64 exec, exec, s[12:13]
	s_cbranch_execnz .LBB358_18
.LBB358_19:                             ;   in Loop: Header=BB358_13 Depth=2
	s_or_b64 exec, exec, s[10:11]
	v_add_u32_e32 v72, v115, v72
	ds_read2_b32 v[78:79], v72 offset1:32
	ds_read2_b32 v[80:81], v72 offset0:128 offset1:160
	v_add_u32_e32 v70, 0x400, v72
	ds_read2_b32 v[82:83], v70 offset1:32
	ds_read2_b32 v[84:85], v70 offset0:128 offset1:160
	ds_read_b32 v70, v125 offset:16388
	ds_write_b32 v125, v126 offset:16384
	s_waitcnt lgkmcnt(5)
	v_mfma_f32_16x16x32_fp8_fp8 v[60:63], v[78:79], v[106:107], v[60:63]
	s_waitcnt lgkmcnt(1)
	v_cmp_ne_u32_e32 vcc, v70, v114
	v_mfma_f32_16x16x32_fp8_fp8 v[60:63], v[80:81], v[102:103], v[60:63]
	v_mfma_f32_16x16x32_fp8_fp8 v[60:63], v[82:83], v[108:109], v[60:63]
	;; [unrolled: 1-line block ×3, first 2 shown]
	s_and_saveexec_b64 s[10:11], vcc
	s_cbranch_execz .LBB358_22
; %bb.20:                               ;   in Loop: Header=BB358_13 Depth=2
	s_mov_b64 s[12:13], 0
.LBB358_21:                             ;   Parent Loop BB358_7 Depth=1
                                        ;     Parent Loop BB358_13 Depth=2
                                        ; =>    This Inner Loop Header: Depth=3
	;;#ASMSTART
	s_sleep 0
	;;#ASMEND
	ds_read_b32 v70, v125 offset:16388
	s_waitcnt lgkmcnt(0)
	v_cmp_eq_u32_e32 vcc, v70, v114
	s_or_b64 s[12:13], vcc, s[12:13]
	s_andn2_b64 exec, exec, s[12:13]
	s_cbranch_execnz .LBB358_21
.LBB358_22:                             ;   in Loop: Header=BB358_13 Depth=2
	s_or_b64 exec, exec, s[10:11]
	v_add_u32_e32 v70, 0x800, v72
	ds_read2_b32 v[86:87], v70 offset1:32
	ds_read2_b32 v[88:89], v70 offset0:128 offset1:160
	v_add_u32_e32 v70, 0xc00, v72
	ds_read2_b32 v[90:91], v70 offset1:32
	ds_read2_b32 v[92:93], v70 offset0:128 offset1:160
	ds_read_b32 v70, v125 offset:16392
	ds_write_b32 v125, v126 offset:16388
	s_waitcnt lgkmcnt(5)
	v_mfma_f32_16x16x32_fp8_fp8 v[44:47], v[86:87], v[106:107], v[44:47]
	s_waitcnt lgkmcnt(1)
	v_cmp_ne_u32_e32 vcc, v70, v114
	v_mfma_f32_16x16x32_fp8_fp8 v[44:47], v[88:89], v[102:103], v[44:47]
	v_mfma_f32_16x16x32_fp8_fp8 v[44:47], v[90:91], v[108:109], v[44:47]
	;; [unrolled: 1-line block ×3, first 2 shown]
	s_and_saveexec_b64 s[10:11], vcc
	s_cbranch_execz .LBB358_25
; %bb.23:                               ;   in Loop: Header=BB358_13 Depth=2
	s_mov_b64 s[12:13], 0
.LBB358_24:                             ;   Parent Loop BB358_7 Depth=1
                                        ;     Parent Loop BB358_13 Depth=2
                                        ; =>    This Inner Loop Header: Depth=3
	;;#ASMSTART
	s_sleep 0
	;;#ASMEND
	ds_read_b32 v70, v125 offset:16392
	s_waitcnt lgkmcnt(0)
	v_cmp_eq_u32_e32 vcc, v70, v114
	s_or_b64 s[12:13], vcc, s[12:13]
	s_andn2_b64 exec, exec, s[12:13]
	s_cbranch_execnz .LBB358_24
.LBB358_25:                             ;   in Loop: Header=BB358_13 Depth=2
	s_or_b64 exec, exec, s[10:11]
	v_add_u32_e32 v70, 0x1000, v72
	ds_read2_b32 v[94:95], v70 offset1:32
	ds_read2_b32 v[96:97], v70 offset0:128 offset1:160
	v_add_u32_e32 v70, 0x1400, v72
	ds_read2_b32 v[98:99], v70 offset1:32
	ds_read2_b32 v[100:101], v70 offset0:128 offset1:160
	ds_read_b32 v70, v125 offset:16396
	s_waitcnt lgkmcnt(4)
	v_mfma_f32_16x16x32_fp8_fp8 v[28:31], v[94:95], v[106:107], v[28:31]
	ds_write_b32 v125, v126 offset:16392
	s_waitcnt lgkmcnt(1)
	v_cmp_ne_u32_e32 vcc, v70, v114
	v_mfma_f32_16x16x32_fp8_fp8 v[28:31], v[96:97], v[102:103], v[28:31]
	v_mfma_f32_16x16x32_fp8_fp8 v[28:31], v[98:99], v[108:109], v[28:31]
	;; [unrolled: 1-line block ×3, first 2 shown]
	s_and_saveexec_b64 s[10:11], vcc
	s_cbranch_execz .LBB358_28
; %bb.26:                               ;   in Loop: Header=BB358_13 Depth=2
	s_mov_b64 s[12:13], 0
.LBB358_27:                             ;   Parent Loop BB358_7 Depth=1
                                        ;     Parent Loop BB358_13 Depth=2
                                        ; =>    This Inner Loop Header: Depth=3
	;;#ASMSTART
	s_sleep 0
	;;#ASMEND
	ds_read_b32 v70, v125 offset:16396
	s_waitcnt lgkmcnt(0)
	v_cmp_eq_u32_e32 vcc, v70, v114
	s_or_b64 s[12:13], vcc, s[12:13]
	s_andn2_b64 exec, exec, s[12:13]
	s_cbranch_execnz .LBB358_27
.LBB358_28:                             ;   in Loop: Header=BB358_13 Depth=2
	s_or_b64 exec, exec, s[10:11]
	v_add_u32_e32 v70, 0x1800, v72
	ds_read2_b32 v[110:111], v70 offset1:32
	ds_read2_b32 v[112:113], v70 offset0:128 offset1:160
	v_add_u32_e32 v70, 0x1c00, v72
	s_waitcnt lgkmcnt(1)
	v_mfma_f32_16x16x32_fp8_fp8 v[12:15], v[110:111], v[106:107], v[12:15]
	ds_read2_b32 v[106:107], v70 offset1:32
	s_waitcnt lgkmcnt(1)
	v_mfma_f32_16x16x32_fp8_fp8 v[12:15], v[112:113], v[102:103], v[12:15]
	ds_read2_b32 v[102:103], v70 offset0:128 offset1:160
	ds_read_b32 v70, v125 offset:16404
	ds_write_b32 v125, v126 offset:16396
	s_waitcnt lgkmcnt(1)
	v_cmp_ne_u32_e32 vcc, v70, v114
	v_mfma_f32_16x16x32_fp8_fp8 v[12:15], v[106:107], v[108:109], v[12:15]
	v_mfma_f32_16x16x32_fp8_fp8 v[12:15], v[102:103], v[104:105], v[12:15]
	s_and_saveexec_b64 s[10:11], vcc
	s_cbranch_execz .LBB358_31
; %bb.29:                               ;   in Loop: Header=BB358_13 Depth=2
	s_mov_b64 s[12:13], 0
.LBB358_30:                             ;   Parent Loop BB358_7 Depth=1
                                        ;     Parent Loop BB358_13 Depth=2
                                        ; =>    This Inner Loop Header: Depth=3
	;;#ASMSTART
	s_sleep 0
	;;#ASMEND
	ds_read_b32 v70, v125 offset:16404
	s_waitcnt lgkmcnt(0)
	v_cmp_eq_u32_e32 vcc, v70, v114
	s_or_b64 s[12:13], vcc, s[12:13]
	s_andn2_b64 exec, exec, s[12:13]
	s_cbranch_execnz .LBB358_30
.LBB358_31:                             ;   in Loop: Header=BB358_13 Depth=2
	s_or_b64 exec, exec, s[10:11]
	v_add_u32_e32 v70, 0x800, v127
	ds_read2_b32 v[72:73], v70 offset1:32
	ds_read2_b32 v[104:105], v70 offset0:128 offset1:160
	v_add_u32_e32 v70, 0xc00, v127
	ds_read2_b32 v[108:109], v70 offset1:32
	ds_read2_b32 v[70:71], v70 offset0:128 offset1:160
	s_waitcnt lgkmcnt(3)
	v_mfma_f32_16x16x32_fp8_fp8 v[56:59], v[78:79], v[72:73], v[56:59]
	;;#ASMSTART
	s_waitcnt lgkmcnt(0)
	;;#ASMEND
	ds_write_b32 v125, v126 offset:16404
	v_mfma_f32_16x16x32_fp8_fp8 v[40:43], v[86:87], v[72:73], v[40:43]
	v_mfma_f32_16x16x32_fp8_fp8 v[24:27], v[94:95], v[72:73], v[24:27]
	;; [unrolled: 1-line block ×3, first 2 shown]
	ds_read_b32 v72, v125 offset:16408
	s_waitcnt lgkmcnt(0)
	v_cmp_ne_u32_e32 vcc, v72, v114
	v_mfma_f32_16x16x32_fp8_fp8 v[56:59], v[80:81], v[104:105], v[56:59]
	v_mfma_f32_16x16x32_fp8_fp8 v[40:43], v[88:89], v[104:105], v[40:43]
	v_mfma_f32_16x16x32_fp8_fp8 v[24:27], v[96:97], v[104:105], v[24:27]
	v_mfma_f32_16x16x32_fp8_fp8 v[4:7], v[112:113], v[104:105], v[4:7]
	v_mfma_f32_16x16x32_fp8_fp8 v[56:59], v[82:83], v[108:109], v[56:59]
	v_mfma_f32_16x16x32_fp8_fp8 v[40:43], v[90:91], v[108:109], v[40:43]
	v_mfma_f32_16x16x32_fp8_fp8 v[24:27], v[98:99], v[108:109], v[24:27]
	v_mfma_f32_16x16x32_fp8_fp8 v[4:7], v[106:107], v[108:109], v[4:7]
	v_mfma_f32_16x16x32_fp8_fp8 v[56:59], v[84:85], v[70:71], v[56:59]
	v_mfma_f32_16x16x32_fp8_fp8 v[40:43], v[92:93], v[70:71], v[40:43]
	v_mfma_f32_16x16x32_fp8_fp8 v[24:27], v[100:101], v[70:71], v[24:27]
	v_mfma_f32_16x16x32_fp8_fp8 v[4:7], v[102:103], v[70:71], v[4:7]
	s_and_saveexec_b64 s[10:11], vcc
	s_cbranch_execz .LBB358_34
; %bb.32:                               ;   in Loop: Header=BB358_13 Depth=2
	s_mov_b64 s[12:13], 0
.LBB358_33:                             ;   Parent Loop BB358_7 Depth=1
                                        ;     Parent Loop BB358_13 Depth=2
                                        ; =>    This Inner Loop Header: Depth=3
	;;#ASMSTART
	s_sleep 0
	;;#ASMEND
	ds_read_b32 v70, v125 offset:16408
	s_waitcnt lgkmcnt(0)
	v_cmp_eq_u32_e32 vcc, v70, v114
	s_or_b64 s[12:13], vcc, s[12:13]
	s_andn2_b64 exec, exec, s[12:13]
	s_cbranch_execnz .LBB358_33
.LBB358_34:                             ;   in Loop: Header=BB358_13 Depth=2
	s_or_b64 exec, exec, s[10:11]
	v_add_u32_e32 v72, 0x1000, v127
	ds_read2_b32 v[70:71], v72 offset1:32
	ds_read2_b32 v[72:73], v72 offset0:128 offset1:160
	v_add_u32_e32 v108, 0x1400, v127
	ds_read2_b32 v[104:105], v108 offset1:32
	ds_read2_b32 v[108:109], v108 offset0:128 offset1:160
	s_waitcnt lgkmcnt(3)
	v_mfma_f32_16x16x32_fp8_fp8 v[52:55], v[78:79], v[70:71], v[52:55]
	;;#ASMSTART
	s_waitcnt lgkmcnt(0)
	;;#ASMEND
	ds_write_b32 v125, v126 offset:16408
	v_mfma_f32_16x16x32_fp8_fp8 v[36:39], v[86:87], v[70:71], v[36:39]
	v_mfma_f32_16x16x32_fp8_fp8 v[20:23], v[94:95], v[70:71], v[20:23]
	;; [unrolled: 1-line block ×3, first 2 shown]
	ds_read_b32 v70, v125 offset:16412
	s_waitcnt lgkmcnt(0)
	v_cmp_ne_u32_e32 vcc, v70, v114
	v_mfma_f32_16x16x32_fp8_fp8 v[52:55], v[80:81], v[72:73], v[52:55]
	v_mfma_f32_16x16x32_fp8_fp8 v[36:39], v[88:89], v[72:73], v[36:39]
	;; [unrolled: 1-line block ×12, first 2 shown]
	s_and_saveexec_b64 s[10:11], vcc
	s_cbranch_execz .LBB358_12
; %bb.35:                               ;   in Loop: Header=BB358_13 Depth=2
	s_mov_b64 s[12:13], 0
.LBB358_36:                             ;   Parent Loop BB358_7 Depth=1
                                        ;     Parent Loop BB358_13 Depth=2
                                        ; =>    This Inner Loop Header: Depth=3
	;;#ASMSTART
	s_sleep 0
	;;#ASMEND
	ds_read_b32 v70, v125 offset:16412
	s_waitcnt lgkmcnt(0)
	v_cmp_eq_u32_e32 vcc, v70, v114
	s_or_b64 s[12:13], vcc, s[12:13]
	s_andn2_b64 exec, exec, s[12:13]
	s_cbranch_execnz .LBB358_36
	s_branch .LBB358_12
.LBB358_37:                             ;   in Loop: Header=BB358_7 Depth=1
	s_or_b64 exec, exec, s[8:9]
.LBB358_38:                             ;   in Loop: Header=BB358_7 Depth=1
	s_or_b64 exec, exec, s[6:7]
	v_cmp_le_i32_e32 vcc, s45, v64
	v_cmp_eq_u32_e64 s[6:7], 2, v116
	v_cmp_eq_u32_e64 s[8:9], 3, v116
	s_waitcnt vmcnt(0)
	v_cndmask_b32_e32 v78, 0, v123, vcc
	v_pk_mul_f32 v[60:61], v[78:79], v[60:61] op_sel_hi:[0,1]
	v_cmp_eq_u32_e32 vcc, 1, v116
	v_pk_mul_f32 v[70:71], v[78:79], v[62:63] op_sel_hi:[0,1]
	v_cmp_eq_u32_e64 s[10:11], 0, v116
	v_cndmask_b32_e32 v62, v60, v61, vcc
	v_cndmask_b32_e64 v62, v62, v70, s[6:7]
	v_cndmask_b32_e64 v62, v62, v71, s[8:9]
	ds_bpermute_b32 v72, v121, v62
	v_cmp_eq_u32_e64 s[12:13], 1, v117
	v_cmp_eq_u32_e64 s[16:17], 3, v117
	s_waitcnt lgkmcnt(0)
	v_cndmask_b32_e64 v79, v60, v72, s[10:11]
	v_or_b32_e32 v60, 16, v64
	v_cmp_le_i32_e64 s[14:15], s45, v60
	v_cndmask_b32_e32 v61, v61, v72, vcc
	v_cndmask_b32_e64 v62, v71, v72, s[8:9]
	v_cndmask_b32_e64 v60, 0, v123, s[14:15]
	v_pk_mul_f32 v[56:57], v[60:61], v[56:57] op_sel_hi:[0,1]
	v_cndmask_b32_e64 v63, v70, v72, s[6:7]
	v_pk_mul_f32 v[70:71], v[60:61], v[58:59] op_sel_hi:[0,1]
	v_cndmask_b32_e32 v58, v56, v57, vcc
	v_cndmask_b32_e64 v58, v58, v70, s[6:7]
	v_cndmask_b32_e64 v58, v58, v71, s[8:9]
	ds_bpermute_b32 v73, v121, v58
	v_cndmask_b32_e64 v72, v79, v61, s[12:13]
	v_cmp_eq_u32_e64 s[14:15], 2, v117
	s_waitcnt lgkmcnt(0)
	v_cndmask_b32_e64 v83, v56, v73, s[10:11]
	v_or_b32_e32 v56, 32, v64
	v_cmp_le_i32_e64 s[18:19], s45, v56
	v_cndmask_b32_e32 v57, v57, v73, vcc
	v_cndmask_b32_e64 v58, v72, v63, s[14:15]
	v_cndmask_b32_e64 v56, 0, v123, s[18:19]
	v_pk_mul_f32 v[52:53], v[56:57], v[52:53] op_sel_hi:[0,1]
	v_cndmask_b32_e64 v59, v71, v73, s[8:9]
	v_cndmask_b32_e64 v72, v70, v73, s[6:7]
	v_pk_mul_f32 v[70:71], v[56:57], v[54:55] op_sel_hi:[0,1]
	v_cndmask_b32_e32 v54, v52, v53, vcc
	v_cndmask_b32_e64 v54, v54, v70, s[6:7]
	v_cndmask_b32_e64 v54, v54, v71, s[8:9]
	ds_bpermute_b32 v81, v121, v54
	v_cndmask_b32_e64 v54, v83, v57, s[12:13]
	v_cndmask_b32_e64 v54, v54, v72, s[14:15]
	;; [unrolled: 1-line block ×4, first 2 shown]
	s_waitcnt lgkmcnt(0)
	v_cndmask_b32_e64 v85, v52, v81, s[10:11]
	v_or_b32_e32 v52, 48, v64
	v_cmp_le_i32_e64 s[18:19], s45, v52
	v_cndmask_b32_e64 v55, v71, v81, s[8:9]
	v_cndmask_b32_e64 v73, v70, v81, s[6:7]
	;; [unrolled: 1-line block ×3, first 2 shown]
	v_pk_mul_f32 v[86:87], v[52:53], v[48:49] op_sel_hi:[0,1]
	v_pk_mul_f32 v[70:71], v[52:53], v[50:51] op_sel_hi:[0,1]
	v_cndmask_b32_e32 v48, v86, v87, vcc
	v_cndmask_b32_e64 v48, v48, v70, s[6:7]
	v_cndmask_b32_e64 v48, v48, v71, s[8:9]
	ds_bpermute_b32 v49, v121, v48
	v_cndmask_b32_e32 v84, v53, v81, vcc
	v_cndmask_b32_e64 v48, v85, v84, s[12:13]
	v_cndmask_b32_e64 v48, v48, v73, s[14:15]
	;; [unrolled: 1-line block ×3, first 2 shown]
	v_cmp_ne_u32_e32 vcc, 0, v116
	ds_bpermute_b32 v81, v121, v48
	s_waitcnt lgkmcnt(1)
	v_cndmask_b32_e64 v50, v71, v49, s[8:9]
	v_cndmask_b32_e64 v51, v70, v49, s[6:7]
	v_cndmask_b32_e32 v48, v87, v49, vcc
	v_cndmask_b32_e64 v49, v86, v49, s[10:11]
	v_cndmask_b32_e64 v53, v49, v48, s[12:13]
	;; [unrolled: 1-line block ×4, first 2 shown]
	ds_bpermute_b32 v58, v121, v58
	ds_bpermute_b32 v54, v121, v54
	;; [unrolled: 1-line block ×3, first 2 shown]
	v_add_u32_e32 v53, s65, v118
	v_cmp_gt_u32_e32 vcc, 64, v53
	s_and_saveexec_b64 s[18:19], vcc
	s_cbranch_execz .LBB358_47
; %bb.39:                               ;   in Loop: Header=BB358_7 Depth=1
	v_cmp_eq_u32_e64 s[8:9], 1, v117
	v_cmp_eq_u32_e64 s[10:11], 0, v117
	v_cmp_eq_u32_e32 vcc, 3, v117
	s_waitcnt lgkmcnt(2)
	v_cndmask_b32_e64 v61, v61, v58, s[8:9]
	v_cndmask_b32_e64 v70, v79, v58, s[10:11]
	s_waitcnt lgkmcnt(1)
	v_cndmask_b32_e64 v57, v57, v54, s[8:9]
	v_cndmask_b32_e64 v79, v84, v81, s[8:9]
	s_waitcnt lgkmcnt(0)
	v_cndmask_b32_e64 v84, v48, v82, s[8:9]
	s_mul_i32 s8, s63, s21
	s_ashr_i32 s9, s8, 31
	s_lshl_b64 s[8:9], s[8:9], 1
	v_cndmask_b32_e64 v71, v83, v54, s[10:11]
	v_cndmask_b32_e64 v83, v85, v81, s[10:11]
	;; [unrolled: 1-line block ×3, first 2 shown]
	s_add_u32 s10, s40, s8
	s_addc_u32 s11, s41, s9
	s_ashr_i32 s45, s44, 31
	v_cvt_f16_f32_e32 v70, v70
	v_cvt_f16_f32_sdwa v61, v61 dst_sel:WORD_1 dst_unused:UNUSED_PAD src0_sel:DWORD
	v_cvt_f16_f32_e32 v86, v71
	v_cvt_f16_f32_sdwa v57, v57 dst_sel:WORD_1 dst_unused:UNUSED_PAD src0_sel:DWORD
	s_lshl_b64 s[8:9], s[44:45], 1
	s_add_u32 s50, s10, s8
	s_addc_u32 s51, s11, s9
	v_lshl_add_u64 v[48:49], v[66:67], 1, s[50:51]
	v_or_b32_e32 v61, v61, v70
	v_or_b32_e32 v57, v57, v86
	;;#ASMSTART
	global_atomic_pk_add_f16 v[48:49], v61, off
	
	;;#ASMEND
	v_lshl_add_u64 v[70:71], v[48:49], 0, 32
	;;#ASMSTART
	global_atomic_pk_add_f16 v[70:71], v57, off
	
	;;#ASMEND
	v_cvt_f16_f32_e32 v57, v83
	v_cvt_f16_f32_sdwa v61, v79 dst_sel:WORD_1 dst_unused:UNUSED_PAD src0_sel:DWORD
	v_cvt_f16_f32_e32 v79, v85
	v_cvt_f16_f32_sdwa v83, v84 dst_sel:WORD_1 dst_unused:UNUSED_PAD src0_sel:DWORD
	v_cmp_eq_u32_e64 s[6:7], 2, v117
	v_lshl_add_u64 v[70:71], v[48:49], 0, 64
	v_or_b32_e32 v57, v61, v57
	v_cmp_gt_u32_e64 s[8:9], 62, v53
	;;#ASMSTART
	global_atomic_pk_add_f16 v[70:71], v57, off
	
	;;#ASMEND
	v_lshl_add_u64 v[70:71], v[48:49], 0, s[30:31]
	v_or_b32_e32 v57, v83, v79
	;;#ASMSTART
	global_atomic_pk_add_f16 v[70:71], v57, off
	
	;;#ASMEND
	s_and_b64 exec, exec, s[8:9]
	s_cbranch_execz .LBB358_47
; %bb.40:                               ;   in Loop: Header=BB358_7 Depth=1
	v_cndmask_b32_e32 v62, v62, v58, vcc
	v_cndmask_b32_e64 v58, v63, v58, s[6:7]
	v_cvt_f16_f32_e32 v58, v58
	v_cvt_f16_f32_sdwa v62, v62 dst_sel:WORD_1 dst_unused:UNUSED_PAD src0_sel:DWORD
	v_cndmask_b32_e32 v59, v59, v54, vcc
	v_cndmask_b32_e64 v54, v72, v54, s[6:7]
	v_cndmask_b32_e32 v55, v55, v81, vcc
	v_cndmask_b32_e64 v63, v73, v81, s[6:7]
	v_cndmask_b32_e32 v70, v50, v82, vcc
	v_or_b32_e32 v50, v62, v58
	v_cvt_f16_f32_e32 v54, v54
	v_cvt_f16_f32_sdwa v58, v59 dst_sel:WORD_1 dst_unused:UNUSED_PAD src0_sel:DWORD
	v_cvt_f16_f32_e32 v59, v63
	v_cvt_f16_f32_sdwa v55, v55 dst_sel:WORD_1 dst_unused:UNUSED_PAD src0_sel:DWORD
	v_lshl_add_u64 v[48:49], s[28:29], 2, v[48:49]
	v_or_b32_e32 v54, v58, v54
	v_mov_b32_e32 v79, v78
	v_cndmask_b32_e64 v71, v51, v82, s[6:7]
	;;#ASMSTART
	global_atomic_pk_add_f16 v[48:49], v50, off
	
	;;#ASMEND
	v_lshl_add_u64 v[50:51], v[48:49], 0, 32
	;;#ASMSTART
	global_atomic_pk_add_f16 v[50:51], v54, off
	
	;;#ASMEND
	v_or_b32_e32 v58, v55, v59
	v_mov_b32_e32 v54, v78
	v_mov_b32_e32 v55, v78
	v_pk_mul_f32 v[46:47], v[54:55], v[46:47]
	v_pk_mul_f32 v[54:55], v[78:79], v[44:45]
	v_cmp_eq_u32_e32 vcc, 1, v116
	v_mov_b32_e32 v61, v60
	v_lshl_add_u64 v[50:51], v[48:49], 0, 64
	v_cndmask_b32_e32 v44, v54, v55, vcc
	v_cmp_eq_u32_e64 s[6:7], 2, v116
	;;#ASMSTART
	global_atomic_pk_add_f16 v[50:51], v58, off
	
	;;#ASMEND
	v_lshl_add_u64 v[58:59], v[48:49], 0, s[30:31]
	v_mov_b32_e32 v48, v60
	v_mov_b32_e32 v49, v60
	v_cndmask_b32_e64 v44, v44, v46, s[6:7]
	v_cmp_eq_u32_e64 s[8:9], 3, v116
	v_pk_mul_f32 v[42:43], v[48:49], v[42:43]
	v_pk_mul_f32 v[48:49], v[60:61], v[40:41]
	v_cndmask_b32_e64 v44, v44, v47, s[8:9]
	v_cndmask_b32_e32 v40, v48, v49, vcc
	ds_bpermute_b32 v62, v121, v44
	v_cndmask_b32_e64 v40, v40, v42, s[6:7]
	v_cndmask_b32_e64 v40, v40, v43, s[8:9]
	ds_bpermute_b32 v51, v121, v40
	v_cmp_eq_u32_e64 s[10:11], 0, v116
	s_waitcnt lgkmcnt(1)
	v_cndmask_b32_e64 v44, v47, v62, s[8:9]
	v_cndmask_b32_e64 v45, v46, v62, s[6:7]
	v_cndmask_b32_e32 v46, v55, v62, vcc
	v_cndmask_b32_e64 v47, v54, v62, s[10:11]
	v_cmp_eq_u32_e64 s[12:13], 1, v117
	v_mov_b32_e32 v57, v56
	v_cmp_eq_u32_e64 s[14:15], 2, v117
	v_cndmask_b32_e64 v50, v47, v46, s[12:13]
	s_waitcnt lgkmcnt(0)
	v_cndmask_b32_e64 v41, v43, v51, s[8:9]
	v_cndmask_b32_e64 v40, v50, v45, s[14:15]
	;; [unrolled: 1-line block ×3, first 2 shown]
	v_cndmask_b32_e32 v43, v49, v51, vcc
	v_cndmask_b32_e64 v48, v48, v51, s[10:11]
	v_mov_b32_e32 v50, v56
	v_mov_b32_e32 v51, v56
	v_pk_mul_f32 v[54:55], v[56:57], v[36:37]
	v_pk_mul_f32 v[38:39], v[50:51], v[38:39]
	v_cndmask_b32_e32 v36, v54, v55, vcc
	v_cndmask_b32_e64 v36, v36, v38, s[6:7]
	v_cndmask_b32_e64 v36, v36, v39, s[8:9]
	ds_bpermute_b32 v49, v121, v36
	v_mov_b32_e32 v53, v52
	v_pk_mul_f32 v[62:63], v[52:53], v[32:33]
	v_cmp_eq_u32_e64 s[16:17], 3, v117
	v_cndmask_b32_e32 v32, v62, v63, vcc
	s_waitcnt lgkmcnt(0)
	v_cndmask_b32_e32 v50, v55, v49, vcc
	v_cndmask_b32_e64 v51, v54, v49, s[10:11]
	v_mov_b32_e32 v54, v52
	v_mov_b32_e32 v55, v52
	v_pk_mul_f32 v[54:55], v[54:55], v[34:35]
	v_cndmask_b32_e64 v38, v38, v49, s[6:7]
	v_cndmask_b32_e64 v32, v32, v54, s[6:7]
	;; [unrolled: 1-line block ×3, first 2 shown]
	ds_bpermute_b32 v33, v121, v32
	v_cndmask_b32_e64 v32, v51, v50, s[12:13]
	v_cndmask_b32_e64 v37, v39, v49, s[8:9]
	;; [unrolled: 1-line block ×4, first 2 shown]
	v_cmp_ne_u32_e32 vcc, 0, v116
	ds_bpermute_b32 v39, v121, v32
	s_waitcnt lgkmcnt(1)
	v_cndmask_b32_e64 v34, v55, v33, s[8:9]
	v_cndmask_b32_e64 v35, v54, v33, s[6:7]
	v_cndmask_b32_e32 v32, v63, v33, vcc
	v_cndmask_b32_e64 v33, v62, v33, s[10:11]
	v_cvt_f16_f32_e32 v71, v71
	v_cvt_f16_f32_sdwa v70, v70 dst_sel:WORD_1 dst_unused:UNUSED_PAD src0_sel:DWORD
	v_cndmask_b32_e64 v36, v48, v43, s[12:13]
	v_cndmask_b32_e64 v49, v33, v32, s[12:13]
	;; [unrolled: 1-line block ×7, first 2 shown]
	ds_bpermute_b32 v40, v121, v40
	ds_bpermute_b32 v36, v121, v36
	;; [unrolled: 1-line block ×3, first 2 shown]
	v_or_b32_e32 v54, v70, v71
	;;#ASMSTART
	global_atomic_pk_add_f16 v[58:59], v54, off
	
	;;#ASMEND
	v_or_b32_e32 v54, 16, v118
	v_add_u32_e32 v54, s65, v54
	v_cmp_gt_u32_e32 vcc, 64, v54
	s_and_b64 exec, exec, vcc
	s_cbranch_execz .LBB358_47
; %bb.41:                               ;   in Loop: Header=BB358_7 Depth=1
	v_cmp_eq_u32_e64 s[8:9], 1, v117
	v_cmp_eq_u32_e64 s[10:11], 0, v117
	v_cmp_eq_u32_e32 vcc, 3, v117
	s_waitcnt lgkmcnt(2)
	v_cndmask_b32_e64 v46, v46, v40, s[8:9]
	v_cndmask_b32_e64 v47, v47, v40, s[10:11]
	s_waitcnt lgkmcnt(1)
	v_cndmask_b32_e64 v43, v43, v36, s[8:9]
	v_cndmask_b32_e64 v48, v48, v36, s[10:11]
	v_cvt_f16_f32_e32 v47, v47
	v_cvt_f16_f32_sdwa v46, v46 dst_sel:WORD_1 dst_unused:UNUSED_PAD src0_sel:DWORD
	v_cvt_f16_f32_e32 v48, v48
	v_cvt_f16_f32_sdwa v43, v43 dst_sel:WORD_1 dst_unused:UNUSED_PAD src0_sel:DWORD
	v_cndmask_b32_e64 v50, v50, v39, s[8:9]
	v_cndmask_b32_e64 v51, v51, v39, s[10:11]
	s_waitcnt lgkmcnt(0)
	v_cndmask_b32_e64 v55, v32, v49, s[8:9]
	v_cndmask_b32_e64 v58, v33, v49, s[10:11]
	v_lshl_add_u64 v[32:33], v[68:69], 1, s[50:51]
	v_or_b32_e32 v46, v46, v47
	v_or_b32_e32 v43, v43, v48
	;;#ASMSTART
	global_atomic_pk_add_f16 v[32:33], v46, off
	
	;;#ASMEND
	v_lshl_add_u64 v[46:47], v[32:33], 0, 32
	;;#ASMSTART
	global_atomic_pk_add_f16 v[46:47], v43, off
	
	;;#ASMEND
	v_cvt_f16_f32_e32 v43, v51
	v_cvt_f16_f32_sdwa v48, v50 dst_sel:WORD_1 dst_unused:UNUSED_PAD src0_sel:DWORD
	v_cvt_f16_f32_e32 v50, v58
	v_cvt_f16_f32_sdwa v51, v55 dst_sel:WORD_1 dst_unused:UNUSED_PAD src0_sel:DWORD
	v_cmp_eq_u32_e64 s[6:7], 2, v117
	v_lshl_add_u64 v[46:47], v[32:33], 0, 64
	v_or_b32_e32 v43, v48, v43
	v_cmp_gt_u32_e64 s[8:9], 62, v54
	;;#ASMSTART
	global_atomic_pk_add_f16 v[46:47], v43, off
	
	;;#ASMEND
	v_lshl_add_u64 v[46:47], v[32:33], 0, s[30:31]
	v_or_b32_e32 v43, v51, v50
	;;#ASMSTART
	global_atomic_pk_add_f16 v[46:47], v43, off
	
	;;#ASMEND
	s_and_b64 exec, exec, s[8:9]
	s_cbranch_execz .LBB358_47
; %bb.42:                               ;   in Loop: Header=BB358_7 Depth=1
	v_cndmask_b32_e32 v43, v44, v40, vcc
	v_cndmask_b32_e64 v40, v45, v40, s[6:7]
	v_cndmask_b32_e32 v37, v37, v39, vcc
	v_cndmask_b32_e64 v38, v38, v39, s[6:7]
	v_cvt_f16_f32_e32 v39, v40
	v_cvt_f16_f32_sdwa v40, v43 dst_sel:WORD_1 dst_unused:UNUSED_PAD src0_sel:DWORD
	v_cndmask_b32_e32 v41, v41, v36, vcc
	v_cndmask_b32_e64 v36, v42, v36, s[6:7]
	v_cndmask_b32_e32 v42, v34, v49, vcc
	v_or_b32_e32 v34, v40, v39
	v_cvt_f16_f32_e32 v36, v36
	v_cvt_f16_f32_sdwa v39, v41 dst_sel:WORD_1 dst_unused:UNUSED_PAD src0_sel:DWORD
	v_cvt_f16_f32_e32 v38, v38
	v_cvt_f16_f32_sdwa v37, v37 dst_sel:WORD_1 dst_unused:UNUSED_PAD src0_sel:DWORD
	v_lshl_add_u64 v[32:33], s[28:29], 2, v[32:33]
	v_or_b32_e32 v36, v39, v36
	v_cndmask_b32_e64 v43, v35, v49, s[6:7]
	;;#ASMSTART
	global_atomic_pk_add_f16 v[32:33], v34, off
	
	;;#ASMEND
	v_lshl_add_u64 v[34:35], v[32:33], 0, 32
	;;#ASMSTART
	global_atomic_pk_add_f16 v[34:35], v36, off
	
	;;#ASMEND
	v_or_b32_e32 v38, v37, v38
	v_mov_b32_e32 v36, v78
	v_mov_b32_e32 v37, v78
	v_pk_mul_f32 v[30:31], v[36:37], v[30:31]
	v_pk_mul_f32 v[36:37], v[78:79], v[28:29]
	v_cmp_eq_u32_e32 vcc, 1, v116
	v_lshl_add_u64 v[34:35], v[32:33], 0, 64
	v_cmp_eq_u32_e64 s[6:7], 2, v116
	v_cndmask_b32_e32 v28, v36, v37, vcc
	;;#ASMSTART
	global_atomic_pk_add_f16 v[34:35], v38, off
	
	;;#ASMEND
	v_lshl_add_u64 v[38:39], v[32:33], 0, s[30:31]
	v_mov_b32_e32 v32, v60
	v_mov_b32_e32 v33, v60
	v_cndmask_b32_e64 v28, v28, v30, s[6:7]
	v_cmp_eq_u32_e64 s[8:9], 3, v116
	v_pk_mul_f32 v[26:27], v[32:33], v[26:27]
	v_pk_mul_f32 v[32:33], v[60:61], v[24:25]
	v_cndmask_b32_e64 v28, v28, v31, s[8:9]
	v_cndmask_b32_e32 v24, v32, v33, vcc
	ds_bpermute_b32 v40, v121, v28
	v_cndmask_b32_e64 v24, v24, v26, s[6:7]
	v_cndmask_b32_e64 v24, v24, v27, s[8:9]
	ds_bpermute_b32 v35, v121, v24
	v_cmp_eq_u32_e64 s[10:11], 0, v116
	s_waitcnt lgkmcnt(1)
	v_cndmask_b32_e64 v28, v31, v40, s[8:9]
	v_cndmask_b32_e64 v29, v30, v40, s[6:7]
	v_cndmask_b32_e32 v30, v37, v40, vcc
	v_cndmask_b32_e64 v31, v36, v40, s[10:11]
	v_cmp_eq_u32_e64 s[12:13], 1, v117
	v_cmp_eq_u32_e64 s[14:15], 2, v117
	s_waitcnt lgkmcnt(0)
	v_cndmask_b32_e64 v25, v27, v35, s[8:9]
	v_cndmask_b32_e64 v34, v31, v30, s[12:13]
	;; [unrolled: 1-line block ×4, first 2 shown]
	v_cndmask_b32_e32 v27, v33, v35, vcc
	v_cndmask_b32_e64 v32, v32, v35, s[10:11]
	v_mov_b32_e32 v34, v56
	v_mov_b32_e32 v35, v56
	v_pk_mul_f32 v[36:37], v[56:57], v[20:21]
	v_pk_mul_f32 v[22:23], v[34:35], v[22:23]
	v_cndmask_b32_e32 v20, v36, v37, vcc
	v_cndmask_b32_e64 v20, v20, v22, s[6:7]
	v_cndmask_b32_e64 v20, v20, v23, s[8:9]
	ds_bpermute_b32 v33, v121, v20
	v_pk_mul_f32 v[40:41], v[52:53], v[16:17]
	v_cmp_eq_u32_e64 s[16:17], 3, v117
	v_cndmask_b32_e32 v16, v40, v41, vcc
	v_cvt_f16_f32_e32 v43, v43
	s_waitcnt lgkmcnt(0)
	v_cndmask_b32_e32 v34, v37, v33, vcc
	v_cndmask_b32_e64 v35, v36, v33, s[10:11]
	v_mov_b32_e32 v36, v52
	v_mov_b32_e32 v37, v52
	v_pk_mul_f32 v[36:37], v[36:37], v[18:19]
	v_cndmask_b32_e64 v22, v22, v33, s[6:7]
	v_cndmask_b32_e64 v16, v16, v36, s[6:7]
	;; [unrolled: 1-line block ×3, first 2 shown]
	ds_bpermute_b32 v17, v121, v16
	v_cndmask_b32_e64 v16, v35, v34, s[12:13]
	v_cndmask_b32_e64 v21, v23, v33, s[8:9]
	;; [unrolled: 1-line block ×4, first 2 shown]
	v_cmp_ne_u32_e32 vcc, 0, v116
	ds_bpermute_b32 v23, v121, v16
	s_waitcnt lgkmcnt(1)
	v_cndmask_b32_e64 v18, v37, v17, s[8:9]
	v_cndmask_b32_e64 v19, v36, v17, s[6:7]
	v_cndmask_b32_e32 v16, v41, v17, vcc
	v_cndmask_b32_e64 v17, v40, v17, s[10:11]
	v_cvt_f16_f32_sdwa v42, v42 dst_sel:WORD_1 dst_unused:UNUSED_PAD src0_sel:DWORD
	v_cndmask_b32_e64 v20, v32, v27, s[12:13]
	v_cndmask_b32_e64 v33, v17, v16, s[12:13]
	;; [unrolled: 1-line block ×7, first 2 shown]
	ds_bpermute_b32 v24, v121, v24
	ds_bpermute_b32 v20, v121, v20
	;; [unrolled: 1-line block ×3, first 2 shown]
	v_or_b32_e32 v36, v42, v43
	;;#ASMSTART
	global_atomic_pk_add_f16 v[38:39], v36, off
	
	;;#ASMEND
	v_or_b32_e32 v36, 32, v118
	v_add_u32_e32 v36, s65, v36
	v_cmp_gt_u32_e32 vcc, 64, v36
	s_and_b64 exec, exec, vcc
	s_cbranch_execz .LBB358_47
; %bb.43:                               ;   in Loop: Header=BB358_7 Depth=1
	v_cmp_eq_u32_e64 s[8:9], 1, v117
	v_cmp_eq_u32_e64 s[10:11], 0, v117
	v_cmp_eq_u32_e32 vcc, 3, v117
	s_waitcnt lgkmcnt(0)
	v_cndmask_b32_e64 v37, v16, v33, s[8:9]
	v_cndmask_b32_e64 v38, v17, v33, s[10:11]
	scratch_load_dwordx2 v[16:17], off, off ; 8-byte Folded Reload
	v_cndmask_b32_e64 v30, v30, v24, s[8:9]
	v_cndmask_b32_e64 v31, v31, v24, s[10:11]
	;; [unrolled: 1-line block ×4, first 2 shown]
	v_cvt_f16_f32_e32 v31, v31
	v_cvt_f16_f32_sdwa v30, v30 dst_sel:WORD_1 dst_unused:UNUSED_PAD src0_sel:DWORD
	v_cvt_f16_f32_e32 v32, v32
	v_cvt_f16_f32_sdwa v27, v27 dst_sel:WORD_1 dst_unused:UNUSED_PAD src0_sel:DWORD
	v_cndmask_b32_e64 v34, v34, v23, s[8:9]
	v_cndmask_b32_e64 v35, v35, v23, s[10:11]
	v_or_b32_e32 v30, v30, v31
	v_or_b32_e32 v27, v27, v32
	v_cvt_f16_f32_sdwa v32, v34 dst_sel:WORD_1 dst_unused:UNUSED_PAD src0_sel:DWORD
	v_cvt_f16_f32_e32 v34, v38
	v_cmp_eq_u32_e64 s[6:7], 2, v117
	v_cmp_gt_u32_e64 s[8:9], 62, v36
	s_waitcnt vmcnt(0)
	v_lshl_add_u64 v[16:17], v[16:17], 1, s[50:51]
	;;#ASMSTART
	global_atomic_pk_add_f16 v[16:17], v30, off
	
	;;#ASMEND
	v_lshl_add_u64 v[30:31], v[16:17], 0, 32
	;;#ASMSTART
	global_atomic_pk_add_f16 v[30:31], v27, off
	
	;;#ASMEND
	v_cvt_f16_f32_e32 v27, v35
	v_cvt_f16_f32_sdwa v35, v37 dst_sel:WORD_1 dst_unused:UNUSED_PAD src0_sel:DWORD
	v_lshl_add_u64 v[30:31], v[16:17], 0, 64
	v_or_b32_e32 v27, v32, v27
	;;#ASMSTART
	global_atomic_pk_add_f16 v[30:31], v27, off
	
	;;#ASMEND
	v_lshl_add_u64 v[30:31], v[16:17], 0, s[30:31]
	v_or_b32_e32 v27, v35, v34
	;;#ASMSTART
	global_atomic_pk_add_f16 v[30:31], v27, off
	
	;;#ASMEND
	s_and_b64 exec, exec, s[8:9]
	s_cbranch_execz .LBB358_47
; %bb.44:                               ;   in Loop: Header=BB358_7 Depth=1
	v_cndmask_b32_e32 v27, v28, v24, vcc
	v_cndmask_b32_e64 v24, v29, v24, s[6:7]
	v_cndmask_b32_e32 v21, v21, v23, vcc
	v_cndmask_b32_e64 v22, v22, v23, s[6:7]
	v_cvt_f16_f32_e32 v23, v24
	v_cvt_f16_f32_sdwa v24, v27 dst_sel:WORD_1 dst_unused:UNUSED_PAD src0_sel:DWORD
	v_cndmask_b32_e32 v25, v25, v20, vcc
	v_cndmask_b32_e64 v20, v26, v20, s[6:7]
	v_cndmask_b32_e32 v26, v18, v33, vcc
	v_or_b32_e32 v18, v24, v23
	v_cvt_f16_f32_e32 v20, v20
	v_cvt_f16_f32_sdwa v23, v25 dst_sel:WORD_1 dst_unused:UNUSED_PAD src0_sel:DWORD
	v_cvt_f16_f32_e32 v22, v22
	v_cvt_f16_f32_sdwa v21, v21 dst_sel:WORD_1 dst_unused:UNUSED_PAD src0_sel:DWORD
	v_lshl_add_u64 v[16:17], s[28:29], 2, v[16:17]
	v_or_b32_e32 v20, v23, v20
	v_cndmask_b32_e64 v27, v19, v33, s[6:7]
	;;#ASMSTART
	global_atomic_pk_add_f16 v[16:17], v18, off
	
	;;#ASMEND
	v_lshl_add_u64 v[18:19], v[16:17], 0, 32
	;;#ASMSTART
	global_atomic_pk_add_f16 v[18:19], v20, off
	
	;;#ASMEND
	v_or_b32_e32 v22, v21, v22
	v_mov_b32_e32 v20, v78
	v_mov_b32_e32 v21, v78
	v_pk_mul_f32 v[14:15], v[20:21], v[14:15]
	v_pk_mul_f32 v[20:21], v[78:79], v[12:13]
	v_cmp_eq_u32_e32 vcc, 1, v116
	v_lshl_add_u64 v[18:19], v[16:17], 0, 64
	v_cmp_eq_u32_e64 s[6:7], 2, v116
	v_cndmask_b32_e32 v12, v20, v21, vcc
	v_cmp_eq_u32_e64 s[8:9], 3, v116
	v_cndmask_b32_e64 v12, v12, v14, s[6:7]
	;;#ASMSTART
	global_atomic_pk_add_f16 v[18:19], v22, off
	
	;;#ASMEND
	v_lshl_add_u64 v[22:23], v[16:17], 0, s[30:31]
	v_mov_b32_e32 v16, v60
	v_mov_b32_e32 v17, v60
	v_pk_mul_f32 v[18:19], v[60:61], v[4:5]
	v_cndmask_b32_e64 v12, v12, v15, s[8:9]
	v_pk_mul_f32 v[6:7], v[16:17], v[6:7]
	v_cndmask_b32_e32 v4, v18, v19, vcc
	ds_bpermute_b32 v24, v121, v12
	v_cndmask_b32_e64 v4, v4, v6, s[6:7]
	v_cndmask_b32_e64 v4, v4, v7, s[8:9]
	ds_bpermute_b32 v17, v121, v4
	v_cmp_eq_u32_e64 s[10:11], 0, v116
	s_waitcnt lgkmcnt(1)
	v_cndmask_b32_e64 v12, v15, v24, s[8:9]
	v_cndmask_b32_e64 v13, v14, v24, s[6:7]
	v_cndmask_b32_e32 v14, v21, v24, vcc
	v_cndmask_b32_e64 v15, v20, v24, s[10:11]
	v_cmp_eq_u32_e64 s[12:13], 1, v117
	v_cmp_eq_u32_e64 s[14:15], 2, v117
	s_waitcnt lgkmcnt(0)
	v_cndmask_b32_e64 v5, v7, v17, s[8:9]
	v_cndmask_b32_e64 v20, v15, v14, s[12:13]
	v_cndmask_b32_e64 v4, v20, v13, s[14:15]
	v_cndmask_b32_e64 v6, v6, v17, s[6:7]
	v_cndmask_b32_e32 v16, v19, v17, vcc
	v_cndmask_b32_e64 v17, v18, v17, s[10:11]
	v_mov_b32_e32 v18, v56
	v_mov_b32_e32 v19, v56
	v_pk_mul_f32 v[20:21], v[56:57], v[0:1]
	v_pk_mul_f32 v[18:19], v[18:19], v[2:3]
	v_cndmask_b32_e32 v0, v20, v21, vcc
	v_cndmask_b32_e64 v0, v0, v18, s[6:7]
	v_cndmask_b32_e64 v0, v0, v19, s[8:9]
	ds_bpermute_b32 v1, v121, v0
	v_cndmask_b32_e64 v0, v17, v16, s[12:13]
	v_cmp_eq_u32_e64 s[16:17], 3, v117
	v_cndmask_b32_e64 v0, v0, v6, s[14:15]
	v_cvt_f16_f32_e32 v25, v27
	s_waitcnt lgkmcnt(0)
	v_cndmask_b32_e64 v3, v19, v1, s[8:9]
	v_cndmask_b32_e64 v7, v18, v1, s[6:7]
	v_mov_b32_e32 v18, v52
	v_mov_b32_e32 v19, v52
	v_pk_mul_f32 v[10:11], v[18:19], v[10:11]
	v_pk_mul_f32 v[18:19], v[52:53], v[8:9]
	v_cndmask_b32_e64 v0, v0, v5, s[16:17]
	v_cndmask_b32_e32 v8, v18, v19, vcc
	v_cndmask_b32_e64 v8, v8, v10, s[6:7]
	v_cndmask_b32_e64 v8, v8, v11, s[8:9]
	ds_bpermute_b32 v2, v121, v0
	v_cndmask_b32_e32 v0, v21, v1, vcc
	v_cndmask_b32_e64 v1, v20, v1, s[10:11]
	ds_bpermute_b32 v20, v121, v8
	v_cmp_ne_u32_e32 vcc, 0, v116
	v_cvt_f16_f32_sdwa v26, v26 dst_sel:WORD_1 dst_unused:UNUSED_PAD src0_sel:DWORD
	v_cndmask_b32_e64 v8, v1, v0, s[12:13]
	v_cndmask_b32_e64 v8, v8, v7, s[14:15]
	s_waitcnt lgkmcnt(0)
	v_cndmask_b32_e64 v9, v11, v20, s[8:9]
	v_cndmask_b32_e64 v10, v10, v20, s[6:7]
	v_cndmask_b32_e32 v19, v19, v20, vcc
	v_cndmask_b32_e64 v20, v18, v20, s[10:11]
	v_cndmask_b32_e64 v11, v20, v19, s[12:13]
	;; [unrolled: 1-line block ×6, first 2 shown]
	ds_bpermute_b32 v4, v121, v4
	ds_bpermute_b32 v8, v121, v8
	;; [unrolled: 1-line block ×3, first 2 shown]
	v_or_b32_e32 v18, v26, v25
	;;#ASMSTART
	global_atomic_pk_add_f16 v[22:23], v18, off
	
	;;#ASMEND
	v_or_b32_e32 v18, 48, v118
	v_add_u32_e32 v18, s65, v18
	v_cmp_gt_u32_e32 vcc, 64, v18
	s_and_b64 exec, exec, vcc
	s_cbranch_execz .LBB358_47
; %bb.45:                               ;   in Loop: Header=BB358_7 Depth=1
	v_cmp_eq_u32_e64 s[8:9], 1, v117
	v_cmp_eq_u32_e64 s[10:11], 0, v117
	v_cmp_eq_u32_e32 vcc, 3, v117
	s_waitcnt lgkmcnt(1)
	v_cndmask_b32_e64 v21, v0, v8, s[8:9]
	v_cndmask_b32_e64 v22, v1, v8, s[10:11]
	scratch_load_dwordx2 v[0:1], off, off offset:8 ; 8-byte Folded Reload
	v_cndmask_b32_e64 v14, v14, v4, s[8:9]
	v_cndmask_b32_e64 v15, v15, v4, s[10:11]
	;; [unrolled: 1-line block ×4, first 2 shown]
	v_cvt_f16_f32_e32 v15, v15
	v_cvt_f16_f32_sdwa v14, v14 dst_sel:WORD_1 dst_unused:UNUSED_PAD src0_sel:DWORD
	v_cvt_f16_f32_e32 v17, v17
	v_cvt_f16_f32_sdwa v16, v16 dst_sel:WORD_1 dst_unused:UNUSED_PAD src0_sel:DWORD
	s_waitcnt lgkmcnt(0)
	v_cndmask_b32_e64 v19, v19, v11, s[8:9]
	v_or_b32_e32 v14, v14, v15
	v_cndmask_b32_e64 v20, v20, v11, s[10:11]
	v_or_b32_e32 v16, v16, v17
	v_cvt_f16_f32_sdwa v17, v21 dst_sel:WORD_1 dst_unused:UNUSED_PAD src0_sel:DWORD
	v_cvt_f16_f32_e32 v20, v20
	v_cvt_f16_f32_sdwa v19, v19 dst_sel:WORD_1 dst_unused:UNUSED_PAD src0_sel:DWORD
	v_cmp_eq_u32_e64 s[6:7], 2, v117
	v_cmp_gt_u32_e64 s[8:9], 62, v18
	s_waitcnt vmcnt(0)
	v_lshl_add_u64 v[0:1], v[0:1], 1, s[50:51]
	;;#ASMSTART
	global_atomic_pk_add_f16 v[0:1], v14, off
	
	;;#ASMEND
	v_lshl_add_u64 v[14:15], v[0:1], 0, 32
	;;#ASMSTART
	global_atomic_pk_add_f16 v[14:15], v16, off
	
	;;#ASMEND
	v_cvt_f16_f32_e32 v16, v22
	v_lshl_add_u64 v[14:15], v[0:1], 0, 64
	v_or_b32_e32 v16, v17, v16
	;;#ASMSTART
	global_atomic_pk_add_f16 v[14:15], v16, off
	
	;;#ASMEND
	v_lshl_add_u64 v[14:15], v[0:1], 0, s[30:31]
	v_or_b32_e32 v16, v19, v20
	;;#ASMSTART
	global_atomic_pk_add_f16 v[14:15], v16, off
	
	;;#ASMEND
	s_and_b64 exec, exec, s[8:9]
	s_cbranch_execz .LBB358_47
; %bb.46:                               ;   in Loop: Header=BB358_7 Depth=1
	v_cndmask_b32_e32 v12, v12, v4, vcc
	v_cndmask_b32_e64 v4, v13, v4, s[6:7]
	v_cndmask_b32_e32 v5, v5, v2, vcc
	v_cndmask_b32_e64 v2, v6, v2, s[6:7]
	v_cndmask_b32_e32 v6, v3, v8, vcc
	v_cndmask_b32_e64 v7, v7, v8, s[6:7]
	v_cndmask_b32_e32 v8, v9, v11, vcc
	v_cndmask_b32_e64 v9, v10, v11, s[6:7]
	v_cvt_f16_f32_e32 v3, v4
	v_cvt_f16_f32_sdwa v4, v12 dst_sel:WORD_1 dst_unused:UNUSED_PAD src0_sel:DWORD
	v_cvt_f16_f32_e32 v10, v2
	v_cvt_f16_f32_sdwa v5, v5 dst_sel:WORD_1 dst_unused:UNUSED_PAD src0_sel:DWORD
	v_lshl_add_u64 v[0:1], s[28:29], 2, v[0:1]
	v_or_b32_e32 v2, v4, v3
	;;#ASMSTART
	global_atomic_pk_add_f16 v[0:1], v2, off
	
	;;#ASMEND
	v_or_b32_e32 v4, v5, v10
	v_lshl_add_u64 v[2:3], v[0:1], 0, 32
	;;#ASMSTART
	global_atomic_pk_add_f16 v[2:3], v4, off
	
	;;#ASMEND
	v_cvt_f16_f32_e32 v4, v7
	v_cvt_f16_f32_sdwa v5, v6 dst_sel:WORD_1 dst_unused:UNUSED_PAD src0_sel:DWORD
	v_cvt_f16_f32_e32 v6, v9
	v_cvt_f16_f32_sdwa v7, v8 dst_sel:WORD_1 dst_unused:UNUSED_PAD src0_sel:DWORD
	v_lshl_add_u64 v[2:3], v[0:1], 0, 64
	v_or_b32_e32 v4, v5, v4
	;;#ASMSTART
	global_atomic_pk_add_f16 v[2:3], v4, off
	
	;;#ASMEND
	v_lshl_add_u64 v[0:1], v[0:1], 0, s[30:31]
	v_or_b32_e32 v2, v7, v6
	;;#ASMSTART
	global_atomic_pk_add_f16 v[0:1], v2, off
	
	;;#ASMEND
.LBB358_47:                             ;   in Loop: Header=BB358_7 Depth=1
	s_or_b64 exec, exec, s[18:19]
	v_subrev_u32_e32 v122, s66, v122
.LBB358_48:                             ;   in Loop: Header=BB358_7 Depth=1
	s_or_b64 exec, exec, s[48:49]
.LBB358_49:                             ;   in Loop: Header=BB358_7 Depth=1
	s_andn2_saveexec_b64 s[6:7], s[46:47]
	s_cbranch_execz .LBB358_58
; %bb.50:                               ;   in Loop: Header=BB358_7 Depth=1
	s_lshl_b32 s16, s66, 2
	v_cmp_gt_i32_e32 vcc, s16, v122
	s_and_saveexec_b64 s[8:9], vcc
	s_cbranch_execz .LBB358_57
; %bb.51:                               ;   in Loop: Header=BB358_7 Depth=1
	s_mul_i32 s10, s44, s23
	s_ashr_i32 s11, s10, 31
	s_waitcnt lgkmcnt(0)
	s_add_u32 s10, s38, s10
	s_addc_u32 s11, s39, s11
	s_ashr_i32 s12, s64, 31
	s_add_u32 s10, s10, s64
	s_addc_u32 s11, s11, s12
	v_lshl_add_u64 v[0:1], s[10:11], 0, v[76:77]
	v_lshl_add_u64 v[8:9], v[0:1], 0, v[74:75]
	s_mov_b64 s[10:11], 0
	s_branch .LBB358_53
.LBB358_52:                             ;   in Loop: Header=BB358_53 Depth=2
	s_or_b64 exec, exec, s[12:13]
	v_or_b32_e32 v12, 0x2000, v120
	v_lshl_add_u32 v12, v10, 11, v12
	;;#ASMSTART
	s_waitcnt vmcnt(1)
	;;#ASMEND
	ds_write2_b32 v12, v4, v5 offset1:32
	ds_write2_b32 v12, v6, v7 offset0:64 offset1:96
	v_add_u32_e32 v4, 0x400, v12
	v_add_u32_e32 v122, s26, v122
	;;#ASMSTART
	s_waitcnt vmcnt(0)
	;;#ASMEND
	ds_write2_b32 v4, v0, v1 offset1:32
	ds_write2_b32 v4, v2, v3 offset0:64 offset1:96
	v_add_u32_e32 v0, 1, v114
	v_add_u32_e32 v80, s26, v10
	v_cmp_le_i32_e32 vcc, s16, v122
	ds_write_b32 v11, v0 offset:16
	v_add_u32_e32 v0, 2, v114
	s_or_b64 s[10:11], vcc, s[10:11]
	v_cmp_lt_i32_e32 vcc, 3, v80
	s_nop 1
	v_cndmask_b32_e32 v114, v114, v0, vcc
	s_andn2_b64 exec, exec, s[10:11]
	s_cbranch_execz .LBB358_56
.LBB358_53:                             ;   Parent Loop BB358_7 Depth=1
                                        ; =>  This Loop Header: Depth=2
                                        ;       Child Loop BB358_55 Depth 3
	v_cmp_gt_i32_e32 vcc, 4, v80
	s_nop 1
	v_cndmask_b32_e64 v0, -4, 0, vcc
	v_add_u32_e32 v10, v0, v80
	v_ashrrev_i32_e32 v0, 31, v122
	v_lshrrev_b32_e32 v0, 30, v0
	v_add_u32_e32 v0, v122, v0
	v_and_b32_e32 v1, -4, v0
	v_lshlrev_b32_e32 v0, 5, v0
	v_sub_u32_e32 v2, v122, v1
	v_and_b32_e32 v0, 0xffffff80, v0
	v_ashrrev_i32_e32 v1, 31, v0
	v_mul_lo_u32 v2, s57, v2
	v_lshl_add_u64 v[0:1], v[8:9], 0, v[0:1]
	v_ashrrev_i32_e32 v3, 31, v2
	v_lshl_add_u64 v[0:1], v[0:1], 0, v[2:3]
	v_lshlrev_b32_e32 v11, 2, v10
	;;#ASMSTART
	global_load_dwordx4 v[4:7], v[0:1], off offset:0   sc0 sc1 nt  
	global_load_dwordx4 v[0:3], v[0:1], off offset:64  sc0 sc1 nt  
	
	;;#ASMEND
	ds_read_b32 v12, v11 offset:16400
	v_add_u32_e32 v11, 0x4000, v11
	s_waitcnt lgkmcnt(0)
	v_cmp_ne_u32_e32 vcc, v12, v114
	s_and_saveexec_b64 s[12:13], vcc
	s_cbranch_execz .LBB358_52
; %bb.54:                               ;   in Loop: Header=BB358_53 Depth=2
	s_mov_b64 s[14:15], 0
.LBB358_55:                             ;   Parent Loop BB358_7 Depth=1
                                        ;     Parent Loop BB358_53 Depth=2
                                        ; =>    This Inner Loop Header: Depth=3
	;;#ASMSTART
	s_sleep 0
	;;#ASMEND
	ds_read_b32 v12, v11 offset:16
	s_waitcnt lgkmcnt(0)
	v_cmp_eq_u32_e32 vcc, v12, v114
	s_or_b64 s[14:15], vcc, s[14:15]
	s_andn2_b64 exec, exec, s[14:15]
	s_cbranch_execnz .LBB358_55
	s_branch .LBB358_52
.LBB358_56:                             ;   in Loop: Header=BB358_7 Depth=1
	s_or_b64 exec, exec, s[10:11]
.LBB358_57:                             ;   in Loop: Header=BB358_7 Depth=1
	s_or_b64 exec, exec, s[8:9]
	v_subrev_u32_e32 v122, s16, v122
.LBB358_58:                             ;   in Loop: Header=BB358_7 Depth=1
	s_or_b64 exec, exec, s[6:7]
.LBB358_59:                             ;   in Loop: Header=BB358_7 Depth=1
	s_andn2_saveexec_b64 s[6:7], s[34:35]
	s_cbranch_execz .LBB358_6
; %bb.60:                               ;   in Loop: Header=BB358_7 Depth=1
	s_lshl_b32 s16, s66, 2
	v_cmp_gt_i32_e32 vcc, s16, v122
	s_and_saveexec_b64 s[8:9], vcc
	s_cbranch_execz .LBB358_5
; %bb.61:                               ;   in Loop: Header=BB358_7 Depth=1
	s_mul_i32 s63, s63, s22
	s_ashr_i32 s10, s63, 31
	s_waitcnt lgkmcnt(0)
	s_add_u32 s11, s36, s63
	v_add_u32_e32 v2, s65, v119
	s_addc_u32 s12, s37, s10
	s_ashr_i32 s13, s64, 31
	v_mul_lo_u32 v0, s22, v119
	v_cmp_gt_u32_e32 vcc, 64, v2
	s_add_u32 s10, s11, s64
	s_addc_u32 s11, s12, s13
	v_cndmask_b32_e32 v0, 0, v0, vcc
	v_ashrrev_i32_e32 v1, 31, v0
	v_lshl_add_u64 v[0:1], s[10:11], 0, v[0:1]
	v_lshl_add_u64 v[8:9], v[0:1], 0, v[74:75]
	v_sub_u32_e32 v10, 63, v2
	s_mov_b64 s[10:11], 0
	s_branch .LBB358_63
.LBB358_62:                             ;   in Loop: Header=BB358_63 Depth=2
	s_or_b64 exec, exec, s[12:13]
	v_lshl_or_b32 v13, v11, 11, v120
	;;#ASMSTART
	s_waitcnt vmcnt(1)
	;;#ASMEND
	ds_write2_b32 v13, v4, v5 offset1:32
	ds_write2_b32 v13, v6, v7 offset0:64 offset1:96
	v_add_u32_e32 v4, 0x400, v13
	v_add_u32_e32 v122, s25, v122
	;;#ASMSTART
	s_waitcnt vmcnt(0)
	;;#ASMEND
	ds_write2_b32 v4, v0, v1 offset1:32
	ds_write2_b32 v4, v2, v3 offset0:64 offset1:96
	v_add_u32_e32 v0, 1, v114
	v_add_u32_e32 v80, s25, v11
	v_cmp_le_i32_e32 vcc, s16, v122
	ds_write_b32 v12, v0
	v_add_u32_e32 v0, 2, v114
	s_or_b64 s[10:11], vcc, s[10:11]
	v_cmp_lt_i32_e32 vcc, 3, v80
	s_nop 1
	v_cndmask_b32_e32 v114, v114, v0, vcc
	s_andn2_b64 exec, exec, s[10:11]
	s_cbranch_execz .LBB358_4
.LBB358_63:                             ;   Parent Loop BB358_7 Depth=1
                                        ; =>  This Loop Header: Depth=2
                                        ;       Child Loop BB358_65 Depth 3
	v_cmp_gt_i32_e32 vcc, 4, v80
	s_nop 1
	v_cndmask_b32_e64 v0, -4, 0, vcc
	v_add_u32_e32 v11, v0, v80
	v_ashrrev_i32_e32 v0, 31, v122
	v_lshrrev_b32_e32 v0, 30, v0
	v_add_u32_e32 v0, v122, v0
	v_and_b32_e32 v1, 0xffffffc, v0
	v_sub_u32_e32 v1, v122, v1
	v_lshlrev_b32_e32 v1, 4, v1
	v_cmp_le_i32_e32 vcc, v1, v10
	v_lshlrev_b32_e32 v0, 5, v0
	v_and_b32_e32 v0, 0xffffff80, v0
	v_cndmask_b32_e32 v2, 0, v1, vcc
	v_ashrrev_i32_e32 v1, 31, v0
	v_mul_lo_u32 v2, v2, s22
	v_lshl_add_u64 v[0:1], v[8:9], 0, v[0:1]
	v_ashrrev_i32_e32 v3, 31, v2
	v_lshl_add_u64 v[0:1], v[0:1], 0, v[2:3]
	v_lshlrev_b32_e32 v12, 2, v11
	;;#ASMSTART
	global_load_dwordx4 v[4:7], v[0:1], off offset:0   
	global_load_dwordx4 v[0:3], v[0:1], off offset:64  
	
	;;#ASMEND
	ds_read_b32 v13, v12 offset:16384
	v_add_u32_e32 v12, 0x4000, v12
	s_waitcnt lgkmcnt(0)
	v_cmp_ne_u32_e32 vcc, v13, v114
	s_and_saveexec_b64 s[12:13], vcc
	s_cbranch_execz .LBB358_62
; %bb.64:                               ;   in Loop: Header=BB358_63 Depth=2
	s_mov_b64 s[14:15], 0
.LBB358_65:                             ;   Parent Loop BB358_7 Depth=1
                                        ;     Parent Loop BB358_63 Depth=2
                                        ; =>    This Inner Loop Header: Depth=3
	;;#ASMSTART
	s_sleep 0
	;;#ASMEND
	ds_read_b32 v13, v12
	s_waitcnt lgkmcnt(0)
	v_cmp_eq_u32_e32 vcc, v13, v114
	s_or_b64 s[14:15], vcc, s[14:15]
	s_andn2_b64 exec, exec, s[14:15]
	s_cbranch_execnz .LBB358_65
	s_branch .LBB358_62
.LBB358_66:
	s_endpgm
	.section	.rodata,"a",@progbits
	.p2align	6, 0x0
	.amdhsa_kernel _Z19_skinny_gemm_kernelILi4ELi4ELi1ELi16ELi4EEvPKhS1_P6__halfPKfiiiiiiii
		.amdhsa_group_segment_fixed_size 16416
		.amdhsa_private_segment_fixed_size 20
		.amdhsa_kernarg_size 64
		.amdhsa_user_sgpr_count 2
		.amdhsa_user_sgpr_dispatch_ptr 0
		.amdhsa_user_sgpr_queue_ptr 0
		.amdhsa_user_sgpr_kernarg_segment_ptr 1
		.amdhsa_user_sgpr_dispatch_id 0
		.amdhsa_user_sgpr_kernarg_preload_length 0
		.amdhsa_user_sgpr_kernarg_preload_offset 0
		.amdhsa_user_sgpr_private_segment_size 0
		.amdhsa_uses_dynamic_stack 0
		.amdhsa_enable_private_segment 1
		.amdhsa_system_sgpr_workgroup_id_x 1
		.amdhsa_system_sgpr_workgroup_id_y 0
		.amdhsa_system_sgpr_workgroup_id_z 0
		.amdhsa_system_sgpr_workgroup_info 0
		.amdhsa_system_vgpr_workitem_id 0
		.amdhsa_next_free_vgpr 128
		.amdhsa_next_free_sgpr 67
		.amdhsa_accum_offset 128
		.amdhsa_reserve_vcc 1
		.amdhsa_float_round_mode_32 0
		.amdhsa_float_round_mode_16_64 0
		.amdhsa_float_denorm_mode_32 3
		.amdhsa_float_denorm_mode_16_64 3
		.amdhsa_dx10_clamp 1
		.amdhsa_ieee_mode 1
		.amdhsa_fp16_overflow 0
		.amdhsa_tg_split 0
		.amdhsa_exception_fp_ieee_invalid_op 0
		.amdhsa_exception_fp_denorm_src 0
		.amdhsa_exception_fp_ieee_div_zero 0
		.amdhsa_exception_fp_ieee_overflow 0
		.amdhsa_exception_fp_ieee_underflow 0
		.amdhsa_exception_fp_ieee_inexact 0
		.amdhsa_exception_int_div_zero 0
	.end_amdhsa_kernel
	.section	.text._Z19_skinny_gemm_kernelILi4ELi4ELi1ELi16ELi4EEvPKhS1_P6__halfPKfiiiiiiii,"axG",@progbits,_Z19_skinny_gemm_kernelILi4ELi4ELi1ELi16ELi4EEvPKhS1_P6__halfPKfiiiiiiii,comdat
.Lfunc_end358:
	.size	_Z19_skinny_gemm_kernelILi4ELi4ELi1ELi16ELi4EEvPKhS1_P6__halfPKfiiiiiiii, .Lfunc_end358-_Z19_skinny_gemm_kernelILi4ELi4ELi1ELi16ELi4EEvPKhS1_P6__halfPKfiiiiiiii
                                        ; -- End function
	.set _Z19_skinny_gemm_kernelILi4ELi4ELi1ELi16ELi4EEvPKhS1_P6__halfPKfiiiiiiii.num_vgpr, 128
	.set _Z19_skinny_gemm_kernelILi4ELi4ELi1ELi16ELi4EEvPKhS1_P6__halfPKfiiiiiiii.num_agpr, 0
	.set _Z19_skinny_gemm_kernelILi4ELi4ELi1ELi16ELi4EEvPKhS1_P6__halfPKfiiiiiiii.numbered_sgpr, 67
	.set _Z19_skinny_gemm_kernelILi4ELi4ELi1ELi16ELi4EEvPKhS1_P6__halfPKfiiiiiiii.num_named_barrier, 0
	.set _Z19_skinny_gemm_kernelILi4ELi4ELi1ELi16ELi4EEvPKhS1_P6__halfPKfiiiiiiii.private_seg_size, 20
	.set _Z19_skinny_gemm_kernelILi4ELi4ELi1ELi16ELi4EEvPKhS1_P6__halfPKfiiiiiiii.uses_vcc, 1
	.set _Z19_skinny_gemm_kernelILi4ELi4ELi1ELi16ELi4EEvPKhS1_P6__halfPKfiiiiiiii.uses_flat_scratch, 0
	.set _Z19_skinny_gemm_kernelILi4ELi4ELi1ELi16ELi4EEvPKhS1_P6__halfPKfiiiiiiii.has_dyn_sized_stack, 0
	.set _Z19_skinny_gemm_kernelILi4ELi4ELi1ELi16ELi4EEvPKhS1_P6__halfPKfiiiiiiii.has_recursion, 0
	.set _Z19_skinny_gemm_kernelILi4ELi4ELi1ELi16ELi4EEvPKhS1_P6__halfPKfiiiiiiii.has_indirect_call, 0
	.section	.AMDGPU.csdata,"",@progbits
; Kernel info:
; codeLenInByte = 8424
; TotalNumSgprs: 73
; NumVgprs: 128
; NumAgprs: 0
; TotalNumVgprs: 128
; ScratchSize: 20
; MemoryBound: 0
; FloatMode: 240
; IeeeMode: 1
; LDSByteSize: 16416 bytes/workgroup (compile time only)
; SGPRBlocks: 9
; VGPRBlocks: 15
; NumSGPRsForWavesPerEU: 73
; NumVGPRsForWavesPerEU: 128
; AccumOffset: 128
; Occupancy: 4
; WaveLimiterHint : 0
; COMPUTE_PGM_RSRC2:SCRATCH_EN: 1
; COMPUTE_PGM_RSRC2:USER_SGPR: 2
; COMPUTE_PGM_RSRC2:TRAP_HANDLER: 0
; COMPUTE_PGM_RSRC2:TGID_X_EN: 1
; COMPUTE_PGM_RSRC2:TGID_Y_EN: 0
; COMPUTE_PGM_RSRC2:TGID_Z_EN: 0
; COMPUTE_PGM_RSRC2:TIDIG_COMP_CNT: 0
; COMPUTE_PGM_RSRC3_GFX90A:ACCUM_OFFSET: 31
; COMPUTE_PGM_RSRC3_GFX90A:TG_SPLIT: 0
	.section	.text._Z19_skinny_gemm_kernelILi4ELi4ELi1ELi16ELi8EEvPKhS1_P6__halfPKfiiiiiiii,"axG",@progbits,_Z19_skinny_gemm_kernelILi4ELi4ELi1ELi16ELi8EEvPKhS1_P6__halfPKfiiiiiiii,comdat
	.protected	_Z19_skinny_gemm_kernelILi4ELi4ELi1ELi16ELi8EEvPKhS1_P6__halfPKfiiiiiiii ; -- Begin function _Z19_skinny_gemm_kernelILi4ELi4ELi1ELi16ELi8EEvPKhS1_P6__halfPKfiiiiiiii
	.globl	_Z19_skinny_gemm_kernelILi4ELi4ELi1ELi16ELi8EEvPKhS1_P6__halfPKfiiiiiiii
	.p2align	8
	.type	_Z19_skinny_gemm_kernelILi4ELi4ELi1ELi16ELi8EEvPKhS1_P6__halfPKfiiiiiiii,@function
_Z19_skinny_gemm_kernelILi4ELi4ELi1ELi16ELi8EEvPKhS1_P6__halfPKfiiiiiiii: ; @_Z19_skinny_gemm_kernelILi4ELi4ELi1ELi16ELi8EEvPKhS1_P6__halfPKfiiiiiiii
; %bb.0:
	v_cmp_gt_u32_e32 vcc, 8, v0
	v_lshlrev_b32_e32 v1, 2, v0
	s_and_saveexec_b64 s[4:5], vcc
; %bb.1:
	v_mov_b32_e32 v2, 0
	ds_write_b32 v1, v2 offset:32768
; %bb.2:
	s_or_b64 exec, exec, s[4:5]
	s_load_dwordx8 s[20:27], s[0:1], 0x20
	s_waitcnt lgkmcnt(0)
	s_barrier
	s_add_i32 s3, s20, 63
	s_ashr_i32 s5, s3, 31
	s_add_i32 s4, s21, 63
	s_lshr_b32 s5, s5, 26
	s_ashr_i32 s6, s4, 31
	s_add_i32 s3, s3, s5
	s_ashr_i32 s33, s3, 6
	s_lshr_b32 s3, s6, 26
	s_add_i32 s4, s4, s3
	s_ashr_i32 s52, s4, 6
	s_mul_i32 s3, s52, s33
	s_mul_i32 s3, s3, s24
	s_add_i32 s4, s3, 0x12f
	s_mul_hi_i32 s4, s4, 0x6bca1af3
	s_lshr_b32 s5, s4, 31
	s_ashr_i32 s4, s4, 7
	s_add_i32 s4, s4, s5
	s_add_i32 s5, s2, 1
	s_mul_i32 s5, s4, s5
	v_cvt_f64_i32_e32 v[2:3], s3
	v_cvt_f64_u32_e32 v[4:5], s5
	v_min_f64 v[2:3], v[2:3], v[4:5]
	v_cvt_i32_f64_e32 v25, v[2:3]
	s_mul_i32 s53, s4, s2
	v_cmp_ge_i32_e32 vcc, s53, v25
	s_cbranch_vccnz .LBB359_66
; %bb.3:
	s_abs_i32 s5, s24
	v_lshrrev_b32_e32 v2, 6, v0
	s_add_i32 s4, s26, s25
	v_cvt_f32_u32_e32 v5, s5
	s_load_dwordx8 s[36:43], s[0:1], 0x0
	v_cmp_le_i32_e64 s[0:1], s4, v2
	v_mov_b32_e32 v3, s25
	v_cmp_le_i32_e64 s[2:3], s25, v2
	v_mov_b32_e32 v4, s26
	v_cndmask_b32_e64 v4, 0, v4, s[0:1]
	v_cndmask_b32_e64 v3, 0, v3, s[2:3]
	v_add_u32_e32 v3, v3, v4
	v_sub_u32_e32 v4, v2, v3
	v_rcp_iflag_f32_e32 v3, v5
	s_ashr_i32 s6, s22, 31
	s_lshr_b32 s6, s6, 24
	s_sub_i32 s9, 0, s5
	v_mul_f32_e32 v3, 0x4f7ffffe, v3
	v_cvt_u32_f32_e32 v3, v3
	s_add_i32 s6, s22, s6
	s_ashr_i32 s6, s6, 8
	s_abs_i32 s8, s6
	v_readfirstlane_b32 s10, v3
	s_mul_i32 s9, s9, s10
	s_mul_hi_u32 s9, s10, s9
	s_add_i32 s10, s10, s9
	s_mul_hi_u32 s9, s8, s10
	s_mul_i32 s10, s9, s5
	s_xor_b32 s7, s6, s24
	s_sub_i32 s8, s8, s10
	s_ashr_i32 s7, s7, 31
	s_add_i32 s10, s9, 1
	s_sub_i32 s11, s8, s5
	s_cmp_ge_u32 s8, s5
	s_cselect_b32 s9, s10, s9
	s_cselect_b32 s8, s11, s8
	s_add_i32 s10, s9, 1
	s_cmp_ge_u32 s8, s5
	s_cselect_b32 s5, s10, s9
	s_xor_b32 s5, s5, s7
	s_sub_i32 s54, s5, s7
	s_add_i32 s24, s24, -1
	s_mul_i32 s5, s54, s24
	s_add_i32 s4, s4, s27
	s_sub_i32 s55, s6, s5
	v_cmp_gt_i32_e64 s[4:5], s4, v2
	v_lshlrev_b32_e32 v2, 1, v0
	v_lshlrev_b32_e32 v3, 4, v0
	s_abs_i32 s56, s33
	v_and_b32_e32 v1, 60, v1
	v_and_b32_e32 v2, 64, v2
	;; [unrolled: 1-line block ×4, first 2 shown]
	v_cvt_f32_u32_e32 v3, s56
	v_or3_b32 v39, v1, v2, v5
	v_and_b32_e32 v1, 1, v0
	v_lshrrev_b32_e32 v5, 2, v0
	v_and_b32_e32 v46, 14, v0
	v_lshlrev_b32_e32 v2, 1, v1
	v_bitop3_b32 v47, v0, 1, v0 bitop3:0xc
	v_and_or_b32 v1, v5, 12, v1
	v_sub_u32_e32 v2, v0, v2
	v_bitop3_b32 v62, v0, 3, 1 bitop3:0x6c
	scratch_store_dword off, v1, off offset:128 ; 4-byte Folded Spill
	v_mad_u64_u32 v[6:7], s[6:7], s21, v1, v[46:47]
	v_bfe_u32 v28, v0, 2, 4
	v_and_b32_e32 v1, 60, v0
	v_lshlrev_b32_e32 v5, 8, v0
	v_lshlrev_b32_e32 v0, 6, v0
	v_and_b32_e32 v5, 0x200, v5
	v_rcp_iflag_f32_e32 v3, v3
	v_and_b32_e32 v0, 64, v0
	s_abs_i32 s58, s52
	v_or3_b32 v22, v1, v5, v0
	v_cvt_f32_u32_e32 v1, s58
	v_mul_f32_e32 v0, 0x4f7ffffe, v3
	v_cvt_u32_f32_e32 v0, v0
	v_ashrrev_i32_e32 v7, 31, v6
	v_rcp_iflag_f32_e32 v1, v1
	s_lshl_b32 s6, s21, 4
	scratch_store_dwordx2 off, v[6:7], off offset:164 ; 8-byte Folded Spill
	v_add_u32_e32 v6, s6, v6
	v_ashrrev_i32_e32 v7, 31, v6
	scratch_store_dwordx2 off, v[6:7], off offset:172 ; 8-byte Folded Spill
	v_add_u32_e32 v6, s6, v6
	v_readfirstlane_b32 s7, v0
	v_mul_f32_e32 v0, 0x4f7ffffe, v1
	v_ashrrev_i32_e32 v7, 31, v6
	v_cvt_u32_f32_e32 v0, v0
	scratch_store_dwordx2 off, v[6:7], off offset:180 ; 8-byte Folded Spill
	v_add_u32_e32 v6, s6, v6
	s_sub_i32 s6, 0, s56
	s_mul_i32 s6, s6, s7
	s_mul_hi_u32 s6, s7, s6
	v_add_u32_e32 v2, 1, v2
	s_add_i32 s60, s7, s6
	s_sub_i32 s6, 0, s58
	v_readfirstlane_b32 s7, v0
	v_mbcnt_lo_u32_b32 v0, -1, 0
	v_and_b32_e32 v2, 63, v2
	v_ashrrev_i32_e32 v7, 31, v6
	s_mul_i32 s6, s6, s7
	v_mbcnt_hi_u32_b32 v0, -1, v0
	scratch_store_dwordx2 off, v[6:7], off offset:188 ; 8-byte Folded Spill
	v_mul_lo_u32 v6, s23, v28
	s_mul_hi_u32 s6, s7, s6
	v_and_or_b32 v0, v0, 64, v2
	v_cndmask_b32_e64 v20, 0, 1, s[0:1]
	s_ashr_i32 s29, s21, 31
	s_mov_b32 s28, s21
	v_ashrrev_i32_e32 v7, 31, v6
	v_mov_b32_e32 v27, 0
	s_lshl_b32 s57, s23, 4
	s_ashr_i32 s59, s33, 31
	s_ashr_i32 s61, s52, 31
	s_add_i32 s62, s7, s6
	s_mov_b64 s[30:31], 0x60
	v_lshlrev_b32_e32 v0, 2, v0
	v_mov_b32_e32 v23, v4
	scratch_store_dwordx2 off, v[6:7], off offset:152 ; 8-byte Folded Spill
	scratch_store_dword off, v0, off offset:132 ; 4-byte Folded Spill
	scratch_store_dword off, v25, off offset:136 ; 4-byte Folded Spill
	scratch_store_dwordx2 off, v[26:27], off offset:140 ; 8-byte Folded Spill
	scratch_store_dword off, v28, off offset:148 ; 4-byte Folded Spill
	scratch_store_dword off, v62, off offset:160 ; 4-byte Folded Spill
	s_branch .LBB359_7
.LBB359_4:                              ;   in Loop: Header=BB359_7 Depth=1
	s_or_b64 exec, exec, s[10:11]
.LBB359_5:                              ;   in Loop: Header=BB359_7 Depth=1
	s_or_b64 exec, exec, s[8:9]
	v_subrev_u32_e32 v23, s16, v23
.LBB359_6:                              ;   in Loop: Header=BB359_7 Depth=1
	s_or_b64 exec, exec, s[6:7]
	s_add_i32 s53, s53, 1
	s_waitcnt vmcnt(2)
	v_cmp_ge_i32_e32 vcc, s53, v25
	s_cbranch_vccnz .LBB359_66
.LBB359_7:                              ; =>This Loop Header: Depth=1
                                        ;     Child Loop BB359_13 Depth 2
                                        ;       Child Loop BB359_15 Depth 3
                                        ;       Child Loop BB359_18 Depth 3
	;; [unrolled: 1-line block ×8, first 2 shown]
                                        ;     Child Loop BB359_53 Depth 2
                                        ;       Child Loop BB359_55 Depth 3
                                        ;     Child Loop BB359_63 Depth 2
                                        ;       Child Loop BB359_65 Depth 3
	s_abs_i32 s7, s53
	s_mul_hi_u32 s8, s7, s60
	s_mul_i32 s9, s8, s56
	s_ashr_i32 s6, s53, 31
	s_sub_i32 s7, s7, s9
	s_xor_b32 s6, s6, s59
	s_add_i32 s9, s8, 1
	s_sub_i32 s10, s7, s56
	s_cmp_ge_u32 s7, s56
	s_cselect_b32 s8, s9, s8
	s_cselect_b32 s7, s10, s7
	s_add_i32 s9, s8, 1
	s_cmp_ge_u32 s7, s56
	s_cselect_b32 s7, s9, s8
	s_xor_b32 s7, s7, s6
	s_sub_i32 s6, s7, s6
	s_abs_i32 s8, s6
	s_mul_i32 s7, s6, s33
	s_mul_hi_u32 s9, s8, s62
	s_sub_i32 s7, s53, s7
	s_mul_i32 s10, s9, s58
	s_lshl_b32 s63, s7, 6
	s_ashr_i32 s7, s6, 31
	s_sub_i32 s8, s8, s10
	s_xor_b32 s7, s7, s61
	s_add_i32 s10, s9, 1
	s_sub_i32 s11, s8, s58
	s_cmp_ge_u32 s8, s58
	s_cselect_b32 s9, s10, s9
	s_cselect_b32 s8, s11, s8
	s_add_i32 s10, s9, 1
	s_cmp_ge_u32 s8, s58
	s_cselect_b32 s8, s10, s9
	s_xor_b32 s8, s8, s7
	s_sub_i32 s7, s8, s7
	s_mul_i32 s8, s7, s54
	s_lshl_b32 s64, s8, 8
	s_cmp_eq_u32 s7, s24
	s_cselect_b32 s66, s55, s54
	s_sub_i32 s8, s63, s20
	s_add_i32 s8, s8, 64
	s_max_i32 s65, s8, 0
	s_and_saveexec_b64 s[8:9], s[2:3]
	s_xor_b64 s[34:35], exec, s[8:9]
	s_cbranch_execz .LBB359_59
; %bb.8:                                ;   in Loop: Header=BB359_7 Depth=1
	s_mul_i32 s7, s7, s52
	s_sub_i32 s6, s6, s7
	s_lshl_b32 s6, s6, 6
	s_sub_i32 s45, s6, s21
	s_add_i32 s45, s45, 64
	s_max_i32 s7, s45, 0
	s_sub_i32 s44, s6, s7
	s_and_saveexec_b64 s[6:7], s[0:1]
	s_xor_b64 s[46:47], exec, s[6:7]
	s_cbranch_execz .LBB359_49
; %bb.9:                                ;   in Loop: Header=BB359_7 Depth=1
	s_and_saveexec_b64 s[48:49], s[4:5]
	s_cbranch_execz .LBB359_48
; %bb.10:                               ;   in Loop: Header=BB359_7 Depth=1
	s_waitcnt vmcnt(1) lgkmcnt(0)
	global_load_dword v41, v27, s[42:43]
	v_mov_b32_e32 v63, 0
	v_cmp_gt_i32_e32 vcc, s66, v23
	v_mov_b32_e32 v62, v63
	v_mov_b32_e32 v61, v63
	v_mov_b32_e32 v60, v63
	v_mov_b32_e32 v15, v63
	v_mov_b32_e32 v14, v63
	v_mov_b32_e32 v13, v63
	v_mov_b32_e32 v12, v63
	v_mov_b32_e32 v3, v63
	v_mov_b32_e32 v2, v63
	v_mov_b32_e32 v1, v63
	v_mov_b32_e32 v0, v63
	v_mov_b32_e32 v51, v63
	v_mov_b32_e32 v50, v63
	v_mov_b32_e32 v49, v63
	v_mov_b32_e32 v48, v63
	v_mov_b32_e32 v45, v63
	v_mov_b32_e32 v44, v63
	v_mov_b32_e32 v43, v63
	v_mov_b32_e32 v42, v63
	v_mov_b32_e32 v35, v63
	v_mov_b32_e32 v34, v63
	v_mov_b32_e32 v33, v63
	v_mov_b32_e32 v32, v63
	v_mov_b32_e32 v59, v63
	v_mov_b32_e32 v58, v63
	v_mov_b32_e32 v57, v63
	v_mov_b32_e32 v56, v63
	v_mov_b32_e32 v19, v63
	v_mov_b32_e32 v18, v63
	v_mov_b32_e32 v17, v63
	v_mov_b32_e32 v16, v63
	v_mov_b32_e32 v55, v63
	v_mov_b32_e32 v54, v63
	v_mov_b32_e32 v53, v63
	v_mov_b32_e32 v52, v63
	v_mov_b32_e32 v121, v63
	v_mov_b32_e32 v120, v63
	v_mov_b32_e32 v119, v63
	v_mov_b32_e32 v118, v63
	v_mov_b32_e32 v11, v63
	v_mov_b32_e32 v10, v63
	v_mov_b32_e32 v9, v63
	v_mov_b32_e32 v8, v63
	scratch_store_dwordx4 off, v[0:3], off  ; 16-byte Folded Spill
	scratch_store_dwordx4 off, v[0:3], off offset:32 ; 16-byte Folded Spill
	scratch_store_dwordx4 off, v[0:3], off offset:16 ; 16-byte Folded Spill
	;; [unrolled: 1-line block ×5, first 2 shown]
	s_and_saveexec_b64 s[6:7], vcc
	s_cbranch_execz .LBB359_38
; %bb.11:                               ;   in Loop: Header=BB359_7 Depth=1
	v_mov_b32_e32 v8, 0
	s_mov_b64 s[8:9], 0
	v_mov_b32_e32 v9, v8
	v_mov_b32_e32 v10, v8
	;; [unrolled: 1-line block ×39, first 2 shown]
	scratch_store_dwordx4 off, v[0:3], off offset:80 ; 16-byte Folded Spill
	scratch_store_dwordx4 off, v[0:3], off offset:48 ; 16-byte Folded Spill
	;; [unrolled: 1-line block ×5, first 2 shown]
	scratch_store_dwordx4 off, v[0:3], off  ; 16-byte Folded Spill
	scratch_store_dwordx4 off, v[0:3], off offset:96 ; 16-byte Folded Spill
	s_branch .LBB359_13
.LBB359_12:                             ;   in Loop: Header=BB359_13 Depth=2
	s_or_b64 exec, exec, s[10:11]
	v_add_u32_e32 v15, 0x3000, v13
	ds_read2_b32 v[28:29], v15 offset1:32
	ds_read2_b32 v[30:31], v15 offset0:128 offset1:160
	v_add_u32_e32 v15, 0x3400, v13
	ds_read2_b32 v[36:37], v15 offset1:32
	ds_read2_b32 v[38:39], v15 offset0:128 offset1:160
	s_waitcnt lgkmcnt(3)
	v_mfma_f32_16x16x32_fp8_fp8 v[24:27], v[92:93], v[28:29], v[48:51]
	v_add_u32_e32 v15, 0x3800, v13
	v_add_u32_e32 v13, 0x3c00, v13
	;; [unrolled: 1-line block ×3, first 2 shown]
	s_waitcnt lgkmcnt(2)
	v_mfma_f32_16x16x32_fp8_fp8 v[24:27], v[88:89], v[30:31], v[24:27]
	s_waitcnt lgkmcnt(1)
	v_mfma_f32_16x16x32_fp8_fp8 v[24:27], v[90:91], v[36:37], v[24:27]
	;; [unrolled: 2-line block ×3, first 2 shown]
	ds_read2_b32 v[84:85], v15 offset1:32
	v_mfma_f32_16x16x32_fp8_fp8 v[16:19], v[126:127], v[28:29], v[16:19]
	s_waitcnt lgkmcnt(0)
	v_mfma_f32_16x16x32_fp8_fp8 v[24:27], v[86:87], v[84:85], v[24:27]
	ds_read2_b32 v[86:87], v15 offset0:128 offset1:160
	s_waitcnt lgkmcnt(0)
	v_mfma_f32_16x16x32_fp8_fp8 v[24:27], v[80:81], v[86:87], v[24:27]
	ds_read2_b32 v[80:81], v13 offset1:32
	s_waitcnt lgkmcnt(0)
	v_mfma_f32_16x16x32_fp8_fp8 v[24:27], v[82:83], v[80:81], v[24:27]
	ds_read2_b32 v[82:83], v13 offset0:128 offset1:160
	;;#ASMSTART
	s_waitcnt lgkmcnt(0)
	;;#ASMEND
	ds_write_b32 v12, v14 offset:32796
	s_waitcnt lgkmcnt(1)
	v_mfma_f32_16x16x32_fp8_fp8 v[48:51], v[78:79], v[82:83], v[24:27]
	v_mfma_f32_16x16x32_fp8_fp8 v[24:27], v[94:95], v[28:29], v[32:35]
	;; [unrolled: 1-line block ×12, first 2 shown]
	v_mov_b32_e32 v39, v40
	v_mfma_f32_16x16x32_fp8_fp8 v[24:27], v[102:103], v[84:85], v[24:27]
	v_mfma_f32_16x16x32_fp8_fp8 v[16:19], v[66:67], v[84:85], v[16:19]
	;; [unrolled: 1-line block ×7, first 2 shown]
	s_nop 3
	v_add_u32_e32 v4, s27, v21
	v_add_u32_e32 v5, 2, v20
	v_cmp_lt_i32_e32 vcc, 0, v4
	v_mfma_f32_16x16x32_fp8_fp8 v[16:19], v[64:65], v[80:81], v[16:19]
	s_nop 0
	v_cndmask_b32_e32 v20, v20, v5, vcc
	v_cmp_le_i32_e32 vcc, s66, v23
	v_mfma_f32_16x16x32_fp8_fp8 v[0:3], v[2:3], v[80:81], v[6:9]
	s_or_b64 s[8:9], vcc, s[8:9]
	v_mfma_f32_16x16x32_fp8_fp8 v[32:35], v[108:109], v[82:83], v[24:27]
	v_mfma_f32_16x16x32_fp8_fp8 v[16:19], v[74:75], v[82:83], v[16:19]
	v_mfma_f32_16x16x32_fp8_fp8 v[8:11], v[110:111], v[82:83], v[0:3]
	s_andn2_b64 exec, exec, s[8:9]
	s_cbranch_execz .LBB359_37
.LBB359_13:                             ;   Parent Loop BB359_7 Depth=1
                                        ; =>  This Loop Header: Depth=2
                                        ;       Child Loop BB359_15 Depth 3
                                        ;       Child Loop BB359_18 Depth 3
	;; [unrolled: 1-line block ×8, first 2 shown]
	v_cmp_lt_i32_e32 vcc, 0, v4
	s_nop 1
	v_subbrev_co_u32_e32 v21, vcc, 0, v4, vcc
	v_lshlrev_b32_e32 v12, 4, v21
	ds_read_b32 v0, v12 offset:32784
	s_waitcnt lgkmcnt(0)
	v_cmp_ne_u32_e32 vcc, v0, v20
	s_and_saveexec_b64 s[10:11], vcc
	s_cbranch_execz .LBB359_16
; %bb.14:                               ;   in Loop: Header=BB359_13 Depth=2
	s_mov_b64 s[12:13], 0
.LBB359_15:                             ;   Parent Loop BB359_7 Depth=1
                                        ;     Parent Loop BB359_13 Depth=2
                                        ; =>    This Inner Loop Header: Depth=3
	;;#ASMSTART
	s_sleep 0
	;;#ASMEND
	ds_read_b32 v0, v12 offset:32784
	s_waitcnt lgkmcnt(0)
	v_cmp_eq_u32_e32 vcc, v0, v20
	s_or_b64 s[12:13], vcc, s[12:13]
	s_andn2_b64 exec, exec, s[12:13]
	s_cbranch_execnz .LBB359_15
.LBB359_16:                             ;   in Loop: Header=BB359_13 Depth=2
	s_or_b64 exec, exec, s[10:11]
	v_lshlrev_b32_e32 v0, 14, v21
	v_or_b32_e32 v1, 0x4000, v39
	v_add_u32_e32 v13, v1, v0
	scratch_store_dwordx4 off, v[118:121], off offset:112 ; 16-byte Folded Spill
	v_add_u32_e32 v1, 0x400, v13
	ds_read2_b32 v[112:113], v13 offset1:32
	ds_read2_b32 v[110:111], v13 offset0:128 offset1:160
	ds_read2_b32 v[116:117], v1 offset1:32
	ds_read2_b32 v[114:115], v1 offset0:128 offset1:160
	v_add_u32_e32 v1, 0x800, v13
	ds_read2_b32 v[122:123], v1 offset1:32
	ds_read2_b32 v[120:121], v1 offset0:128 offset1:160
	v_add_u32_e32 v1, 0xc00, v13
	ds_read2_b32 v[124:125], v1 offset1:32
	ds_read2_b32 v[118:119], v1 offset0:128 offset1:160
	;;#ASMSTART
	s_waitcnt lgkmcnt(0)
	;;#ASMEND
	ds_read_b32 v1, v12 offset:32768
	v_add_u32_e32 v14, 1, v20
	ds_write_b32 v12, v14 offset:32784
	s_waitcnt lgkmcnt(1)
	v_cmp_ne_u32_e32 vcc, v1, v20
	s_and_saveexec_b64 s[10:11], vcc
	s_cbranch_execz .LBB359_19
; %bb.17:                               ;   in Loop: Header=BB359_13 Depth=2
	s_mov_b64 s[12:13], 0
.LBB359_18:                             ;   Parent Loop BB359_7 Depth=1
                                        ;     Parent Loop BB359_13 Depth=2
                                        ; =>    This Inner Loop Header: Depth=3
	;;#ASMSTART
	s_sleep 0
	;;#ASMEND
	ds_read_b32 v1, v12 offset:32768
	s_waitcnt lgkmcnt(0)
	v_cmp_eq_u32_e32 vcc, v1, v20
	s_or_b64 s[12:13], vcc, s[12:13]
	s_andn2_b64 exec, exec, s[12:13]
	s_cbranch_execnz .LBB359_18
.LBB359_19:                             ;   in Loop: Header=BB359_13 Depth=2
	s_or_b64 exec, exec, s[10:11]
	v_add_u32_e32 v2, v39, v0
	ds_read2_b32 v[92:93], v2 offset1:32
	ds_read2_b32 v[88:89], v2 offset0:128 offset1:160
	v_add_u32_e32 v0, 0x400, v2
	ds_read2_b32 v[90:91], v0 offset1:32
	ds_read2_b32 v[84:85], v0 offset0:128 offset1:160
	v_add_u32_e32 v0, 0x800, v2
	s_waitcnt lgkmcnt(3)
	v_mfma_f32_16x16x32_fp8_fp8 v[4:7], v[92:93], v[112:113], v[60:63]
	ds_read2_b32 v[86:87], v0 offset1:32
	ds_read2_b32 v[80:81], v0 offset0:128 offset1:160
	v_add_u32_e32 v0, 0xc00, v2
	ds_read2_b32 v[82:83], v0 offset1:32
	ds_read2_b32 v[78:79], v0 offset0:128 offset1:160
	s_waitcnt lgkmcnt(6)
	v_mfma_f32_16x16x32_fp8_fp8 v[4:7], v[88:89], v[110:111], v[4:7]
	ds_read_b32 v0, v12 offset:32772
	ds_write_b32 v12, v14 offset:32768
	s_waitcnt lgkmcnt(1)
	v_cmp_ne_u32_e32 vcc, v0, v20
	v_mfma_f32_16x16x32_fp8_fp8 v[4:7], v[90:91], v[116:117], v[4:7]
	v_mfma_f32_16x16x32_fp8_fp8 v[4:7], v[84:85], v[114:115], v[4:7]
	v_mfma_f32_16x16x32_fp8_fp8 v[4:7], v[86:87], v[122:123], v[4:7]
	v_mfma_f32_16x16x32_fp8_fp8 v[4:7], v[80:81], v[120:121], v[4:7]
	v_mfma_f32_16x16x32_fp8_fp8 v[4:7], v[82:83], v[124:125], v[4:7]
	v_mfma_f32_16x16x32_fp8_fp8 v[60:63], v[78:79], v[118:119], v[4:7]
	s_and_saveexec_b64 s[10:11], vcc
	s_cbranch_execz .LBB359_22
; %bb.20:                               ;   in Loop: Header=BB359_13 Depth=2
	s_mov_b64 s[12:13], 0
.LBB359_21:                             ;   Parent Loop BB359_7 Depth=1
                                        ;     Parent Loop BB359_13 Depth=2
                                        ; =>    This Inner Loop Header: Depth=3
	;;#ASMSTART
	s_sleep 0
	;;#ASMEND
	ds_read_b32 v0, v12 offset:32772
	s_waitcnt lgkmcnt(0)
	v_cmp_eq_u32_e32 vcc, v0, v20
	s_or_b64 s[12:13], vcc, s[12:13]
	s_andn2_b64 exec, exec, s[12:13]
	s_cbranch_execnz .LBB359_21
.LBB359_22:                             ;   in Loop: Header=BB359_13 Depth=2
	s_or_b64 exec, exec, s[10:11]
	v_add_u32_e32 v0, 0x1000, v2
	ds_read2_b32 v[94:95], v0 offset1:32
	ds_read2_b32 v[96:97], v0 offset0:128 offset1:160
	v_add_u32_e32 v0, 0x1400, v2
	ds_read2_b32 v[98:99], v0 offset1:32
	ds_read2_b32 v[100:101], v0 offset0:128 offset1:160
	v_add_u32_e32 v0, 0x1800, v2
	s_waitcnt lgkmcnt(3)
	v_mfma_f32_16x16x32_fp8_fp8 v[4:7], v[94:95], v[112:113], v[42:45]
	ds_read2_b32 v[102:103], v0 offset1:32
	ds_read2_b32 v[104:105], v0 offset0:128 offset1:160
	v_add_u32_e32 v0, 0x1c00, v2
	ds_read2_b32 v[106:107], v0 offset1:32
	ds_read2_b32 v[108:109], v0 offset0:128 offset1:160
	s_waitcnt lgkmcnt(6)
	v_mfma_f32_16x16x32_fp8_fp8 v[4:7], v[96:97], v[110:111], v[4:7]
	ds_read_b32 v0, v12 offset:32776
	ds_write_b32 v12, v14 offset:32772
	s_waitcnt lgkmcnt(1)
	v_cmp_ne_u32_e32 vcc, v0, v20
	v_mfma_f32_16x16x32_fp8_fp8 v[4:7], v[98:99], v[116:117], v[4:7]
	v_mfma_f32_16x16x32_fp8_fp8 v[4:7], v[100:101], v[114:115], v[4:7]
	v_mfma_f32_16x16x32_fp8_fp8 v[4:7], v[102:103], v[122:123], v[4:7]
	v_mfma_f32_16x16x32_fp8_fp8 v[4:7], v[104:105], v[120:121], v[4:7]
	v_mfma_f32_16x16x32_fp8_fp8 v[4:7], v[106:107], v[124:125], v[4:7]
	v_mfma_f32_16x16x32_fp8_fp8 v[42:45], v[108:109], v[118:119], v[4:7]
	;; [unrolled: 44-line block ×3, first 2 shown]
	s_and_saveexec_b64 s[10:11], vcc
	s_cbranch_execz .LBB359_28
; %bb.26:                               ;   in Loop: Header=BB359_13 Depth=2
	s_mov_b64 s[12:13], 0
.LBB359_27:                             ;   Parent Loop BB359_7 Depth=1
                                        ;     Parent Loop BB359_13 Depth=2
                                        ; =>    This Inner Loop Header: Depth=3
	;;#ASMSTART
	s_sleep 0
	;;#ASMEND
	ds_read_b32 v0, v12 offset:32780
	s_waitcnt lgkmcnt(0)
	v_cmp_eq_u32_e32 vcc, v0, v20
	s_or_b64 s[12:13], vcc, s[12:13]
	s_andn2_b64 exec, exec, s[12:13]
	s_cbranch_execnz .LBB359_27
.LBB359_28:                             ;   in Loop: Header=BB359_13 Depth=2
	s_or_b64 exec, exec, s[10:11]
	v_add_u32_e32 v3, 0x3000, v2
	ds_read2_b32 v[0:1], v3 offset1:32
	v_add_u32_e32 v15, 0x3c00, v2
	s_waitcnt lgkmcnt(0)
	v_mfma_f32_16x16x32_fp8_fp8 v[4:7], v[0:1], v[112:113], v[52:55]
	ds_read2_b32 v[112:113], v3 offset0:128 offset1:160
	v_add_u32_e32 v3, 0x3400, v2
	s_waitcnt lgkmcnt(0)
	v_mfma_f32_16x16x32_fp8_fp8 v[24:27], v[112:113], v[110:111], v[4:7]
	s_nop 3
	ds_read2_b32 v[4:5], v3 offset1:32
	ds_read2_b32 v[6:7], v3 offset0:128 offset1:160
	v_add_u32_e32 v3, 0x3800, v2
	s_waitcnt lgkmcnt(1)
	v_mfma_f32_16x16x32_fp8_fp8 v[24:27], v[4:5], v[116:117], v[24:27]
	ds_read2_b32 v[116:117], v3 offset0:128 offset1:160
	s_waitcnt lgkmcnt(1)
	v_mfma_f32_16x16x32_fp8_fp8 v[24:27], v[6:7], v[114:115], v[24:27]
	ds_read2_b32 v[114:115], v3 offset1:32
	ds_read2_b32 v[2:3], v15 offset1:32
	ds_read2_b32 v[110:111], v15 offset0:128 offset1:160
	ds_read_b32 v15, v12 offset:32788
	ds_write_b32 v12, v14 offset:32780
	s_waitcnt lgkmcnt(4)
	v_mfma_f32_16x16x32_fp8_fp8 v[24:27], v[114:115], v[122:123], v[24:27]
	s_waitcnt lgkmcnt(1)
	v_cmp_ne_u32_e32 vcc, v15, v20
	v_mfma_f32_16x16x32_fp8_fp8 v[24:27], v[116:117], v[120:121], v[24:27]
	v_mfma_f32_16x16x32_fp8_fp8 v[24:27], v[2:3], v[124:125], v[24:27]
	;; [unrolled: 1-line block ×3, first 2 shown]
	s_and_saveexec_b64 s[10:11], vcc
	s_cbranch_execz .LBB359_31
; %bb.29:                               ;   in Loop: Header=BB359_13 Depth=2
	s_mov_b64 s[12:13], 0
.LBB359_30:                             ;   Parent Loop BB359_7 Depth=1
                                        ;     Parent Loop BB359_13 Depth=2
                                        ; =>    This Inner Loop Header: Depth=3
	;;#ASMSTART
	s_sleep 0
	;;#ASMEND
	ds_read_b32 v15, v12 offset:32788
	s_waitcnt lgkmcnt(0)
	v_cmp_eq_u32_e32 vcc, v15, v20
	s_or_b64 s[12:13], vcc, s[12:13]
	s_andn2_b64 exec, exec, s[12:13]
	s_cbranch_execnz .LBB359_30
.LBB359_31:                             ;   in Loop: Header=BB359_13 Depth=2
	s_or_b64 exec, exec, s[10:11]
	scratch_load_dwordx4 v[24:27], off, off offset:96 ; 16-byte Folded Reload
	v_add_u32_e32 v15, 0x1000, v13
	ds_read2_b32 v[118:119], v15 offset1:32
	ds_read2_b32 v[120:121], v15 offset0:128 offset1:160
	v_add_u32_e32 v15, 0x1400, v13
	ds_read2_b32 v[122:123], v15 offset1:32
	ds_read2_b32 v[124:125], v15 offset0:128 offset1:160
	v_add_u32_e32 v15, 0x1800, v13
	s_waitcnt vmcnt(16)
	ds_read2_b32 v[28:29], v15 offset1:32
	ds_read2_b32 v[30:31], v15 offset0:128 offset1:160
	v_add_u32_e32 v15, 0x1c00, v13
	ds_read2_b32 v[36:37], v15 offset1:32
	v_mov_b32_e32 v40, v39
	ds_read2_b32 v[38:39], v15 offset0:128 offset1:160
	s_waitcnt vmcnt(0) lgkmcnt(7)
	v_mfma_f32_16x16x32_fp8_fp8 v[24:27], v[92:93], v[118:119], v[24:27]
	s_waitcnt lgkmcnt(6)
	v_mfma_f32_16x16x32_fp8_fp8 v[24:27], v[88:89], v[120:121], v[24:27]
	s_waitcnt lgkmcnt(5)
	;; [unrolled: 2-line block ×7, first 2 shown]
	v_mfma_f32_16x16x32_fp8_fp8 v[24:27], v[78:79], v[38:39], v[24:27]
	s_nop 7
	scratch_store_dwordx4 off, v[24:27], off offset:96 ; 16-byte Folded Spill
	scratch_load_dwordx4 v[24:27], off, off offset:32 ; 16-byte Folded Reload
	s_waitcnt vmcnt(0)
	v_mfma_f32_16x16x32_fp8_fp8 v[24:27], v[94:95], v[118:119], v[24:27]
	v_mfma_f32_16x16x32_fp8_fp8 v[24:27], v[96:97], v[120:121], v[24:27]
	;; [unrolled: 1-line block ×8, first 2 shown]
	s_nop 7
	scratch_store_dwordx4 off, v[24:27], off offset:32 ; 16-byte Folded Spill
	scratch_load_dwordx4 v[24:27], off, off offset:64 ; 16-byte Folded Reload
	s_waitcnt vmcnt(0)
	v_mfma_f32_16x16x32_fp8_fp8 v[24:27], v[126:127], v[118:119], v[24:27]
	v_mfma_f32_16x16x32_fp8_fp8 v[24:27], v[72:73], v[120:121], v[24:27]
	;; [unrolled: 1-line block ×8, first 2 shown]
	s_nop 7
	scratch_store_dwordx4 off, v[24:27], off offset:64 ; 16-byte Folded Spill
	scratch_load_dwordx4 v[24:27], off, off offset:80 ; 16-byte Folded Reload
	;;#ASMSTART
	s_waitcnt lgkmcnt(0)
	;;#ASMEND
	ds_read_b32 v15, v12 offset:32792
	ds_write_b32 v12, v14 offset:32788
	s_waitcnt vmcnt(0)
	v_mfma_f32_16x16x32_fp8_fp8 v[24:27], v[0:1], v[118:119], v[24:27]
	s_waitcnt lgkmcnt(1)
	v_cmp_ne_u32_e32 vcc, v15, v20
	v_mfma_f32_16x16x32_fp8_fp8 v[24:27], v[112:113], v[120:121], v[24:27]
	v_mfma_f32_16x16x32_fp8_fp8 v[24:27], v[4:5], v[122:123], v[24:27]
	;; [unrolled: 1-line block ×7, first 2 shown]
	s_nop 7
	scratch_store_dwordx4 off, v[24:27], off offset:80 ; 16-byte Folded Spill
	s_and_saveexec_b64 s[10:11], vcc
	s_cbranch_execz .LBB359_34
; %bb.32:                               ;   in Loop: Header=BB359_13 Depth=2
	s_mov_b64 s[12:13], 0
.LBB359_33:                             ;   Parent Loop BB359_7 Depth=1
                                        ;     Parent Loop BB359_13 Depth=2
                                        ; =>    This Inner Loop Header: Depth=3
	;;#ASMSTART
	s_sleep 0
	;;#ASMEND
	ds_read_b32 v15, v12 offset:32792
	s_waitcnt lgkmcnt(0)
	v_cmp_eq_u32_e32 vcc, v15, v20
	s_or_b64 s[12:13], vcc, s[12:13]
	s_andn2_b64 exec, exec, s[12:13]
	s_cbranch_execnz .LBB359_33
.LBB359_34:                             ;   in Loop: Header=BB359_13 Depth=2
	s_or_b64 exec, exec, s[10:11]
	scratch_load_dwordx4 v[24:27], off, off ; 16-byte Folded Reload
	v_add_u32_e32 v15, 0x2000, v13
	ds_read2_b32 v[28:29], v15 offset1:32
	ds_read2_b32 v[30:31], v15 offset0:128 offset1:160
	v_add_u32_e32 v15, 0x2400, v13
	ds_read2_b32 v[36:37], v15 offset1:32
	ds_read2_b32 v[38:39], v15 offset0:128 offset1:160
	;; [unrolled: 3-line block ×4, first 2 shown]
	s_waitcnt vmcnt(0) lgkmcnt(7)
	v_mfma_f32_16x16x32_fp8_fp8 v[24:27], v[92:93], v[28:29], v[24:27]
	s_waitcnt lgkmcnt(6)
	v_mfma_f32_16x16x32_fp8_fp8 v[24:27], v[88:89], v[30:31], v[24:27]
	s_waitcnt lgkmcnt(5)
	v_mfma_f32_16x16x32_fp8_fp8 v[24:27], v[90:91], v[36:37], v[24:27]
	s_waitcnt lgkmcnt(4)
	v_mfma_f32_16x16x32_fp8_fp8 v[24:27], v[84:85], v[38:39], v[24:27]
	s_waitcnt lgkmcnt(3)
	v_mfma_f32_16x16x32_fp8_fp8 v[24:27], v[86:87], v[118:119], v[24:27]
	s_waitcnt lgkmcnt(2)
	v_mfma_f32_16x16x32_fp8_fp8 v[24:27], v[80:81], v[120:121], v[24:27]
	s_waitcnt lgkmcnt(1)
	v_mfma_f32_16x16x32_fp8_fp8 v[24:27], v[82:83], v[122:123], v[24:27]
	s_waitcnt lgkmcnt(0)
	v_mfma_f32_16x16x32_fp8_fp8 v[24:27], v[78:79], v[124:125], v[24:27]
	s_nop 7
	scratch_store_dwordx4 off, v[24:27], off ; 16-byte Folded Spill
	scratch_load_dwordx4 v[24:27], off, off offset:16 ; 16-byte Folded Reload
	s_waitcnt vmcnt(0)
	v_mfma_f32_16x16x32_fp8_fp8 v[24:27], v[94:95], v[28:29], v[24:27]
	v_mfma_f32_16x16x32_fp8_fp8 v[24:27], v[96:97], v[30:31], v[24:27]
	;; [unrolled: 1-line block ×8, first 2 shown]
	s_nop 7
	scratch_store_dwordx4 off, v[24:27], off offset:16 ; 16-byte Folded Spill
	scratch_load_dwordx4 v[24:27], off, off offset:48 ; 16-byte Folded Reload
	s_waitcnt vmcnt(0)
	v_mfma_f32_16x16x32_fp8_fp8 v[24:27], v[126:127], v[28:29], v[24:27]
	v_mfma_f32_16x16x32_fp8_fp8 v[24:27], v[72:73], v[30:31], v[24:27]
	;; [unrolled: 1-line block ×8, first 2 shown]
	s_nop 7
	scratch_store_dwordx4 off, v[24:27], off offset:48 ; 16-byte Folded Spill
	scratch_load_dwordx4 v[24:27], off, off offset:112 ; 16-byte Folded Reload
	;;#ASMSTART
	s_waitcnt lgkmcnt(0)
	;;#ASMEND
	ds_read_b32 v15, v12 offset:32796
	ds_write_b32 v12, v14 offset:32792
	s_waitcnt vmcnt(0)
	v_mfma_f32_16x16x32_fp8_fp8 v[24:27], v[0:1], v[28:29], v[24:27]
	s_waitcnt lgkmcnt(1)
	v_cmp_ne_u32_e32 vcc, v15, v20
	v_mfma_f32_16x16x32_fp8_fp8 v[24:27], v[112:113], v[30:31], v[24:27]
	v_mfma_f32_16x16x32_fp8_fp8 v[24:27], v[4:5], v[36:37], v[24:27]
	;; [unrolled: 1-line block ×7, first 2 shown]
	s_and_saveexec_b64 s[10:11], vcc
	s_cbranch_execz .LBB359_12
; %bb.35:                               ;   in Loop: Header=BB359_13 Depth=2
	s_mov_b64 s[12:13], 0
.LBB359_36:                             ;   Parent Loop BB359_7 Depth=1
                                        ;     Parent Loop BB359_13 Depth=2
                                        ; =>    This Inner Loop Header: Depth=3
	;;#ASMSTART
	s_sleep 0
	;;#ASMEND
	ds_read_b32 v15, v12 offset:32796
	s_waitcnt lgkmcnt(0)
	v_cmp_eq_u32_e32 vcc, v15, v20
	s_or_b64 s[12:13], vcc, s[12:13]
	s_andn2_b64 exec, exec, s[12:13]
	s_cbranch_execnz .LBB359_36
	s_branch .LBB359_12
.LBB359_37:                             ;   in Loop: Header=BB359_7 Depth=1
	s_or_b64 exec, exec, s[8:9]
	scratch_load_dwordx4 v[12:15], off, off offset:96 ; 16-byte Folded Reload
.LBB359_38:                             ;   in Loop: Header=BB359_7 Depth=1
	s_or_b64 exec, exec, s[6:7]
	scratch_load_dword v29, off, off offset:132 ; 4-byte Folded Reload
	v_cmp_le_i32_e32 vcc, s45, v46
	v_cmp_eq_u32_e64 s[6:7], 2, v47
	v_cmp_eq_u32_e64 s[8:9], 3, v47
	s_waitcnt vmcnt(7)
	v_cndmask_b32_e32 v64, 0, v41, vcc
	v_pk_mul_f32 v[6:7], v[64:65], v[60:61] op_sel_hi:[0,1]
	v_cmp_eq_u32_e32 vcc, 1, v47
	v_pk_mul_f32 v[0:1], v[64:65], v[62:63] op_sel_hi:[0,1]
	v_cmp_eq_u32_e64 s[10:11], 0, v47
	v_cndmask_b32_e32 v2, v6, v7, vcc
	v_cndmask_b32_e64 v2, v2, v0, s[6:7]
	v_cndmask_b32_e64 v2, v2, v1, s[8:9]
	s_waitcnt vmcnt(1)
	v_mov_b64_e32 v[26:27], v[14:15]
	v_mov_b64_e32 v[24:25], v[12:13]
	;; [unrolled: 1-line block ×4, first 2 shown]
	scratch_load_dword v62, off, off offset:160 ; 4-byte Folded Reload
	v_mov_b64_e32 v[68:69], v[54:55]
	v_mov_b64_e32 v[66:67], v[52:53]
	s_waitcnt vmcnt(1)
	ds_bpermute_b32 v5, v29, v2
	s_waitcnt lgkmcnt(0)
	v_cndmask_b32_e64 v2, v1, v5, s[8:9]
	v_cndmask_b32_e64 v1, v6, v5, s[10:11]
	v_or_b32_e32 v6, 16, v46
	v_cmp_le_i32_e64 s[14:15], s45, v6
	v_cndmask_b32_e64 v3, v0, v5, s[6:7]
	v_cndmask_b32_e32 v0, v7, v5, vcc
	v_cndmask_b32_e64 v60, 0, v41, s[14:15]
	v_pk_mul_f32 v[14:15], v[60:61], v[24:25] op_sel_hi:[0,1]
	v_pk_mul_f32 v[12:13], v[60:61], v[26:27] op_sel_hi:[0,1]
	v_cndmask_b32_e32 v6, v14, v15, vcc
	v_cndmask_b32_e64 v6, v6, v12, s[6:7]
	v_cndmask_b32_e64 v6, v6, v13, s[8:9]
	ds_bpermute_b32 v21, v29, v6
	s_waitcnt lgkmcnt(0)
	v_cndmask_b32_e64 v7, v12, v21, s[6:7]
	v_or_b32_e32 v12, 32, v46
	v_cndmask_b32_e64 v6, v13, v21, s[8:9]
	v_cndmask_b32_e32 v57, v15, v21, vcc
	v_cndmask_b32_e64 v58, v14, v21, s[10:11]
	v_cmp_le_i32_e64 s[18:19], s45, v12
	scratch_load_dwordx4 v[12:15], off, off ; 16-byte Folded Reload
	s_waitcnt vmcnt(1)
	v_cmp_eq_u32_e64 s[12:13], 1, v62
	v_cndmask_b32_e64 v56, 0, v41, s[18:19]
	v_cmp_eq_u32_e64 s[14:15], 2, v62
	v_cmp_eq_u32_e64 s[16:17], 3, v62
	v_cndmask_b32_e64 v5, v1, v0, s[12:13]
	v_cndmask_b32_e64 v5, v5, v3, s[14:15]
	v_cndmask_b32_e64 v5, v5, v2, s[16:17]
	ds_bpermute_b32 v5, v29, v5
	s_waitcnt vmcnt(0)
	v_pk_mul_f32 v[24:25], v[56:57], v[12:13] op_sel_hi:[0,1]
	v_pk_mul_f32 v[14:15], v[56:57], v[14:15] op_sel_hi:[0,1]
	v_cndmask_b32_e32 v12, v24, v25, vcc
	v_cndmask_b32_e64 v12, v12, v14, s[6:7]
	v_cndmask_b32_e64 v12, v12, v15, s[8:9]
	ds_bpermute_b32 v21, v29, v12
	v_cndmask_b32_e64 v12, v58, v57, s[12:13]
	v_cndmask_b32_e64 v12, v12, v7, s[14:15]
	;; [unrolled: 1-line block ×3, first 2 shown]
	ds_bpermute_b32 v12, v29, v12
	s_waitcnt lgkmcnt(1)
	v_cndmask_b32_e64 v13, v15, v21, s[8:9]
	v_or_b32_e32 v15, 48, v46
	v_cmp_le_i32_e64 s[18:19], s45, v15
	v_cndmask_b32_e32 v53, v25, v21, vcc
	v_cndmask_b32_e64 v54, v24, v21, s[10:11]
	v_cndmask_b32_e64 v52, 0, v41, s[18:19]
	v_pk_mul_f32 v[26:27], v[52:53], v[48:49] op_sel_hi:[0,1]
	v_pk_mul_f32 v[24:25], v[52:53], v[50:51] op_sel_hi:[0,1]
	v_cndmask_b32_e32 v15, v26, v27, vcc
	v_cndmask_b32_e64 v15, v15, v24, s[6:7]
	v_cndmask_b32_e64 v15, v15, v25, s[8:9]
	ds_bpermute_b32 v28, v29, v15
	v_cndmask_b32_e64 v14, v14, v21, s[6:7]
	v_cndmask_b32_e64 v15, v54, v53, s[12:13]
	v_cmp_ne_u32_e32 vcc, 0, v47
	v_cndmask_b32_e64 v15, v15, v14, s[14:15]
	s_waitcnt lgkmcnt(0)
	v_cndmask_b32_e64 v55, v26, v28, s[10:11]
	v_cndmask_b32_e32 v51, v27, v28, vcc
	v_cndmask_b32_e64 v15, v15, v13, s[16:17]
	v_cndmask_b32_e64 v21, v24, v28, s[6:7]
	;; [unrolled: 1-line block ×3, first 2 shown]
	ds_bpermute_b32 v48, v29, v15
	v_cndmask_b32_e64 v15, v25, v28, s[8:9]
	v_cndmask_b32_e64 v24, v24, v21, s[14:15]
	;; [unrolled: 1-line block ×3, first 2 shown]
	ds_bpermute_b32 v49, v29, v24
	scratch_load_dword v24, off, off offset:128 ; 4-byte Folded Reload
	s_waitcnt vmcnt(0)
	v_add_u32_e32 v50, s65, v24
	v_cmp_gt_u32_e32 vcc, 64, v50
	s_and_saveexec_b64 s[18:19], vcc
	s_cbranch_execz .LBB359_47
; %bb.39:                               ;   in Loop: Header=BB359_7 Depth=1
	v_cmp_eq_u32_e64 s[8:9], 1, v62
	v_cmp_eq_u32_e64 s[10:11], 0, v62
	v_cmp_eq_u32_e32 vcc, 3, v62
	v_cndmask_b32_e64 v0, v0, v5, s[8:9]
	v_cndmask_b32_e64 v1, v1, v5, s[10:11]
	v_cvt_f16_f32_e32 v30, v1
	v_cvt_f16_f32_sdwa v31, v0 dst_sel:WORD_1 dst_unused:UNUSED_PAD src0_sel:DWORD
	scratch_load_dwordx2 v[0:1], off, off offset:164 ; 8-byte Folded Reload
	v_cndmask_b32_e64 v24, v57, v12, s[8:9]
	s_waitcnt lgkmcnt(1)
	v_cndmask_b32_e64 v26, v53, v48, s[8:9]
	s_waitcnt lgkmcnt(0)
	v_cndmask_b32_e64 v28, v51, v49, s[8:9]
	s_mul_i32 s8, s63, s21
	s_ashr_i32 s9, s8, 31
	s_lshl_b64 s[8:9], s[8:9], 1
	v_cndmask_b32_e64 v25, v58, v12, s[10:11]
	v_cndmask_b32_e64 v27, v54, v48, s[10:11]
	;; [unrolled: 1-line block ×3, first 2 shown]
	s_add_u32 s10, s40, s8
	s_addc_u32 s11, s41, s9
	s_ashr_i32 s45, s44, 31
	s_lshl_b64 s[8:9], s[44:45], 1
	s_add_u32 s50, s10, s8
	v_cvt_f16_f32_e32 v36, v25
	v_cvt_f16_f32_sdwa v37, v24 dst_sel:WORD_1 dst_unused:UNUSED_PAD src0_sel:DWORD
	v_cvt_f16_f32_e32 v27, v27
	v_cvt_f16_f32_sdwa v26, v26 dst_sel:WORD_1 dst_unused:UNUSED_PAD src0_sel:DWORD
	s_addc_u32 s51, s11, s9
	v_cvt_f16_f32_e32 v29, v29
	v_cvt_f16_f32_sdwa v28, v28 dst_sel:WORD_1 dst_unused:UNUSED_PAD src0_sel:DWORD
	v_or_b32_e32 v24, v31, v30
	v_cmp_eq_u32_e64 s[6:7], 2, v62
	v_or_b32_e32 v30, v37, v36
	v_or_b32_e32 v26, v26, v27
	v_cmp_gt_u32_e64 s[8:9], 62, v50
	s_waitcnt vmcnt(0)
	v_lshl_add_u64 v[0:1], v[0:1], 1, s[50:51]
	;;#ASMSTART
	global_atomic_pk_add_f16 v[0:1], v24, off
	
	;;#ASMEND
	v_lshl_add_u64 v[24:25], v[0:1], 0, 32
	;;#ASMSTART
	global_atomic_pk_add_f16 v[24:25], v30, off
	
	;;#ASMEND
	v_lshl_add_u64 v[24:25], v[0:1], 0, 64
	;;#ASMSTART
	global_atomic_pk_add_f16 v[24:25], v26, off
	
	;;#ASMEND
	v_lshl_add_u64 v[24:25], v[0:1], 0, s[30:31]
	v_or_b32_e32 v26, v28, v29
	;;#ASMSTART
	global_atomic_pk_add_f16 v[24:25], v26, off
	
	;;#ASMEND
	s_and_b64 exec, exec, s[8:9]
	s_cbranch_execz .LBB359_47
; %bb.40:                               ;   in Loop: Header=BB359_7 Depth=1
	v_cndmask_b32_e32 v2, v2, v5, vcc
	v_cndmask_b32_e64 v3, v3, v5, s[6:7]
	v_cndmask_b32_e32 v5, v6, v12, vcc
	v_cndmask_b32_e64 v6, v7, v12, s[6:7]
	;; [unrolled: 2-line block ×3, first 2 shown]
	v_cvt_f16_f32_e32 v3, v3
	v_cvt_f16_f32_sdwa v2, v2 dst_sel:WORD_1 dst_unused:UNUSED_PAD src0_sel:DWORD
	v_cvt_f16_f32_e32 v6, v6
	v_cvt_f16_f32_sdwa v5, v5 dst_sel:WORD_1 dst_unused:UNUSED_PAD src0_sel:DWORD
	;; [unrolled: 2-line block ×3, first 2 shown]
	v_lshl_add_u64 v[0:1], s[28:29], 2, v[0:1]
	v_or_b32_e32 v2, v2, v3
	v_or_b32_e32 v5, v5, v6
	;;#ASMSTART
	global_atomic_pk_add_f16 v[0:1], v2, off
	
	;;#ASMEND
	v_lshl_add_u64 v[2:3], v[0:1], 0, 32
	;;#ASMSTART
	global_atomic_pk_add_f16 v[2:3], v5, off
	
	;;#ASMEND
	v_or_b32_e32 v5, v7, v12
	v_mov_b32_e32 v6, v64
	v_mov_b32_e32 v7, v64
	v_pk_mul_f32 v[6:7], v[6:7], v[44:45]
	scratch_load_dword v44, off, off offset:132 ; 4-byte Folded Reload
	v_lshl_add_u64 v[2:3], v[0:1], 0, 64
	;;#ASMSTART
	global_atomic_pk_add_f16 v[2:3], v5, off
	
	;;#ASMEND
	scratch_load_dwordx4 v[26:29], off, off offset:32 ; 16-byte Folded Reload
	v_mov_b32_e32 v65, v64
	v_cndmask_b32_e32 v14, v15, v49, vcc
	v_pk_mul_f32 v[12:13], v[64:65], v[42:43]
	v_cmp_eq_u32_e32 vcc, 1, v47
	v_cndmask_b32_e64 v15, v21, v49, s[6:7]
	v_cmp_eq_u32_e64 s[6:7], 2, v47
	v_cndmask_b32_e32 v21, v12, v13, vcc
	v_cmp_eq_u32_e64 s[8:9], 3, v47
	v_cndmask_b32_e64 v21, v21, v6, s[6:7]
	v_mov_b32_e32 v61, v60
	v_cndmask_b32_e64 v21, v21, v7, s[8:9]
	v_cmp_eq_u32_e64 s[10:11], 0, v47
	v_cvt_f16_f32_e32 v30, v15
	v_cvt_f16_f32_sdwa v31, v14 dst_sel:WORD_1 dst_unused:UNUSED_PAD src0_sel:DWORD
	v_lshl_add_u64 v[24:25], v[0:1], 0, s[30:31]
	v_mov_b32_e32 v57, v56
	v_mov_b32_e32 v53, v52
	v_cmp_eq_u32_e64 s[12:13], 1, v62
	v_cmp_eq_u32_e64 s[14:15], 2, v62
	;; [unrolled: 1-line block ×3, first 2 shown]
	s_waitcnt vmcnt(1)
	ds_bpermute_b32 v21, v44, v21
	s_waitcnt vmcnt(0)
	v_pk_mul_f32 v[14:15], v[60:61], v[26:27]
	s_waitcnt lgkmcnt(0)
	v_cndmask_b32_e64 v2, v7, v21, s[8:9]
	v_cndmask_b32_e64 v3, v6, v21, s[6:7]
	v_mov_b32_e32 v6, v60
	v_mov_b32_e32 v7, v60
	v_cndmask_b32_e32 v0, v13, v21, vcc
	v_cndmask_b32_e64 v1, v12, v21, s[10:11]
	v_pk_mul_f32 v[12:13], v[6:7], v[28:29]
	scratch_load_dwordx4 v[26:29], off, off offset:16 ; 16-byte Folded Reload
	v_cndmask_b32_e32 v6, v14, v15, vcc
	v_cndmask_b32_e64 v6, v6, v12, s[6:7]
	v_cndmask_b32_e64 v6, v6, v13, s[8:9]
	ds_bpermute_b32 v21, v44, v6
	v_cndmask_b32_e64 v5, v1, v0, s[12:13]
	v_cndmask_b32_e64 v5, v5, v3, s[14:15]
	;; [unrolled: 1-line block ×3, first 2 shown]
	ds_bpermute_b32 v5, v44, v5
	s_waitcnt lgkmcnt(1)
	v_cndmask_b32_e64 v6, v13, v21, s[8:9]
	v_cndmask_b32_e64 v7, v12, v21, s[6:7]
	v_mov_b32_e32 v12, v56
	v_mov_b32_e32 v13, v56
	v_cndmask_b32_e32 v40, v15, v21, vcc
	v_cndmask_b32_e64 v41, v14, v21, s[10:11]
	s_waitcnt vmcnt(0)
	v_pk_mul_f32 v[26:27], v[56:57], v[26:27]
	v_pk_mul_f32 v[14:15], v[12:13], v[28:29]
	v_cndmask_b32_e32 v12, v26, v27, vcc
	v_cndmask_b32_e64 v12, v12, v14, s[6:7]
	v_cndmask_b32_e64 v12, v12, v15, s[8:9]
	ds_bpermute_b32 v21, v44, v12
	v_pk_mul_f32 v[28:29], v[52:53], v[32:33]
	v_cndmask_b32_e64 v12, v41, v40, s[12:13]
	v_cndmask_b32_e64 v12, v12, v7, s[14:15]
	;; [unrolled: 1-line block ×3, first 2 shown]
	s_waitcnt lgkmcnt(0)
	v_cndmask_b32_e32 v36, v27, v21, vcc
	v_cndmask_b32_e64 v37, v26, v21, s[10:11]
	v_mov_b32_e32 v26, v52
	v_mov_b32_e32 v27, v52
	v_cndmask_b32_e64 v13, v15, v21, s[8:9]
	v_pk_mul_f32 v[26:27], v[26:27], v[34:35]
	v_cndmask_b32_e32 v15, v28, v29, vcc
	v_cndmask_b32_e64 v15, v15, v26, s[6:7]
	v_cndmask_b32_e64 v15, v15, v27, s[8:9]
	ds_bpermute_b32 v33, v44, v15
	v_cndmask_b32_e64 v14, v14, v21, s[6:7]
	v_cndmask_b32_e64 v15, v37, v36, s[12:13]
	v_cmp_ne_u32_e32 vcc, 0, v47
	v_cndmask_b32_e64 v15, v15, v14, s[14:15]
	s_waitcnt lgkmcnt(0)
	v_cndmask_b32_e64 v38, v28, v33, s[10:11]
	v_cndmask_b32_e32 v35, v29, v33, vcc
	v_cndmask_b32_e64 v15, v15, v13, s[16:17]
	v_cndmask_b32_e64 v21, v26, v33, s[6:7]
	;; [unrolled: 1-line block ×3, first 2 shown]
	ds_bpermute_b32 v32, v44, v15
	v_cndmask_b32_e64 v15, v27, v33, s[8:9]
	v_cndmask_b32_e64 v26, v26, v21, s[14:15]
	;; [unrolled: 1-line block ×3, first 2 shown]
	ds_bpermute_b32 v33, v44, v26
	v_or_b32_e32 v26, v31, v30
	;;#ASMSTART
	global_atomic_pk_add_f16 v[24:25], v26, off
	
	;;#ASMEND
	scratch_load_dword v24, off, off offset:128 ; 4-byte Folded Reload
	ds_bpermute_b32 v12, v44, v12
	s_waitcnt vmcnt(0)
	v_or_b32_e32 v24, 16, v24
	v_add_u32_e32 v34, s65, v24
	v_cmp_gt_u32_e32 vcc, 64, v34
	s_and_b64 exec, exec, vcc
	s_cbranch_execz .LBB359_47
; %bb.41:                               ;   in Loop: Header=BB359_7 Depth=1
	v_cmp_eq_u32_e64 s[8:9], 1, v62
	v_cmp_eq_u32_e64 s[10:11], 0, v62
	v_cmp_eq_u32_e32 vcc, 3, v62
	v_cndmask_b32_e64 v0, v0, v5, s[8:9]
	v_cndmask_b32_e64 v1, v1, v5, s[10:11]
	v_cvt_f16_f32_e32 v30, v1
	v_cvt_f16_f32_sdwa v31, v0 dst_sel:WORD_1 dst_unused:UNUSED_PAD src0_sel:DWORD
	scratch_load_dwordx2 v[0:1], off, off offset:172 ; 8-byte Folded Reload
	s_waitcnt lgkmcnt(0)
	v_cndmask_b32_e64 v24, v40, v12, s[8:9]
	v_cndmask_b32_e64 v25, v41, v12, s[10:11]
	;; [unrolled: 1-line block ×6, first 2 shown]
	v_cvt_f16_f32_e32 v35, v25
	v_cvt_f16_f32_sdwa v36, v24 dst_sel:WORD_1 dst_unused:UNUSED_PAD src0_sel:DWORD
	v_cvt_f16_f32_e32 v27, v27
	v_cvt_f16_f32_sdwa v26, v26 dst_sel:WORD_1 dst_unused:UNUSED_PAD src0_sel:DWORD
	;; [unrolled: 2-line block ×3, first 2 shown]
	v_or_b32_e32 v24, v31, v30
	v_cmp_eq_u32_e64 s[6:7], 2, v62
	v_or_b32_e32 v30, v36, v35
	v_or_b32_e32 v26, v26, v27
	v_cmp_gt_u32_e64 s[8:9], 62, v34
	s_waitcnt vmcnt(0)
	v_lshl_add_u64 v[0:1], v[0:1], 1, s[50:51]
	;;#ASMSTART
	global_atomic_pk_add_f16 v[0:1], v24, off
	
	;;#ASMEND
	v_lshl_add_u64 v[24:25], v[0:1], 0, 32
	;;#ASMSTART
	global_atomic_pk_add_f16 v[24:25], v30, off
	
	;;#ASMEND
	;; [unrolled: 5-line block ×3, first 2 shown]
	v_lshl_add_u64 v[24:25], v[0:1], 0, s[30:31]
	v_or_b32_e32 v26, v28, v29
	;;#ASMSTART
	global_atomic_pk_add_f16 v[24:25], v26, off
	
	;;#ASMEND
	s_and_b64 exec, exec, s[8:9]
	s_cbranch_execz .LBB359_47
; %bb.42:                               ;   in Loop: Header=BB359_7 Depth=1
	v_cndmask_b32_e32 v2, v2, v5, vcc
	v_cndmask_b32_e64 v3, v3, v5, s[6:7]
	v_cndmask_b32_e32 v5, v6, v12, vcc
	v_cndmask_b32_e64 v6, v7, v12, s[6:7]
	v_cvt_f16_f32_e32 v3, v3
	v_cvt_f16_f32_sdwa v2, v2 dst_sel:WORD_1 dst_unused:UNUSED_PAD src0_sel:DWORD
	v_cvt_f16_f32_e32 v6, v6
	v_cvt_f16_f32_sdwa v5, v5 dst_sel:WORD_1 dst_unused:UNUSED_PAD src0_sel:DWORD
	v_lshl_add_u64 v[0:1], s[28:29], 2, v[0:1]
	v_or_b32_e32 v2, v2, v3
	;;#ASMSTART
	global_atomic_pk_add_f16 v[0:1], v2, off
	
	;;#ASMEND
	v_lshl_add_u64 v[2:3], v[0:1], 0, 32
	v_or_b32_e32 v5, v5, v6
	;;#ASMSTART
	global_atomic_pk_add_f16 v[2:3], v5, off
	
	;;#ASMEND
	scratch_load_dword v35, off, off offset:132 ; 4-byte Folded Reload
	v_cndmask_b32_e32 v7, v13, v32, vcc
	v_cndmask_b32_e64 v12, v14, v32, s[6:7]
	v_cvt_f16_f32_e32 v12, v12
	v_cvt_f16_f32_sdwa v7, v7 dst_sel:WORD_1 dst_unused:UNUSED_PAD src0_sel:DWORD
	v_lshl_add_u64 v[2:3], v[0:1], 0, 64
	v_cndmask_b32_e32 v14, v15, v33, vcc
	v_mov_b32_e32 v6, v64
	v_or_b32_e32 v5, v7, v12
	;;#ASMSTART
	global_atomic_pk_add_f16 v[2:3], v5, off
	
	;;#ASMEND
	scratch_load_dwordx4 v[24:27], off, off offset:64 ; 16-byte Folded Reload
	v_mov_b32_e32 v7, v64
	v_pk_mul_f32 v[12:13], v[64:65], v[70:71]
	v_cmp_eq_u32_e32 vcc, 1, v47
	v_cndmask_b32_e64 v15, v21, v33, s[6:7]
	v_pk_mul_f32 v[6:7], v[6:7], v[72:73]
	v_cndmask_b32_e32 v21, v12, v13, vcc
	v_cmp_eq_u32_e64 s[6:7], 2, v47
	v_cmp_eq_u32_e64 s[8:9], 3, v47
	;; [unrolled: 1-line block ×3, first 2 shown]
	v_cndmask_b32_e64 v21, v21, v6, s[6:7]
	v_cndmask_b32_e64 v21, v21, v7, s[8:9]
	v_lshl_add_u64 v[30:31], v[0:1], 0, s[30:31]
	v_cvt_f16_f32_e32 v32, v15
	v_cvt_f16_f32_sdwa v33, v14 dst_sel:WORD_1 dst_unused:UNUSED_PAD src0_sel:DWORD
	v_cmp_eq_u32_e64 s[12:13], 1, v62
	v_cmp_eq_u32_e64 s[14:15], 2, v62
	;; [unrolled: 1-line block ×3, first 2 shown]
	s_waitcnt vmcnt(1)
	ds_bpermute_b32 v21, v35, v21
	s_waitcnt lgkmcnt(0)
	v_cndmask_b32_e64 v2, v7, v21, s[8:9]
	v_cndmask_b32_e64 v3, v6, v21, s[6:7]
	v_mov_b32_e32 v6, v60
	v_mov_b32_e32 v7, v60
	v_cndmask_b32_e32 v0, v13, v21, vcc
	v_cndmask_b32_e64 v1, v12, v21, s[10:11]
	s_waitcnt vmcnt(0)
	v_pk_mul_f32 v[12:13], v[6:7], v[26:27]
	scratch_load_dwordx4 v[26:29], off, off offset:48 ; 16-byte Folded Reload
	v_pk_mul_f32 v[14:15], v[60:61], v[24:25]
	v_cndmask_b32_e64 v5, v1, v0, s[12:13]
	v_cndmask_b32_e32 v6, v14, v15, vcc
	v_cndmask_b32_e64 v6, v6, v12, s[6:7]
	v_cndmask_b32_e64 v6, v6, v13, s[8:9]
	ds_bpermute_b32 v24, v35, v6
	v_cndmask_b32_e64 v5, v5, v3, s[14:15]
	v_cndmask_b32_e64 v5, v5, v2, s[16:17]
	ds_bpermute_b32 v5, v35, v5
	s_waitcnt lgkmcnt(1)
	v_cndmask_b32_e64 v6, v13, v24, s[8:9]
	v_cndmask_b32_e64 v7, v12, v24, s[6:7]
	v_mov_b32_e32 v12, v56
	v_mov_b32_e32 v13, v56
	v_cndmask_b32_e32 v21, v15, v24, vcc
	v_cndmask_b32_e64 v24, v14, v24, s[10:11]
	s_waitcnt vmcnt(0)
	v_pk_mul_f32 v[26:27], v[56:57], v[26:27]
	v_pk_mul_f32 v[14:15], v[12:13], v[28:29]
	v_cndmask_b32_e32 v12, v26, v27, vcc
	v_cndmask_b32_e64 v12, v12, v14, s[6:7]
	v_cndmask_b32_e64 v12, v12, v15, s[8:9]
	ds_bpermute_b32 v28, v35, v12
	v_mov_b32_e32 v29, v52
	v_cndmask_b32_e64 v12, v24, v21, s[12:13]
	v_cndmask_b32_e64 v12, v12, v7, s[14:15]
	;; [unrolled: 1-line block ×3, first 2 shown]
	s_waitcnt lgkmcnt(0)
	v_cndmask_b32_e64 v13, v15, v28, s[8:9]
	v_cndmask_b32_e64 v14, v14, v28, s[6:7]
	v_cndmask_b32_e32 v25, v27, v28, vcc
	v_cndmask_b32_e64 v26, v26, v28, s[10:11]
	v_mov_b32_e32 v28, v52
	v_pk_mul_f32 v[18:19], v[28:29], v[18:19]
	v_pk_mul_f32 v[28:29], v[52:53], v[16:17]
	ds_bpermute_b32 v12, v35, v12
	v_cndmask_b32_e32 v15, v28, v29, vcc
	v_cndmask_b32_e64 v15, v15, v18, s[6:7]
	v_cndmask_b32_e64 v15, v15, v19, s[8:9]
	ds_bpermute_b32 v34, v35, v15
	v_cndmask_b32_e64 v15, v26, v25, s[12:13]
	v_cndmask_b32_e64 v15, v15, v14, s[14:15]
	;; [unrolled: 1-line block ×3, first 2 shown]
	ds_bpermute_b32 v17, v35, v15
	s_waitcnt lgkmcnt(1)
	v_cndmask_b32_e64 v15, v19, v34, s[8:9]
	v_or_b32_e32 v19, v33, v32
	;;#ASMSTART
	global_atomic_pk_add_f16 v[30:31], v19, off
	
	;;#ASMEND
	scratch_load_dword v19, off, off offset:128 ; 4-byte Folded Reload
	v_cmp_ne_u32_e32 vcc, 0, v47
	v_cndmask_b32_e64 v28, v28, v34, s[10:11]
	v_cndmask_b32_e64 v16, v18, v34, s[6:7]
	v_cndmask_b32_e32 v27, v29, v34, vcc
	v_cndmask_b32_e64 v18, v28, v27, s[12:13]
	v_cndmask_b32_e64 v18, v18, v16, s[14:15]
	;; [unrolled: 1-line block ×3, first 2 shown]
	ds_bpermute_b32 v18, v35, v18
	s_waitcnt vmcnt(0)
	v_or_b32_e32 v19, 32, v19
	v_add_u32_e32 v19, s65, v19
	v_cmp_gt_u32_e32 vcc, 64, v19
	s_and_b64 exec, exec, vcc
	s_cbranch_execz .LBB359_47
; %bb.43:                               ;   in Loop: Header=BB359_7 Depth=1
	v_cmp_eq_u32_e64 s[8:9], 1, v62
	v_cmp_eq_u32_e64 s[10:11], 0, v62
	v_cmp_eq_u32_e32 vcc, 3, v62
	v_cndmask_b32_e64 v0, v0, v5, s[8:9]
	v_cndmask_b32_e64 v1, v1, v5, s[10:11]
	s_waitcnt lgkmcnt(1)
	v_cndmask_b32_e64 v29, v25, v17, s[8:9]
	v_cvt_f16_f32_e32 v25, v1
	v_cvt_f16_f32_sdwa v30, v0 dst_sel:WORD_1 dst_unused:UNUSED_PAD src0_sel:DWORD
	scratch_load_dwordx2 v[0:1], off, off offset:180 ; 8-byte Folded Reload
	v_cndmask_b32_e64 v21, v21, v12, s[8:9]
	v_cndmask_b32_e64 v24, v24, v12, s[10:11]
	v_cvt_f16_f32_e32 v31, v24
	v_cvt_f16_f32_sdwa v21, v21 dst_sel:WORD_1 dst_unused:UNUSED_PAD src0_sel:DWORD
	v_cndmask_b32_e64 v26, v26, v17, s[10:11]
	v_or_b32_e32 v24, v30, v25
	s_waitcnt lgkmcnt(0)
	v_cndmask_b32_e64 v27, v27, v18, s[8:9]
	v_or_b32_e32 v21, v21, v31
	v_cndmask_b32_e64 v28, v28, v18, s[10:11]
	v_cvt_f16_f32_e32 v28, v28
	v_cvt_f16_f32_sdwa v27, v27 dst_sel:WORD_1 dst_unused:UNUSED_PAD src0_sel:DWORD
	v_cmp_eq_u32_e64 s[6:7], 2, v62
	v_cmp_gt_u32_e64 s[8:9], 62, v19
	s_waitcnt vmcnt(0)
	v_lshl_add_u64 v[0:1], v[0:1], 1, s[50:51]
	;;#ASMSTART
	global_atomic_pk_add_f16 v[0:1], v24, off
	
	;;#ASMEND
	v_lshl_add_u64 v[24:25], v[0:1], 0, 32
	;;#ASMSTART
	global_atomic_pk_add_f16 v[24:25], v21, off
	
	;;#ASMEND
	v_cvt_f16_f32_e32 v21, v26
	v_cvt_f16_f32_sdwa v26, v29 dst_sel:WORD_1 dst_unused:UNUSED_PAD src0_sel:DWORD
	v_lshl_add_u64 v[24:25], v[0:1], 0, 64
	v_or_b32_e32 v21, v26, v21
	;;#ASMSTART
	global_atomic_pk_add_f16 v[24:25], v21, off
	
	;;#ASMEND
	v_lshl_add_u64 v[24:25], v[0:1], 0, s[30:31]
	v_or_b32_e32 v21, v27, v28
	;;#ASMSTART
	global_atomic_pk_add_f16 v[24:25], v21, off
	
	;;#ASMEND
	s_and_b64 exec, exec, s[8:9]
	s_cbranch_execz .LBB359_47
; %bb.44:                               ;   in Loop: Header=BB359_7 Depth=1
	v_cndmask_b32_e32 v2, v2, v5, vcc
	v_cndmask_b32_e64 v3, v3, v5, s[6:7]
	v_cndmask_b32_e32 v5, v6, v12, vcc
	v_cndmask_b32_e64 v6, v7, v12, s[6:7]
	v_cvt_f16_f32_e32 v3, v3
	v_cvt_f16_f32_sdwa v2, v2 dst_sel:WORD_1 dst_unused:UNUSED_PAD src0_sel:DWORD
	v_cvt_f16_f32_e32 v6, v6
	v_cvt_f16_f32_sdwa v5, v5 dst_sel:WORD_1 dst_unused:UNUSED_PAD src0_sel:DWORD
	v_lshl_add_u64 v[0:1], s[28:29], 2, v[0:1]
	v_or_b32_e32 v2, v2, v3
	;;#ASMSTART
	global_atomic_pk_add_f16 v[0:1], v2, off
	
	;;#ASMEND
	v_lshl_add_u64 v[2:3], v[0:1], 0, 32
	v_or_b32_e32 v5, v5, v6
	;;#ASMSTART
	global_atomic_pk_add_f16 v[2:3], v5, off
	
	;;#ASMEND
	scratch_load_dword v30, off, off offset:132 ; 4-byte Folded Reload
	v_cndmask_b32_e32 v7, v13, v17, vcc
	v_cndmask_b32_e64 v12, v14, v17, s[6:7]
	v_cvt_f16_f32_e32 v12, v12
	v_cvt_f16_f32_sdwa v7, v7 dst_sel:WORD_1 dst_unused:UNUSED_PAD src0_sel:DWORD
	v_cndmask_b32_e32 v14, v15, v18, vcc
	v_mov_b32_e32 v6, v64
	v_cmp_eq_u32_e32 vcc, 1, v47
	v_or_b32_e32 v5, v7, v12
	v_mov_b32_e32 v7, v64
	v_pk_mul_f32 v[12:13], v[64:65], v[66:67]
	v_cndmask_b32_e64 v15, v16, v18, s[6:7]
	v_pk_mul_f32 v[6:7], v[6:7], v[68:69]
	v_cndmask_b32_e32 v16, v12, v13, vcc
	v_cmp_eq_u32_e64 s[6:7], 2, v47
	v_cmp_eq_u32_e64 s[8:9], 3, v47
	v_lshl_add_u64 v[2:3], v[0:1], 0, 64
	v_cndmask_b32_e64 v16, v16, v6, s[6:7]
	v_cndmask_b32_e64 v16, v16, v7, s[8:9]
	v_cmp_eq_u32_e64 s[10:11], 0, v47
	;;#ASMSTART
	global_atomic_pk_add_f16 v[2:3], v5, off
	
	;;#ASMEND
	v_cvt_f16_f32_e32 v28, v15
	v_cvt_f16_f32_sdwa v29, v14 dst_sel:WORD_1 dst_unused:UNUSED_PAD src0_sel:DWORD
	v_lshl_add_u64 v[26:27], v[0:1], 0, s[30:31]
	v_pk_mul_f32 v[24:25], v[56:57], v[118:119]
	v_cmp_eq_u32_e64 s[12:13], 1, v62
	v_cmp_eq_u32_e64 s[14:15], 2, v62
	;; [unrolled: 1-line block ×3, first 2 shown]
	s_waitcnt vmcnt(0)
	ds_bpermute_b32 v16, v30, v16
	s_waitcnt lgkmcnt(0)
	v_cndmask_b32_e64 v2, v7, v16, s[8:9]
	v_cndmask_b32_e64 v3, v6, v16, s[6:7]
	v_cndmask_b32_e32 v0, v13, v16, vcc
	v_cndmask_b32_e64 v1, v12, v16, s[10:11]
	scratch_load_dwordx4 v[14:17], off, off offset:80 ; 16-byte Folded Reload
	v_mov_b32_e32 v6, v60
	v_mov_b32_e32 v7, v60
	v_cndmask_b32_e64 v5, v1, v0, s[12:13]
	v_cndmask_b32_e64 v5, v5, v3, s[14:15]
	;; [unrolled: 1-line block ×3, first 2 shown]
	ds_bpermute_b32 v5, v30, v5
	s_waitcnt vmcnt(0)
	v_pk_mul_f32 v[14:15], v[60:61], v[14:15]
	v_pk_mul_f32 v[12:13], v[6:7], v[16:17]
	v_cndmask_b32_e32 v6, v14, v15, vcc
	v_cndmask_b32_e64 v6, v6, v12, s[6:7]
	v_cndmask_b32_e64 v6, v6, v13, s[8:9]
	ds_bpermute_b32 v16, v30, v6
	s_waitcnt lgkmcnt(0)
	v_cndmask_b32_e64 v6, v13, v16, s[8:9]
	v_cndmask_b32_e64 v7, v12, v16, s[6:7]
	v_mov_b32_e32 v12, v56
	v_mov_b32_e32 v13, v56
	v_pk_mul_f32 v[18:19], v[12:13], v[120:121]
	v_cndmask_b32_e32 v12, v24, v25, vcc
	v_cndmask_b32_e64 v12, v12, v18, s[6:7]
	v_cndmask_b32_e64 v12, v12, v19, s[8:9]
	ds_bpermute_b32 v21, v30, v12
	v_cndmask_b32_e32 v15, v15, v16, vcc
	v_cndmask_b32_e64 v16, v14, v16, s[10:11]
	v_cndmask_b32_e64 v12, v16, v15, s[12:13]
	;; [unrolled: 1-line block ×3, first 2 shown]
	s_waitcnt lgkmcnt(0)
	v_cndmask_b32_e64 v14, v18, v21, s[6:7]
	v_cndmask_b32_e32 v17, v25, v21, vcc
	v_cndmask_b32_e64 v18, v24, v21, s[10:11]
	v_mov_b32_e32 v24, v52
	v_mov_b32_e32 v25, v52
	v_pk_mul_f32 v[10:11], v[24:25], v[10:11]
	v_pk_mul_f32 v[24:25], v[52:53], v[8:9]
	v_cndmask_b32_e64 v13, v19, v21, s[8:9]
	v_cndmask_b32_e32 v8, v24, v25, vcc
	v_cndmask_b32_e64 v8, v8, v10, s[6:7]
	v_cndmask_b32_e64 v8, v8, v11, s[8:9]
	ds_bpermute_b32 v19, v30, v8
	v_cmp_ne_u32_e32 vcc, 0, v47
	v_cndmask_b32_e64 v8, v18, v17, s[12:13]
	v_cndmask_b32_e64 v8, v8, v14, s[14:15]
	;; [unrolled: 1-line block ×3, first 2 shown]
	s_waitcnt lgkmcnt(0)
	v_cndmask_b32_e64 v9, v11, v19, s[8:9]
	v_cndmask_b32_e64 v10, v10, v19, s[6:7]
	v_cndmask_b32_e32 v21, v25, v19, vcc
	v_cndmask_b32_e64 v24, v24, v19, s[10:11]
	v_or_b32_e32 v19, v29, v28
	;;#ASMSTART
	global_atomic_pk_add_f16 v[26:27], v19, off
	
	;;#ASMEND
	scratch_load_dword v19, off, off offset:128 ; 4-byte Folded Reload
	v_cndmask_b32_e64 v11, v24, v21, s[12:13]
	v_cndmask_b32_e64 v11, v11, v10, s[14:15]
	;; [unrolled: 1-line block ×4, first 2 shown]
	ds_bpermute_b32 v12, v30, v12
	ds_bpermute_b32 v8, v30, v8
	;; [unrolled: 1-line block ×3, first 2 shown]
	s_waitcnt vmcnt(0)
	v_or_b32_e32 v19, 48, v19
	v_add_u32_e32 v19, s65, v19
	v_cmp_gt_u32_e32 vcc, 64, v19
	s_and_b64 exec, exec, vcc
	s_cbranch_execz .LBB359_47
; %bb.45:                               ;   in Loop: Header=BB359_7 Depth=1
	v_cmp_eq_u32_e64 s[8:9], 1, v62
	v_cmp_eq_u32_e64 s[10:11], 0, v62
	v_cmp_eq_u32_e32 vcc, 3, v62
	v_cndmask_b32_e64 v0, v0, v5, s[8:9]
	v_cndmask_b32_e64 v1, v1, v5, s[10:11]
	s_waitcnt lgkmcnt(1)
	v_cndmask_b32_e64 v25, v17, v8, s[8:9]
	v_cvt_f16_f32_e32 v17, v1
	v_cvt_f16_f32_sdwa v26, v0 dst_sel:WORD_1 dst_unused:UNUSED_PAD src0_sel:DWORD
	scratch_load_dwordx2 v[0:1], off, off offset:188 ; 8-byte Folded Reload
	v_cndmask_b32_e64 v15, v15, v12, s[8:9]
	v_cndmask_b32_e64 v16, v16, v12, s[10:11]
	v_cvt_f16_f32_e32 v27, v16
	v_cvt_f16_f32_sdwa v15, v15 dst_sel:WORD_1 dst_unused:UNUSED_PAD src0_sel:DWORD
	v_cndmask_b32_e64 v18, v18, v8, s[10:11]
	v_or_b32_e32 v16, v26, v17
	s_waitcnt lgkmcnt(0)
	v_cndmask_b32_e64 v21, v21, v11, s[8:9]
	v_or_b32_e32 v15, v15, v27
	v_cndmask_b32_e64 v24, v24, v11, s[10:11]
	v_cvt_f16_f32_e32 v24, v24
	v_cvt_f16_f32_sdwa v21, v21 dst_sel:WORD_1 dst_unused:UNUSED_PAD src0_sel:DWORD
	v_cmp_eq_u32_e64 s[6:7], 2, v62
	v_cmp_gt_u32_e64 s[8:9], 62, v19
	s_waitcnt vmcnt(0)
	v_lshl_add_u64 v[0:1], v[0:1], 1, s[50:51]
	;;#ASMSTART
	global_atomic_pk_add_f16 v[0:1], v16, off
	
	;;#ASMEND
	v_lshl_add_u64 v[16:17], v[0:1], 0, 32
	;;#ASMSTART
	global_atomic_pk_add_f16 v[16:17], v15, off
	
	;;#ASMEND
	v_cvt_f16_f32_e32 v15, v18
	v_cvt_f16_f32_sdwa v18, v25 dst_sel:WORD_1 dst_unused:UNUSED_PAD src0_sel:DWORD
	v_lshl_add_u64 v[16:17], v[0:1], 0, 64
	v_or_b32_e32 v15, v18, v15
	;;#ASMSTART
	global_atomic_pk_add_f16 v[16:17], v15, off
	
	;;#ASMEND
	v_lshl_add_u64 v[16:17], v[0:1], 0, s[30:31]
	v_or_b32_e32 v15, v21, v24
	;;#ASMSTART
	global_atomic_pk_add_f16 v[16:17], v15, off
	
	;;#ASMEND
	s_and_b64 exec, exec, s[8:9]
	s_cbranch_execz .LBB359_47
; %bb.46:                               ;   in Loop: Header=BB359_7 Depth=1
	v_cndmask_b32_e32 v2, v2, v5, vcc
	v_cndmask_b32_e64 v3, v3, v5, s[6:7]
	v_cndmask_b32_e32 v5, v6, v12, vcc
	v_cndmask_b32_e64 v6, v7, v12, s[6:7]
	v_cvt_f16_f32_e32 v3, v3
	v_cvt_f16_f32_sdwa v2, v2 dst_sel:WORD_1 dst_unused:UNUSED_PAD src0_sel:DWORD
	v_cvt_f16_f32_e32 v6, v6
	v_cvt_f16_f32_sdwa v5, v5 dst_sel:WORD_1 dst_unused:UNUSED_PAD src0_sel:DWORD
	v_cndmask_b32_e32 v7, v13, v8, vcc
	v_cndmask_b32_e64 v8, v14, v8, s[6:7]
	v_cndmask_b32_e32 v9, v9, v11, vcc
	v_cndmask_b32_e64 v10, v10, v11, s[6:7]
	v_lshl_add_u64 v[0:1], s[28:29], 2, v[0:1]
	v_or_b32_e32 v2, v2, v3
	v_or_b32_e32 v5, v5, v6
	;;#ASMSTART
	global_atomic_pk_add_f16 v[0:1], v2, off
	
	;;#ASMEND
	v_lshl_add_u64 v[2:3], v[0:1], 0, 32
	;;#ASMSTART
	global_atomic_pk_add_f16 v[2:3], v5, off
	
	;;#ASMEND
	v_cvt_f16_f32_e32 v5, v8
	v_cvt_f16_f32_sdwa v6, v7 dst_sel:WORD_1 dst_unused:UNUSED_PAD src0_sel:DWORD
	v_cvt_f16_f32_e32 v7, v10
	v_cvt_f16_f32_sdwa v8, v9 dst_sel:WORD_1 dst_unused:UNUSED_PAD src0_sel:DWORD
	v_lshl_add_u64 v[2:3], v[0:1], 0, 64
	v_or_b32_e32 v5, v6, v5
	;;#ASMSTART
	global_atomic_pk_add_f16 v[2:3], v5, off
	
	;;#ASMEND
	v_lshl_add_u64 v[0:1], v[0:1], 0, s[30:31]
	v_or_b32_e32 v2, v8, v7
	;;#ASMSTART
	global_atomic_pk_add_f16 v[0:1], v2, off
	
	;;#ASMEND
.LBB359_47:                             ;   in Loop: Header=BB359_7 Depth=1
	s_or_b64 exec, exec, s[18:19]
	scratch_load_dword v25, off, off offset:136 ; 4-byte Folded Reload
	scratch_load_dwordx2 v[26:27], off, off offset:140 ; 8-byte Folded Reload
	scratch_load_dword v28, off, off offset:148 ; 4-byte Folded Reload
	v_subrev_u32_e32 v23, s66, v23
.LBB359_48:                             ;   in Loop: Header=BB359_7 Depth=1
	s_or_b64 exec, exec, s[48:49]
.LBB359_49:                             ;   in Loop: Header=BB359_7 Depth=1
	s_andn2_saveexec_b64 s[6:7], s[46:47]
	s_cbranch_execz .LBB359_58
; %bb.50:                               ;   in Loop: Header=BB359_7 Depth=1
	s_lshl_b32 s16, s66, 2
	v_cmp_gt_i32_e32 vcc, s16, v23
	s_and_saveexec_b64 s[8:9], vcc
	s_cbranch_execz .LBB359_57
; %bb.51:                               ;   in Loop: Header=BB359_7 Depth=1
	scratch_load_dwordx2 v[0:1], off, off offset:152 ; 8-byte Folded Reload
	s_mul_i32 s10, s44, s23
	s_ashr_i32 s11, s10, 31
	s_waitcnt lgkmcnt(0)
	s_add_u32 s10, s38, s10
	s_addc_u32 s11, s39, s11
	s_ashr_i32 s12, s64, 31
	s_add_u32 s10, s10, s64
	s_addc_u32 s11, s11, s12
	s_waitcnt vmcnt(0)
	v_lshl_add_u64 v[0:1], s[10:11], 0, v[0:1]
	v_lshl_add_u64 v[16:17], v[0:1], 0, v[26:27]
	s_mov_b64 s[10:11], 0
	s_branch .LBB359_53
.LBB359_52:                             ;   in Loop: Header=BB359_53 Depth=2
	s_or_b64 exec, exec, s[12:13]
	v_or_b32_e32 v21, 0x4000, v22
	v_lshl_add_u32 v21, v18, 12, v21
	;;#ASMSTART
	s_waitcnt vmcnt(3)
	;;#ASMEND
	ds_write2_b32 v21, v12, v13 offset1:32
	ds_write2_b32 v21, v14, v15 offset0:64 offset1:96
	v_add_u32_e32 v12, 0x400, v21
	;;#ASMSTART
	s_waitcnt vmcnt(2)
	;;#ASMEND
	ds_write2_b32 v12, v8, v9 offset1:32
	ds_write2_b32 v12, v10, v11 offset0:64 offset1:96
	v_add_u32_e32 v8, 0x800, v21
	;; [unrolled: 6-line block ×3, first 2 shown]
	v_add_u32_e32 v23, s26, v23
	;;#ASMSTART
	s_waitcnt vmcnt(0)
	;;#ASMEND
	ds_write2_b32 v4, v0, v1 offset1:32
	ds_write2_b32 v4, v2, v3 offset0:64 offset1:96
	v_add_u32_e32 v0, 1, v20
	v_add_u32_e32 v4, s26, v18
	v_cmp_le_i32_e32 vcc, s16, v23
	ds_write_b32 v19, v0 offset:16
	v_add_u32_e32 v0, 2, v20
	s_or_b64 s[10:11], vcc, s[10:11]
	v_cmp_lt_i32_e32 vcc, 3, v4
	s_nop 1
	v_cndmask_b32_e32 v20, v20, v0, vcc
	s_andn2_b64 exec, exec, s[10:11]
	s_cbranch_execz .LBB359_56
.LBB359_53:                             ;   Parent Loop BB359_7 Depth=1
                                        ; =>  This Loop Header: Depth=2
                                        ;       Child Loop BB359_55 Depth 3
	v_cmp_gt_i32_e32 vcc, 4, v4
	s_nop 1
	v_cndmask_b32_e64 v0, -4, 0, vcc
	v_add_u32_e32 v18, v0, v4
	v_ashrrev_i32_e32 v0, 31, v23
	v_lshrrev_b32_e32 v0, 30, v0
	v_add_u32_e32 v0, v23, v0
	v_and_b32_e32 v1, -4, v0
	v_lshlrev_b32_e32 v0, 6, v0
	v_sub_u32_e32 v2, v23, v1
	v_and_b32_e32 v0, 0xffffff00, v0
	v_ashrrev_i32_e32 v1, 31, v0
	v_mul_lo_u32 v2, s57, v2
	v_lshl_add_u64 v[0:1], v[16:17], 0, v[0:1]
	v_ashrrev_i32_e32 v3, 31, v2
	v_lshl_add_u64 v[0:1], v[0:1], 0, v[2:3]
	v_lshlrev_b32_e32 v19, 2, v18
	;;#ASMSTART
	global_load_dwordx4 v[12:15], v[0:1], off offset:0    sc0 sc1 nt  
	global_load_dwordx4 v[8:11], v[0:1], off offset:64   sc0 sc1 nt  
	global_load_dwordx4 v[4:7], v[0:1], off offset:128  sc0 sc1 nt  
	global_load_dwordx4 v[0:3], v[0:1], off offset:192  sc0 sc1 nt  
	
	;;#ASMEND
	ds_read_b32 v21, v19 offset:32784
	v_add_u32_e32 v19, 0x8000, v19
	s_waitcnt lgkmcnt(0)
	v_cmp_ne_u32_e32 vcc, v21, v20
	s_and_saveexec_b64 s[12:13], vcc
	s_cbranch_execz .LBB359_52
; %bb.54:                               ;   in Loop: Header=BB359_53 Depth=2
	s_mov_b64 s[14:15], 0
.LBB359_55:                             ;   Parent Loop BB359_7 Depth=1
                                        ;     Parent Loop BB359_53 Depth=2
                                        ; =>    This Inner Loop Header: Depth=3
	;;#ASMSTART
	s_sleep 0
	;;#ASMEND
	ds_read_b32 v21, v19 offset:16
	s_waitcnt lgkmcnt(0)
	v_cmp_eq_u32_e32 vcc, v21, v20
	s_or_b64 s[14:15], vcc, s[14:15]
	s_andn2_b64 exec, exec, s[14:15]
	s_cbranch_execnz .LBB359_55
	s_branch .LBB359_52
.LBB359_56:                             ;   in Loop: Header=BB359_7 Depth=1
	s_or_b64 exec, exec, s[10:11]
.LBB359_57:                             ;   in Loop: Header=BB359_7 Depth=1
	s_or_b64 exec, exec, s[8:9]
	v_subrev_u32_e32 v23, s16, v23
.LBB359_58:                             ;   in Loop: Header=BB359_7 Depth=1
	s_or_b64 exec, exec, s[6:7]
.LBB359_59:                             ;   in Loop: Header=BB359_7 Depth=1
	s_andn2_saveexec_b64 s[6:7], s[34:35]
	s_cbranch_execz .LBB359_6
; %bb.60:                               ;   in Loop: Header=BB359_7 Depth=1
	s_lshl_b32 s16, s66, 2
	v_cmp_gt_i32_e32 vcc, s16, v23
	s_and_saveexec_b64 s[8:9], vcc
	s_cbranch_execz .LBB359_5
; %bb.61:                               ;   in Loop: Header=BB359_7 Depth=1
	s_mul_i32 s63, s63, s22
	s_ashr_i32 s10, s63, 31
	s_waitcnt lgkmcnt(0)
	s_add_u32 s11, s36, s63
	s_waitcnt vmcnt(0)
	v_add_u32_e32 v2, s65, v28
	s_addc_u32 s12, s37, s10
	s_ashr_i32 s13, s64, 31
	v_mul_lo_u32 v0, s22, v28
	v_cmp_gt_u32_e32 vcc, 64, v2
	s_add_u32 s10, s11, s64
	s_addc_u32 s11, s12, s13
	v_cndmask_b32_e32 v0, 0, v0, vcc
	v_ashrrev_i32_e32 v1, 31, v0
	v_lshl_add_u64 v[0:1], s[10:11], 0, v[0:1]
	v_lshl_add_u64 v[16:17], v[0:1], 0, v[26:27]
	v_sub_u32_e32 v18, 63, v2
	s_mov_b64 s[10:11], 0
	s_branch .LBB359_63
.LBB359_62:                             ;   in Loop: Header=BB359_63 Depth=2
	s_or_b64 exec, exec, s[12:13]
	v_lshl_or_b32 v24, v19, 12, v22
	;;#ASMSTART
	s_waitcnt vmcnt(3)
	;;#ASMEND
	ds_write2_b32 v24, v12, v13 offset1:32
	ds_write2_b32 v24, v14, v15 offset0:64 offset1:96
	v_add_u32_e32 v12, 0x400, v24
	;;#ASMSTART
	s_waitcnt vmcnt(2)
	;;#ASMEND
	ds_write2_b32 v12, v8, v9 offset1:32
	ds_write2_b32 v12, v10, v11 offset0:64 offset1:96
	v_add_u32_e32 v8, 0x800, v24
	;; [unrolled: 6-line block ×3, first 2 shown]
	v_add_u32_e32 v23, s25, v23
	;;#ASMSTART
	s_waitcnt vmcnt(0)
	;;#ASMEND
	ds_write2_b32 v4, v0, v1 offset1:32
	ds_write2_b32 v4, v2, v3 offset0:64 offset1:96
	v_add_u32_e32 v0, 1, v20
	v_add_u32_e32 v4, s25, v19
	v_cmp_le_i32_e32 vcc, s16, v23
	ds_write_b32 v21, v0
	v_add_u32_e32 v0, 2, v20
	s_or_b64 s[10:11], vcc, s[10:11]
	v_cmp_lt_i32_e32 vcc, 3, v4
	s_nop 1
	v_cndmask_b32_e32 v20, v20, v0, vcc
	s_andn2_b64 exec, exec, s[10:11]
	s_cbranch_execz .LBB359_4
.LBB359_63:                             ;   Parent Loop BB359_7 Depth=1
                                        ; =>  This Loop Header: Depth=2
                                        ;       Child Loop BB359_65 Depth 3
	v_cmp_gt_i32_e32 vcc, 4, v4
	s_nop 1
	v_cndmask_b32_e64 v0, -4, 0, vcc
	v_add_u32_e32 v19, v0, v4
	v_ashrrev_i32_e32 v0, 31, v23
	v_lshrrev_b32_e32 v0, 30, v0
	v_add_u32_e32 v0, v23, v0
	v_and_b32_e32 v1, 0xffffffc, v0
	v_sub_u32_e32 v1, v23, v1
	v_lshlrev_b32_e32 v1, 4, v1
	v_cmp_le_i32_e32 vcc, v1, v18
	v_lshlrev_b32_e32 v0, 6, v0
	v_and_b32_e32 v0, 0xffffff00, v0
	v_cndmask_b32_e32 v2, 0, v1, vcc
	v_ashrrev_i32_e32 v1, 31, v0
	v_mul_lo_u32 v2, v2, s22
	v_lshl_add_u64 v[0:1], v[16:17], 0, v[0:1]
	v_ashrrev_i32_e32 v3, 31, v2
	v_lshl_add_u64 v[0:1], v[0:1], 0, v[2:3]
	v_lshlrev_b32_e32 v21, 2, v19
	;;#ASMSTART
	global_load_dwordx4 v[12:15], v[0:1], off offset:0    
	global_load_dwordx4 v[8:11], v[0:1], off offset:64   
	;; [unrolled: 1-line block ×4, first 2 shown]
	
	;;#ASMEND
	ds_read_b32 v24, v21 offset:32768
	v_add_u32_e32 v21, 0x8000, v21
	s_waitcnt lgkmcnt(0)
	v_cmp_ne_u32_e32 vcc, v24, v20
	s_and_saveexec_b64 s[12:13], vcc
	s_cbranch_execz .LBB359_62
; %bb.64:                               ;   in Loop: Header=BB359_63 Depth=2
	s_mov_b64 s[14:15], 0
.LBB359_65:                             ;   Parent Loop BB359_7 Depth=1
                                        ;     Parent Loop BB359_63 Depth=2
                                        ; =>    This Inner Loop Header: Depth=3
	;;#ASMSTART
	s_sleep 0
	;;#ASMEND
	ds_read_b32 v24, v21
	s_waitcnt lgkmcnt(0)
	v_cmp_eq_u32_e32 vcc, v24, v20
	s_or_b64 s[14:15], vcc, s[14:15]
	s_andn2_b64 exec, exec, s[14:15]
	s_cbranch_execnz .LBB359_65
	s_branch .LBB359_62
.LBB359_66:
	s_endpgm
	.section	.rodata,"a",@progbits
	.p2align	6, 0x0
	.amdhsa_kernel _Z19_skinny_gemm_kernelILi4ELi4ELi1ELi16ELi8EEvPKhS1_P6__halfPKfiiiiiiii
		.amdhsa_group_segment_fixed_size 32800
		.amdhsa_private_segment_fixed_size 200
		.amdhsa_kernarg_size 64
		.amdhsa_user_sgpr_count 2
		.amdhsa_user_sgpr_dispatch_ptr 0
		.amdhsa_user_sgpr_queue_ptr 0
		.amdhsa_user_sgpr_kernarg_segment_ptr 1
		.amdhsa_user_sgpr_dispatch_id 0
		.amdhsa_user_sgpr_kernarg_preload_length 0
		.amdhsa_user_sgpr_kernarg_preload_offset 0
		.amdhsa_user_sgpr_private_segment_size 0
		.amdhsa_uses_dynamic_stack 0
		.amdhsa_enable_private_segment 1
		.amdhsa_system_sgpr_workgroup_id_x 1
		.amdhsa_system_sgpr_workgroup_id_y 0
		.amdhsa_system_sgpr_workgroup_id_z 0
		.amdhsa_system_sgpr_workgroup_info 0
		.amdhsa_system_vgpr_workitem_id 0
		.amdhsa_next_free_vgpr 128
		.amdhsa_next_free_sgpr 67
		.amdhsa_accum_offset 128
		.amdhsa_reserve_vcc 1
		.amdhsa_float_round_mode_32 0
		.amdhsa_float_round_mode_16_64 0
		.amdhsa_float_denorm_mode_32 3
		.amdhsa_float_denorm_mode_16_64 3
		.amdhsa_dx10_clamp 1
		.amdhsa_ieee_mode 1
		.amdhsa_fp16_overflow 0
		.amdhsa_tg_split 0
		.amdhsa_exception_fp_ieee_invalid_op 0
		.amdhsa_exception_fp_denorm_src 0
		.amdhsa_exception_fp_ieee_div_zero 0
		.amdhsa_exception_fp_ieee_overflow 0
		.amdhsa_exception_fp_ieee_underflow 0
		.amdhsa_exception_fp_ieee_inexact 0
		.amdhsa_exception_int_div_zero 0
	.end_amdhsa_kernel
	.section	.text._Z19_skinny_gemm_kernelILi4ELi4ELi1ELi16ELi8EEvPKhS1_P6__halfPKfiiiiiiii,"axG",@progbits,_Z19_skinny_gemm_kernelILi4ELi4ELi1ELi16ELi8EEvPKhS1_P6__halfPKfiiiiiiii,comdat
.Lfunc_end359:
	.size	_Z19_skinny_gemm_kernelILi4ELi4ELi1ELi16ELi8EEvPKhS1_P6__halfPKfiiiiiiii, .Lfunc_end359-_Z19_skinny_gemm_kernelILi4ELi4ELi1ELi16ELi8EEvPKhS1_P6__halfPKfiiiiiiii
                                        ; -- End function
	.set _Z19_skinny_gemm_kernelILi4ELi4ELi1ELi16ELi8EEvPKhS1_P6__halfPKfiiiiiiii.num_vgpr, 128
	.set _Z19_skinny_gemm_kernelILi4ELi4ELi1ELi16ELi8EEvPKhS1_P6__halfPKfiiiiiiii.num_agpr, 0
	.set _Z19_skinny_gemm_kernelILi4ELi4ELi1ELi16ELi8EEvPKhS1_P6__halfPKfiiiiiiii.numbered_sgpr, 67
	.set _Z19_skinny_gemm_kernelILi4ELi4ELi1ELi16ELi8EEvPKhS1_P6__halfPKfiiiiiiii.num_named_barrier, 0
	.set _Z19_skinny_gemm_kernelILi4ELi4ELi1ELi16ELi8EEvPKhS1_P6__halfPKfiiiiiiii.private_seg_size, 200
	.set _Z19_skinny_gemm_kernelILi4ELi4ELi1ELi16ELi8EEvPKhS1_P6__halfPKfiiiiiiii.uses_vcc, 1
	.set _Z19_skinny_gemm_kernelILi4ELi4ELi1ELi16ELi8EEvPKhS1_P6__halfPKfiiiiiiii.uses_flat_scratch, 0
	.set _Z19_skinny_gemm_kernelILi4ELi4ELi1ELi16ELi8EEvPKhS1_P6__halfPKfiiiiiiii.has_dyn_sized_stack, 0
	.set _Z19_skinny_gemm_kernelILi4ELi4ELi1ELi16ELi8EEvPKhS1_P6__halfPKfiiiiiiii.has_recursion, 0
	.set _Z19_skinny_gemm_kernelILi4ELi4ELi1ELi16ELi8EEvPKhS1_P6__halfPKfiiiiiiii.has_indirect_call, 0
	.section	.AMDGPU.csdata,"",@progbits
; Kernel info:
; codeLenInByte = 10112
; TotalNumSgprs: 73
; NumVgprs: 128
; NumAgprs: 0
; TotalNumVgprs: 128
; ScratchSize: 200
; MemoryBound: 0
; FloatMode: 240
; IeeeMode: 1
; LDSByteSize: 32800 bytes/workgroup (compile time only)
; SGPRBlocks: 9
; VGPRBlocks: 15
; NumSGPRsForWavesPerEU: 73
; NumVGPRsForWavesPerEU: 128
; AccumOffset: 128
; Occupancy: 4
; WaveLimiterHint : 0
; COMPUTE_PGM_RSRC2:SCRATCH_EN: 1
; COMPUTE_PGM_RSRC2:USER_SGPR: 2
; COMPUTE_PGM_RSRC2:TRAP_HANDLER: 0
; COMPUTE_PGM_RSRC2:TGID_X_EN: 1
; COMPUTE_PGM_RSRC2:TGID_Y_EN: 0
; COMPUTE_PGM_RSRC2:TGID_Z_EN: 0
; COMPUTE_PGM_RSRC2:TIDIG_COMP_CNT: 0
; COMPUTE_PGM_RSRC3_GFX90A:ACCUM_OFFSET: 31
; COMPUTE_PGM_RSRC3_GFX90A:TG_SPLIT: 0
	.section	.text._Z19_skinny_gemm_kernelILi4ELi4ELi1ELi32ELi4EEvPKhS1_P6__halfPKfiiiiiiii,"axG",@progbits,_Z19_skinny_gemm_kernelILi4ELi4ELi1ELi32ELi4EEvPKhS1_P6__halfPKfiiiiiiii,comdat
	.protected	_Z19_skinny_gemm_kernelILi4ELi4ELi1ELi32ELi4EEvPKhS1_P6__halfPKfiiiiiiii ; -- Begin function _Z19_skinny_gemm_kernelILi4ELi4ELi1ELi32ELi4EEvPKhS1_P6__halfPKfiiiiiiii
	.globl	_Z19_skinny_gemm_kernelILi4ELi4ELi1ELi32ELi4EEvPKhS1_P6__halfPKfiiiiiiii
	.p2align	8
	.type	_Z19_skinny_gemm_kernelILi4ELi4ELi1ELi32ELi4EEvPKhS1_P6__halfPKfiiiiiiii,@function
_Z19_skinny_gemm_kernelILi4ELi4ELi1ELi32ELi4EEvPKhS1_P6__halfPKfiiiiiiii: ; @_Z19_skinny_gemm_kernelILi4ELi4ELi1ELi32ELi4EEvPKhS1_P6__halfPKfiiiiiiii
; %bb.0:
	v_cmp_gt_u32_e32 vcc, 8, v0
	s_and_saveexec_b64 s[4:5], vcc
; %bb.1:
	v_lshlrev_b32_e32 v1, 2, v0
	v_mov_b32_e32 v2, 0
	ds_write_b32 v1, v2 offset:16384
; %bb.2:
	s_or_b64 exec, exec, s[4:5]
	s_load_dwordx8 s[20:27], s[0:1], 0x20
	s_waitcnt lgkmcnt(0)
	s_barrier
	s_add_i32 s3, s20, 0x7f
	s_ashr_i32 s5, s3, 31
	s_add_i32 s4, s21, 0x7f
	s_lshr_b32 s5, s5, 25
	s_ashr_i32 s6, s4, 31
	s_add_i32 s3, s3, s5
	s_ashr_i32 s12, s3, 7
	s_lshr_b32 s3, s6, 25
	s_add_i32 s4, s4, s3
	s_ashr_i32 s14, s4, 7
	s_mul_i32 s3, s14, s12
	s_mul_i32 s3, s3, s24
	s_add_i32 s4, s3, 0x12f
	s_mul_hi_i32 s4, s4, 0x6bca1af3
	s_lshr_b32 s5, s4, 31
	s_ashr_i32 s4, s4, 7
	s_add_i32 s4, s4, s5
	s_add_i32 s5, s2, 1
	s_mul_i32 s5, s4, s5
	v_cvt_f64_i32_e32 v[2:3], s3
	v_cvt_f64_u32_e32 v[4:5], s5
	v_min_f64 v[2:3], v[2:3], v[4:5]
	v_cvt_i32_f64_e32 v78, v[2:3]
	s_mul_i32 s33, s4, s2
	v_cmp_ge_i32_e32 vcc, s33, v78
	s_cbranch_vccnz .LBB360_54
; %bb.3:
	s_load_dwordx8 s[72:79], s[0:1], 0x0
	v_lshrrev_b32_e32 v1, 6, v0
	s_add_i32 s0, s26, s25
	v_cmp_le_i32_e64 s[18:19], s0, v1
	v_mov_b32_e32 v2, s25
	v_cmp_le_i32_e64 s[28:29], s25, v1
	v_mov_b32_e32 v3, s26
	v_cndmask_b32_e64 v3, 0, v3, s[18:19]
	v_cndmask_b32_e64 v2, 0, v2, s[28:29]
	s_abs_i32 s1, s24
	v_add_u32_e32 v2, v2, v3
	v_cvt_f32_u32_e32 v3, s1
	v_sub_u32_e32 v72, v1, v2
	s_ashr_i32 s2, s22, 31
	s_lshr_b32 s2, s2, 26
	v_rcp_iflag_f32_e32 v2, v3
	s_sub_i32 s5, 0, s1
	s_add_i32 s2, s22, s2
	s_ashr_i32 s2, s2, 6
	v_mul_f32_e32 v2, 0x4f7ffffe, v2
	v_cvt_u32_f32_e32 v2, v2
	s_abs_i32 s4, s2
	s_xor_b32 s3, s2, s24
	s_ashr_i32 s3, s3, 31
	v_readfirstlane_b32 s6, v2
	s_mul_i32 s5, s5, s6
	s_mul_hi_u32 s5, s6, s5
	s_add_i32 s6, s6, s5
	s_mul_hi_u32 s5, s4, s6
	s_mul_i32 s6, s5, s1
	s_sub_i32 s4, s4, s6
	s_add_i32 s6, s5, 1
	s_sub_i32 s7, s4, s1
	s_cmp_ge_u32 s4, s1
	s_cselect_b32 s5, s6, s5
	s_cselect_b32 s4, s7, s4
	s_add_i32 s6, s5, 1
	s_cmp_ge_u32 s4, s1
	s_cselect_b32 s1, s6, s5
	s_add_i32 s0, s0, s27
	v_and_b32_e32 v80, 31, v0
	v_lshrrev_b32_e32 v2, 3, v0
	v_cmp_gt_i32_e64 s[34:35], s0, v1
	v_lshlrev_b32_e32 v1, 2, v80
	v_and_b32_e32 v3, 4, v2
	v_lshlrev_b32_e32 v2, 6, v3
	v_or_b32_e32 v4, 0x2000, v1
	v_and_b32_e32 v5, 1, v0
	v_or_b32_e32 v81, v1, v2
	v_or_b32_e32 v82, v4, v2
	v_lshlrev_b32_e32 v2, 1, v5
	v_lshrrev_b32_e32 v7, 1, v0
	s_abs_i32 s97, s12
                                        ; implicit-def: $vgpr127 : SGPR spill to VGPR lane
	v_sub_u32_e32 v2, v0, v2
	v_and_b32_e32 v66, 16, v7
	v_cvt_f32_u32_e32 v7, s97
	v_writelane_b32 v127, s12, 0
	v_add_u32_e32 v2, 1, v2
	v_writelane_b32 v127, s14, 1
	v_and_b32_e32 v6, 63, v2
	v_bitop3_b32 v83, v0, 1, v0 bitop3:0xc
	v_bitop3_b32 v84, v0, 3, 1 bitop3:0x6c
	;; [unrolled: 1-line block ×8, first 2 shown]
	v_and_b32_e32 v2, 30, v0
	v_lshlrev_b32_e32 v0, 4, v0
	s_waitcnt lgkmcnt(0)
	v_writelane_b32 v127, s72, 2
	v_and_b32_e32 v0, 0x200, v0
	v_or_b32_e32 v94, v4, v0
	v_writelane_b32 v127, s73, 3
	v_rcp_iflag_f32_e32 v4, v7
	s_abs_i32 s98, s14
	v_writelane_b32 v127, s74, 4
	v_or_b32_e32 v96, v1, v0
	v_cvt_f32_u32_e32 v1, s98
	v_writelane_b32 v127, s75, 5
	v_writelane_b32 v127, s76, 6
	;; [unrolled: 1-line block ×3, first 2 shown]
	v_mul_f32_e32 v0, 0x4f7ffffe, v4
	v_writelane_b32 v127, s78, 8
	v_cvt_u32_f32_e32 v0, v0
	v_rcp_iflag_f32_e32 v1, v1
	v_writelane_b32 v127, s79, 9
	v_cndmask_b32_e64 v79, 0, 1, s[18:19]
	s_xor_b32 s1, s1, s3
	v_writelane_b32 v127, s18, 10
	s_sub_i32 s15, s1, s3
	s_add_i32 s30, s24, -1
	v_writelane_b32 v127, s19, 11
	s_mul_i32 s1, s15, s30
	v_writelane_b32 v127, s28, 12
	s_sub_i32 s31, s2, s1
	v_readfirstlane_b32 s1, v0
	v_mul_f32_e32 v0, 0x4f7ffffe, v1
	v_writelane_b32 v127, s29, 13
	v_cvt_u32_f32_e32 v0, v0
	v_writelane_b32 v127, s15, 14
	s_sub_i32 s0, 0, s97
	v_writelane_b32 v127, s30, 15
	s_mul_i32 s0, s0, s1
	v_writelane_b32 v127, s31, 16
	s_mul_hi_u32 s0, s1, s0
	v_writelane_b32 v127, s34, 17
	s_ashr_i32 s36, s12, 31
	s_add_i32 s37, s1, s0
	s_sub_i32 s0, 0, s98
	v_readfirstlane_b32 s1, v0
	v_writelane_b32 v127, s35, 18
	s_mul_i32 s0, s0, s1
	v_mbcnt_lo_u32_b32 v0, -1, 0
	v_writelane_b32 v127, s36, 19
	s_ashr_i32 s38, s14, 31
	s_mul_hi_u32 s0, s1, s0
	v_mbcnt_hi_u32_b32 v0, -1, v0
	v_writelane_b32 v127, s37, 20
	v_mov_b32_e32 v65, 0
	v_mul_lo_u32 v68, s23, v80
	v_or_b32_e32 v97, v5, v3
	s_add_i32 s39, s1, s0
	v_and_or_b32 v0, v0, 64, v6
	v_writelane_b32 v127, s38, 21
	v_ashrrev_i32_e32 v69, 31, v68
	v_mov_b32_e32 v67, v65
	s_lshl_b32 s24, s23, 5
	v_mul_lo_u32 v95, s22, v80
	v_or_b32_e32 v98, 2, v97
	v_lshlrev_b32_e32 v64, 1, v2
	v_lshlrev_b32_e32 v99, 2, v0
	v_mov_b32_e32 v100, v72
	v_writelane_b32 v127, s39, 22
	s_branch .LBB360_7
.LBB360_4:                              ;   in Loop: Header=BB360_7 Depth=1
	s_or_b64 exec, exec, s[4:5]
.LBB360_5:                              ;   in Loop: Header=BB360_7 Depth=1
	s_or_b64 exec, exec, s[2:3]
	v_subrev_u32_e32 v100, s10, v100
.LBB360_6:                              ;   in Loop: Header=BB360_7 Depth=1
	s_or_b64 exec, exec, s[0:1]
	s_add_i32 s33, s33, 1
	v_cmp_ge_i32_e32 vcc, s33, v78
	s_cbranch_vccnz .LBB360_54
.LBB360_7:                              ; =>This Loop Header: Depth=1
                                        ;     Child Loop BB360_13 Depth 2
                                        ;       Child Loop BB360_15 Depth 3
                                        ;       Child Loop BB360_18 Depth 3
	;; [unrolled: 1-line block ×5, first 2 shown]
                                        ;     Child Loop BB360_32 Depth 2
                                        ;     Child Loop BB360_41 Depth 2
                                        ;       Child Loop BB360_43 Depth 3
                                        ;     Child Loop BB360_51 Depth 2
                                        ;       Child Loop BB360_53 Depth 3
	s_abs_i32 s1, s33
	s_mul_hi_u32 s2, s1, s37
	s_mul_i32 s3, s2, s97
	s_ashr_i32 s0, s33, 31
	s_sub_i32 s1, s1, s3
	s_xor_b32 s0, s0, s36
	s_add_i32 s3, s2, 1
	s_sub_i32 s4, s1, s97
	s_cmp_ge_u32 s1, s97
	s_cselect_b32 s2, s3, s2
	s_cselect_b32 s1, s4, s1
	s_add_i32 s3, s2, 1
	s_cmp_ge_u32 s1, s97
	s_cselect_b32 s1, s3, s2
	s_xor_b32 s1, s1, s0
	s_sub_i32 s0, s1, s0
	s_abs_i32 s2, s0
	s_mul_i32 s1, s0, s12
	s_mul_hi_u32 s3, s2, s39
	s_sub_i32 s1, s33, s1
	s_mul_i32 s4, s3, s98
	s_lshl_b32 s99, s1, 7
	s_ashr_i32 s1, s0, 31
	s_sub_i32 s2, s2, s4
	s_xor_b32 s1, s1, s38
	s_add_i32 s4, s3, 1
	s_sub_i32 s5, s2, s98
	s_cmp_ge_u32 s2, s98
	s_cselect_b32 s3, s4, s3
	s_cselect_b32 s2, s5, s2
	s_add_i32 s4, s3, 1
	s_cmp_ge_u32 s2, s98
	s_cselect_b32 s2, s4, s3
	s_xor_b32 s2, s2, s1
	s_sub_i32 s1, s2, s1
	s_mul_i32 s2, s1, s15
	s_lshl_b32 s44, s2, 6
	s_cmp_eq_u32 s1, s30
	s_cselect_b32 s4, s31, s15
	s_sub_i32 s2, s99, s20
	s_addk_i32 s2, 0x80
	s_max_i32 s96, s2, 0
	s_and_saveexec_b64 s[2:3], s[28:29]
	s_xor_b64 s[46:47], exec, s[2:3]
	s_cbranch_execz .LBB360_47
; %bb.8:                                ;   in Loop: Header=BB360_7 Depth=1
	s_mul_i32 s1, s1, s14
	s_sub_i32 s0, s0, s1
	s_lshl_b32 s0, s0, 7
	s_sub_i32 s5, s0, s21
	s_addk_i32 s5, 0x80
	s_max_i32 s1, s5, 0
	s_sub_i32 s0, s0, s1
	s_and_saveexec_b64 s[2:3], s[18:19]
	s_xor_b64 s[2:3], exec, s[2:3]
	s_cbranch_execz .LBB360_37
; %bb.9:                                ;   in Loop: Header=BB360_7 Depth=1
	s_and_saveexec_b64 s[48:49], s[34:35]
	s_cbranch_execz .LBB360_36
; %bb.10:                               ;   in Loop: Header=BB360_7 Depth=1
	global_load_dword v101, v65, s[78:79]
	v_mov_b32_e32 v63, 0
	v_cmp_gt_i32_e32 vcc, s4, v100
	v_mov_b32_e32 v62, v63
	v_mov_b32_e32 v61, v63
	;; [unrolled: 1-line block ×63, first 2 shown]
	s_and_saveexec_b64 s[6:7], vcc
	s_cbranch_execz .LBB360_29
; %bb.11:                               ;   in Loop: Header=BB360_7 Depth=1
	v_mov_b32_e32 v0, 0
	s_mov_b64 s[8:9], 0
	v_mov_b32_e32 v1, v0
	v_mov_b32_e32 v2, v0
	;; [unrolled: 1-line block ×63, first 2 shown]
	s_branch .LBB360_13
.LBB360_12:                             ;   in Loop: Header=BB360_13 Depth=2
	s_or_b64 exec, exec, s[10:11]
	v_add_u32_e32 v108, 0x1800, v105
	ds_read2_b32 v[106:107], v108 offset1:32
	v_add_u32_e32 v100, s27, v100
	s_waitcnt lgkmcnt(0)
	v_mfma_f32_32x32x16_fp8_fp8 v[0:15], v[76:77], v[106:107], v[0:15]
	ds_read2_b32 v[76:77], v108 offset0:128 offset1:160
	s_waitcnt lgkmcnt(0)
	v_mfma_f32_32x32x16_fp8_fp8 v[0:15], v[74:75], v[76:77], v[0:15]
	v_add_u32_e32 v76, 0x1c00, v105
	ds_read2_b32 v[74:75], v76 offset1:32
	ds_read2_b32 v[76:77], v76 offset0:128 offset1:160
	ds_write_b32 v103, v104 offset:16412
	s_waitcnt lgkmcnt(2)
	v_mfma_f32_32x32x16_fp8_fp8 v[0:15], v[72:73], v[74:75], v[0:15]
	v_add_u32_e32 v72, s27, v102
	v_add_u32_e32 v73, 2, v79
	v_cmp_lt_i32_e32 vcc, 0, v72
	s_nop 1
	v_cndmask_b32_e32 v79, v79, v73, vcc
	v_cmp_le_i32_e32 vcc, s4, v100
	s_waitcnt lgkmcnt(1)
	v_mfma_f32_32x32x16_fp8_fp8 v[0:15], v[70:71], v[76:77], v[0:15]
	s_or_b64 s[8:9], vcc, s[8:9]
	s_andn2_b64 exec, exec, s[8:9]
	s_cbranch_execz .LBB360_28
.LBB360_13:                             ;   Parent Loop BB360_7 Depth=1
                                        ; =>  This Loop Header: Depth=2
                                        ;       Child Loop BB360_15 Depth 3
                                        ;       Child Loop BB360_18 Depth 3
                                        ;       Child Loop BB360_21 Depth 3
                                        ;       Child Loop BB360_24 Depth 3
                                        ;       Child Loop BB360_27 Depth 3
	v_cmp_lt_i32_e32 vcc, 0, v72
	s_nop 1
	v_subbrev_co_u32_e32 v102, vcc, 0, v72, vcc
	v_lshlrev_b32_e32 v103, 5, v102
	ds_read_b32 v70, v103 offset:16384
	s_waitcnt lgkmcnt(0)
	v_cmp_ne_u32_e32 vcc, v70, v79
	s_and_saveexec_b64 s[10:11], vcc
	s_cbranch_execz .LBB360_16
; %bb.14:                               ;   in Loop: Header=BB360_13 Depth=2
	s_mov_b64 s[12:13], 0
.LBB360_15:                             ;   Parent Loop BB360_7 Depth=1
                                        ;     Parent Loop BB360_13 Depth=2
                                        ; =>    This Inner Loop Header: Depth=3
	;;#ASMSTART
	s_sleep 0
	;;#ASMEND
	ds_read_b32 v70, v103 offset:16384
	s_waitcnt lgkmcnt(0)
	v_cmp_eq_u32_e32 vcc, v70, v79
	s_or_b64 s[12:13], vcc, s[12:13]
	s_andn2_b64 exec, exec, s[12:13]
	s_cbranch_execnz .LBB360_15
.LBB360_16:                             ;   in Loop: Header=BB360_13 Depth=2
	s_or_b64 exec, exec, s[10:11]
	v_lshl_or_b32 v70, v102, 11, v81
	ds_read2_b32 v[76:77], v70 offset1:32
	ds_read2_b32 v[74:75], v70 offset0:128 offset1:160
	v_add_u32_e32 v70, 0x400, v70
	ds_read2_b32 v[72:73], v70 offset1:32
	ds_read_b32 v105, v103 offset:16388
	ds_read2_b32 v[70:71], v70 offset0:128 offset1:160
	v_add_u32_e32 v104, 1, v79
	ds_write_b32 v103, v104 offset:16384
	s_waitcnt lgkmcnt(2)
	v_cmp_ne_u32_e32 vcc, v105, v79
	s_and_saveexec_b64 s[10:11], vcc
	s_cbranch_execz .LBB360_19
; %bb.17:                               ;   in Loop: Header=BB360_13 Depth=2
	s_mov_b64 s[12:13], 0
.LBB360_18:                             ;   Parent Loop BB360_7 Depth=1
                                        ;     Parent Loop BB360_13 Depth=2
                                        ; =>    This Inner Loop Header: Depth=3
	;;#ASMSTART
	s_sleep 0
	;;#ASMEND
	ds_read_b32 v105, v103 offset:16388
	s_waitcnt lgkmcnt(0)
	v_cmp_eq_u32_e32 vcc, v105, v79
	s_or_b64 s[12:13], vcc, s[12:13]
	s_andn2_b64 exec, exec, s[12:13]
	s_cbranch_execnz .LBB360_18
.LBB360_19:                             ;   in Loop: Header=BB360_13 Depth=2
	s_or_b64 exec, exec, s[10:11]
	v_lshlrev_b32_e32 v105, 13, v102
	v_add_u32_e32 v105, v82, v105
	ds_read2_b32 v[106:107], v105 offset1:32
	v_add_u32_e32 v108, 0x400, v105
	ds_write_b32 v103, v104 offset:16388
	s_waitcnt lgkmcnt(1)
	v_mfma_f32_32x32x16_fp8_fp8 v[48:63], v[76:77], v[106:107], v[48:63]
	ds_read2_b32 v[106:107], v105 offset0:128 offset1:160
	s_waitcnt lgkmcnt(0)
	v_mfma_f32_32x32x16_fp8_fp8 v[48:63], v[74:75], v[106:107], v[48:63]
	ds_read2_b32 v[106:107], v108 offset1:32
	s_waitcnt lgkmcnt(0)
	v_mfma_f32_32x32x16_fp8_fp8 v[48:63], v[72:73], v[106:107], v[48:63]
	ds_read2_b32 v[106:107], v108 offset0:128 offset1:160
	ds_read_b32 v108, v103 offset:16396
	s_waitcnt lgkmcnt(0)
	v_cmp_ne_u32_e32 vcc, v108, v79
	v_mfma_f32_32x32x16_fp8_fp8 v[48:63], v[70:71], v[106:107], v[48:63]
	s_and_saveexec_b64 s[10:11], vcc
	s_cbranch_execz .LBB360_22
; %bb.20:                               ;   in Loop: Header=BB360_13 Depth=2
	s_mov_b64 s[12:13], 0
.LBB360_21:                             ;   Parent Loop BB360_7 Depth=1
                                        ;     Parent Loop BB360_13 Depth=2
                                        ; =>    This Inner Loop Header: Depth=3
	;;#ASMSTART
	s_sleep 0
	;;#ASMEND
	ds_read_b32 v106, v103 offset:16396
	s_waitcnt lgkmcnt(0)
	v_cmp_eq_u32_e32 vcc, v106, v79
	s_or_b64 s[12:13], vcc, s[12:13]
	s_andn2_b64 exec, exec, s[12:13]
	s_cbranch_execnz .LBB360_21
.LBB360_22:                             ;   in Loop: Header=BB360_13 Depth=2
	s_or_b64 exec, exec, s[10:11]
	v_add_u32_e32 v108, 0x800, v105
	ds_read2_b32 v[106:107], v108 offset1:32
	s_waitcnt lgkmcnt(0)
	v_mfma_f32_32x32x16_fp8_fp8 v[32:47], v[76:77], v[106:107], v[32:47]
	ds_read2_b32 v[106:107], v108 offset0:128 offset1:160
	v_add_u32_e32 v108, 0xc00, v105
	s_waitcnt lgkmcnt(0)
	v_mfma_f32_32x32x16_fp8_fp8 v[32:47], v[74:75], v[106:107], v[32:47]
	ds_read2_b32 v[106:107], v108 offset1:32
	s_waitcnt lgkmcnt(0)
	v_mfma_f32_32x32x16_fp8_fp8 v[32:47], v[72:73], v[106:107], v[32:47]
	ds_read_b32 v109, v103 offset:16404
	ds_read2_b32 v[106:107], v108 offset0:128 offset1:160
	ds_write_b32 v103, v104 offset:16396
	s_waitcnt lgkmcnt(2)
	v_cmp_ne_u32_e32 vcc, v109, v79
	s_waitcnt lgkmcnt(1)
	v_mfma_f32_32x32x16_fp8_fp8 v[32:47], v[70:71], v[106:107], v[32:47]
	s_and_saveexec_b64 s[10:11], vcc
	s_cbranch_execz .LBB360_25
; %bb.23:                               ;   in Loop: Header=BB360_13 Depth=2
	s_mov_b64 s[12:13], 0
.LBB360_24:                             ;   Parent Loop BB360_7 Depth=1
                                        ;     Parent Loop BB360_13 Depth=2
                                        ; =>    This Inner Loop Header: Depth=3
	;;#ASMSTART
	s_sleep 0
	;;#ASMEND
	ds_read_b32 v106, v103 offset:16404
	s_waitcnt lgkmcnt(0)
	v_cmp_eq_u32_e32 vcc, v106, v79
	s_or_b64 s[12:13], vcc, s[12:13]
	s_andn2_b64 exec, exec, s[12:13]
	s_cbranch_execnz .LBB360_24
.LBB360_25:                             ;   in Loop: Header=BB360_13 Depth=2
	s_or_b64 exec, exec, s[10:11]
	v_add_u32_e32 v108, 0x1000, v105
	ds_read2_b32 v[106:107], v108 offset1:32
	s_waitcnt lgkmcnt(0)
	v_mfma_f32_32x32x16_fp8_fp8 v[16:31], v[76:77], v[106:107], v[16:31]
	ds_read2_b32 v[106:107], v108 offset0:128 offset1:160
	v_add_u32_e32 v108, 0x1400, v105
	s_waitcnt lgkmcnt(0)
	v_mfma_f32_32x32x16_fp8_fp8 v[16:31], v[74:75], v[106:107], v[16:31]
	ds_read2_b32 v[106:107], v108 offset1:32
	s_waitcnt lgkmcnt(0)
	v_mfma_f32_32x32x16_fp8_fp8 v[16:31], v[72:73], v[106:107], v[16:31]
	ds_read_b32 v109, v103 offset:16412
	ds_read2_b32 v[106:107], v108 offset0:128 offset1:160
	ds_write_b32 v103, v104 offset:16404
	s_waitcnt lgkmcnt(2)
	v_cmp_ne_u32_e32 vcc, v109, v79
	s_waitcnt lgkmcnt(1)
	v_mfma_f32_32x32x16_fp8_fp8 v[16:31], v[70:71], v[106:107], v[16:31]
	s_and_saveexec_b64 s[10:11], vcc
	s_cbranch_execz .LBB360_12
; %bb.26:                               ;   in Loop: Header=BB360_13 Depth=2
	s_mov_b64 s[12:13], 0
.LBB360_27:                             ;   Parent Loop BB360_7 Depth=1
                                        ;     Parent Loop BB360_13 Depth=2
                                        ; =>    This Inner Loop Header: Depth=3
	;;#ASMSTART
	s_sleep 0
	;;#ASMEND
	ds_read_b32 v106, v103 offset:16412
	s_waitcnt lgkmcnt(0)
	v_cmp_eq_u32_e32 vcc, v106, v79
	s_or_b64 s[12:13], vcc, s[12:13]
	s_andn2_b64 exec, exec, s[12:13]
	s_cbranch_execnz .LBB360_27
	s_branch .LBB360_12
.LBB360_28:                             ;   in Loop: Header=BB360_7 Depth=1
	s_or_b64 exec, exec, s[8:9]
.LBB360_29:                             ;   in Loop: Header=BB360_7 Depth=1
	v_writelane_b32 v127, s48, 23
	s_nop 1
	v_writelane_b32 v127, s49, 24
	v_writelane_b32 v127, s46, 25
	s_nop 1
	v_writelane_b32 v127, s47, 26
	v_writelane_b32 v127, s44, 27
	s_or_b64 exec, exec, s[6:7]
	v_cmp_le_i32_e32 vcc, s5, v80
	v_cmp_eq_u32_e64 s[64:65], 1, v83
	v_cmp_eq_u32_e64 s[30:31], 2, v83
	s_waitcnt vmcnt(0)
	v_cndmask_b32_e32 v70, 0, v101, vcc
	v_pk_mul_f32 v[48:49], v[70:71], v[48:49] op_sel_hi:[0,1]
	v_pk_mul_f32 v[62:63], v[70:71], v[62:63] op_sel_hi:[0,1]
	;; [unrolled: 1-line block ×8, first 2 shown]
	v_cndmask_b32_e64 v70, v48, v49, s[64:65]
	v_cndmask_b32_e64 v70, v70, v50, s[30:31]
	v_cmp_eq_u32_e64 s[40:41], 3, v83
	v_cmp_eq_u32_e64 s[42:43], 4, v83
	v_cmp_eq_u32_e64 s[44:45], 5, v83
	v_cndmask_b32_e64 v70, v70, v51, s[40:41]
	v_cndmask_b32_e64 v70, v70, v52, s[42:43]
	v_cndmask_b32_e64 v70, v70, v53, s[44:45]
	v_cmp_eq_u32_e64 s[46:47], 6, v83
	v_cmp_eq_u32_e64 s[48:49], 7, v83
	v_cmp_eq_u32_e64 s[50:51], 8, v83
	v_cndmask_b32_e64 v70, v70, v54, s[46:47]
	;; [unrolled: 6-line block ×4, first 2 shown]
	v_cndmask_b32_e64 v70, v70, v61, s[60:61]
	v_cndmask_b32_e64 v70, v70, v62, s[62:63]
	v_cmp_eq_u32_e64 s[66:67], 15, v83
	s_mul_i32 s6, s99, s21
	s_ashr_i32 s7, s6, 31
	v_cndmask_b32_e64 v70, v70, v63, s[66:67]
	ds_bpermute_b32 v70, v99, v70
	s_lshl_b64 s[6:7], s[6:7], 1
	v_cmp_eq_u32_e64 s[36:37], 0, v83
	s_add_u32 s70, s76, s6
	v_cmp_eq_u32_e32 vcc, 1, v84
	s_waitcnt lgkmcnt(0)
	v_cndmask_b32_e64 v63, v63, v70, s[66:67]
	v_cndmask_b32_e64 v62, v62, v70, s[62:63]
	v_cndmask_b32_e64 v61, v61, v70, s[60:61]
	v_cndmask_b32_e64 v60, v60, v70, s[58:59]
	v_cndmask_b32_e64 v59, v59, v70, s[56:57]
	v_cndmask_b32_e64 v58, v58, v70, s[54:55]
	v_cndmask_b32_e64 v57, v57, v70, s[52:53]
	v_cndmask_b32_e64 v56, v56, v70, s[50:51]
	v_cndmask_b32_e64 v73, v55, v70, s[48:49]
	v_cndmask_b32_e64 v74, v54, v70, s[46:47]
	v_cndmask_b32_e64 v75, v53, v70, s[44:45]
	v_cndmask_b32_e64 v76, v52, v70, s[42:43]
	v_cndmask_b32_e64 v77, v51, v70, s[40:41]
	v_cndmask_b32_e64 v102, v50, v70, s[30:31]
	v_cndmask_b32_e64 v103, v49, v70, s[64:65]
	v_cndmask_b32_e64 v70, v48, v70, s[36:37]
	s_addc_u32 s71, s77, s7
	v_cndmask_b32_e32 v48, v70, v103, vcc
	v_cmp_eq_u32_e64 s[6:7], 2, v84
	v_cmp_eq_u32_e64 s[8:9], 3, v84
	v_cmp_eq_u32_e64 s[10:11], 4, v84
	v_cndmask_b32_e64 v48, v48, v102, s[6:7]
	v_cndmask_b32_e64 v48, v48, v77, s[8:9]
	v_cndmask_b32_e64 v48, v48, v76, s[10:11]
	v_cmp_eq_u32_e64 s[12:13], 5, v84
	v_cmp_eq_u32_e64 s[14:15], 6, v84
	v_cmp_eq_u32_e64 s[16:17], 7, v84
	v_cndmask_b32_e64 v48, v48, v75, s[12:13]
	v_cndmask_b32_e64 v48, v48, v74, s[14:15]
	v_cndmask_b32_e64 v48, v48, v73, s[16:17]
	;; [unrolled: 6-line block ×4, first 2 shown]
	v_cmp_eq_u32_e64 s[34:35], 14, v84
	v_cmp_eq_u32_e64 s[38:39], 15, v84
	s_ashr_i32 s1, s0, 31
	v_cndmask_b32_e64 v48, v48, v62, s[34:35]
	v_cndmask_b32_e64 v48, v48, v63, s[38:39]
	ds_bpermute_b32 v71, v99, v48
	s_lshl_b64 s[68:69], s[0:1], 1
	s_add_u32 s68, s70, s68
	s_addc_u32 s69, s71, s69
	v_writelane_b32 v127, s68, 28
	v_or_b32_e32 v48, 32, v80
	s_waitcnt lgkmcnt(0)
	v_cndmask_b32_e64 v55, v57, v71, s[76:77]
	v_writelane_b32 v127, s69, 29
	v_cndmask_b32_e64 v57, v73, v71, s[16:17]
	v_cmp_le_i32_e64 s[68:69], s5, v48
	v_or_b32_e32 v73, 64, v80
	v_cndmask_b32_e64 v49, v63, v71, s[38:39]
	v_cndmask_b32_e64 v48, 0, v101, s[68:69]
	v_cmp_le_i32_e64 s[68:69], s5, v73
	v_or_b32_e32 v73, 0x60, v80
	v_cndmask_b32_e64 v54, v58, v71, s[78:79]
	v_cndmask_b32_e64 v58, v74, v71, s[14:15]
	;; [unrolled: 1-line block ×3, first 2 shown]
	v_cmp_le_i32_e64 s[70:71], s5, v73
	v_cmp_eq_u32_e64 s[68:69], 0, v84
	v_pk_mul_f32 v[32:33], v[48:49], v[32:33] op_sel_hi:[0,1]
	v_pk_mul_f32 v[30:31], v[74:75], v[30:31] op_sel_hi:[0,1]
	;; [unrolled: 1-line block ×9, first 2 shown]
	v_cndmask_b32_e64 v74, 0, v101, s[70:71]
	v_cndmask_b32_e64 v50, v62, v71, s[34:35]
	;; [unrolled: 1-line block ×10, first 2 shown]
	v_cndmask_b32_e32 v63, v103, v71, vcc
	v_cndmask_b32_e64 v70, v70, v71, s[68:69]
	v_pk_mul_f32 v[46:47], v[48:49], v[46:47] op_sel_hi:[0,1]
	v_pk_mul_f32 v[44:45], v[48:49], v[44:45] op_sel_hi:[0,1]
	;; [unrolled: 1-line block ×7, first 2 shown]
	v_cndmask_b32_e64 v48, v32, v33, s[64:65]
	v_cndmask_b32_e64 v71, v16, v17, s[64:65]
	v_pk_mul_f32 v[0:1], v[74:75], v[0:1] op_sel_hi:[0,1]
	v_cndmask_b32_e64 v48, v48, v34, s[30:31]
	v_cndmask_b32_e64 v71, v71, v18, s[30:31]
	v_pk_mul_f32 v[14:15], v[74:75], v[14:15] op_sel_hi:[0,1]
	v_pk_mul_f32 v[12:13], v[74:75], v[12:13] op_sel_hi:[0,1]
	;; [unrolled: 1-line block ×7, first 2 shown]
	v_cndmask_b32_e64 v74, v0, v1, s[64:65]
	v_cndmask_b32_e64 v48, v48, v35, s[40:41]
	;; [unrolled: 1-line block ×40, first 2 shown]
	ds_bpermute_b32 v48, v99, v48
	ds_bpermute_b32 v71, v99, v71
	v_cndmask_b32_e64 v74, v74, v15, s[66:67]
	ds_bpermute_b32 v74, v99, v74
	v_cmp_eq_u32_e64 s[70:71], 1, v85
	s_waitcnt lgkmcnt(2)
	v_cndmask_b32_e64 v33, v33, v48, s[64:65]
	s_waitcnt lgkmcnt(1)
	v_cndmask_b32_e64 v17, v17, v71, s[64:65]
	v_cndmask_b32_e64 v73, v70, v63, s[70:71]
	v_cmp_eq_u32_e64 s[64:65], 2, v85
	v_cndmask_b32_e64 v47, v47, v48, s[66:67]
	v_cndmask_b32_e64 v31, v31, v71, s[66:67]
	;; [unrolled: 1-line block ×3, first 2 shown]
	s_waitcnt lgkmcnt(0)
	v_cndmask_b32_e64 v15, v15, v74, s[66:67]
	v_cmp_eq_u32_e64 s[66:67], 3, v85
	v_cndmask_b32_e64 v46, v46, v48, s[62:63]
	v_cndmask_b32_e64 v30, v30, v71, s[62:63]
	v_cndmask_b32_e64 v73, v73, v61, s[66:67]
	v_cndmask_b32_e64 v14, v14, v74, s[62:63]
	v_cmp_eq_u32_e64 s[62:63], 4, v85
	v_cndmask_b32_e64 v45, v45, v48, s[60:61]
	v_cndmask_b32_e64 v29, v29, v71, s[60:61]
	v_cndmask_b32_e64 v73, v73, v60, s[62:63]
	;; [unrolled: 5-line block ×4, first 2 shown]
	v_cndmask_b32_e64 v11, v11, v74, s[56:57]
	v_cmp_eq_u32_e64 s[56:57], 7, v85
	v_cmp_eq_u32_e64 s[72:73], 8, v85
	v_cndmask_b32_e64 v41, v41, v48, s[52:53]
	v_cndmask_b32_e64 v73, v73, v57, s[56:57]
	;; [unrolled: 1-line block ×5, first 2 shown]
	v_cmp_eq_u32_e64 s[52:53], 9, v85
	v_cmp_eq_u32_e64 s[74:75], 10, v85
	v_cndmask_b32_e64 v42, v42, v48, s[54:55]
	v_cndmask_b32_e64 v73, v73, v55, s[52:53]
	v_cndmask_b32_e64 v26, v26, v71, s[54:55]
	v_cndmask_b32_e64 v10, v10, v74, s[54:55]
	v_cndmask_b32_e64 v73, v73, v54, s[74:75]
	v_cmp_eq_u32_e64 s[54:55], 11, v85
	v_cndmask_b32_e64 v39, v39, v48, s[48:49]
	v_cndmask_b32_e64 v23, v23, v71, s[48:49]
	v_cndmask_b32_e64 v7, v7, v74, s[48:49]
	v_cndmask_b32_e64 v73, v73, v53, s[54:55]
	v_cmp_eq_u32_e64 s[48:49], 12, v85
	v_cndmask_b32_e64 v37, v37, v48, s[44:45]
	v_cndmask_b32_e64 v21, v21, v71, s[44:45]
	v_cndmask_b32_e64 v73, v73, v52, s[48:49]
	v_cndmask_b32_e64 v5, v5, v74, s[44:45]
	;; [unrolled: 5-line block ×4, first 2 shown]
	v_cmp_eq_u32_e64 s[42:43], 15, v85
	v_cndmask_b32_e64 v34, v34, v48, s[30:31]
	v_cndmask_b32_e64 v18, v18, v71, s[30:31]
	;; [unrolled: 1-line block ×3, first 2 shown]
	ds_bpermute_b32 v73, v99, v73
	v_cndmask_b32_e64 v2, v2, v74, s[30:31]
	v_cmp_ne_u32_e64 s[30:31], 0, v83
	v_cndmask_b32_e64 v32, v32, v48, s[36:37]
	v_cndmask_b32_e64 v40, v40, v48, s[50:51]
	;; [unrolled: 1-line block ×6, first 2 shown]
	v_cmp_eq_u32_e64 s[50:51], 0, v85
	v_cndmask_b32_e32 v48, v32, v33, vcc
	v_cndmask_b32_e64 v0, v0, v74, s[36:37]
	s_waitcnt lgkmcnt(0)
	v_cndmask_b32_e64 v49, v49, v73, s[42:43]
	v_cndmask_b32_e64 v50, v50, v73, s[46:47]
	;; [unrolled: 1-line block ×17, first 2 shown]
	v_cndmask_b32_e32 v73, v0, v1, vcc
	v_cndmask_b32_e64 v3, v3, v74, s[40:41]
	v_cndmask_b32_e64 v48, v48, v35, s[8:9]
	;; [unrolled: 1-line block ×22, first 2 shown]
	v_cndmask_b32_e32 v71, v16, v17, vcc
	v_cndmask_b32_e64 v73, v73, v11, s[80:81]
	v_cndmask_b32_e64 v48, v48, v45, s[28:29]
	;; [unrolled: 1-line block ×10, first 2 shown]
	ds_bpermute_b32 v48, v99, v48
	v_cndmask_b32_e64 v71, v71, v21, s[12:13]
	v_cndmask_b32_e64 v73, v73, v15, s[38:39]
	;; [unrolled: 1-line block ×3, first 2 shown]
	ds_bpermute_b32 v73, v99, v73
	v_cndmask_b32_e64 v71, v71, v23, s[16:17]
	v_cndmask_b32_e64 v71, v71, v24, s[18:19]
	;; [unrolled: 1-line block ×4, first 2 shown]
	s_waitcnt lgkmcnt(1)
	v_cndmask_b32_e32 v33, v33, v48, vcc
	v_cndmask_b32_e64 v32, v32, v48, s[68:69]
	v_cndmask_b32_e64 v71, v71, v27, s[80:81]
	;; [unrolled: 1-line block ×16, first 2 shown]
	s_waitcnt lgkmcnt(0)
	v_cndmask_b32_e32 v1, v1, v73, vcc
	v_cndmask_b32_e64 v48, v32, v33, s[70:71]
	v_cndmask_b32_e64 v0, v0, v73, s[68:69]
	;; [unrolled: 1-line block ×28, first 2 shown]
	ds_bpermute_b32 v71, v99, v71
	v_cndmask_b32_e64 v48, v48, v38, s[58:59]
	v_cndmask_b32_e64 v73, v73, v5, s[60:61]
	;; [unrolled: 1-line block ×8, first 2 shown]
	v_cmp_eq_u32_e64 s[30:31], 1, v86
	v_cndmask_b32_e64 v48, v48, v42, s[74:75]
	v_cndmask_b32_e64 v73, v73, v9, s[52:53]
	;; [unrolled: 1-line block ×3, first 2 shown]
	v_cmp_eq_u32_e64 s[36:37], 2, v86
	s_waitcnt lgkmcnt(0)
	v_cndmask_b32_e32 v17, v17, v71, vcc
	v_cndmask_b32_e64 v48, v48, v43, s[54:55]
	v_cndmask_b32_e64 v16, v16, v71, s[68:69]
	;; [unrolled: 1-line block ×6, first 2 shown]
	v_cmp_eq_u32_e64 s[34:35], 3, v86
	v_cndmask_b32_e64 v29, v29, v71, s[28:29]
	v_cndmask_b32_e64 v28, v28, v71, s[82:83]
	;; [unrolled: 1-line block ×16, first 2 shown]
	v_cmp_eq_u32_e64 s[40:41], 4, v86
	v_cndmask_b32_e64 v48, v48, v45, s[44:45]
	v_cndmask_b32_e64 v71, v71, v18, s[64:65]
	v_cndmask_b32_e64 v73, v73, v12, s[48:49]
	v_cndmask_b32_e64 v74, v74, v60, s[40:41]
	v_cmp_eq_u32_e64 s[84:85], 5, v86
	v_cndmask_b32_e64 v48, v48, v46, s[46:47]
	v_cndmask_b32_e64 v71, v71, v19, s[66:67]
	v_cndmask_b32_e64 v73, v73, v13, s[44:45]
	v_cndmask_b32_e64 v74, v74, v59, s[84:85]
	;; [unrolled: 5-line block ×3, first 2 shown]
	v_cmp_eq_u32_e64 s[78:79], 7, v86
	ds_bpermute_b32 v48, v99, v48
	v_cndmask_b32_e64 v71, v71, v21, s[60:61]
	v_cndmask_b32_e64 v73, v73, v15, s[42:43]
	;; [unrolled: 1-line block ×3, first 2 shown]
	v_cmp_eq_u32_e64 s[92:93], 8, v86
	v_cndmask_b32_e64 v71, v71, v22, s[58:59]
	ds_bpermute_b32 v73, v99, v73
	v_cndmask_b32_e64 v74, v74, v56, s[92:93]
	v_cmp_eq_u32_e64 s[18:19], 9, v86
	v_cndmask_b32_e64 v71, v71, v23, s[56:57]
	v_cmp_eq_u32_e64 s[16:17], 10, v86
	v_cndmask_b32_e64 v74, v74, v55, s[18:19]
	v_cndmask_b32_e64 v71, v71, v24, s[72:73]
	;; [unrolled: 1-line block ×3, first 2 shown]
	v_cmp_eq_u32_e64 s[14:15], 11, v86
	v_cndmask_b32_e64 v71, v71, v25, s[52:53]
	v_cmp_eq_u32_e64 s[12:13], 12, v86
	v_cndmask_b32_e64 v74, v74, v53, s[14:15]
	v_cndmask_b32_e64 v71, v71, v26, s[74:75]
	s_waitcnt lgkmcnt(1)
	v_cndmask_b32_e64 v33, v33, v48, s[70:71]
	v_cndmask_b32_e64 v32, v32, v48, s[50:51]
	;; [unrolled: 1-line block ×3, first 2 shown]
	v_cmp_eq_u32_e64 s[38:39], 13, v86
	v_cndmask_b32_e64 v71, v71, v27, s[54:55]
	v_cndmask_b32_e64 v47, v47, v48, s[42:43]
	;; [unrolled: 1-line block ×15, first 2 shown]
	s_waitcnt lgkmcnt(0)
	v_cndmask_b32_e64 v1, v1, v73, s[70:71]
	v_cndmask_b32_e64 v48, v32, v33, s[30:31]
	;; [unrolled: 1-line block ×4, first 2 shown]
	v_cmp_eq_u32_e64 s[8:9], 14, v86
	v_cndmask_b32_e64 v71, v71, v28, s[48:49]
	v_cndmask_b32_e64 v15, v15, v73, s[42:43]
	v_cndmask_b32_e64 v14, v14, v73, s[46:47]
	v_cndmask_b32_e64 v13, v13, v73, s[44:45]
	v_cndmask_b32_e64 v12, v12, v73, s[48:49]
	v_cndmask_b32_e64 v11, v11, v73, s[54:55]
	v_cndmask_b32_e64 v10, v10, v73, s[74:75]
	v_cndmask_b32_e64 v9, v9, v73, s[52:53]
	v_cndmask_b32_e64 v8, v8, v73, s[72:73]
	v_cndmask_b32_e64 v7, v7, v73, s[56:57]
	v_cndmask_b32_e64 v6, v6, v73, s[58:59]
	v_cndmask_b32_e64 v5, v5, v73, s[60:61]
	v_cndmask_b32_e64 v4, v4, v73, s[62:63]
	v_cndmask_b32_e64 v3, v3, v73, s[66:67]
	v_cndmask_b32_e64 v2, v2, v73, s[64:65]
	v_cndmask_b32_e64 v48, v48, v34, s[36:37]
	v_cndmask_b32_e64 v73, v0, v1, s[30:31]
	v_cndmask_b32_e64 v74, v74, v50, s[8:9]
	v_cmp_eq_u32_e64 s[6:7], 15, v86
	v_cndmask_b32_e64 v71, v71, v29, s[44:45]
	v_cndmask_b32_e64 v48, v48, v35, s[34:35]
	;; [unrolled: 1-line block ×7, first 2 shown]
	ds_bpermute_b32 v74, v99, v74
	v_cndmask_b32_e64 v71, v71, v31, s[42:43]
	v_cndmask_b32_e64 v48, v48, v37, s[84:85]
	;; [unrolled: 1-line block ×3, first 2 shown]
	ds_bpermute_b32 v71, v99, v71
	v_cndmask_b32_e64 v48, v48, v38, s[88:89]
	v_cndmask_b32_e64 v73, v73, v5, s[84:85]
	;; [unrolled: 1-line block ×6, first 2 shown]
	v_cmp_eq_u32_e64 s[10:11], 0, v86
	v_cndmask_b32_e64 v48, v48, v41, s[18:19]
	v_cndmask_b32_e64 v73, v73, v8, s[92:93]
	s_waitcnt lgkmcnt(1)
	v_cndmask_b32_e64 v63, v63, v74, s[30:31]
	v_cndmask_b32_e64 v70, v70, v74, s[10:11]
	v_cmp_eq_u32_e64 s[28:29], 1, v87
	v_cndmask_b32_e64 v48, v48, v42, s[16:17]
	v_cndmask_b32_e64 v73, v73, v9, s[18:19]
	;; [unrolled: 1-line block ×17, first 2 shown]
	s_waitcnt lgkmcnt(0)
	v_cndmask_b32_e64 v31, v31, v71, s[42:43]
	v_cmp_eq_u32_e64 s[42:43], 2, v87
	v_cndmask_b32_e64 v17, v17, v71, s[70:71]
	v_cndmask_b32_e64 v48, v48, v43, s[14:15]
	;; [unrolled: 1-line block ×6, first 2 shown]
	v_cmp_eq_u32_e64 s[46:47], 3, v87
	v_cndmask_b32_e64 v29, v29, v71, s[44:45]
	v_cndmask_b32_e64 v28, v28, v71, s[48:49]
	;; [unrolled: 1-line block ×16, first 2 shown]
	v_cmp_eq_u32_e64 s[44:45], 4, v87
	v_cndmask_b32_e64 v48, v48, v45, s[38:39]
	v_cndmask_b32_e64 v71, v71, v18, s[36:37]
	v_cndmask_b32_e64 v73, v73, v12, s[12:13]
	v_cndmask_b32_e64 v74, v74, v60, s[44:45]
	v_cmp_eq_u32_e64 s[48:49], 5, v87
	v_cndmask_b32_e64 v48, v48, v46, s[8:9]
	v_cndmask_b32_e64 v71, v71, v19, s[34:35]
	v_cndmask_b32_e64 v73, v73, v13, s[38:39]
	v_cndmask_b32_e64 v74, v74, v59, s[48:49]
	;; [unrolled: 5-line block ×3, first 2 shown]
	v_cmp_eq_u32_e64 s[68:69], 7, v87
	ds_bpermute_b32 v48, v99, v48
	v_cndmask_b32_e64 v71, v71, v21, s[84:85]
	v_cndmask_b32_e64 v73, v73, v15, s[6:7]
	;; [unrolled: 1-line block ×3, first 2 shown]
	v_cmp_eq_u32_e64 s[74:75], 8, v87
	v_cndmask_b32_e64 v71, v71, v22, s[88:89]
	ds_bpermute_b32 v73, v99, v73
	v_cndmask_b32_e64 v74, v74, v56, s[74:75]
	v_cmp_eq_u32_e64 s[72:73], 9, v87
	v_cndmask_b32_e64 v71, v71, v23, s[78:79]
	v_cmp_eq_u32_e64 s[76:77], 10, v87
	v_cndmask_b32_e64 v74, v74, v55, s[72:73]
	v_cndmask_b32_e64 v71, v71, v24, s[92:93]
	v_cndmask_b32_e64 v74, v74, v54, s[76:77]
	v_cmp_eq_u32_e64 s[80:81], 11, v87
	v_cndmask_b32_e64 v71, v71, v25, s[18:19]
	v_cmp_eq_u32_e64 s[60:61], 12, v87
	v_cndmask_b32_e64 v74, v74, v53, s[80:81]
	v_cndmask_b32_e64 v71, v71, v26, s[16:17]
	s_waitcnt lgkmcnt(1)
	v_cndmask_b32_e64 v33, v33, v48, s[30:31]
	v_cndmask_b32_e64 v32, v32, v48, s[10:11]
	v_cndmask_b32_e64 v74, v74, v52, s[60:61]
	v_cmp_eq_u32_e64 s[82:83], 13, v87
	v_cndmask_b32_e64 v71, v71, v27, s[14:15]
	v_cndmask_b32_e64 v34, v34, v48, s[36:37]
	s_waitcnt lgkmcnt(0)
	v_cndmask_b32_e64 v102, v1, v73, s[30:31]
	v_cndmask_b32_e64 v1, v32, v33, s[28:29]
	;; [unrolled: 1-line block ×3, first 2 shown]
	v_cmp_eq_u32_e64 s[86:87], 14, v87
	v_cndmask_b32_e64 v71, v71, v28, s[12:13]
	v_cndmask_b32_e64 v35, v35, v48, s[34:35]
	;; [unrolled: 1-line block ×4, first 2 shown]
	v_cmp_eq_u32_e64 s[90:91], 15, v87
	v_cndmask_b32_e64 v71, v71, v29, s[38:39]
	v_cndmask_b32_e64 v36, v36, v48, s[40:41]
	;; [unrolled: 1-line block ×7, first 2 shown]
	ds_bpermute_b32 v74, v99, v74
	v_cndmask_b32_e64 v71, v71, v31, s[6:7]
	v_cndmask_b32_e64 v38, v38, v48, s[88:89]
	;; [unrolled: 1-line block ×3, first 2 shown]
	ds_bpermute_b32 v71, v99, v71
	v_cndmask_b32_e64 v39, v39, v48, s[78:79]
	v_cndmask_b32_e64 v1, v1, v38, s[54:55]
	;; [unrolled: 1-line block ×6, first 2 shown]
	v_cmp_eq_u32_e64 s[52:53], 0, v87
	v_cndmask_b32_e64 v42, v42, v48, s[16:17]
	v_cndmask_b32_e64 v1, v1, v41, s[72:73]
	s_waitcnt lgkmcnt(1)
	v_cndmask_b32_e64 v63, v63, v74, s[28:29]
	v_cndmask_b32_e64 v70, v70, v74, s[52:53]
	v_cmp_eq_u32_e32 vcc, 1, v88
	v_cndmask_b32_e64 v43, v43, v48, s[14:15]
	v_cndmask_b32_e64 v1, v1, v42, s[76:77]
	v_cndmask_b32_e64 v49, v49, v74, s[90:91]
	v_cndmask_b32_e64 v50, v50, v74, s[86:87]
	v_cndmask_b32_e64 v51, v51, v74, s[82:83]
	v_cndmask_b32_e64 v52, v52, v74, s[60:61]
	v_cndmask_b32_e64 v53, v53, v74, s[80:81]
	v_cndmask_b32_e64 v54, v54, v74, s[76:77]
	v_cndmask_b32_e64 v55, v55, v74, s[72:73]
	v_cndmask_b32_e64 v56, v56, v74, s[74:75]
	v_cndmask_b32_e64 v57, v57, v74, s[68:69]
	v_cndmask_b32_e64 v58, v58, v74, s[54:55]
	v_cndmask_b32_e64 v59, v59, v74, s[48:49]
	v_cndmask_b32_e64 v60, v60, v74, s[44:45]
	v_cndmask_b32_e64 v61, v61, v74, s[46:47]
	v_cndmask_b32_e64 v62, v62, v74, s[42:43]
	v_cndmask_b32_e32 v74, v70, v63, vcc
	v_cndmask_b32_e64 v47, v47, v48, s[6:7]
	s_waitcnt lgkmcnt(0)
	v_cndmask_b32_e64 v31, v31, v71, s[6:7]
	v_cndmask_b32_e64 v15, v15, v73, s[6:7]
	v_cmp_eq_u32_e64 s[6:7], 2, v88
	v_cndmask_b32_e64 v44, v44, v48, s[12:13]
	v_cndmask_b32_e64 v1, v1, v43, s[80:81]
	;; [unrolled: 1-line block ×6, first 2 shown]
	v_cmp_eq_u32_e64 s[8:9], 3, v88
	v_cndmask_b32_e64 v45, v45, v48, s[38:39]
	v_cndmask_b32_e64 v1, v1, v44, s[60:61]
	v_cndmask_b32_e64 v74, v74, v61, s[8:9]
	v_cndmask_b32_e64 v29, v29, v71, s[38:39]
	v_cndmask_b32_e64 v13, v13, v73, s[38:39]
	v_cmp_eq_u32_e64 s[38:39], 4, v88
	v_cndmask_b32_e64 v1, v1, v45, s[82:83]
	v_cmp_eq_u32_e64 s[50:51], 5, v88
	v_cndmask_b32_e64 v74, v74, v60, s[38:39]
	v_cndmask_b32_e64 v1, v1, v46, s[86:87]
	;; [unrolled: 1-line block ×5, first 2 shown]
	v_cmp_eq_u32_e64 s[56:57], 6, v88
	v_cndmask_b32_e64 v10, v10, v73, s[16:17]
	v_cndmask_b32_e64 v9, v9, v73, s[18:19]
	;; [unrolled: 1-line block ×14, first 2 shown]
	v_cmp_eq_u32_e64 s[58:59], 7, v88
	v_cndmask_b32_e64 v18, v18, v71, s[36:37]
	ds_bpermute_b32 v48, v99, v1
	v_cndmask_b32_e64 v1, v16, v101, s[28:29]
	v_cndmask_b32_e64 v0, v73, v102, s[28:29]
	;; [unrolled: 1-line block ×3, first 2 shown]
	v_cmp_eq_u32_e64 s[64:65], 8, v88
	v_cndmask_b32_e64 v19, v19, v71, s[34:35]
	v_cndmask_b32_e64 v1, v1, v18, s[42:43]
	v_cndmask_b32_e64 v0, v0, v2, s[42:43]
	v_cndmask_b32_e64 v74, v74, v56, s[64:65]
	v_cmp_eq_u32_e64 s[70:71], 9, v88
	v_cndmask_b32_e64 v20, v20, v71, s[40:41]
	v_cndmask_b32_e64 v1, v1, v19, s[46:47]
	v_cndmask_b32_e64 v0, v0, v3, s[46:47]
	v_cndmask_b32_e64 v74, v74, v55, s[70:71]
	v_cndmask_b32_e64 v23, v23, v71, s[78:79]
	v_cmp_eq_u32_e64 s[78:79], 10, v88
	v_cndmask_b32_e64 v21, v21, v71, s[84:85]
	;; [unrolled: 6-line block ×3, first 2 shown]
	v_cndmask_b32_e64 v0, v0, v5, s[48:49]
	v_cndmask_b32_e64 v74, v74, v53, s[66:67]
	v_cmp_eq_u32_e64 s[62:63], 12, v88
	v_cndmask_b32_e64 v1, v1, v22, s[54:55]
	v_cndmask_b32_e64 v0, v0, v6, s[54:55]
	v_cndmask_b32_e64 v24, v24, v71, s[92:93]
	v_cndmask_b32_e64 v74, v74, v52, s[62:63]
	v_cmp_eq_u32_e64 s[84:85], 13, v88
	v_cndmask_b32_e64 v1, v1, v23, s[68:69]
	v_cndmask_b32_e64 v0, v0, v7, s[68:69]
	;; [unrolled: 5-line block ×4, first 2 shown]
	v_cndmask_b32_e64 v27, v27, v71, s[14:15]
	v_cndmask_b32_e64 v74, v74, v49, s[92:93]
	v_cndmask_b32_e64 v1, v1, v26, s[76:77]
	v_cndmask_b32_e64 v0, v0, v10, s[76:77]
	v_cndmask_b32_e64 v28, v28, v71, s[12:13]
	ds_bpermute_b32 v74, v99, v74
	v_cndmask_b32_e64 v1, v1, v27, s[80:81]
	v_cndmask_b32_e64 v0, v0, v11, s[80:81]
	;; [unrolled: 1-line block ×8, first 2 shown]
	v_cmp_eq_u32_e64 s[94:95], 0, v88
	v_cndmask_b32_e64 v1, v1, v31, s[90:91]
	v_cndmask_b32_e64 v0, v0, v15, s[90:91]
	s_waitcnt lgkmcnt(0)
	v_cndmask_b32_e64 v49, v49, v74, s[92:93]
	v_cndmask_b32_e64 v50, v50, v74, s[88:89]
	;; [unrolled: 1-line block ×14, first 2 shown]
	v_cndmask_b32_e32 v63, v63, v74, vcc
	v_cndmask_b32_e64 v70, v70, v74, s[94:95]
	ds_bpermute_b32 v71, v99, v1
	ds_bpermute_b32 v74, v99, v0
	v_cndmask_b32_e64 v57, v35, v48, s[46:47]
	v_cndmask_b32_e64 v93, v36, v48, s[44:45]
	;; [unrolled: 1-line block ×3, first 2 shown]
	s_waitcnt lgkmcnt(1)
	v_cndmask_b32_e64 v107, v29, v71, s[82:83]
	s_waitcnt lgkmcnt(0)
	v_cndmask_b32_e64 v110, v12, v74, s[60:61]
	v_cndmask_b32_e64 v12, v33, v48, s[28:29]
	;; [unrolled: 1-line block ×7, first 2 shown]
	v_cndmask_b32_e32 v19, v29, v12, vcc
	v_cndmask_b32_e64 v19, v19, v4, s[6:7]
	v_cndmask_b32_e64 v19, v19, v57, s[8:9]
	;; [unrolled: 1-line block ×30, first 2 shown]
	ds_bpermute_b32 v30, v99, v19
	v_cndmask_b32_e32 v19, v16, v13, vcc
	v_cndmask_b32_e64 v19, v19, v5, s[6:7]
	v_cndmask_b32_e64 v55, v20, v71, s[44:45]
	;; [unrolled: 1-line block ×17, first 2 shown]
	v_cmp_eq_u32_e64 s[10:11], 1, v89
	v_cndmask_b32_e64 v109, v28, v71, s[60:61]
	v_cndmask_b32_e64 v19, v19, v111, s[66:67]
	;; [unrolled: 1-line block ×3, first 2 shown]
	v_cmp_eq_u32_e64 s[12:13], 2, v89
	v_cndmask_b32_e64 v19, v19, v109, s[62:63]
	v_cmp_eq_u32_e64 s[14:15], 3, v89
	v_cndmask_b32_e64 v0, v0, v62, s[12:13]
	v_cndmask_b32_e64 v19, v19, v107, s[84:85]
	;; [unrolled: 1-line block ×4, first 2 shown]
	v_cmp_eq_u32_e64 s[16:17], 4, v89
	v_cndmask_b32_e64 v19, v19, v105, s[88:89]
	v_cndmask_b32_e64 v106, v14, v74, s[86:87]
	;; [unrolled: 1-line block ×3, first 2 shown]
	v_cmp_eq_u32_e64 s[18:19], 5, v89
	v_cndmask_b32_e64 v14, v102, v74, s[28:29]
	v_cndmask_b32_e64 v19, v19, v103, s[92:93]
	;; [unrolled: 1-line block ×5, first 2 shown]
	v_cmp_eq_u32_e64 s[80:81], 6, v89
	v_cndmask_b32_e64 v125, v6, v74, s[54:55]
	v_cndmask_b32_e64 v6, v2, v74, s[42:43]
	ds_bpermute_b32 v20, v99, v19
	v_cndmask_b32_e32 v19, v21, v14, vcc
	v_cndmask_b32_e64 v0, v0, v58, s[80:81]
	v_cndmask_b32_e64 v114, v10, v74, s[76:77]
	v_cmp_eq_u32_e64 s[76:77], 7, v89
	v_cndmask_b32_e64 v3, v3, v74, s[46:47]
	v_cndmask_b32_e64 v19, v19, v6, s[6:7]
	;; [unrolled: 1-line block ×4, first 2 shown]
	v_cmp_eq_u32_e64 s[72:73], 8, v89
	v_cndmask_b32_e64 v19, v19, v3, s[8:9]
	v_cmp_eq_u32_e64 s[30:31], 9, v89
	v_cndmask_b32_e64 v0, v0, v76, s[72:73]
	v_cndmask_b32_e64 v19, v19, v56, s[38:39]
	v_cndmask_b32_e64 v0, v0, v75, s[30:31]
	v_cmp_eq_u32_e64 s[34:35], 10, v89
	v_cndmask_b32_e64 v19, v19, v92, s[50:51]
	v_cndmask_b32_e64 v122, v7, v74, s[68:69]
	;; [unrolled: 4-line block ×3, first 2 shown]
	v_cndmask_b32_e64 v0, v0, v53, s[36:37]
	v_cmp_eq_u32_e64 s[40:41], 12, v89
	v_cndmask_b32_e64 v19, v19, v122, s[58:59]
	v_cmp_eq_u32_e64 s[44:45], 13, v89
	v_cndmask_b32_e64 v0, v0, v52, s[40:41]
	v_cndmask_b32_e64 v19, v19, v119, s[64:65]
	;; [unrolled: 1-line block ×3, first 2 shown]
	v_cmp_eq_u32_e64 s[46:47], 14, v89
	v_cndmask_b32_e64 v19, v19, v116, s[70:71]
	v_cmp_eq_u32_e64 s[42:43], 15, v89
	v_cndmask_b32_e64 v0, v0, v50, s[46:47]
	v_cndmask_b32_e64 v19, v19, v114, s[78:79]
	;; [unrolled: 1-line block ×4, first 2 shown]
	ds_bpermute_b32 v0, v99, v0
	v_cndmask_b32_e64 v19, v19, v110, s[62:63]
	v_cndmask_b32_e64 v19, v19, v108, s[84:85]
	;; [unrolled: 1-line block ×4, first 2 shown]
	v_cmp_eq_u32_e64 s[28:29], 0, v89
	ds_bpermute_b32 v28, v99, v19
	s_waitcnt lgkmcnt(1)
	v_cndmask_b32_e64 v7, v49, v0, s[42:43]
	v_cndmask_b32_e64 v8, v50, v0, s[46:47]
	;; [unrolled: 1-line block ×16, first 2 shown]
	v_cmp_eq_u32_e64 s[48:49], 1, v90
	v_cmp_eq_u32_e64 s[52:53], 2, v90
	;; [unrolled: 1-line block ×3, first 2 shown]
	v_cndmask_b32_e64 v33, v0, v18, s[48:49]
	v_cndmask_b32_e64 v34, v33, v17, s[52:53]
	;; [unrolled: 1-line block ×3, first 2 shown]
	v_cmp_eq_u32_e64 s[60:61], 4, v90
	v_cndmask_b32_e64 v58, v44, v30, s[62:63]
	v_cndmask_b32_e64 v38, v109, v20, s[62:63]
	;; [unrolled: 1-line block ×3, first 2 shown]
	s_waitcnt lgkmcnt(0)
	v_cndmask_b32_e64 v35, v110, v28, s[62:63]
	v_cmp_eq_u32_e64 s[62:63], 5, v90
	v_cndmask_b32_e64 v59, v43, v30, s[66:67]
	v_cndmask_b32_e64 v48, v112, v28, s[66:67]
	;; [unrolled: 1-line block ×4, first 2 shown]
	v_cmp_eq_u32_e64 s[66:67], 6, v90
	v_cmp_eq_u32_e64 s[68:69], 7, v90
	v_cndmask_b32_e64 v60, v42, v30, s[78:79]
	v_cndmask_b32_e64 v43, v40, v26, s[66:67]
	;; [unrolled: 1-line block ×6, first 2 shown]
	v_cmp_eq_u32_e64 s[70:71], 8, v90
	v_cndmask_b32_e64 v62, v117, v30, s[64:65]
	v_cndmask_b32_e64 v51, v119, v28, s[64:65]
	v_cndmask_b32_e64 v43, v42, v24, s[70:71]
	v_cndmask_b32_e64 v42, v118, v20, s[64:65]
	v_cmp_eq_u32_e64 s[64:65], 9, v90
	v_cndmask_b32_e64 v63, v120, v30, s[58:59]
	v_cndmask_b32_e64 v52, v122, v28, s[58:59]
	v_cndmask_b32_e64 v44, v43, v23, s[64:65]
	v_cndmask_b32_e64 v43, v121, v20, s[58:59]
	;; [unrolled: 5-line block ×3, first 2 shown]
	v_cndmask_b32_e64 v44, v124, v20, s[56:57]
	v_cndmask_b32_e64 v53, v125, v28, s[56:57]
	v_cmp_eq_u32_e64 s[56:57], 11, v90
	v_cndmask_b32_e64 v73, v126, v30, s[50:51]
	v_cndmask_b32_e64 v54, v92, v28, s[50:51]
	v_cndmask_b32_e64 v71, v45, v11, s[56:57]
	v_cndmask_b32_e64 v45, v91, v20, s[50:51]
	v_cmp_eq_u32_e64 s[50:51], 12, v90
	v_cndmask_b32_e64 v74, v93, v30, s[38:39]
	v_cndmask_b32_e64 v75, v55, v20, s[38:39]
	;; [unrolled: 5-line block ×4, first 2 shown]
	v_cndmask_b32_e64 v3, v56, v8, s[8:9]
	v_cndmask_b32_e64 v56, v4, v30, s[6:7]
	v_cmp_eq_u32_e64 s[6:7], 15, v90
	v_cndmask_b32_e32 v93, v12, v30, vcc
	v_cndmask_b32_e64 v46, v46, v30, s[88:89]
	v_cndmask_b32_e64 v3, v3, v7, s[6:7]
	ds_bpermute_b32 v92, v99, v3
	v_cndmask_b32_e32 v101, v13, v20, vcc
	v_cndmask_b32_e32 v102, v14, v28, vcc
	v_cndmask_b32_e64 v16, v16, v20, s[94:95]
	v_cndmask_b32_e64 v40, v113, v20, s[78:79]
	s_waitcnt lgkmcnt(0)
	v_cndmask_b32_e64 v12, v10, v92, s[50:51]
	v_cndmask_b32_e64 v10, v22, v92, s[58:59]
	;; [unrolled: 1-line block ×20, first 2 shown]
	ds_bpermute_b32 v23, v99, v3
	v_cndmask_b32_e64 v6, v26, v92, s[66:67]
	v_cndmask_b32_e64 v4, v1, v92, s[60:61]
	;; [unrolled: 1-line block ×4, first 2 shown]
	s_waitcnt lgkmcnt(0)
	v_cndmask_b32_e64 v18, v46, v23, s[46:47]
	v_cndmask_b32_e64 v26, v59, v23, s[36:37]
	;; [unrolled: 1-line block ×36, first 2 shown]
	ds_bpermute_b32 v73, v99, v22
	v_cndmask_b32_e64 v37, v107, v20, s[84:85]
	v_cndmask_b32_e64 v36, v105, v20, s[88:89]
	;; [unrolled: 1-line block ×3, first 2 shown]
	v_cmp_eq_u32_e32 vcc, 0, v90
	s_waitcnt lgkmcnt(0)
	v_cndmask_b32_e64 v31, v17, v73, s[6:7]
	v_cndmask_b32_e64 v17, v16, v101, s[10:11]
	;; [unrolled: 1-line block ×16, first 2 shown]
	ds_bpermute_b32 v17, v99, v17
	v_cndmask_b32_e64 v11, v11, v92, s[56:57]
	v_cndmask_b32_e64 v5, v27, v92, s[62:63]
	v_cndmask_b32_e32 v0, v0, v92, vcc
	v_cndmask_b32_e64 v20, v62, v73, s[60:61]
	s_waitcnt lgkmcnt(0)
	v_cndmask_b32_e64 v62, v75, v17, s[16:17]
	v_cndmask_b32_e64 v75, v77, v17, s[12:13]
	;; [unrolled: 1-line block ×39, first 2 shown]
	ds_bpermute_b32 v93, v99, v16
	v_cndmask_b32_e64 v32, v104, v28, s[92:93]
	v_cndmask_b32_e64 v33, v106, v28, s[88:89]
	;; [unrolled: 1-line block ×6, first 2 shown]
	s_waitcnt lgkmcnt(0)
	v_cndmask_b32_e64 v47, v46, v93, s[6:7]
	v_cndmask_b32_e64 v46, v36, v93, s[8:9]
	;; [unrolled: 1-line block ×19, first 2 shown]
	ds_bpermute_b32 v56, v99, v36
	v_cndmask_b32_e64 v19, v57, v73, s[54:55]
	v_cndmask_b32_e64 v17, v63, v73, s[48:49]
	v_cndmask_b32_e32 v16, v70, v73, vcc
	v_cndmask_b32_e64 v44, v38, v93, s[50:51]
	s_waitcnt lgkmcnt(0)
	v_cndmask_b32_e64 v101, v102, v56, s[10:11]
	v_cndmask_b32_e64 v74, v74, v56, s[28:29]
	;; [unrolled: 1-line block ×36, first 2 shown]
	ds_bpermute_b32 v102, v99, v32
	v_cndmask_b32_e64 v36, v62, v93, s[60:61]
	v_cndmask_b32_e64 v33, v77, v93, s[48:49]
	v_readlane_b32 s18, v127, 10
	v_readlane_b32 s28, v127, 12
	s_waitcnt lgkmcnt(0)
	v_cndmask_b32_e64 v63, v57, v102, s[6:7]
	v_readlane_b32 s6, v127, 28
	v_cndmask_b32_e64 v62, v58, v102, s[8:9]
	v_cndmask_b32_e64 v58, v49, v102, s[58:59]
	;; [unrolled: 1-line block ×3, first 2 shown]
	v_readlane_b32 s7, v127, 29
	v_readlane_b32 s34, v127, 17
	v_readlane_b32 s46, v127, 25
	v_readlane_b32 s48, v127, 23
	v_subrev_u32_e32 v100, s4, v100
	s_mov_b32 s1, 0
	v_cndmask_b32_e64 v45, v37, v93, s[38:39]
	v_cndmask_b32_e64 v41, v41, v93, s[64:65]
	;; [unrolled: 1-line block ×5, first 2 shown]
	v_cndmask_b32_e32 v32, v92, v93, vcc
	v_cndmask_b32_e64 v61, v59, v102, s[38:39]
	v_cndmask_b32_e64 v60, v60, v102, s[50:51]
	;; [unrolled: 1-line block ×11, first 2 shown]
	v_cndmask_b32_e32 v48, v74, v102, vcc
	v_lshl_add_u64 v[70:71], s[6:7], 0, v[64:65]
	s_mov_b64 s[6:7], 0
	s_mov_b32 s5, 0
	v_readlane_b32 s19, v127, 11
	v_readlane_b32 s29, v127, 13
	;; [unrolled: 1-line block ×9, first 2 shown]
	s_mov_b64 s[40:41], 0x80
	s_mov_b64 s[42:43], 0xc0
	v_readlane_b32 s44, v127, 27
	v_readlane_b32 s47, v127, 26
	;; [unrolled: 1-line block ×3, first 2 shown]
                                        ; implicit-def: $sgpr8_sgpr9
	s_branch .LBB360_32
.LBB360_30:                             ;   in Loop: Header=BB360_32 Depth=2
	s_or_b64 exec, exec, s[12:13]
	s_andn2_b64 s[8:9], s[8:9], exec
	s_and_b64 s[12:13], s[14:15], exec
	s_or_b64 s[8:9], s[8:9], s[12:13]
.LBB360_31:                             ;   in Loop: Header=BB360_32 Depth=2
	s_or_b64 exec, exec, s[10:11]
	s_and_b64 s[10:11], exec, s[8:9]
	s_or_b64 s[6:7], s[10:11], s[6:7]
	s_andn2_b64 exec, exec, s[6:7]
	s_cbranch_execz .LBB360_35
.LBB360_32:                             ;   Parent Loop BB360_7 Depth=1
                                        ; =>  This Inner Loop Header: Depth=2
	s_and_b32 s12, s1, 24
	v_or_b32_e32 v73, s12, v97
	v_add_u32_e32 v74, s96, v73
	v_cmp_gt_u32_e32 vcc, 32, v74
	s_or_b64 s[8:9], s[8:9], exec
	s_and_saveexec_b64 s[10:11], vcc
	s_cbranch_execz .LBB360_31
; %bb.33:                               ;   in Loop: Header=BB360_32 Depth=2
	s_add_i32 s13, s5, 1
	s_set_gpr_idx_on s5, gpr_idx(SRC0)
	v_mov_b32_e32 v74, v0
	s_set_gpr_idx_off
	v_cvt_f16_f32_e32 v76, v74
	s_set_gpr_idx_on s13, gpr_idx(SRC0)
	v_mov_b32_e32 v74, v0
	s_set_gpr_idx_off
	v_cvt_f16_f32_sdwa v77, v74 dst_sel:WORD_1 dst_unused:UNUSED_PAD src0_sel:DWORD
	v_mul_lo_u32 v74, v73, s21
	v_ashrrev_i32_e32 v75, 31, v74
	v_lshl_add_u64 v[74:75], v[74:75], 1, v[70:71]
	v_or_b32_e32 v73, v77, v76
	;;#ASMSTART
	global_atomic_pk_add_f16 v[74:75], v73, off
	
	;;#ASMEND
	s_set_gpr_idx_on s5, gpr_idx(SRC0)
	v_mov_b32_e32 v73, v16
	s_set_gpr_idx_off
	v_cvt_f16_f32_e32 v73, v73
	s_set_gpr_idx_on s13, gpr_idx(SRC0)
	v_mov_b32_e32 v76, v16
	s_set_gpr_idx_off
	v_cvt_f16_f32_sdwa v91, v76 dst_sel:WORD_1 dst_unused:UNUSED_PAD src0_sel:DWORD
	v_lshl_add_u64 v[76:77], v[74:75], 0, 64
	s_mov_b64 s[14:15], -1
	v_or_b32_e32 v73, v91, v73
	;;#ASMSTART
	global_atomic_pk_add_f16 v[76:77], v73, off
	
	;;#ASMEND
	s_set_gpr_idx_on s5, gpr_idx(SRC0)
	v_mov_b32_e32 v73, v32
	s_set_gpr_idx_off
	v_cvt_f16_f32_e32 v73, v73
	s_set_gpr_idx_on s13, gpr_idx(SRC0)
	v_mov_b32_e32 v76, v32
	s_set_gpr_idx_off
	v_cvt_f16_f32_sdwa v91, v76 dst_sel:WORD_1 dst_unused:UNUSED_PAD src0_sel:DWORD
	v_lshl_add_u64 v[76:77], v[74:75], 0, s[40:41]
	v_lshl_add_u64 v[74:75], v[74:75], 0, s[42:43]
	v_or_b32_e32 v73, v91, v73
	;;#ASMSTART
	global_atomic_pk_add_f16 v[76:77], v73, off
	
	;;#ASMEND
	s_set_gpr_idx_on s5, gpr_idx(SRC0)
	v_mov_b32_e32 v73, v48
	s_set_gpr_idx_off
	v_cvt_f16_f32_e32 v73, v73
	s_set_gpr_idx_on s13, gpr_idx(SRC0)
	v_mov_b32_e32 v76, v48
	s_set_gpr_idx_off
	v_cvt_f16_f32_sdwa v76, v76 dst_sel:WORD_1 dst_unused:UNUSED_PAD src0_sel:DWORD
	s_nop 0
	v_or_b32_e32 v73, v76, v73
	;;#ASMSTART
	global_atomic_pk_add_f16 v[74:75], v73, off
	
	;;#ASMEND
	v_or_b32_e32 v73, s12, v98
	v_add_u32_e32 v74, s96, v73
	v_cmp_gt_u32_e32 vcc, 32, v74
	s_and_saveexec_b64 s[12:13], vcc
	s_cbranch_execz .LBB360_30
; %bb.34:                               ;   in Loop: Header=BB360_32 Depth=2
	s_add_i32 s14, s5, 2
	s_add_i32 s15, s5, 3
	s_set_gpr_idx_on s14, gpr_idx(SRC0)
	v_mov_b32_e32 v74, v0
	s_set_gpr_idx_off
	v_cvt_f16_f32_e32 v76, v74
	s_set_gpr_idx_on s15, gpr_idx(SRC0)
	v_mov_b32_e32 v74, v0
	s_set_gpr_idx_off
	v_cvt_f16_f32_sdwa v77, v74 dst_sel:WORD_1 dst_unused:UNUSED_PAD src0_sel:DWORD
	v_mul_lo_u32 v74, v73, s21
	v_ashrrev_i32_e32 v75, 31, v74
	v_lshl_add_u64 v[74:75], v[74:75], 1, v[70:71]
	v_or_b32_e32 v73, v77, v76
	;;#ASMSTART
	global_atomic_pk_add_f16 v[74:75], v73, off
	
	;;#ASMEND
	s_set_gpr_idx_on s14, gpr_idx(SRC0)
	v_mov_b32_e32 v73, v16
	s_set_gpr_idx_off
	v_cvt_f16_f32_e32 v73, v73
	s_set_gpr_idx_on s15, gpr_idx(SRC0)
	v_mov_b32_e32 v76, v16
	s_set_gpr_idx_off
	v_cvt_f16_f32_sdwa v91, v76 dst_sel:WORD_1 dst_unused:UNUSED_PAD src0_sel:DWORD
	v_lshl_add_u64 v[76:77], v[74:75], 0, 64
	s_add_i32 s5, s5, 4
	s_add_i32 s1, s1, 8
	v_or_b32_e32 v73, v91, v73
	;;#ASMSTART
	global_atomic_pk_add_f16 v[76:77], v73, off
	
	;;#ASMEND
	s_set_gpr_idx_on s14, gpr_idx(SRC0)
	v_mov_b32_e32 v73, v32
	s_set_gpr_idx_off
	v_cvt_f16_f32_e32 v73, v73
	s_set_gpr_idx_on s15, gpr_idx(SRC0)
	v_mov_b32_e32 v76, v32
	s_set_gpr_idx_off
	v_cvt_f16_f32_sdwa v91, v76 dst_sel:WORD_1 dst_unused:UNUSED_PAD src0_sel:DWORD
	v_lshl_add_u64 v[76:77], v[74:75], 0, s[40:41]
	s_cmp_eq_u32 s5, 16
	v_lshl_add_u64 v[74:75], v[74:75], 0, s[42:43]
	v_or_b32_e32 v73, v91, v73
	;;#ASMSTART
	global_atomic_pk_add_f16 v[76:77], v73, off
	
	;;#ASMEND
	s_set_gpr_idx_on s14, gpr_idx(SRC0)
	v_mov_b32_e32 v73, v48
	s_set_gpr_idx_off
	v_cvt_f16_f32_e32 v73, v73
	s_set_gpr_idx_on s15, gpr_idx(SRC0)
	v_mov_b32_e32 v76, v48
	s_set_gpr_idx_off
	v_cvt_f16_f32_sdwa v76, v76 dst_sel:WORD_1 dst_unused:UNUSED_PAD src0_sel:DWORD
	s_cselect_b64 s[14:15], -1, 0
	s_orn2_b64 s[14:15], s[14:15], exec
	v_or_b32_e32 v73, v76, v73
	;;#ASMSTART
	global_atomic_pk_add_f16 v[74:75], v73, off
	
	;;#ASMEND
	s_branch .LBB360_30
.LBB360_35:                             ;   in Loop: Header=BB360_7 Depth=1
	s_or_b64 exec, exec, s[6:7]
	v_readlane_b32 s72, v127, 2
	v_readlane_b32 s12, v127, 0
	;; [unrolled: 1-line block ×11, first 2 shown]
.LBB360_36:                             ;   in Loop: Header=BB360_7 Depth=1
	s_or_b64 exec, exec, s[48:49]
.LBB360_37:                             ;   in Loop: Header=BB360_7 Depth=1
	s_andn2_saveexec_b64 s[2:3], s[2:3]
	s_cbranch_execz .LBB360_46
; %bb.38:                               ;   in Loop: Header=BB360_7 Depth=1
	s_lshl_b32 s5, s4, 2
	v_cmp_gt_i32_e32 vcc, s5, v100
	s_and_saveexec_b64 s[6:7], vcc
	s_cbranch_execz .LBB360_45
; %bb.39:                               ;   in Loop: Header=BB360_7 Depth=1
	s_mul_i32 s0, s0, s23
	s_ashr_i32 s1, s0, 31
	s_add_u32 s0, s74, s0
	s_addc_u32 s1, s75, s1
	s_ashr_i32 s8, s44, 31
	s_add_u32 s0, s0, s44
	s_addc_u32 s1, s1, s8
	v_lshl_add_u64 v[0:1], s[0:1], 0, v[68:69]
	v_lshl_add_u64 v[8:9], v[0:1], 0, v[66:67]
	s_mov_b64 s[0:1], 0
	s_branch .LBB360_41
.LBB360_40:                             ;   in Loop: Header=BB360_41 Depth=2
	s_or_b64 exec, exec, s[8:9]
	v_lshl_add_u32 v12, v10, 11, v94
	;;#ASMSTART
	s_waitcnt vmcnt(1)
	;;#ASMEND
	ds_write2_b32 v12, v4, v5 offset1:32
	ds_write2_b32 v12, v6, v7 offset0:64 offset1:96
	v_add_u32_e32 v4, 0x400, v12
	v_add_u32_e32 v100, s26, v100
	;;#ASMSTART
	s_waitcnt vmcnt(0)
	;;#ASMEND
	ds_write2_b32 v4, v0, v1 offset1:32
	ds_write2_b32 v4, v2, v3 offset0:64 offset1:96
	v_add_u32_e32 v0, 1, v79
	v_add_u32_e32 v72, s26, v10
	v_cmp_le_i32_e32 vcc, s5, v100
	ds_write_b32 v11, v0 offset:16
	v_add_u32_e32 v0, 2, v79
	s_or_b64 s[0:1], vcc, s[0:1]
	v_cmp_lt_i32_e32 vcc, 3, v72
	s_nop 1
	v_cndmask_b32_e32 v79, v79, v0, vcc
	s_andn2_b64 exec, exec, s[0:1]
	s_cbranch_execz .LBB360_44
.LBB360_41:                             ;   Parent Loop BB360_7 Depth=1
                                        ; =>  This Loop Header: Depth=2
                                        ;       Child Loop BB360_43 Depth 3
	v_cmp_gt_i32_e32 vcc, 4, v72
	s_nop 1
	v_cndmask_b32_e64 v0, -4, 0, vcc
	v_add_u32_e32 v10, v0, v72
	v_ashrrev_i32_e32 v0, 31, v100
	v_lshrrev_b32_e32 v0, 30, v0
	v_add_u32_e32 v0, v100, v0
	v_and_b32_e32 v1, -4, v0
	v_lshlrev_b32_e32 v0, 4, v0
	v_sub_u32_e32 v2, v100, v1
	v_and_b32_e32 v0, 0xffffffc0, v0
	v_ashrrev_i32_e32 v1, 31, v0
	v_mul_lo_u32 v2, s24, v2
	v_lshl_add_u64 v[0:1], v[8:9], 0, v[0:1]
	v_ashrrev_i32_e32 v3, 31, v2
	v_lshl_add_u64 v[0:1], v[0:1], 0, v[2:3]
	v_lshlrev_b32_e32 v11, 2, v10
	;;#ASMSTART
	global_load_dwordx4 v[4:7], v[0:1], off offset:0   sc0 sc1 nt  
	global_load_dwordx4 v[0:3], v[0:1], off offset:32  sc0 sc1 nt  
	
	;;#ASMEND
	ds_read_b32 v12, v11 offset:16400
	v_add_u32_e32 v11, 0x4000, v11
	s_waitcnt lgkmcnt(0)
	v_cmp_ne_u32_e32 vcc, v12, v79
	s_and_saveexec_b64 s[8:9], vcc
	s_cbranch_execz .LBB360_40
; %bb.42:                               ;   in Loop: Header=BB360_41 Depth=2
	s_mov_b64 s[10:11], 0
.LBB360_43:                             ;   Parent Loop BB360_7 Depth=1
                                        ;     Parent Loop BB360_41 Depth=2
                                        ; =>    This Inner Loop Header: Depth=3
	;;#ASMSTART
	s_sleep 0
	;;#ASMEND
	ds_read_b32 v12, v11 offset:16
	s_waitcnt lgkmcnt(0)
	v_cmp_eq_u32_e32 vcc, v12, v79
	s_or_b64 s[10:11], vcc, s[10:11]
	s_andn2_b64 exec, exec, s[10:11]
	s_cbranch_execnz .LBB360_43
	s_branch .LBB360_40
.LBB360_44:                             ;   in Loop: Header=BB360_7 Depth=1
	s_or_b64 exec, exec, s[0:1]
.LBB360_45:                             ;   in Loop: Header=BB360_7 Depth=1
	s_or_b64 exec, exec, s[6:7]
	v_subrev_u32_e32 v100, s5, v100
.LBB360_46:                             ;   in Loop: Header=BB360_7 Depth=1
	s_or_b64 exec, exec, s[2:3]
.LBB360_47:                             ;   in Loop: Header=BB360_7 Depth=1
	s_andn2_saveexec_b64 s[0:1], s[46:47]
	s_cbranch_execz .LBB360_6
; %bb.48:                               ;   in Loop: Header=BB360_7 Depth=1
	s_lshl_b32 s10, s4, 2
	v_cmp_gt_i32_e32 vcc, s10, v100
	s_and_saveexec_b64 s[2:3], vcc
	s_cbranch_execz .LBB360_5
; %bb.49:                               ;   in Loop: Header=BB360_7 Depth=1
	s_mul_i32 s99, s99, s22
	s_ashr_i32 s4, s99, 31
	s_add_u32 s5, s72, s99
	s_addc_u32 s6, s73, s4
	s_ashr_i32 s7, s44, 31
	s_add_u32 s4, s5, s44
	s_addc_u32 s5, s6, s7
	v_add_u32_e32 v2, s96, v80
	s_movk_i32 s6, 0x80
	v_cmp_gt_u32_e32 vcc, s6, v2
	v_sub_u32_e32 v10, 0x7f, v2
	s_nop 0
	v_cndmask_b32_e32 v0, 0, v95, vcc
	v_ashrrev_i32_e32 v1, 31, v0
	v_lshl_add_u64 v[0:1], s[4:5], 0, v[0:1]
	v_lshl_add_u64 v[8:9], v[0:1], 0, v[66:67]
	s_mov_b64 s[4:5], 0
	s_branch .LBB360_51
.LBB360_50:                             ;   in Loop: Header=BB360_51 Depth=2
	s_or_b64 exec, exec, s[6:7]
	v_lshl_or_b32 v13, v11, 11, v96
	;;#ASMSTART
	s_waitcnt vmcnt(1)
	;;#ASMEND
	ds_write2_b32 v13, v4, v5 offset1:32
	ds_write2_b32 v13, v6, v7 offset0:64 offset1:96
	v_add_u32_e32 v4, 0x400, v13
	v_add_u32_e32 v100, s25, v100
	;;#ASMSTART
	s_waitcnt vmcnt(0)
	;;#ASMEND
	ds_write2_b32 v4, v0, v1 offset1:32
	ds_write2_b32 v4, v2, v3 offset0:64 offset1:96
	v_add_u32_e32 v0, 1, v79
	v_add_u32_e32 v72, s25, v11
	v_cmp_le_i32_e32 vcc, s10, v100
	ds_write_b32 v12, v0
	v_add_u32_e32 v0, 2, v79
	s_or_b64 s[4:5], vcc, s[4:5]
	v_cmp_lt_i32_e32 vcc, 3, v72
	s_nop 1
	v_cndmask_b32_e32 v79, v79, v0, vcc
	s_andn2_b64 exec, exec, s[4:5]
	s_cbranch_execz .LBB360_4
.LBB360_51:                             ;   Parent Loop BB360_7 Depth=1
                                        ; =>  This Loop Header: Depth=2
                                        ;       Child Loop BB360_53 Depth 3
	v_cmp_gt_i32_e32 vcc, 4, v72
	s_nop 1
	v_cndmask_b32_e64 v0, -4, 0, vcc
	v_add_u32_e32 v11, v0, v72
	v_ashrrev_i32_e32 v0, 31, v100
	v_lshrrev_b32_e32 v0, 30, v0
	v_add_u32_e32 v0, v100, v0
	v_and_b32_e32 v1, 0x7fffffc, v0
	v_sub_u32_e32 v1, v100, v1
	v_lshlrev_b32_e32 v1, 5, v1
	v_cmp_le_i32_e32 vcc, v1, v10
	v_lshlrev_b32_e32 v0, 4, v0
	v_and_b32_e32 v0, 0xffffffc0, v0
	v_cndmask_b32_e32 v2, 0, v1, vcc
	v_ashrrev_i32_e32 v1, 31, v0
	v_mul_lo_u32 v2, v2, s22
	v_lshl_add_u64 v[0:1], v[8:9], 0, v[0:1]
	v_ashrrev_i32_e32 v3, 31, v2
	v_lshl_add_u64 v[0:1], v[0:1], 0, v[2:3]
	v_lshlrev_b32_e32 v12, 2, v11
	;;#ASMSTART
	global_load_dwordx4 v[4:7], v[0:1], off offset:0   
	global_load_dwordx4 v[0:3], v[0:1], off offset:32  
	
	;;#ASMEND
	ds_read_b32 v13, v12 offset:16384
	v_add_u32_e32 v12, 0x4000, v12
	s_waitcnt lgkmcnt(0)
	v_cmp_ne_u32_e32 vcc, v13, v79
	s_and_saveexec_b64 s[6:7], vcc
	s_cbranch_execz .LBB360_50
; %bb.52:                               ;   in Loop: Header=BB360_51 Depth=2
	s_mov_b64 s[8:9], 0
.LBB360_53:                             ;   Parent Loop BB360_7 Depth=1
                                        ;     Parent Loop BB360_51 Depth=2
                                        ; =>    This Inner Loop Header: Depth=3
	;;#ASMSTART
	s_sleep 0
	;;#ASMEND
	ds_read_b32 v13, v12
	s_waitcnt lgkmcnt(0)
	v_cmp_eq_u32_e32 vcc, v13, v79
	s_or_b64 s[8:9], vcc, s[8:9]
	s_andn2_b64 exec, exec, s[8:9]
	s_cbranch_execnz .LBB360_53
	s_branch .LBB360_50
.LBB360_54:
	s_endpgm
	.section	.rodata,"a",@progbits
	.p2align	6, 0x0
	.amdhsa_kernel _Z19_skinny_gemm_kernelILi4ELi4ELi1ELi32ELi4EEvPKhS1_P6__halfPKfiiiiiiii
		.amdhsa_group_segment_fixed_size 16416
		.amdhsa_private_segment_fixed_size 0
		.amdhsa_kernarg_size 64
		.amdhsa_user_sgpr_count 2
		.amdhsa_user_sgpr_dispatch_ptr 0
		.amdhsa_user_sgpr_queue_ptr 0
		.amdhsa_user_sgpr_kernarg_segment_ptr 1
		.amdhsa_user_sgpr_dispatch_id 0
		.amdhsa_user_sgpr_kernarg_preload_length 0
		.amdhsa_user_sgpr_kernarg_preload_offset 0
		.amdhsa_user_sgpr_private_segment_size 0
		.amdhsa_uses_dynamic_stack 0
		.amdhsa_enable_private_segment 0
		.amdhsa_system_sgpr_workgroup_id_x 1
		.amdhsa_system_sgpr_workgroup_id_y 0
		.amdhsa_system_sgpr_workgroup_id_z 0
		.amdhsa_system_sgpr_workgroup_info 0
		.amdhsa_system_vgpr_workitem_id 0
		.amdhsa_next_free_vgpr 128
		.amdhsa_next_free_sgpr 100
		.amdhsa_accum_offset 128
		.amdhsa_reserve_vcc 1
		.amdhsa_float_round_mode_32 0
		.amdhsa_float_round_mode_16_64 0
		.amdhsa_float_denorm_mode_32 3
		.amdhsa_float_denorm_mode_16_64 3
		.amdhsa_dx10_clamp 1
		.amdhsa_ieee_mode 1
		.amdhsa_fp16_overflow 0
		.amdhsa_tg_split 0
		.amdhsa_exception_fp_ieee_invalid_op 0
		.amdhsa_exception_fp_denorm_src 0
		.amdhsa_exception_fp_ieee_div_zero 0
		.amdhsa_exception_fp_ieee_overflow 0
		.amdhsa_exception_fp_ieee_underflow 0
		.amdhsa_exception_fp_ieee_inexact 0
		.amdhsa_exception_int_div_zero 0
	.end_amdhsa_kernel
	.section	.text._Z19_skinny_gemm_kernelILi4ELi4ELi1ELi32ELi4EEvPKhS1_P6__halfPKfiiiiiiii,"axG",@progbits,_Z19_skinny_gemm_kernelILi4ELi4ELi1ELi32ELi4EEvPKhS1_P6__halfPKfiiiiiiii,comdat
.Lfunc_end360:
	.size	_Z19_skinny_gemm_kernelILi4ELi4ELi1ELi32ELi4EEvPKhS1_P6__halfPKfiiiiiiii, .Lfunc_end360-_Z19_skinny_gemm_kernelILi4ELi4ELi1ELi32ELi4EEvPKhS1_P6__halfPKfiiiiiiii
                                        ; -- End function
	.set _Z19_skinny_gemm_kernelILi4ELi4ELi1ELi32ELi4EEvPKhS1_P6__halfPKfiiiiiiii.num_vgpr, 128
	.set _Z19_skinny_gemm_kernelILi4ELi4ELi1ELi32ELi4EEvPKhS1_P6__halfPKfiiiiiiii.num_agpr, 0
	.set _Z19_skinny_gemm_kernelILi4ELi4ELi1ELi32ELi4EEvPKhS1_P6__halfPKfiiiiiiii.numbered_sgpr, 100
	.set _Z19_skinny_gemm_kernelILi4ELi4ELi1ELi32ELi4EEvPKhS1_P6__halfPKfiiiiiiii.num_named_barrier, 0
	.set _Z19_skinny_gemm_kernelILi4ELi4ELi1ELi32ELi4EEvPKhS1_P6__halfPKfiiiiiiii.private_seg_size, 0
	.set _Z19_skinny_gemm_kernelILi4ELi4ELi1ELi32ELi4EEvPKhS1_P6__halfPKfiiiiiiii.uses_vcc, 1
	.set _Z19_skinny_gemm_kernelILi4ELi4ELi1ELi32ELi4EEvPKhS1_P6__halfPKfiiiiiiii.uses_flat_scratch, 0
	.set _Z19_skinny_gemm_kernelILi4ELi4ELi1ELi32ELi4EEvPKhS1_P6__halfPKfiiiiiiii.has_dyn_sized_stack, 0
	.set _Z19_skinny_gemm_kernelILi4ELi4ELi1ELi32ELi4EEvPKhS1_P6__halfPKfiiiiiiii.has_recursion, 0
	.set _Z19_skinny_gemm_kernelILi4ELi4ELi1ELi32ELi4EEvPKhS1_P6__halfPKfiiiiiiii.has_indirect_call, 0
	.section	.AMDGPU.csdata,"",@progbits
; Kernel info:
; codeLenInByte = 14156
; TotalNumSgprs: 106
; NumVgprs: 128
; NumAgprs: 0
; TotalNumVgprs: 128
; ScratchSize: 0
; MemoryBound: 0
; FloatMode: 240
; IeeeMode: 1
; LDSByteSize: 16416 bytes/workgroup (compile time only)
; SGPRBlocks: 13
; VGPRBlocks: 15
; NumSGPRsForWavesPerEU: 106
; NumVGPRsForWavesPerEU: 128
; AccumOffset: 128
; Occupancy: 4
; WaveLimiterHint : 0
; COMPUTE_PGM_RSRC2:SCRATCH_EN: 0
; COMPUTE_PGM_RSRC2:USER_SGPR: 2
; COMPUTE_PGM_RSRC2:TRAP_HANDLER: 0
; COMPUTE_PGM_RSRC2:TGID_X_EN: 1
; COMPUTE_PGM_RSRC2:TGID_Y_EN: 0
; COMPUTE_PGM_RSRC2:TGID_Z_EN: 0
; COMPUTE_PGM_RSRC2:TIDIG_COMP_CNT: 0
; COMPUTE_PGM_RSRC3_GFX90A:ACCUM_OFFSET: 31
; COMPUTE_PGM_RSRC3_GFX90A:TG_SPLIT: 0
	.section	.text._Z19_skinny_gemm_kernelILi4ELi4ELi1ELi32ELi8EEvPKhS1_P6__halfPKfiiiiiiii,"axG",@progbits,_Z19_skinny_gemm_kernelILi4ELi4ELi1ELi32ELi8EEvPKhS1_P6__halfPKfiiiiiiii,comdat
	.protected	_Z19_skinny_gemm_kernelILi4ELi4ELi1ELi32ELi8EEvPKhS1_P6__halfPKfiiiiiiii ; -- Begin function _Z19_skinny_gemm_kernelILi4ELi4ELi1ELi32ELi8EEvPKhS1_P6__halfPKfiiiiiiii
	.globl	_Z19_skinny_gemm_kernelILi4ELi4ELi1ELi32ELi8EEvPKhS1_P6__halfPKfiiiiiiii
	.p2align	8
	.type	_Z19_skinny_gemm_kernelILi4ELi4ELi1ELi32ELi8EEvPKhS1_P6__halfPKfiiiiiiii,@function
_Z19_skinny_gemm_kernelILi4ELi4ELi1ELi32ELi8EEvPKhS1_P6__halfPKfiiiiiiii: ; @_Z19_skinny_gemm_kernelILi4ELi4ELi1ELi32ELi8EEvPKhS1_P6__halfPKfiiiiiiii
; %bb.0:
	v_cmp_gt_u32_e32 vcc, 8, v0
	s_and_saveexec_b64 s[4:5], vcc
; %bb.1:
	v_lshlrev_b32_e32 v1, 2, v0
	v_mov_b32_e32 v2, 0
	ds_write_b32 v1, v2 offset:32768
; %bb.2:
	s_or_b64 exec, exec, s[4:5]
	s_load_dwordx8 s[20:27], s[0:1], 0x20
	s_waitcnt lgkmcnt(0)
	s_barrier
	s_add_i32 s3, s20, 0x7f
	s_ashr_i32 s5, s3, 31
	s_add_i32 s4, s21, 0x7f
	s_lshr_b32 s5, s5, 25
	s_ashr_i32 s6, s4, 31
	s_add_i32 s3, s3, s5
	s_ashr_i32 s12, s3, 7
	s_lshr_b32 s3, s6, 25
	s_add_i32 s4, s4, s3
	s_ashr_i32 s14, s4, 7
	s_mul_i32 s3, s14, s12
	s_mul_i32 s3, s3, s24
	s_add_i32 s4, s3, 0x12f
	s_mul_hi_i32 s4, s4, 0x6bca1af3
	s_lshr_b32 s5, s4, 31
	s_ashr_i32 s4, s4, 7
	s_add_i32 s4, s4, s5
	s_add_i32 s5, s2, 1
	s_mul_i32 s5, s4, s5
	v_cvt_f64_i32_e32 v[2:3], s3
	v_cvt_f64_u32_e32 v[4:5], s5
	v_min_f64 v[2:3], v[2:3], v[4:5]
	v_cvt_i32_f64_e32 v86, v[2:3]
	s_mul_i32 s33, s4, s2
	v_cmp_ge_i32_e32 vcc, s33, v86
	s_cbranch_vccnz .LBB361_54
; %bb.3:
	s_load_dwordx8 s[72:79], s[0:1], 0x0
	v_lshrrev_b32_e32 v1, 6, v0
	s_add_i32 s0, s26, s25
	v_cmp_le_i32_e64 s[18:19], s0, v1
	v_mov_b32_e32 v2, s25
	v_cmp_le_i32_e64 s[28:29], s25, v1
	v_mov_b32_e32 v3, s26
	v_cndmask_b32_e64 v3, 0, v3, s[18:19]
	v_cndmask_b32_e64 v2, 0, v2, s[28:29]
	s_abs_i32 s1, s24
	v_add_u32_e32 v2, v2, v3
	v_cvt_f32_u32_e32 v3, s1
	v_sub_u32_e32 v72, v1, v2
	s_ashr_i32 s2, s22, 31
	s_lshr_b32 s2, s2, 25
	v_rcp_iflag_f32_e32 v2, v3
	s_sub_i32 s5, 0, s1
	s_add_i32 s2, s22, s2
	s_ashr_i32 s2, s2, 7
	v_mul_f32_e32 v2, 0x4f7ffffe, v2
	v_cvt_u32_f32_e32 v2, v2
	s_abs_i32 s4, s2
	s_xor_b32 s3, s2, s24
	s_ashr_i32 s3, s3, 31
	v_readfirstlane_b32 s6, v2
	s_mul_i32 s5, s5, s6
	s_mul_hi_u32 s5, s6, s5
	s_add_i32 s6, s6, s5
	s_mul_hi_u32 s5, s4, s6
	s_mul_i32 s6, s5, s1
	s_sub_i32 s4, s4, s6
	s_add_i32 s6, s5, 1
	s_sub_i32 s7, s4, s1
	s_cmp_ge_u32 s4, s1
	s_cselect_b32 s5, s6, s5
	s_cselect_b32 s4, s7, s4
	s_add_i32 s6, s5, 1
	s_cmp_ge_u32 s4, s1
	s_cselect_b32 s1, s6, s5
	s_add_i32 s0, s0, s27
	v_and_b32_e32 v88, 31, v0
	v_lshrrev_b32_e32 v2, 3, v0
	v_cmp_gt_i32_e64 s[34:35], s0, v1
	v_lshlrev_b32_e32 v1, 2, v88
	v_and_b32_e32 v3, 4, v2
	v_lshlrev_b32_e32 v2, 6, v3
	v_or_b32_e32 v4, 0x4000, v1
	v_and_b32_e32 v5, 1, v0
	v_or_b32_e32 v89, v1, v2
	v_or_b32_e32 v90, v4, v2
	v_lshlrev_b32_e32 v2, 1, v5
	v_lshrrev_b32_e32 v7, 1, v0
	s_abs_i32 s97, s12
                                        ; implicit-def: $vgpr127 : SGPR spill to VGPR lane
	v_sub_u32_e32 v2, v0, v2
	v_and_b32_e32 v66, 16, v7
	v_cvt_f32_u32_e32 v7, s97
	v_writelane_b32 v127, s12, 0
	v_add_u32_e32 v2, 1, v2
	v_writelane_b32 v127, s14, 1
	v_and_b32_e32 v6, 63, v2
	v_bitop3_b32 v91, v0, 1, v0 bitop3:0xc
	v_bitop3_b32 v92, v0, 3, 1 bitop3:0x6c
	;; [unrolled: 1-line block ×8, first 2 shown]
	v_and_b32_e32 v2, 30, v0
	v_lshlrev_b32_e32 v0, 4, v0
	s_waitcnt lgkmcnt(0)
	v_writelane_b32 v127, s72, 2
	v_and_b32_e32 v0, 0x200, v0
	v_or_b32_e32 v102, v4, v0
	v_writelane_b32 v127, s73, 3
	v_rcp_iflag_f32_e32 v4, v7
	s_abs_i32 s98, s14
	v_writelane_b32 v127, s74, 4
	v_or_b32_e32 v104, v1, v0
	v_cvt_f32_u32_e32 v1, s98
	v_writelane_b32 v127, s75, 5
	v_writelane_b32 v127, s76, 6
	;; [unrolled: 1-line block ×3, first 2 shown]
	v_mul_f32_e32 v0, 0x4f7ffffe, v4
	v_writelane_b32 v127, s78, 8
	v_cvt_u32_f32_e32 v0, v0
	v_rcp_iflag_f32_e32 v1, v1
	v_writelane_b32 v127, s79, 9
	v_cndmask_b32_e64 v87, 0, 1, s[18:19]
	s_xor_b32 s1, s1, s3
	v_writelane_b32 v127, s18, 10
	s_sub_i32 s15, s1, s3
	s_add_i32 s30, s24, -1
	v_writelane_b32 v127, s19, 11
	s_mul_i32 s1, s15, s30
	v_writelane_b32 v127, s28, 12
	s_sub_i32 s31, s2, s1
	v_readfirstlane_b32 s1, v0
	v_mul_f32_e32 v0, 0x4f7ffffe, v1
	v_writelane_b32 v127, s29, 13
	v_cvt_u32_f32_e32 v0, v0
	v_writelane_b32 v127, s15, 14
	s_sub_i32 s0, 0, s97
	v_writelane_b32 v127, s30, 15
	s_mul_i32 s0, s0, s1
	v_writelane_b32 v127, s31, 16
	s_mul_hi_u32 s0, s1, s0
	v_writelane_b32 v127, s34, 17
	s_ashr_i32 s36, s12, 31
	s_add_i32 s37, s1, s0
	s_sub_i32 s0, 0, s98
	v_readfirstlane_b32 s1, v0
	v_writelane_b32 v127, s35, 18
	s_mul_i32 s0, s0, s1
	v_mbcnt_lo_u32_b32 v0, -1, 0
	v_writelane_b32 v127, s36, 19
	s_ashr_i32 s38, s14, 31
	s_mul_hi_u32 s0, s1, s0
	v_mbcnt_hi_u32_b32 v0, -1, v0
	v_writelane_b32 v127, s37, 20
	v_mov_b32_e32 v65, 0
	v_mul_lo_u32 v68, s23, v88
	v_or_b32_e32 v105, v5, v3
	s_add_i32 s39, s1, s0
	v_and_or_b32 v0, v0, 64, v6
	v_writelane_b32 v127, s38, 21
	v_ashrrev_i32_e32 v69, 31, v68
	v_mov_b32_e32 v67, v65
	s_lshl_b32 s24, s23, 5
	v_mul_lo_u32 v103, s22, v88
	v_or_b32_e32 v106, 2, v105
	v_lshlrev_b32_e32 v64, 1, v2
	v_lshlrev_b32_e32 v107, 2, v0
	v_mov_b32_e32 v108, v72
	v_writelane_b32 v127, s39, 22
	s_branch .LBB361_7
.LBB361_4:                              ;   in Loop: Header=BB361_7 Depth=1
	s_or_b64 exec, exec, s[4:5]
.LBB361_5:                              ;   in Loop: Header=BB361_7 Depth=1
	s_or_b64 exec, exec, s[2:3]
	v_subrev_u32_e32 v108, s10, v108
.LBB361_6:                              ;   in Loop: Header=BB361_7 Depth=1
	s_or_b64 exec, exec, s[0:1]
	s_add_i32 s33, s33, 1
	v_cmp_ge_i32_e32 vcc, s33, v86
	s_cbranch_vccnz .LBB361_54
.LBB361_7:                              ; =>This Loop Header: Depth=1
                                        ;     Child Loop BB361_13 Depth 2
                                        ;       Child Loop BB361_15 Depth 3
                                        ;       Child Loop BB361_18 Depth 3
	;; [unrolled: 1-line block ×5, first 2 shown]
                                        ;     Child Loop BB361_32 Depth 2
                                        ;     Child Loop BB361_41 Depth 2
                                        ;       Child Loop BB361_43 Depth 3
                                        ;     Child Loop BB361_51 Depth 2
                                        ;       Child Loop BB361_53 Depth 3
	s_abs_i32 s1, s33
	s_mul_hi_u32 s2, s1, s37
	s_mul_i32 s3, s2, s97
	s_ashr_i32 s0, s33, 31
	s_sub_i32 s1, s1, s3
	s_xor_b32 s0, s0, s36
	s_add_i32 s3, s2, 1
	s_sub_i32 s4, s1, s97
	s_cmp_ge_u32 s1, s97
	s_cselect_b32 s2, s3, s2
	s_cselect_b32 s1, s4, s1
	s_add_i32 s3, s2, 1
	s_cmp_ge_u32 s1, s97
	s_cselect_b32 s1, s3, s2
	s_xor_b32 s1, s1, s0
	s_sub_i32 s0, s1, s0
	s_abs_i32 s2, s0
	s_mul_i32 s1, s0, s12
	s_mul_hi_u32 s3, s2, s39
	s_sub_i32 s1, s33, s1
	s_mul_i32 s4, s3, s98
	s_lshl_b32 s99, s1, 7
	s_ashr_i32 s1, s0, 31
	s_sub_i32 s2, s2, s4
	s_xor_b32 s1, s1, s38
	s_add_i32 s4, s3, 1
	s_sub_i32 s5, s2, s98
	s_cmp_ge_u32 s2, s98
	s_cselect_b32 s3, s4, s3
	s_cselect_b32 s2, s5, s2
	s_add_i32 s4, s3, 1
	s_cmp_ge_u32 s2, s98
	s_cselect_b32 s2, s4, s3
	s_xor_b32 s2, s2, s1
	s_sub_i32 s1, s2, s1
	s_mul_i32 s2, s1, s15
	s_lshl_b32 s44, s2, 7
	s_cmp_eq_u32 s1, s30
	s_cselect_b32 s4, s31, s15
	s_sub_i32 s2, s99, s20
	s_addk_i32 s2, 0x80
	s_max_i32 s96, s2, 0
	s_and_saveexec_b64 s[2:3], s[28:29]
	s_xor_b64 s[46:47], exec, s[2:3]
	s_cbranch_execz .LBB361_47
; %bb.8:                                ;   in Loop: Header=BB361_7 Depth=1
	s_mul_i32 s1, s1, s14
	s_sub_i32 s0, s0, s1
	s_lshl_b32 s0, s0, 7
	s_sub_i32 s5, s0, s21
	s_addk_i32 s5, 0x80
	s_max_i32 s1, s5, 0
	s_sub_i32 s0, s0, s1
	s_and_saveexec_b64 s[2:3], s[18:19]
	s_xor_b64 s[2:3], exec, s[2:3]
	s_cbranch_execz .LBB361_37
; %bb.9:                                ;   in Loop: Header=BB361_7 Depth=1
	s_and_saveexec_b64 s[48:49], s[34:35]
	s_cbranch_execz .LBB361_36
; %bb.10:                               ;   in Loop: Header=BB361_7 Depth=1
	global_load_dword v109, v65, s[78:79]
	v_mov_b32_e32 v63, 0
	v_cmp_gt_i32_e32 vcc, s4, v108
	v_mov_b32_e32 v62, v63
	v_mov_b32_e32 v61, v63
	;; [unrolled: 1-line block ×63, first 2 shown]
	s_and_saveexec_b64 s[6:7], vcc
	s_cbranch_execz .LBB361_29
; %bb.11:                               ;   in Loop: Header=BB361_7 Depth=1
	v_mov_b32_e32 v0, 0
	s_mov_b64 s[8:9], 0
	v_mov_b32_e32 v1, v0
	v_mov_b32_e32 v2, v0
	;; [unrolled: 1-line block ×63, first 2 shown]
	s_branch .LBB361_13
.LBB361_12:                             ;   in Loop: Header=BB361_13 Depth=2
	s_or_b64 exec, exec, s[10:11]
	v_add_u32_e32 v116, 0x3000, v113
	ds_read2_b32 v[114:115], v116 offset1:32
	v_add_u32_e32 v108, s27, v108
	s_waitcnt lgkmcnt(0)
	v_mfma_f32_32x32x16_fp8_fp8 v[0:15], v[84:85], v[114:115], v[0:15]
	ds_read2_b32 v[84:85], v116 offset0:128 offset1:160
	s_waitcnt lgkmcnt(0)
	v_mfma_f32_32x32x16_fp8_fp8 v[0:15], v[82:83], v[84:85], v[0:15]
	v_add_u32_e32 v84, 0x3400, v113
	ds_read2_b32 v[82:83], v84 offset1:32
	s_waitcnt lgkmcnt(0)
	v_mfma_f32_32x32x16_fp8_fp8 v[0:15], v[80:81], v[82:83], v[0:15]
	ds_read2_b32 v[80:81], v84 offset0:128 offset1:160
	s_waitcnt lgkmcnt(0)
	v_mfma_f32_32x32x16_fp8_fp8 v[0:15], v[78:79], v[80:81], v[0:15]
	v_add_u32_e32 v80, 0x3800, v113
	ds_read2_b32 v[78:79], v80 offset1:32
	;; [unrolled: 7-line block ×3, first 2 shown]
	ds_read2_b32 v[76:77], v76 offset0:128 offset1:160
	ds_write_b32 v111, v112 offset:32796
	s_waitcnt lgkmcnt(2)
	v_mfma_f32_32x32x16_fp8_fp8 v[0:15], v[72:73], v[74:75], v[0:15]
	v_add_u32_e32 v72, s27, v110
	v_add_u32_e32 v73, 2, v87
	v_cmp_lt_i32_e32 vcc, 0, v72
	s_nop 1
	v_cndmask_b32_e32 v87, v87, v73, vcc
	v_cmp_le_i32_e32 vcc, s4, v108
	s_waitcnt lgkmcnt(1)
	v_mfma_f32_32x32x16_fp8_fp8 v[0:15], v[70:71], v[76:77], v[0:15]
	s_or_b64 s[8:9], vcc, s[8:9]
	s_andn2_b64 exec, exec, s[8:9]
	s_cbranch_execz .LBB361_28
.LBB361_13:                             ;   Parent Loop BB361_7 Depth=1
                                        ; =>  This Loop Header: Depth=2
                                        ;       Child Loop BB361_15 Depth 3
                                        ;       Child Loop BB361_18 Depth 3
	;; [unrolled: 1-line block ×5, first 2 shown]
	v_cmp_lt_i32_e32 vcc, 0, v72
	s_nop 1
	v_subbrev_co_u32_e32 v110, vcc, 0, v72, vcc
	v_lshlrev_b32_e32 v111, 5, v110
	ds_read_b32 v70, v111 offset:32768
	s_waitcnt lgkmcnt(0)
	v_cmp_ne_u32_e32 vcc, v70, v87
	s_and_saveexec_b64 s[10:11], vcc
	s_cbranch_execz .LBB361_16
; %bb.14:                               ;   in Loop: Header=BB361_13 Depth=2
	s_mov_b64 s[12:13], 0
.LBB361_15:                             ;   Parent Loop BB361_7 Depth=1
                                        ;     Parent Loop BB361_13 Depth=2
                                        ; =>    This Inner Loop Header: Depth=3
	;;#ASMSTART
	s_sleep 0
	;;#ASMEND
	ds_read_b32 v70, v111 offset:32768
	s_waitcnt lgkmcnt(0)
	v_cmp_eq_u32_e32 vcc, v70, v87
	s_or_b64 s[12:13], vcc, s[12:13]
	s_andn2_b64 exec, exec, s[12:13]
	s_cbranch_execnz .LBB361_15
.LBB361_16:                             ;   in Loop: Header=BB361_13 Depth=2
	s_or_b64 exec, exec, s[10:11]
	v_lshl_or_b32 v70, v110, 12, v89
	v_add_u32_e32 v71, 0x400, v70
	ds_read2_b32 v[84:85], v70 offset1:32
	ds_read2_b32 v[82:83], v70 offset0:128 offset1:160
	ds_read2_b32 v[80:81], v71 offset1:32
	ds_read2_b32 v[78:79], v71 offset0:128 offset1:160
	v_add_u32_e32 v71, 0x800, v70
	v_add_u32_e32 v70, 0xc00, v70
	ds_read2_b32 v[76:77], v71 offset1:32
	ds_read2_b32 v[74:75], v71 offset0:128 offset1:160
	ds_read2_b32 v[72:73], v70 offset1:32
	ds_read_b32 v113, v111 offset:32772
	ds_read2_b32 v[70:71], v70 offset0:128 offset1:160
	v_add_u32_e32 v112, 1, v87
	ds_write_b32 v111, v112 offset:32768
	s_waitcnt lgkmcnt(2)
	v_cmp_ne_u32_e32 vcc, v113, v87
	s_and_saveexec_b64 s[10:11], vcc
	s_cbranch_execz .LBB361_19
; %bb.17:                               ;   in Loop: Header=BB361_13 Depth=2
	s_mov_b64 s[12:13], 0
.LBB361_18:                             ;   Parent Loop BB361_7 Depth=1
                                        ;     Parent Loop BB361_13 Depth=2
                                        ; =>    This Inner Loop Header: Depth=3
	;;#ASMSTART
	s_sleep 0
	;;#ASMEND
	ds_read_b32 v113, v111 offset:32772
	s_waitcnt lgkmcnt(0)
	v_cmp_eq_u32_e32 vcc, v113, v87
	s_or_b64 s[12:13], vcc, s[12:13]
	s_andn2_b64 exec, exec, s[12:13]
	s_cbranch_execnz .LBB361_18
.LBB361_19:                             ;   in Loop: Header=BB361_13 Depth=2
	s_or_b64 exec, exec, s[10:11]
	v_lshl_add_u32 v113, v110, 14, v90
	ds_read2_b32 v[114:115], v113 offset1:32
	v_add_u32_e32 v116, 0x400, v113
	s_waitcnt lgkmcnt(0)
	v_mfma_f32_32x32x16_fp8_fp8 v[48:63], v[84:85], v[114:115], v[48:63]
	ds_read2_b32 v[114:115], v113 offset0:128 offset1:160
	s_waitcnt lgkmcnt(0)
	v_mfma_f32_32x32x16_fp8_fp8 v[48:63], v[82:83], v[114:115], v[48:63]
	ds_read2_b32 v[114:115], v116 offset1:32
	s_waitcnt lgkmcnt(0)
	v_mfma_f32_32x32x16_fp8_fp8 v[48:63], v[80:81], v[114:115], v[48:63]
	ds_read2_b32 v[114:115], v116 offset0:128 offset1:160
	v_add_u32_e32 v116, 0x800, v113
	s_waitcnt lgkmcnt(0)
	v_mfma_f32_32x32x16_fp8_fp8 v[48:63], v[78:79], v[114:115], v[48:63]
	ds_read2_b32 v[114:115], v116 offset1:32
	s_waitcnt lgkmcnt(0)
	v_mfma_f32_32x32x16_fp8_fp8 v[48:63], v[76:77], v[114:115], v[48:63]
	ds_read2_b32 v[114:115], v116 offset0:128 offset1:160
	v_add_u32_e32 v116, 0xc00, v113
	s_waitcnt lgkmcnt(0)
	v_mfma_f32_32x32x16_fp8_fp8 v[48:63], v[74:75], v[114:115], v[48:63]
	ds_read2_b32 v[114:115], v116 offset1:32
	s_waitcnt lgkmcnt(0)
	v_mfma_f32_32x32x16_fp8_fp8 v[48:63], v[72:73], v[114:115], v[48:63]
	ds_read_b32 v117, v111 offset:32780
	ds_read2_b32 v[114:115], v116 offset0:128 offset1:160
	ds_write_b32 v111, v112 offset:32772
	s_waitcnt lgkmcnt(2)
	v_cmp_ne_u32_e32 vcc, v117, v87
	s_waitcnt lgkmcnt(1)
	v_mfma_f32_32x32x16_fp8_fp8 v[48:63], v[70:71], v[114:115], v[48:63]
	s_and_saveexec_b64 s[10:11], vcc
	s_cbranch_execz .LBB361_22
; %bb.20:                               ;   in Loop: Header=BB361_13 Depth=2
	s_mov_b64 s[12:13], 0
.LBB361_21:                             ;   Parent Loop BB361_7 Depth=1
                                        ;     Parent Loop BB361_13 Depth=2
                                        ; =>    This Inner Loop Header: Depth=3
	;;#ASMSTART
	s_sleep 0
	;;#ASMEND
	ds_read_b32 v114, v111 offset:32780
	s_waitcnt lgkmcnt(0)
	v_cmp_eq_u32_e32 vcc, v114, v87
	s_or_b64 s[12:13], vcc, s[12:13]
	s_andn2_b64 exec, exec, s[12:13]
	s_cbranch_execnz .LBB361_21
.LBB361_22:                             ;   in Loop: Header=BB361_13 Depth=2
	s_or_b64 exec, exec, s[10:11]
	v_add_u32_e32 v116, 0x1000, v113
	ds_read2_b32 v[114:115], v116 offset1:32
	s_waitcnt lgkmcnt(0)
	v_mfma_f32_32x32x16_fp8_fp8 v[32:47], v[84:85], v[114:115], v[32:47]
	ds_read2_b32 v[114:115], v116 offset0:128 offset1:160
	v_add_u32_e32 v116, 0x1400, v113
	s_waitcnt lgkmcnt(0)
	v_mfma_f32_32x32x16_fp8_fp8 v[32:47], v[82:83], v[114:115], v[32:47]
	ds_read2_b32 v[114:115], v116 offset1:32
	s_waitcnt lgkmcnt(0)
	v_mfma_f32_32x32x16_fp8_fp8 v[32:47], v[80:81], v[114:115], v[32:47]
	ds_read2_b32 v[114:115], v116 offset0:128 offset1:160
	v_add_u32_e32 v116, 0x1800, v113
	s_waitcnt lgkmcnt(0)
	v_mfma_f32_32x32x16_fp8_fp8 v[32:47], v[78:79], v[114:115], v[32:47]
	;; [unrolled: 7-line block ×3, first 2 shown]
	ds_read2_b32 v[114:115], v116 offset1:32
	s_waitcnt lgkmcnt(0)
	v_mfma_f32_32x32x16_fp8_fp8 v[32:47], v[72:73], v[114:115], v[32:47]
	ds_read_b32 v117, v111 offset:32788
	ds_read2_b32 v[114:115], v116 offset0:128 offset1:160
	ds_write_b32 v111, v112 offset:32780
	s_waitcnt lgkmcnt(2)
	v_cmp_ne_u32_e32 vcc, v117, v87
	s_waitcnt lgkmcnt(1)
	v_mfma_f32_32x32x16_fp8_fp8 v[32:47], v[70:71], v[114:115], v[32:47]
	s_and_saveexec_b64 s[10:11], vcc
	s_cbranch_execz .LBB361_25
; %bb.23:                               ;   in Loop: Header=BB361_13 Depth=2
	s_mov_b64 s[12:13], 0
.LBB361_24:                             ;   Parent Loop BB361_7 Depth=1
                                        ;     Parent Loop BB361_13 Depth=2
                                        ; =>    This Inner Loop Header: Depth=3
	;;#ASMSTART
	s_sleep 0
	;;#ASMEND
	ds_read_b32 v114, v111 offset:32788
	s_waitcnt lgkmcnt(0)
	v_cmp_eq_u32_e32 vcc, v114, v87
	s_or_b64 s[12:13], vcc, s[12:13]
	s_andn2_b64 exec, exec, s[12:13]
	s_cbranch_execnz .LBB361_24
.LBB361_25:                             ;   in Loop: Header=BB361_13 Depth=2
	s_or_b64 exec, exec, s[10:11]
	v_add_u32_e32 v116, 0x2000, v113
	ds_read2_b32 v[114:115], v116 offset1:32
	s_waitcnt lgkmcnt(0)
	v_mfma_f32_32x32x16_fp8_fp8 v[16:31], v[84:85], v[114:115], v[16:31]
	ds_read2_b32 v[114:115], v116 offset0:128 offset1:160
	v_add_u32_e32 v116, 0x2400, v113
	s_waitcnt lgkmcnt(0)
	v_mfma_f32_32x32x16_fp8_fp8 v[16:31], v[82:83], v[114:115], v[16:31]
	ds_read2_b32 v[114:115], v116 offset1:32
	s_waitcnt lgkmcnt(0)
	v_mfma_f32_32x32x16_fp8_fp8 v[16:31], v[80:81], v[114:115], v[16:31]
	ds_read2_b32 v[114:115], v116 offset0:128 offset1:160
	v_add_u32_e32 v116, 0x2800, v113
	s_waitcnt lgkmcnt(0)
	v_mfma_f32_32x32x16_fp8_fp8 v[16:31], v[78:79], v[114:115], v[16:31]
	;; [unrolled: 7-line block ×3, first 2 shown]
	ds_read2_b32 v[114:115], v116 offset1:32
	s_waitcnt lgkmcnt(0)
	v_mfma_f32_32x32x16_fp8_fp8 v[16:31], v[72:73], v[114:115], v[16:31]
	ds_read_b32 v117, v111 offset:32796
	ds_read2_b32 v[114:115], v116 offset0:128 offset1:160
	ds_write_b32 v111, v112 offset:32788
	s_waitcnt lgkmcnt(2)
	v_cmp_ne_u32_e32 vcc, v117, v87
	s_waitcnt lgkmcnt(1)
	v_mfma_f32_32x32x16_fp8_fp8 v[16:31], v[70:71], v[114:115], v[16:31]
	s_and_saveexec_b64 s[10:11], vcc
	s_cbranch_execz .LBB361_12
; %bb.26:                               ;   in Loop: Header=BB361_13 Depth=2
	s_mov_b64 s[12:13], 0
.LBB361_27:                             ;   Parent Loop BB361_7 Depth=1
                                        ;     Parent Loop BB361_13 Depth=2
                                        ; =>    This Inner Loop Header: Depth=3
	;;#ASMSTART
	s_sleep 0
	;;#ASMEND
	ds_read_b32 v114, v111 offset:32796
	s_waitcnt lgkmcnt(0)
	v_cmp_eq_u32_e32 vcc, v114, v87
	s_or_b64 s[12:13], vcc, s[12:13]
	s_andn2_b64 exec, exec, s[12:13]
	s_cbranch_execnz .LBB361_27
	s_branch .LBB361_12
.LBB361_28:                             ;   in Loop: Header=BB361_7 Depth=1
	s_or_b64 exec, exec, s[8:9]
.LBB361_29:                             ;   in Loop: Header=BB361_7 Depth=1
	v_writelane_b32 v127, s48, 23
	s_nop 1
	v_writelane_b32 v127, s49, 24
	v_writelane_b32 v127, s46, 25
	s_nop 1
	v_writelane_b32 v127, s47, 26
	v_writelane_b32 v127, s44, 27
	s_or_b64 exec, exec, s[6:7]
	v_cmp_le_i32_e32 vcc, s5, v88
	v_cmp_eq_u32_e64 s[64:65], 1, v91
	v_cmp_eq_u32_e64 s[30:31], 2, v91
	s_waitcnt vmcnt(0)
	v_cndmask_b32_e32 v70, 0, v109, vcc
	v_pk_mul_f32 v[48:49], v[70:71], v[48:49] op_sel_hi:[0,1]
	v_pk_mul_f32 v[62:63], v[70:71], v[62:63] op_sel_hi:[0,1]
	;; [unrolled: 1-line block ×8, first 2 shown]
	v_cndmask_b32_e64 v70, v48, v49, s[64:65]
	v_cndmask_b32_e64 v70, v70, v50, s[30:31]
	v_cmp_eq_u32_e64 s[40:41], 3, v91
	v_cmp_eq_u32_e64 s[42:43], 4, v91
	v_cmp_eq_u32_e64 s[44:45], 5, v91
	v_cndmask_b32_e64 v70, v70, v51, s[40:41]
	v_cndmask_b32_e64 v70, v70, v52, s[42:43]
	v_cndmask_b32_e64 v70, v70, v53, s[44:45]
	v_cmp_eq_u32_e64 s[46:47], 6, v91
	v_cmp_eq_u32_e64 s[48:49], 7, v91
	v_cmp_eq_u32_e64 s[50:51], 8, v91
	v_cndmask_b32_e64 v70, v70, v54, s[46:47]
	;; [unrolled: 6-line block ×4, first 2 shown]
	v_cndmask_b32_e64 v70, v70, v61, s[60:61]
	v_cndmask_b32_e64 v70, v70, v62, s[62:63]
	v_cmp_eq_u32_e64 s[66:67], 15, v91
	s_mul_i32 s6, s99, s21
	s_ashr_i32 s7, s6, 31
	v_cndmask_b32_e64 v70, v70, v63, s[66:67]
	ds_bpermute_b32 v70, v107, v70
	s_lshl_b64 s[6:7], s[6:7], 1
	v_cmp_eq_u32_e64 s[36:37], 0, v91
	s_add_u32 s70, s76, s6
	v_cmp_eq_u32_e32 vcc, 1, v92
	s_waitcnt lgkmcnt(0)
	v_cndmask_b32_e64 v63, v63, v70, s[66:67]
	v_cndmask_b32_e64 v62, v62, v70, s[62:63]
	;; [unrolled: 1-line block ×16, first 2 shown]
	s_addc_u32 s71, s77, s7
	v_cndmask_b32_e32 v48, v70, v79, vcc
	v_cmp_eq_u32_e64 s[6:7], 2, v92
	v_cmp_eq_u32_e64 s[8:9], 3, v92
	v_cmp_eq_u32_e64 s[10:11], 4, v92
	v_cndmask_b32_e64 v48, v48, v78, s[6:7]
	v_cndmask_b32_e64 v48, v48, v77, s[8:9]
	v_cndmask_b32_e64 v48, v48, v76, s[10:11]
	v_cmp_eq_u32_e64 s[12:13], 5, v92
	v_cmp_eq_u32_e64 s[14:15], 6, v92
	v_cmp_eq_u32_e64 s[16:17], 7, v92
	v_cndmask_b32_e64 v48, v48, v75, s[12:13]
	v_cndmask_b32_e64 v48, v48, v74, s[14:15]
	v_cndmask_b32_e64 v48, v48, v73, s[16:17]
	;; [unrolled: 6-line block ×4, first 2 shown]
	v_cmp_eq_u32_e64 s[34:35], 14, v92
	v_cmp_eq_u32_e64 s[38:39], 15, v92
	s_ashr_i32 s1, s0, 31
	v_cndmask_b32_e64 v48, v48, v62, s[34:35]
	v_cndmask_b32_e64 v48, v48, v63, s[38:39]
	ds_bpermute_b32 v71, v107, v48
	s_lshl_b64 s[68:69], s[0:1], 1
	s_add_u32 s68, s70, s68
	s_addc_u32 s69, s71, s69
	v_writelane_b32 v127, s68, 28
	v_or_b32_e32 v48, 32, v88
	s_waitcnt lgkmcnt(0)
	v_cndmask_b32_e64 v55, v57, v71, s[76:77]
	v_writelane_b32 v127, s69, 29
	v_cndmask_b32_e64 v57, v73, v71, s[16:17]
	v_cmp_le_i32_e64 s[68:69], s5, v48
	v_or_b32_e32 v73, 64, v88
	v_cndmask_b32_e64 v49, v63, v71, s[38:39]
	v_cndmask_b32_e64 v48, 0, v109, s[68:69]
	v_cmp_le_i32_e64 s[68:69], s5, v73
	v_or_b32_e32 v73, 0x60, v88
	v_cndmask_b32_e64 v54, v58, v71, s[78:79]
	v_cndmask_b32_e64 v58, v74, v71, s[14:15]
	;; [unrolled: 1-line block ×3, first 2 shown]
	v_cmp_le_i32_e64 s[70:71], s5, v73
	v_cmp_eq_u32_e64 s[68:69], 0, v92
	v_pk_mul_f32 v[32:33], v[48:49], v[32:33] op_sel_hi:[0,1]
	v_pk_mul_f32 v[30:31], v[74:75], v[30:31] op_sel_hi:[0,1]
	;; [unrolled: 1-line block ×9, first 2 shown]
	v_cndmask_b32_e64 v74, 0, v109, s[70:71]
	v_cndmask_b32_e64 v50, v62, v71, s[34:35]
	;; [unrolled: 1-line block ×10, first 2 shown]
	v_cndmask_b32_e32 v63, v79, v71, vcc
	v_cndmask_b32_e64 v70, v70, v71, s[68:69]
	v_pk_mul_f32 v[46:47], v[48:49], v[46:47] op_sel_hi:[0,1]
	v_pk_mul_f32 v[44:45], v[48:49], v[44:45] op_sel_hi:[0,1]
	;; [unrolled: 1-line block ×7, first 2 shown]
	v_cndmask_b32_e64 v48, v32, v33, s[64:65]
	v_cndmask_b32_e64 v71, v16, v17, s[64:65]
	v_pk_mul_f32 v[0:1], v[74:75], v[0:1] op_sel_hi:[0,1]
	v_cndmask_b32_e64 v48, v48, v34, s[30:31]
	v_cndmask_b32_e64 v71, v71, v18, s[30:31]
	v_pk_mul_f32 v[14:15], v[74:75], v[14:15] op_sel_hi:[0,1]
	v_pk_mul_f32 v[12:13], v[74:75], v[12:13] op_sel_hi:[0,1]
	;; [unrolled: 1-line block ×7, first 2 shown]
	v_cndmask_b32_e64 v74, v0, v1, s[64:65]
	v_cndmask_b32_e64 v48, v48, v35, s[40:41]
	;; [unrolled: 1-line block ×40, first 2 shown]
	ds_bpermute_b32 v48, v107, v48
	ds_bpermute_b32 v71, v107, v71
	v_cndmask_b32_e64 v74, v74, v15, s[66:67]
	ds_bpermute_b32 v74, v107, v74
	v_cmp_eq_u32_e64 s[70:71], 1, v93
	s_waitcnt lgkmcnt(2)
	v_cndmask_b32_e64 v33, v33, v48, s[64:65]
	s_waitcnt lgkmcnt(1)
	v_cndmask_b32_e64 v17, v17, v71, s[64:65]
	v_cndmask_b32_e64 v73, v70, v63, s[70:71]
	v_cmp_eq_u32_e64 s[64:65], 2, v93
	v_cndmask_b32_e64 v47, v47, v48, s[66:67]
	v_cndmask_b32_e64 v31, v31, v71, s[66:67]
	;; [unrolled: 1-line block ×3, first 2 shown]
	s_waitcnt lgkmcnt(0)
	v_cndmask_b32_e64 v15, v15, v74, s[66:67]
	v_cmp_eq_u32_e64 s[66:67], 3, v93
	v_cndmask_b32_e64 v46, v46, v48, s[62:63]
	v_cndmask_b32_e64 v30, v30, v71, s[62:63]
	v_cndmask_b32_e64 v73, v73, v61, s[66:67]
	v_cndmask_b32_e64 v14, v14, v74, s[62:63]
	v_cmp_eq_u32_e64 s[62:63], 4, v93
	v_cndmask_b32_e64 v45, v45, v48, s[60:61]
	v_cndmask_b32_e64 v29, v29, v71, s[60:61]
	v_cndmask_b32_e64 v73, v73, v60, s[62:63]
	;; [unrolled: 5-line block ×4, first 2 shown]
	v_cndmask_b32_e64 v11, v11, v74, s[56:57]
	v_cmp_eq_u32_e64 s[56:57], 7, v93
	v_cmp_eq_u32_e64 s[72:73], 8, v93
	v_cndmask_b32_e64 v41, v41, v48, s[52:53]
	v_cndmask_b32_e64 v73, v73, v57, s[56:57]
	;; [unrolled: 1-line block ×5, first 2 shown]
	v_cmp_eq_u32_e64 s[52:53], 9, v93
	v_cmp_eq_u32_e64 s[74:75], 10, v93
	v_cndmask_b32_e64 v42, v42, v48, s[54:55]
	v_cndmask_b32_e64 v73, v73, v55, s[52:53]
	;; [unrolled: 1-line block ×5, first 2 shown]
	v_cmp_eq_u32_e64 s[54:55], 11, v93
	v_cndmask_b32_e64 v39, v39, v48, s[48:49]
	v_cndmask_b32_e64 v23, v23, v71, s[48:49]
	v_cndmask_b32_e64 v7, v7, v74, s[48:49]
	v_cndmask_b32_e64 v73, v73, v53, s[54:55]
	v_cmp_eq_u32_e64 s[48:49], 12, v93
	v_cndmask_b32_e64 v37, v37, v48, s[44:45]
	v_cndmask_b32_e64 v21, v21, v71, s[44:45]
	v_cndmask_b32_e64 v73, v73, v52, s[48:49]
	v_cndmask_b32_e64 v5, v5, v74, s[44:45]
	;; [unrolled: 5-line block ×4, first 2 shown]
	v_cmp_eq_u32_e64 s[42:43], 15, v93
	v_cndmask_b32_e64 v34, v34, v48, s[30:31]
	v_cndmask_b32_e64 v18, v18, v71, s[30:31]
	;; [unrolled: 1-line block ×3, first 2 shown]
	ds_bpermute_b32 v73, v107, v73
	v_cndmask_b32_e64 v2, v2, v74, s[30:31]
	v_cmp_ne_u32_e64 s[30:31], 0, v91
	v_cndmask_b32_e64 v32, v32, v48, s[36:37]
	v_cndmask_b32_e64 v40, v40, v48, s[50:51]
	;; [unrolled: 1-line block ×6, first 2 shown]
	v_cmp_eq_u32_e64 s[50:51], 0, v93
	v_cndmask_b32_e32 v48, v32, v33, vcc
	v_cndmask_b32_e64 v0, v0, v74, s[36:37]
	s_waitcnt lgkmcnt(0)
	v_cndmask_b32_e64 v49, v49, v73, s[42:43]
	v_cndmask_b32_e64 v50, v50, v73, s[46:47]
	;; [unrolled: 1-line block ×17, first 2 shown]
	v_cndmask_b32_e32 v73, v0, v1, vcc
	v_cndmask_b32_e64 v3, v3, v74, s[40:41]
	v_cndmask_b32_e64 v48, v48, v35, s[8:9]
	;; [unrolled: 1-line block ×22, first 2 shown]
	v_cndmask_b32_e32 v71, v16, v17, vcc
	v_cndmask_b32_e64 v73, v73, v11, s[80:81]
	v_cndmask_b32_e64 v48, v48, v45, s[28:29]
	;; [unrolled: 1-line block ×10, first 2 shown]
	ds_bpermute_b32 v48, v107, v48
	v_cndmask_b32_e64 v71, v71, v21, s[12:13]
	v_cndmask_b32_e64 v73, v73, v15, s[38:39]
	;; [unrolled: 1-line block ×3, first 2 shown]
	ds_bpermute_b32 v73, v107, v73
	v_cndmask_b32_e64 v71, v71, v23, s[16:17]
	v_cndmask_b32_e64 v71, v71, v24, s[18:19]
	v_cndmask_b32_e64 v71, v71, v25, s[76:77]
	v_cndmask_b32_e64 v71, v71, v26, s[78:79]
	s_waitcnt lgkmcnt(1)
	v_cndmask_b32_e32 v33, v33, v48, vcc
	v_cndmask_b32_e64 v32, v32, v48, s[68:69]
	v_cndmask_b32_e64 v71, v71, v27, s[80:81]
	;; [unrolled: 1-line block ×16, first 2 shown]
	s_waitcnt lgkmcnt(0)
	v_cndmask_b32_e32 v1, v1, v73, vcc
	v_cndmask_b32_e64 v48, v32, v33, s[70:71]
	v_cndmask_b32_e64 v0, v0, v73, s[68:69]
	;; [unrolled: 1-line block ×28, first 2 shown]
	ds_bpermute_b32 v71, v107, v71
	v_cndmask_b32_e64 v48, v48, v38, s[58:59]
	v_cndmask_b32_e64 v73, v73, v5, s[60:61]
	;; [unrolled: 1-line block ×8, first 2 shown]
	v_cmp_eq_u32_e64 s[30:31], 1, v94
	v_cndmask_b32_e64 v48, v48, v42, s[74:75]
	v_cndmask_b32_e64 v73, v73, v9, s[52:53]
	;; [unrolled: 1-line block ×3, first 2 shown]
	v_cmp_eq_u32_e64 s[36:37], 2, v94
	s_waitcnt lgkmcnt(0)
	v_cndmask_b32_e32 v17, v17, v71, vcc
	v_cndmask_b32_e64 v48, v48, v43, s[54:55]
	v_cndmask_b32_e64 v16, v16, v71, s[68:69]
	;; [unrolled: 1-line block ×6, first 2 shown]
	v_cmp_eq_u32_e64 s[34:35], 3, v94
	v_cndmask_b32_e64 v29, v29, v71, s[28:29]
	v_cndmask_b32_e64 v28, v28, v71, s[82:83]
	;; [unrolled: 1-line block ×16, first 2 shown]
	v_cmp_eq_u32_e64 s[40:41], 4, v94
	v_cndmask_b32_e64 v48, v48, v45, s[44:45]
	v_cndmask_b32_e64 v71, v71, v18, s[64:65]
	v_cndmask_b32_e64 v73, v73, v12, s[48:49]
	v_cndmask_b32_e64 v74, v74, v60, s[40:41]
	v_cmp_eq_u32_e64 s[84:85], 5, v94
	v_cndmask_b32_e64 v48, v48, v46, s[46:47]
	v_cndmask_b32_e64 v71, v71, v19, s[66:67]
	v_cndmask_b32_e64 v73, v73, v13, s[44:45]
	v_cndmask_b32_e64 v74, v74, v59, s[84:85]
	;; [unrolled: 5-line block ×3, first 2 shown]
	v_cmp_eq_u32_e64 s[78:79], 7, v94
	ds_bpermute_b32 v48, v107, v48
	v_cndmask_b32_e64 v71, v71, v21, s[60:61]
	v_cndmask_b32_e64 v73, v73, v15, s[42:43]
	;; [unrolled: 1-line block ×3, first 2 shown]
	v_cmp_eq_u32_e64 s[92:93], 8, v94
	v_cndmask_b32_e64 v71, v71, v22, s[58:59]
	ds_bpermute_b32 v73, v107, v73
	v_cndmask_b32_e64 v74, v74, v56, s[92:93]
	v_cmp_eq_u32_e64 s[18:19], 9, v94
	v_cndmask_b32_e64 v71, v71, v23, s[56:57]
	v_cmp_eq_u32_e64 s[16:17], 10, v94
	v_cndmask_b32_e64 v74, v74, v55, s[18:19]
	v_cndmask_b32_e64 v71, v71, v24, s[72:73]
	;; [unrolled: 1-line block ×3, first 2 shown]
	v_cmp_eq_u32_e64 s[14:15], 11, v94
	v_cndmask_b32_e64 v71, v71, v25, s[52:53]
	v_cmp_eq_u32_e64 s[12:13], 12, v94
	v_cndmask_b32_e64 v74, v74, v53, s[14:15]
	v_cndmask_b32_e64 v71, v71, v26, s[74:75]
	s_waitcnt lgkmcnt(1)
	v_cndmask_b32_e64 v33, v33, v48, s[70:71]
	v_cndmask_b32_e64 v32, v32, v48, s[50:51]
	;; [unrolled: 1-line block ×3, first 2 shown]
	v_cmp_eq_u32_e64 s[38:39], 13, v94
	v_cndmask_b32_e64 v71, v71, v27, s[54:55]
	v_cndmask_b32_e64 v47, v47, v48, s[42:43]
	;; [unrolled: 1-line block ×15, first 2 shown]
	s_waitcnt lgkmcnt(0)
	v_cndmask_b32_e64 v1, v1, v73, s[70:71]
	v_cndmask_b32_e64 v48, v32, v33, s[30:31]
	;; [unrolled: 1-line block ×4, first 2 shown]
	v_cmp_eq_u32_e64 s[8:9], 14, v94
	v_cndmask_b32_e64 v71, v71, v28, s[48:49]
	v_cndmask_b32_e64 v15, v15, v73, s[42:43]
	;; [unrolled: 1-line block ×18, first 2 shown]
	v_cmp_eq_u32_e64 s[6:7], 15, v94
	v_cndmask_b32_e64 v71, v71, v29, s[44:45]
	v_cndmask_b32_e64 v48, v48, v35, s[34:35]
	;; [unrolled: 1-line block ×7, first 2 shown]
	ds_bpermute_b32 v74, v107, v74
	v_cndmask_b32_e64 v71, v71, v31, s[42:43]
	v_cndmask_b32_e64 v48, v48, v37, s[84:85]
	;; [unrolled: 1-line block ×3, first 2 shown]
	ds_bpermute_b32 v71, v107, v71
	v_cndmask_b32_e64 v48, v48, v38, s[88:89]
	v_cndmask_b32_e64 v73, v73, v5, s[84:85]
	v_cndmask_b32_e64 v48, v48, v39, s[78:79]
	v_cndmask_b32_e64 v73, v73, v6, s[88:89]
	v_cndmask_b32_e64 v48, v48, v40, s[92:93]
	v_cndmask_b32_e64 v73, v73, v7, s[78:79]
	v_cmp_eq_u32_e64 s[10:11], 0, v94
	v_cndmask_b32_e64 v48, v48, v41, s[18:19]
	v_cndmask_b32_e64 v73, v73, v8, s[92:93]
	s_waitcnt lgkmcnt(1)
	v_cndmask_b32_e64 v63, v63, v74, s[30:31]
	v_cndmask_b32_e64 v70, v70, v74, s[10:11]
	v_cmp_eq_u32_e64 s[28:29], 1, v95
	v_cndmask_b32_e64 v48, v48, v42, s[16:17]
	v_cndmask_b32_e64 v73, v73, v9, s[18:19]
	;; [unrolled: 1-line block ×17, first 2 shown]
	s_waitcnt lgkmcnt(0)
	v_cndmask_b32_e64 v31, v31, v71, s[42:43]
	v_cmp_eq_u32_e64 s[42:43], 2, v95
	v_cndmask_b32_e64 v17, v17, v71, s[70:71]
	v_cndmask_b32_e64 v48, v48, v43, s[14:15]
	;; [unrolled: 1-line block ×6, first 2 shown]
	v_cmp_eq_u32_e64 s[46:47], 3, v95
	v_cndmask_b32_e64 v29, v29, v71, s[44:45]
	v_cndmask_b32_e64 v28, v28, v71, s[48:49]
	v_cndmask_b32_e64 v27, v27, v71, s[54:55]
	v_cndmask_b32_e64 v26, v26, v71, s[74:75]
	v_cndmask_b32_e64 v25, v25, v71, s[52:53]
	v_cndmask_b32_e64 v24, v24, v71, s[72:73]
	v_cndmask_b32_e64 v23, v23, v71, s[56:57]
	v_cndmask_b32_e64 v22, v22, v71, s[58:59]
	v_cndmask_b32_e64 v21, v21, v71, s[60:61]
	v_cndmask_b32_e64 v20, v20, v71, s[62:63]
	v_cndmask_b32_e64 v19, v19, v71, s[66:67]
	v_cndmask_b32_e64 v18, v18, v71, s[64:65]
	v_cndmask_b32_e64 v48, v48, v44, s[12:13]
	v_cndmask_b32_e64 v71, v16, v17, s[30:31]
	v_cndmask_b32_e64 v73, v73, v11, s[14:15]
	v_cndmask_b32_e64 v74, v74, v61, s[46:47]
	v_cmp_eq_u32_e64 s[44:45], 4, v95
	v_cndmask_b32_e64 v48, v48, v45, s[38:39]
	v_cndmask_b32_e64 v71, v71, v18, s[36:37]
	v_cndmask_b32_e64 v73, v73, v12, s[12:13]
	v_cndmask_b32_e64 v74, v74, v60, s[44:45]
	v_cmp_eq_u32_e64 s[48:49], 5, v95
	v_cndmask_b32_e64 v48, v48, v46, s[8:9]
	v_cndmask_b32_e64 v71, v71, v19, s[34:35]
	v_cndmask_b32_e64 v73, v73, v13, s[38:39]
	v_cndmask_b32_e64 v74, v74, v59, s[48:49]
	;; [unrolled: 5-line block ×3, first 2 shown]
	v_cmp_eq_u32_e64 s[68:69], 7, v95
	ds_bpermute_b32 v48, v107, v48
	v_cndmask_b32_e64 v71, v71, v21, s[84:85]
	v_cndmask_b32_e64 v73, v73, v15, s[6:7]
	;; [unrolled: 1-line block ×3, first 2 shown]
	v_cmp_eq_u32_e64 s[74:75], 8, v95
	v_cndmask_b32_e64 v71, v71, v22, s[88:89]
	ds_bpermute_b32 v73, v107, v73
	v_cndmask_b32_e64 v74, v74, v56, s[74:75]
	v_cmp_eq_u32_e64 s[72:73], 9, v95
	v_cndmask_b32_e64 v71, v71, v23, s[78:79]
	v_cmp_eq_u32_e64 s[76:77], 10, v95
	v_cndmask_b32_e64 v74, v74, v55, s[72:73]
	v_cndmask_b32_e64 v71, v71, v24, s[92:93]
	v_cndmask_b32_e64 v74, v74, v54, s[76:77]
	v_cmp_eq_u32_e64 s[80:81], 11, v95
	v_cndmask_b32_e64 v71, v71, v25, s[18:19]
	v_cmp_eq_u32_e64 s[60:61], 12, v95
	v_cndmask_b32_e64 v74, v74, v53, s[80:81]
	v_cndmask_b32_e64 v71, v71, v26, s[16:17]
	s_waitcnt lgkmcnt(1)
	v_cndmask_b32_e64 v33, v33, v48, s[30:31]
	v_cndmask_b32_e64 v32, v32, v48, s[10:11]
	;; [unrolled: 1-line block ×3, first 2 shown]
	v_cmp_eq_u32_e64 s[82:83], 13, v95
	v_cndmask_b32_e64 v71, v71, v27, s[14:15]
	v_cndmask_b32_e64 v34, v34, v48, s[36:37]
	s_waitcnt lgkmcnt(0)
	v_cndmask_b32_e64 v79, v1, v73, s[30:31]
	v_cndmask_b32_e64 v1, v32, v33, s[28:29]
	;; [unrolled: 1-line block ×3, first 2 shown]
	v_cmp_eq_u32_e64 s[86:87], 14, v95
	v_cndmask_b32_e64 v71, v71, v28, s[12:13]
	v_cndmask_b32_e64 v35, v35, v48, s[34:35]
	;; [unrolled: 1-line block ×4, first 2 shown]
	v_cmp_eq_u32_e64 s[90:91], 15, v95
	v_cndmask_b32_e64 v71, v71, v29, s[38:39]
	v_cndmask_b32_e64 v36, v36, v48, s[40:41]
	;; [unrolled: 1-line block ×7, first 2 shown]
	ds_bpermute_b32 v74, v107, v74
	v_cndmask_b32_e64 v71, v71, v31, s[6:7]
	v_cndmask_b32_e64 v38, v38, v48, s[88:89]
	;; [unrolled: 1-line block ×3, first 2 shown]
	ds_bpermute_b32 v71, v107, v71
	v_cndmask_b32_e64 v39, v39, v48, s[78:79]
	v_cndmask_b32_e64 v1, v1, v38, s[54:55]
	;; [unrolled: 1-line block ×6, first 2 shown]
	v_cmp_eq_u32_e64 s[52:53], 0, v95
	v_cndmask_b32_e64 v42, v42, v48, s[16:17]
	v_cndmask_b32_e64 v1, v1, v41, s[72:73]
	s_waitcnt lgkmcnt(1)
	v_cndmask_b32_e64 v63, v63, v74, s[28:29]
	v_cndmask_b32_e64 v70, v70, v74, s[52:53]
	v_cmp_eq_u32_e32 vcc, 1, v96
	v_cndmask_b32_e64 v43, v43, v48, s[14:15]
	v_cndmask_b32_e64 v1, v1, v42, s[76:77]
	;; [unrolled: 1-line block ×16, first 2 shown]
	v_cndmask_b32_e32 v74, v70, v63, vcc
	v_cndmask_b32_e64 v47, v47, v48, s[6:7]
	s_waitcnt lgkmcnt(0)
	v_cndmask_b32_e64 v31, v31, v71, s[6:7]
	v_cndmask_b32_e64 v15, v15, v73, s[6:7]
	v_cmp_eq_u32_e64 s[6:7], 2, v96
	v_cndmask_b32_e64 v44, v44, v48, s[12:13]
	v_cndmask_b32_e64 v1, v1, v43, s[80:81]
	;; [unrolled: 1-line block ×6, first 2 shown]
	v_cmp_eq_u32_e64 s[8:9], 3, v96
	v_cndmask_b32_e64 v45, v45, v48, s[38:39]
	v_cndmask_b32_e64 v1, v1, v44, s[60:61]
	;; [unrolled: 1-line block ×5, first 2 shown]
	v_cmp_eq_u32_e64 s[38:39], 4, v96
	v_cndmask_b32_e64 v1, v1, v45, s[82:83]
	v_cmp_eq_u32_e64 s[50:51], 5, v96
	v_cndmask_b32_e64 v74, v74, v60, s[38:39]
	v_cndmask_b32_e64 v1, v1, v46, s[86:87]
	;; [unrolled: 1-line block ×5, first 2 shown]
	v_cmp_eq_u32_e64 s[56:57], 6, v96
	v_cndmask_b32_e64 v10, v10, v73, s[16:17]
	v_cndmask_b32_e64 v9, v9, v73, s[18:19]
	;; [unrolled: 1-line block ×14, first 2 shown]
	v_cmp_eq_u32_e64 s[58:59], 7, v96
	v_cndmask_b32_e64 v18, v18, v71, s[36:37]
	ds_bpermute_b32 v48, v107, v1
	v_cndmask_b32_e64 v1, v16, v78, s[28:29]
	v_cndmask_b32_e64 v0, v73, v79, s[28:29]
	v_cndmask_b32_e64 v74, v74, v57, s[58:59]
	v_cmp_eq_u32_e64 s[64:65], 8, v96
	v_cndmask_b32_e64 v19, v19, v71, s[34:35]
	v_cndmask_b32_e64 v1, v1, v18, s[42:43]
	v_cndmask_b32_e64 v0, v0, v2, s[42:43]
	v_cndmask_b32_e64 v74, v74, v56, s[64:65]
	v_cmp_eq_u32_e64 s[70:71], 9, v96
	v_cndmask_b32_e64 v20, v20, v71, s[40:41]
	v_cndmask_b32_e64 v1, v1, v19, s[46:47]
	v_cndmask_b32_e64 v0, v0, v3, s[46:47]
	v_cndmask_b32_e64 v74, v74, v55, s[70:71]
	v_cndmask_b32_e64 v23, v23, v71, s[78:79]
	v_cmp_eq_u32_e64 s[78:79], 10, v96
	v_cndmask_b32_e64 v21, v21, v71, s[84:85]
	;; [unrolled: 6-line block ×3, first 2 shown]
	v_cndmask_b32_e64 v0, v0, v5, s[48:49]
	v_cndmask_b32_e64 v74, v74, v53, s[66:67]
	v_cmp_eq_u32_e64 s[62:63], 12, v96
	v_cndmask_b32_e64 v1, v1, v22, s[54:55]
	v_cndmask_b32_e64 v0, v0, v6, s[54:55]
	v_cndmask_b32_e64 v24, v24, v71, s[92:93]
	v_cndmask_b32_e64 v74, v74, v52, s[62:63]
	v_cmp_eq_u32_e64 s[84:85], 13, v96
	v_cndmask_b32_e64 v1, v1, v23, s[68:69]
	v_cndmask_b32_e64 v0, v0, v7, s[68:69]
	;; [unrolled: 5-line block ×4, first 2 shown]
	v_cndmask_b32_e64 v27, v27, v71, s[14:15]
	v_cndmask_b32_e64 v74, v74, v49, s[92:93]
	;; [unrolled: 1-line block ×5, first 2 shown]
	ds_bpermute_b32 v74, v107, v74
	v_cndmask_b32_e64 v1, v1, v27, s[80:81]
	v_cndmask_b32_e64 v0, v0, v11, s[80:81]
	;; [unrolled: 1-line block ×8, first 2 shown]
	v_cmp_eq_u32_e64 s[94:95], 0, v96
	v_cndmask_b32_e64 v1, v1, v31, s[90:91]
	v_cndmask_b32_e64 v0, v0, v15, s[90:91]
	s_waitcnt lgkmcnt(0)
	v_cndmask_b32_e64 v49, v49, v74, s[92:93]
	v_cndmask_b32_e64 v50, v50, v74, s[88:89]
	;; [unrolled: 1-line block ×14, first 2 shown]
	v_cndmask_b32_e32 v63, v63, v74, vcc
	v_cndmask_b32_e64 v70, v70, v74, s[94:95]
	ds_bpermute_b32 v71, v107, v1
	ds_bpermute_b32 v74, v107, v0
	v_cndmask_b32_e64 v57, v35, v48, s[46:47]
	v_cndmask_b32_e64 v101, v36, v48, s[44:45]
	;; [unrolled: 1-line block ×3, first 2 shown]
	s_waitcnt lgkmcnt(1)
	v_cndmask_b32_e64 v84, v29, v71, s[82:83]
	s_waitcnt lgkmcnt(0)
	v_cndmask_b32_e64 v110, v12, v74, s[60:61]
	v_cndmask_b32_e64 v12, v33, v48, s[28:29]
	;; [unrolled: 1-line block ×7, first 2 shown]
	v_cndmask_b32_e32 v19, v29, v12, vcc
	v_cndmask_b32_e64 v19, v19, v4, s[6:7]
	v_cndmask_b32_e64 v19, v19, v57, s[8:9]
	;; [unrolled: 1-line block ×30, first 2 shown]
	ds_bpermute_b32 v30, v107, v19
	v_cndmask_b32_e32 v19, v16, v13, vcc
	v_cndmask_b32_e64 v19, v19, v5, s[6:7]
	v_cndmask_b32_e64 v55, v20, v71, s[44:45]
	;; [unrolled: 1-line block ×17, first 2 shown]
	v_cmp_eq_u32_e64 s[10:11], 1, v97
	v_cndmask_b32_e64 v109, v28, v71, s[60:61]
	v_cndmask_b32_e64 v19, v19, v111, s[66:67]
	;; [unrolled: 1-line block ×3, first 2 shown]
	v_cmp_eq_u32_e64 s[12:13], 2, v97
	v_cndmask_b32_e64 v19, v19, v109, s[62:63]
	v_cmp_eq_u32_e64 s[14:15], 3, v97
	v_cndmask_b32_e64 v0, v0, v62, s[12:13]
	v_cndmask_b32_e64 v19, v19, v84, s[84:85]
	;; [unrolled: 1-line block ×4, first 2 shown]
	v_cmp_eq_u32_e64 s[16:17], 4, v97
	v_cndmask_b32_e64 v19, v19, v82, s[88:89]
	v_cndmask_b32_e64 v83, v14, v74, s[86:87]
	;; [unrolled: 1-line block ×3, first 2 shown]
	v_cmp_eq_u32_e64 s[18:19], 5, v97
	v_cndmask_b32_e64 v14, v79, v74, s[28:29]
	v_cndmask_b32_e64 v19, v19, v80, s[92:93]
	;; [unrolled: 1-line block ×5, first 2 shown]
	v_cmp_eq_u32_e64 s[80:81], 6, v97
	v_cndmask_b32_e64 v125, v6, v74, s[54:55]
	v_cndmask_b32_e64 v6, v2, v74, s[42:43]
	ds_bpermute_b32 v20, v107, v19
	v_cndmask_b32_e32 v19, v21, v14, vcc
	v_cndmask_b32_e64 v0, v0, v58, s[80:81]
	v_cndmask_b32_e64 v114, v10, v74, s[76:77]
	v_cmp_eq_u32_e64 s[76:77], 7, v97
	v_cndmask_b32_e64 v3, v3, v74, s[46:47]
	v_cndmask_b32_e64 v19, v19, v6, s[6:7]
	;; [unrolled: 1-line block ×4, first 2 shown]
	v_cmp_eq_u32_e64 s[72:73], 8, v97
	v_cndmask_b32_e64 v19, v19, v3, s[8:9]
	v_cmp_eq_u32_e64 s[30:31], 9, v97
	v_cndmask_b32_e64 v0, v0, v76, s[72:73]
	v_cndmask_b32_e64 v19, v19, v56, s[38:39]
	v_cndmask_b32_e64 v0, v0, v75, s[30:31]
	v_cmp_eq_u32_e64 s[34:35], 10, v97
	v_cndmask_b32_e64 v19, v19, v100, s[50:51]
	v_cndmask_b32_e64 v122, v7, v74, s[68:69]
	;; [unrolled: 4-line block ×3, first 2 shown]
	v_cndmask_b32_e64 v0, v0, v53, s[36:37]
	v_cmp_eq_u32_e64 s[40:41], 12, v97
	v_cndmask_b32_e64 v19, v19, v122, s[58:59]
	v_cmp_eq_u32_e64 s[44:45], 13, v97
	v_cndmask_b32_e64 v0, v0, v52, s[40:41]
	v_cndmask_b32_e64 v19, v19, v119, s[64:65]
	;; [unrolled: 1-line block ×3, first 2 shown]
	v_cmp_eq_u32_e64 s[46:47], 14, v97
	v_cndmask_b32_e64 v19, v19, v116, s[70:71]
	v_cmp_eq_u32_e64 s[42:43], 15, v97
	v_cndmask_b32_e64 v0, v0, v50, s[46:47]
	v_cndmask_b32_e64 v19, v19, v114, s[78:79]
	;; [unrolled: 1-line block ×4, first 2 shown]
	ds_bpermute_b32 v0, v107, v0
	v_cndmask_b32_e64 v19, v19, v110, s[62:63]
	v_cndmask_b32_e64 v19, v19, v85, s[84:85]
	;; [unrolled: 1-line block ×4, first 2 shown]
	v_cmp_eq_u32_e64 s[28:29], 0, v97
	ds_bpermute_b32 v28, v107, v19
	s_waitcnt lgkmcnt(1)
	v_cndmask_b32_e64 v7, v49, v0, s[42:43]
	v_cndmask_b32_e64 v8, v50, v0, s[46:47]
	;; [unrolled: 1-line block ×16, first 2 shown]
	v_cmp_eq_u32_e64 s[48:49], 1, v98
	v_cmp_eq_u32_e64 s[52:53], 2, v98
	;; [unrolled: 1-line block ×3, first 2 shown]
	v_cndmask_b32_e64 v33, v0, v18, s[48:49]
	v_cndmask_b32_e64 v34, v33, v17, s[52:53]
	;; [unrolled: 1-line block ×3, first 2 shown]
	v_cmp_eq_u32_e64 s[60:61], 4, v98
	v_cndmask_b32_e64 v58, v44, v30, s[62:63]
	v_cndmask_b32_e64 v38, v109, v20, s[62:63]
	;; [unrolled: 1-line block ×3, first 2 shown]
	s_waitcnt lgkmcnt(0)
	v_cndmask_b32_e64 v35, v110, v28, s[62:63]
	v_cmp_eq_u32_e64 s[62:63], 5, v98
	v_cndmask_b32_e64 v59, v43, v30, s[66:67]
	v_cndmask_b32_e64 v48, v112, v28, s[66:67]
	;; [unrolled: 1-line block ×4, first 2 shown]
	v_cmp_eq_u32_e64 s[66:67], 6, v98
	v_cmp_eq_u32_e64 s[68:69], 7, v98
	v_cndmask_b32_e64 v60, v42, v30, s[78:79]
	v_cndmask_b32_e64 v43, v40, v26, s[66:67]
	v_cndmask_b32_e64 v42, v43, v25, s[68:69]
	v_cndmask_b32_e64 v61, v41, v30, s[70:71]
	v_cndmask_b32_e64 v41, v115, v20, s[70:71]
	v_cndmask_b32_e64 v50, v116, v28, s[70:71]
	v_cmp_eq_u32_e64 s[70:71], 8, v98
	v_cndmask_b32_e64 v62, v117, v30, s[64:65]
	v_cndmask_b32_e64 v51, v119, v28, s[64:65]
	v_cndmask_b32_e64 v43, v42, v24, s[70:71]
	v_cndmask_b32_e64 v42, v118, v20, s[64:65]
	v_cmp_eq_u32_e64 s[64:65], 9, v98
	v_cndmask_b32_e64 v63, v120, v30, s[58:59]
	v_cndmask_b32_e64 v52, v122, v28, s[58:59]
	v_cndmask_b32_e64 v44, v43, v23, s[64:65]
	v_cndmask_b32_e64 v43, v121, v20, s[58:59]
	;; [unrolled: 5-line block ×3, first 2 shown]
	v_cndmask_b32_e64 v44, v124, v20, s[56:57]
	v_cndmask_b32_e64 v53, v125, v28, s[56:57]
	v_cmp_eq_u32_e64 s[56:57], 11, v98
	v_cndmask_b32_e64 v73, v126, v30, s[50:51]
	v_cndmask_b32_e64 v54, v100, v28, s[50:51]
	v_cndmask_b32_e64 v71, v45, v11, s[56:57]
	v_cndmask_b32_e64 v45, v99, v20, s[50:51]
	v_cmp_eq_u32_e64 s[50:51], 12, v98
	v_cndmask_b32_e64 v74, v101, v30, s[38:39]
	v_cndmask_b32_e64 v75, v55, v20, s[38:39]
	;; [unrolled: 5-line block ×4, first 2 shown]
	v_cndmask_b32_e64 v3, v56, v8, s[8:9]
	v_cndmask_b32_e64 v56, v4, v30, s[6:7]
	v_cmp_eq_u32_e64 s[6:7], 15, v98
	v_cndmask_b32_e64 v19, v80, v20, s[92:93]
	v_cndmask_b32_e32 v80, v12, v30, vcc
	v_cndmask_b32_e64 v3, v3, v7, s[6:7]
	ds_bpermute_b32 v79, v107, v3
	v_cndmask_b32_e64 v46, v46, v30, s[88:89]
	v_cndmask_b32_e64 v32, v81, v28, s[92:93]
	v_cndmask_b32_e32 v81, v13, v20, vcc
	v_cndmask_b32_e64 v36, v82, v20, s[88:89]
	s_waitcnt lgkmcnt(0)
	v_cndmask_b32_e64 v12, v10, v79, s[50:51]
	v_cndmask_b32_e64 v10, v22, v79, s[58:59]
	;; [unrolled: 1-line block ×20, first 2 shown]
	ds_bpermute_b32 v23, v107, v3
	v_cndmask_b32_e64 v6, v26, v79, s[66:67]
	v_cndmask_b32_e64 v4, v1, v79, s[60:61]
	v_cndmask_b32_e64 v1, v18, v79, s[48:49]
	v_cndmask_b32_e64 v15, v7, v79, s[6:7]
	s_waitcnt lgkmcnt(0)
	v_cndmask_b32_e64 v18, v46, v23, s[46:47]
	v_cndmask_b32_e64 v26, v59, v23, s[36:37]
	;; [unrolled: 1-line block ×16, first 2 shown]
	v_cndmask_b32_e32 v82, v14, v28, vcc
	v_cndmask_b32_e64 v14, v8, v79, s[8:9]
	v_cndmask_b32_e64 v8, v24, v79, s[70:71]
	;; [unrolled: 1-line block ×20, first 2 shown]
	ds_bpermute_b32 v73, v107, v22
	v_cndmask_b32_e64 v16, v16, v20, s[94:95]
	v_cndmask_b32_e64 v40, v113, v20, s[78:79]
	;; [unrolled: 1-line block ×3, first 2 shown]
	v_cmp_eq_u32_e32 vcc, 0, v98
	s_waitcnt lgkmcnt(0)
	v_cndmask_b32_e64 v31, v17, v73, s[6:7]
	v_cndmask_b32_e64 v17, v16, v81, s[10:11]
	;; [unrolled: 1-line block ×16, first 2 shown]
	ds_bpermute_b32 v17, v107, v17
	v_cndmask_b32_e64 v11, v11, v79, s[56:57]
	v_cndmask_b32_e64 v5, v27, v79, s[62:63]
	v_cndmask_b32_e32 v0, v0, v79, vcc
	v_cndmask_b32_e64 v20, v62, v73, s[60:61]
	s_waitcnt lgkmcnt(0)
	v_cndmask_b32_e64 v62, v75, v17, s[16:17]
	v_cndmask_b32_e64 v75, v77, v17, s[12:13]
	;; [unrolled: 1-line block ×39, first 2 shown]
	ds_bpermute_b32 v80, v107, v16
	v_cndmask_b32_e64 v33, v83, v28, s[88:89]
	v_cndmask_b32_e64 v34, v85, v28, s[84:85]
	;; [unrolled: 1-line block ×5, first 2 shown]
	s_waitcnt lgkmcnt(0)
	v_cndmask_b32_e64 v47, v46, v80, s[6:7]
	v_cndmask_b32_e64 v46, v36, v80, s[8:9]
	;; [unrolled: 1-line block ×19, first 2 shown]
	ds_bpermute_b32 v56, v107, v36
	v_cndmask_b32_e64 v19, v57, v73, s[54:55]
	v_cndmask_b32_e64 v17, v63, v73, s[48:49]
	v_cndmask_b32_e32 v16, v70, v73, vcc
	v_cndmask_b32_e64 v44, v38, v80, s[50:51]
	s_waitcnt lgkmcnt(0)
	v_cndmask_b32_e64 v81, v82, v56, s[10:11]
	v_cndmask_b32_e64 v74, v74, v56, s[28:29]
	;; [unrolled: 1-line block ×36, first 2 shown]
	ds_bpermute_b32 v82, v107, v32
	v_cndmask_b32_e64 v36, v62, v80, s[60:61]
	v_cndmask_b32_e64 v33, v77, v80, s[48:49]
	v_readlane_b32 s18, v127, 10
	v_readlane_b32 s28, v127, 12
	s_waitcnt lgkmcnt(0)
	v_cndmask_b32_e64 v63, v57, v82, s[6:7]
	v_readlane_b32 s6, v127, 28
	v_cndmask_b32_e64 v62, v58, v82, s[8:9]
	v_cndmask_b32_e64 v58, v49, v82, s[58:59]
	;; [unrolled: 1-line block ×3, first 2 shown]
	v_readlane_b32 s7, v127, 29
	v_readlane_b32 s34, v127, 17
	;; [unrolled: 1-line block ×4, first 2 shown]
	v_subrev_u32_e32 v108, s4, v108
	s_mov_b32 s1, 0
	v_cndmask_b32_e64 v45, v37, v80, s[38:39]
	v_cndmask_b32_e64 v41, v41, v80, s[64:65]
	;; [unrolled: 1-line block ×5, first 2 shown]
	v_cndmask_b32_e32 v32, v79, v80, vcc
	v_cndmask_b32_e64 v61, v59, v82, s[38:39]
	v_cndmask_b32_e64 v60, v60, v82, s[50:51]
	;; [unrolled: 1-line block ×11, first 2 shown]
	v_cndmask_b32_e32 v48, v74, v82, vcc
	v_lshl_add_u64 v[70:71], s[6:7], 0, v[64:65]
	s_mov_b64 s[6:7], 0
	s_mov_b32 s5, 0
	v_readlane_b32 s19, v127, 11
	v_readlane_b32 s29, v127, 13
	;; [unrolled: 1-line block ×9, first 2 shown]
	s_mov_b64 s[40:41], 0x80
	s_mov_b64 s[42:43], 0xc0
	v_readlane_b32 s44, v127, 27
	v_readlane_b32 s47, v127, 26
	;; [unrolled: 1-line block ×3, first 2 shown]
                                        ; implicit-def: $sgpr8_sgpr9
	s_branch .LBB361_32
.LBB361_30:                             ;   in Loop: Header=BB361_32 Depth=2
	s_or_b64 exec, exec, s[12:13]
	s_andn2_b64 s[8:9], s[8:9], exec
	s_and_b64 s[12:13], s[14:15], exec
	s_or_b64 s[8:9], s[8:9], s[12:13]
.LBB361_31:                             ;   in Loop: Header=BB361_32 Depth=2
	s_or_b64 exec, exec, s[10:11]
	s_and_b64 s[10:11], exec, s[8:9]
	s_or_b64 s[6:7], s[10:11], s[6:7]
	s_andn2_b64 exec, exec, s[6:7]
	s_cbranch_execz .LBB361_35
.LBB361_32:                             ;   Parent Loop BB361_7 Depth=1
                                        ; =>  This Inner Loop Header: Depth=2
	s_and_b32 s12, s1, 24
	v_or_b32_e32 v73, s12, v105
	v_add_u32_e32 v74, s96, v73
	v_cmp_gt_u32_e32 vcc, 32, v74
	s_or_b64 s[8:9], s[8:9], exec
	s_and_saveexec_b64 s[10:11], vcc
	s_cbranch_execz .LBB361_31
; %bb.33:                               ;   in Loop: Header=BB361_32 Depth=2
	s_add_i32 s13, s5, 1
	s_set_gpr_idx_on s5, gpr_idx(SRC0)
	v_mov_b32_e32 v74, v0
	s_set_gpr_idx_off
	v_cvt_f16_f32_e32 v76, v74
	s_set_gpr_idx_on s13, gpr_idx(SRC0)
	v_mov_b32_e32 v74, v0
	s_set_gpr_idx_off
	v_cvt_f16_f32_sdwa v77, v74 dst_sel:WORD_1 dst_unused:UNUSED_PAD src0_sel:DWORD
	v_mul_lo_u32 v74, v73, s21
	v_ashrrev_i32_e32 v75, 31, v74
	v_lshl_add_u64 v[74:75], v[74:75], 1, v[70:71]
	v_or_b32_e32 v73, v77, v76
	;;#ASMSTART
	global_atomic_pk_add_f16 v[74:75], v73, off
	
	;;#ASMEND
	s_set_gpr_idx_on s5, gpr_idx(SRC0)
	v_mov_b32_e32 v73, v16
	s_set_gpr_idx_off
	v_cvt_f16_f32_e32 v73, v73
	s_set_gpr_idx_on s13, gpr_idx(SRC0)
	v_mov_b32_e32 v76, v16
	s_set_gpr_idx_off
	v_cvt_f16_f32_sdwa v78, v76 dst_sel:WORD_1 dst_unused:UNUSED_PAD src0_sel:DWORD
	v_lshl_add_u64 v[76:77], v[74:75], 0, 64
	s_mov_b64 s[14:15], -1
	v_or_b32_e32 v73, v78, v73
	;;#ASMSTART
	global_atomic_pk_add_f16 v[76:77], v73, off
	
	;;#ASMEND
	s_set_gpr_idx_on s5, gpr_idx(SRC0)
	v_mov_b32_e32 v73, v32
	s_set_gpr_idx_off
	v_cvt_f16_f32_e32 v73, v73
	s_set_gpr_idx_on s13, gpr_idx(SRC0)
	v_mov_b32_e32 v76, v32
	s_set_gpr_idx_off
	v_cvt_f16_f32_sdwa v78, v76 dst_sel:WORD_1 dst_unused:UNUSED_PAD src0_sel:DWORD
	v_lshl_add_u64 v[76:77], v[74:75], 0, s[40:41]
	v_lshl_add_u64 v[74:75], v[74:75], 0, s[42:43]
	v_or_b32_e32 v73, v78, v73
	;;#ASMSTART
	global_atomic_pk_add_f16 v[76:77], v73, off
	
	;;#ASMEND
	s_set_gpr_idx_on s5, gpr_idx(SRC0)
	v_mov_b32_e32 v73, v48
	s_set_gpr_idx_off
	v_cvt_f16_f32_e32 v73, v73
	s_set_gpr_idx_on s13, gpr_idx(SRC0)
	v_mov_b32_e32 v76, v48
	s_set_gpr_idx_off
	v_cvt_f16_f32_sdwa v76, v76 dst_sel:WORD_1 dst_unused:UNUSED_PAD src0_sel:DWORD
	s_nop 0
	v_or_b32_e32 v73, v76, v73
	;;#ASMSTART
	global_atomic_pk_add_f16 v[74:75], v73, off
	
	;;#ASMEND
	v_or_b32_e32 v73, s12, v106
	v_add_u32_e32 v74, s96, v73
	v_cmp_gt_u32_e32 vcc, 32, v74
	s_and_saveexec_b64 s[12:13], vcc
	s_cbranch_execz .LBB361_30
; %bb.34:                               ;   in Loop: Header=BB361_32 Depth=2
	s_add_i32 s14, s5, 2
	s_add_i32 s15, s5, 3
	s_set_gpr_idx_on s14, gpr_idx(SRC0)
	v_mov_b32_e32 v74, v0
	s_set_gpr_idx_off
	v_cvt_f16_f32_e32 v76, v74
	s_set_gpr_idx_on s15, gpr_idx(SRC0)
	v_mov_b32_e32 v74, v0
	s_set_gpr_idx_off
	v_cvt_f16_f32_sdwa v77, v74 dst_sel:WORD_1 dst_unused:UNUSED_PAD src0_sel:DWORD
	v_mul_lo_u32 v74, v73, s21
	v_ashrrev_i32_e32 v75, 31, v74
	v_lshl_add_u64 v[74:75], v[74:75], 1, v[70:71]
	v_or_b32_e32 v73, v77, v76
	;;#ASMSTART
	global_atomic_pk_add_f16 v[74:75], v73, off
	
	;;#ASMEND
	s_set_gpr_idx_on s14, gpr_idx(SRC0)
	v_mov_b32_e32 v73, v16
	s_set_gpr_idx_off
	v_cvt_f16_f32_e32 v73, v73
	s_set_gpr_idx_on s15, gpr_idx(SRC0)
	v_mov_b32_e32 v76, v16
	s_set_gpr_idx_off
	v_cvt_f16_f32_sdwa v78, v76 dst_sel:WORD_1 dst_unused:UNUSED_PAD src0_sel:DWORD
	v_lshl_add_u64 v[76:77], v[74:75], 0, 64
	s_add_i32 s5, s5, 4
	s_add_i32 s1, s1, 8
	v_or_b32_e32 v73, v78, v73
	;;#ASMSTART
	global_atomic_pk_add_f16 v[76:77], v73, off
	
	;;#ASMEND
	s_set_gpr_idx_on s14, gpr_idx(SRC0)
	v_mov_b32_e32 v73, v32
	s_set_gpr_idx_off
	v_cvt_f16_f32_e32 v73, v73
	s_set_gpr_idx_on s15, gpr_idx(SRC0)
	v_mov_b32_e32 v76, v32
	s_set_gpr_idx_off
	v_cvt_f16_f32_sdwa v78, v76 dst_sel:WORD_1 dst_unused:UNUSED_PAD src0_sel:DWORD
	v_lshl_add_u64 v[76:77], v[74:75], 0, s[40:41]
	s_cmp_eq_u32 s5, 16
	v_lshl_add_u64 v[74:75], v[74:75], 0, s[42:43]
	v_or_b32_e32 v73, v78, v73
	;;#ASMSTART
	global_atomic_pk_add_f16 v[76:77], v73, off
	
	;;#ASMEND
	s_set_gpr_idx_on s14, gpr_idx(SRC0)
	v_mov_b32_e32 v73, v48
	s_set_gpr_idx_off
	v_cvt_f16_f32_e32 v73, v73
	s_set_gpr_idx_on s15, gpr_idx(SRC0)
	v_mov_b32_e32 v76, v48
	s_set_gpr_idx_off
	v_cvt_f16_f32_sdwa v76, v76 dst_sel:WORD_1 dst_unused:UNUSED_PAD src0_sel:DWORD
	s_cselect_b64 s[14:15], -1, 0
	s_orn2_b64 s[14:15], s[14:15], exec
	v_or_b32_e32 v73, v76, v73
	;;#ASMSTART
	global_atomic_pk_add_f16 v[74:75], v73, off
	
	;;#ASMEND
	s_branch .LBB361_30
.LBB361_35:                             ;   in Loop: Header=BB361_7 Depth=1
	s_or_b64 exec, exec, s[6:7]
	v_readlane_b32 s72, v127, 2
	v_readlane_b32 s12, v127, 0
	;; [unrolled: 1-line block ×11, first 2 shown]
.LBB361_36:                             ;   in Loop: Header=BB361_7 Depth=1
	s_or_b64 exec, exec, s[48:49]
.LBB361_37:                             ;   in Loop: Header=BB361_7 Depth=1
	s_andn2_saveexec_b64 s[2:3], s[2:3]
	s_cbranch_execz .LBB361_46
; %bb.38:                               ;   in Loop: Header=BB361_7 Depth=1
	s_lshl_b32 s5, s4, 2
	v_cmp_gt_i32_e32 vcc, s5, v108
	s_and_saveexec_b64 s[6:7], vcc
	s_cbranch_execz .LBB361_45
; %bb.39:                               ;   in Loop: Header=BB361_7 Depth=1
	s_mul_i32 s0, s0, s23
	s_ashr_i32 s1, s0, 31
	s_add_u32 s0, s74, s0
	s_addc_u32 s1, s75, s1
	s_ashr_i32 s8, s44, 31
	s_add_u32 s0, s0, s44
	s_addc_u32 s1, s1, s8
	v_lshl_add_u64 v[0:1], s[0:1], 0, v[68:69]
	v_lshl_add_u64 v[16:17], v[0:1], 0, v[66:67]
	s_mov_b64 s[0:1], 0
	s_branch .LBB361_41
.LBB361_40:                             ;   in Loop: Header=BB361_41 Depth=2
	s_or_b64 exec, exec, s[8:9]
	v_lshl_add_u32 v20, v18, 12, v102
	;;#ASMSTART
	s_waitcnt vmcnt(3)
	;;#ASMEND
	ds_write2_b32 v20, v12, v13 offset1:32
	ds_write2_b32 v20, v14, v15 offset0:64 offset1:96
	v_add_u32_e32 v12, 0x400, v20
	;;#ASMSTART
	s_waitcnt vmcnt(2)
	;;#ASMEND
	ds_write2_b32 v12, v8, v9 offset1:32
	ds_write2_b32 v12, v10, v11 offset0:64 offset1:96
	v_add_u32_e32 v8, 0x800, v20
	;; [unrolled: 6-line block ×3, first 2 shown]
	v_add_u32_e32 v108, s26, v108
	;;#ASMSTART
	s_waitcnt vmcnt(0)
	;;#ASMEND
	ds_write2_b32 v4, v0, v1 offset1:32
	ds_write2_b32 v4, v2, v3 offset0:64 offset1:96
	v_add_u32_e32 v0, 1, v87
	v_add_u32_e32 v72, s26, v18
	v_cmp_le_i32_e32 vcc, s5, v108
	ds_write_b32 v19, v0 offset:16
	v_add_u32_e32 v0, 2, v87
	s_or_b64 s[0:1], vcc, s[0:1]
	v_cmp_lt_i32_e32 vcc, 3, v72
	s_nop 1
	v_cndmask_b32_e32 v87, v87, v0, vcc
	s_andn2_b64 exec, exec, s[0:1]
	s_cbranch_execz .LBB361_44
.LBB361_41:                             ;   Parent Loop BB361_7 Depth=1
                                        ; =>  This Loop Header: Depth=2
                                        ;       Child Loop BB361_43 Depth 3
	v_cmp_gt_i32_e32 vcc, 4, v72
	s_nop 1
	v_cndmask_b32_e64 v0, -4, 0, vcc
	v_add_u32_e32 v18, v0, v72
	v_ashrrev_i32_e32 v0, 31, v108
	v_lshrrev_b32_e32 v0, 30, v0
	v_add_u32_e32 v0, v108, v0
	v_and_b32_e32 v1, -4, v0
	v_lshlrev_b32_e32 v0, 5, v0
	v_sub_u32_e32 v2, v108, v1
	v_and_b32_e32 v0, 0xffffff80, v0
	v_ashrrev_i32_e32 v1, 31, v0
	v_mul_lo_u32 v2, s24, v2
	v_lshl_add_u64 v[0:1], v[16:17], 0, v[0:1]
	v_ashrrev_i32_e32 v3, 31, v2
	v_lshl_add_u64 v[0:1], v[0:1], 0, v[2:3]
	v_lshlrev_b32_e32 v19, 2, v18
	;;#ASMSTART
	global_load_dwordx4 v[12:15], v[0:1], off offset:0   sc0 sc1 nt  
	global_load_dwordx4 v[8:11], v[0:1], off offset:32  sc0 sc1 nt  
	global_load_dwordx4 v[4:7], v[0:1], off offset:64  sc0 sc1 nt  
	;; [unrolled: 1-line block ×3, first 2 shown]
	
	;;#ASMEND
	ds_read_b32 v20, v19 offset:32784
	v_add_u32_e32 v19, 0x8000, v19
	s_waitcnt lgkmcnt(0)
	v_cmp_ne_u32_e32 vcc, v20, v87
	s_and_saveexec_b64 s[8:9], vcc
	s_cbranch_execz .LBB361_40
; %bb.42:                               ;   in Loop: Header=BB361_41 Depth=2
	s_mov_b64 s[10:11], 0
.LBB361_43:                             ;   Parent Loop BB361_7 Depth=1
                                        ;     Parent Loop BB361_41 Depth=2
                                        ; =>    This Inner Loop Header: Depth=3
	;;#ASMSTART
	s_sleep 0
	;;#ASMEND
	ds_read_b32 v20, v19 offset:16
	s_waitcnt lgkmcnt(0)
	v_cmp_eq_u32_e32 vcc, v20, v87
	s_or_b64 s[10:11], vcc, s[10:11]
	s_andn2_b64 exec, exec, s[10:11]
	s_cbranch_execnz .LBB361_43
	s_branch .LBB361_40
.LBB361_44:                             ;   in Loop: Header=BB361_7 Depth=1
	s_or_b64 exec, exec, s[0:1]
.LBB361_45:                             ;   in Loop: Header=BB361_7 Depth=1
	s_or_b64 exec, exec, s[6:7]
	v_subrev_u32_e32 v108, s5, v108
.LBB361_46:                             ;   in Loop: Header=BB361_7 Depth=1
	s_or_b64 exec, exec, s[2:3]
.LBB361_47:                             ;   in Loop: Header=BB361_7 Depth=1
	s_andn2_saveexec_b64 s[0:1], s[46:47]
	s_cbranch_execz .LBB361_6
; %bb.48:                               ;   in Loop: Header=BB361_7 Depth=1
	s_lshl_b32 s10, s4, 2
	v_cmp_gt_i32_e32 vcc, s10, v108
	s_and_saveexec_b64 s[2:3], vcc
	s_cbranch_execz .LBB361_5
; %bb.49:                               ;   in Loop: Header=BB361_7 Depth=1
	s_mul_i32 s99, s99, s22
	s_ashr_i32 s4, s99, 31
	s_add_u32 s5, s72, s99
	s_addc_u32 s6, s73, s4
	s_ashr_i32 s7, s44, 31
	s_add_u32 s4, s5, s44
	s_addc_u32 s5, s6, s7
	v_add_u32_e32 v2, s96, v88
	s_movk_i32 s6, 0x80
	v_cmp_gt_u32_e32 vcc, s6, v2
	v_sub_u32_e32 v18, 0x7f, v2
	s_nop 0
	v_cndmask_b32_e32 v0, 0, v103, vcc
	v_ashrrev_i32_e32 v1, 31, v0
	v_lshl_add_u64 v[0:1], s[4:5], 0, v[0:1]
	v_lshl_add_u64 v[16:17], v[0:1], 0, v[66:67]
	s_mov_b64 s[4:5], 0
	s_branch .LBB361_51
.LBB361_50:                             ;   in Loop: Header=BB361_51 Depth=2
	s_or_b64 exec, exec, s[6:7]
	v_lshl_or_b32 v21, v19, 12, v104
	;;#ASMSTART
	s_waitcnt vmcnt(3)
	;;#ASMEND
	ds_write2_b32 v21, v12, v13 offset1:32
	ds_write2_b32 v21, v14, v15 offset0:64 offset1:96
	v_add_u32_e32 v12, 0x400, v21
	;;#ASMSTART
	s_waitcnt vmcnt(2)
	;;#ASMEND
	ds_write2_b32 v12, v8, v9 offset1:32
	ds_write2_b32 v12, v10, v11 offset0:64 offset1:96
	v_add_u32_e32 v8, 0x800, v21
	;; [unrolled: 6-line block ×3, first 2 shown]
	v_add_u32_e32 v108, s25, v108
	;;#ASMSTART
	s_waitcnt vmcnt(0)
	;;#ASMEND
	ds_write2_b32 v4, v0, v1 offset1:32
	ds_write2_b32 v4, v2, v3 offset0:64 offset1:96
	v_add_u32_e32 v0, 1, v87
	v_add_u32_e32 v72, s25, v19
	v_cmp_le_i32_e32 vcc, s10, v108
	ds_write_b32 v20, v0
	v_add_u32_e32 v0, 2, v87
	s_or_b64 s[4:5], vcc, s[4:5]
	v_cmp_lt_i32_e32 vcc, 3, v72
	s_nop 1
	v_cndmask_b32_e32 v87, v87, v0, vcc
	s_andn2_b64 exec, exec, s[4:5]
	s_cbranch_execz .LBB361_4
.LBB361_51:                             ;   Parent Loop BB361_7 Depth=1
                                        ; =>  This Loop Header: Depth=2
                                        ;       Child Loop BB361_53 Depth 3
	v_cmp_gt_i32_e32 vcc, 4, v72
	s_nop 1
	v_cndmask_b32_e64 v0, -4, 0, vcc
	v_add_u32_e32 v19, v0, v72
	v_ashrrev_i32_e32 v0, 31, v108
	v_lshrrev_b32_e32 v0, 30, v0
	v_add_u32_e32 v0, v108, v0
	v_and_b32_e32 v1, 0x7fffffc, v0
	v_sub_u32_e32 v1, v108, v1
	v_lshlrev_b32_e32 v1, 5, v1
	v_cmp_le_i32_e32 vcc, v1, v18
	v_lshlrev_b32_e32 v0, 5, v0
	v_and_b32_e32 v0, 0xffffff80, v0
	v_cndmask_b32_e32 v2, 0, v1, vcc
	v_ashrrev_i32_e32 v1, 31, v0
	v_mul_lo_u32 v2, v2, s22
	v_lshl_add_u64 v[0:1], v[16:17], 0, v[0:1]
	v_ashrrev_i32_e32 v3, 31, v2
	v_lshl_add_u64 v[0:1], v[0:1], 0, v[2:3]
	v_lshlrev_b32_e32 v20, 2, v19
	;;#ASMSTART
	global_load_dwordx4 v[12:15], v[0:1], off offset:0   
	global_load_dwordx4 v[8:11], v[0:1], off offset:32  
	;; [unrolled: 1-line block ×4, first 2 shown]
	
	;;#ASMEND
	ds_read_b32 v21, v20 offset:32768
	v_add_u32_e32 v20, 0x8000, v20
	s_waitcnt lgkmcnt(0)
	v_cmp_ne_u32_e32 vcc, v21, v87
	s_and_saveexec_b64 s[6:7], vcc
	s_cbranch_execz .LBB361_50
; %bb.52:                               ;   in Loop: Header=BB361_51 Depth=2
	s_mov_b64 s[8:9], 0
.LBB361_53:                             ;   Parent Loop BB361_7 Depth=1
                                        ;     Parent Loop BB361_51 Depth=2
                                        ; =>    This Inner Loop Header: Depth=3
	;;#ASMSTART
	s_sleep 0
	;;#ASMEND
	ds_read_b32 v21, v20
	s_waitcnt lgkmcnt(0)
	v_cmp_eq_u32_e32 vcc, v21, v87
	s_or_b64 s[8:9], vcc, s[8:9]
	s_andn2_b64 exec, exec, s[8:9]
	s_cbranch_execnz .LBB361_53
	s_branch .LBB361_50
.LBB361_54:
	s_endpgm
	.section	.rodata,"a",@progbits
	.p2align	6, 0x0
	.amdhsa_kernel _Z19_skinny_gemm_kernelILi4ELi4ELi1ELi32ELi8EEvPKhS1_P6__halfPKfiiiiiiii
		.amdhsa_group_segment_fixed_size 32800
		.amdhsa_private_segment_fixed_size 0
		.amdhsa_kernarg_size 64
		.amdhsa_user_sgpr_count 2
		.amdhsa_user_sgpr_dispatch_ptr 0
		.amdhsa_user_sgpr_queue_ptr 0
		.amdhsa_user_sgpr_kernarg_segment_ptr 1
		.amdhsa_user_sgpr_dispatch_id 0
		.amdhsa_user_sgpr_kernarg_preload_length 0
		.amdhsa_user_sgpr_kernarg_preload_offset 0
		.amdhsa_user_sgpr_private_segment_size 0
		.amdhsa_uses_dynamic_stack 0
		.amdhsa_enable_private_segment 0
		.amdhsa_system_sgpr_workgroup_id_x 1
		.amdhsa_system_sgpr_workgroup_id_y 0
		.amdhsa_system_sgpr_workgroup_id_z 0
		.amdhsa_system_sgpr_workgroup_info 0
		.amdhsa_system_vgpr_workitem_id 0
		.amdhsa_next_free_vgpr 128
		.amdhsa_next_free_sgpr 100
		.amdhsa_accum_offset 128
		.amdhsa_reserve_vcc 1
		.amdhsa_float_round_mode_32 0
		.amdhsa_float_round_mode_16_64 0
		.amdhsa_float_denorm_mode_32 3
		.amdhsa_float_denorm_mode_16_64 3
		.amdhsa_dx10_clamp 1
		.amdhsa_ieee_mode 1
		.amdhsa_fp16_overflow 0
		.amdhsa_tg_split 0
		.amdhsa_exception_fp_ieee_invalid_op 0
		.amdhsa_exception_fp_denorm_src 0
		.amdhsa_exception_fp_ieee_div_zero 0
		.amdhsa_exception_fp_ieee_overflow 0
		.amdhsa_exception_fp_ieee_underflow 0
		.amdhsa_exception_fp_ieee_inexact 0
		.amdhsa_exception_int_div_zero 0
	.end_amdhsa_kernel
	.section	.text._Z19_skinny_gemm_kernelILi4ELi4ELi1ELi32ELi8EEvPKhS1_P6__halfPKfiiiiiiii,"axG",@progbits,_Z19_skinny_gemm_kernelILi4ELi4ELi1ELi32ELi8EEvPKhS1_P6__halfPKfiiiiiiii,comdat
.Lfunc_end361:
	.size	_Z19_skinny_gemm_kernelILi4ELi4ELi1ELi32ELi8EEvPKhS1_P6__halfPKfiiiiiiii, .Lfunc_end361-_Z19_skinny_gemm_kernelILi4ELi4ELi1ELi32ELi8EEvPKhS1_P6__halfPKfiiiiiiii
                                        ; -- End function
	.set _Z19_skinny_gemm_kernelILi4ELi4ELi1ELi32ELi8EEvPKhS1_P6__halfPKfiiiiiiii.num_vgpr, 128
	.set _Z19_skinny_gemm_kernelILi4ELi4ELi1ELi32ELi8EEvPKhS1_P6__halfPKfiiiiiiii.num_agpr, 0
	.set _Z19_skinny_gemm_kernelILi4ELi4ELi1ELi32ELi8EEvPKhS1_P6__halfPKfiiiiiiii.numbered_sgpr, 100
	.set _Z19_skinny_gemm_kernelILi4ELi4ELi1ELi32ELi8EEvPKhS1_P6__halfPKfiiiiiiii.num_named_barrier, 0
	.set _Z19_skinny_gemm_kernelILi4ELi4ELi1ELi32ELi8EEvPKhS1_P6__halfPKfiiiiiiii.private_seg_size, 0
	.set _Z19_skinny_gemm_kernelILi4ELi4ELi1ELi32ELi8EEvPKhS1_P6__halfPKfiiiiiiii.uses_vcc, 1
	.set _Z19_skinny_gemm_kernelILi4ELi4ELi1ELi32ELi8EEvPKhS1_P6__halfPKfiiiiiiii.uses_flat_scratch, 0
	.set _Z19_skinny_gemm_kernelILi4ELi4ELi1ELi32ELi8EEvPKhS1_P6__halfPKfiiiiiiii.has_dyn_sized_stack, 0
	.set _Z19_skinny_gemm_kernelILi4ELi4ELi1ELi32ELi8EEvPKhS1_P6__halfPKfiiiiiiii.has_recursion, 0
	.set _Z19_skinny_gemm_kernelILi4ELi4ELi1ELi32ELi8EEvPKhS1_P6__halfPKfiiiiiiii.has_indirect_call, 0
	.section	.AMDGPU.csdata,"",@progbits
; Kernel info:
; codeLenInByte = 14816
; TotalNumSgprs: 106
; NumVgprs: 128
; NumAgprs: 0
; TotalNumVgprs: 128
; ScratchSize: 0
; MemoryBound: 0
; FloatMode: 240
; IeeeMode: 1
; LDSByteSize: 32800 bytes/workgroup (compile time only)
; SGPRBlocks: 13
; VGPRBlocks: 15
; NumSGPRsForWavesPerEU: 106
; NumVGPRsForWavesPerEU: 128
; AccumOffset: 128
; Occupancy: 4
; WaveLimiterHint : 0
; COMPUTE_PGM_RSRC2:SCRATCH_EN: 0
; COMPUTE_PGM_RSRC2:USER_SGPR: 2
; COMPUTE_PGM_RSRC2:TRAP_HANDLER: 0
; COMPUTE_PGM_RSRC2:TGID_X_EN: 1
; COMPUTE_PGM_RSRC2:TGID_Y_EN: 0
; COMPUTE_PGM_RSRC2:TGID_Z_EN: 0
; COMPUTE_PGM_RSRC2:TIDIG_COMP_CNT: 0
; COMPUTE_PGM_RSRC3_GFX90A:ACCUM_OFFSET: 31
; COMPUTE_PGM_RSRC3_GFX90A:TG_SPLIT: 0
	.section	.text._Z19_skinny_gemm_kernelILi4ELi4ELi2ELi16ELi4EEvPKhS1_P6__halfPKfiiiiiiii,"axG",@progbits,_Z19_skinny_gemm_kernelILi4ELi4ELi2ELi16ELi4EEvPKhS1_P6__halfPKfiiiiiiii,comdat
	.protected	_Z19_skinny_gemm_kernelILi4ELi4ELi2ELi16ELi4EEvPKhS1_P6__halfPKfiiiiiiii ; -- Begin function _Z19_skinny_gemm_kernelILi4ELi4ELi2ELi16ELi4EEvPKhS1_P6__halfPKfiiiiiiii
	.globl	_Z19_skinny_gemm_kernelILi4ELi4ELi2ELi16ELi4EEvPKhS1_P6__halfPKfiiiiiiii
	.p2align	8
	.type	_Z19_skinny_gemm_kernelILi4ELi4ELi2ELi16ELi4EEvPKhS1_P6__halfPKfiiiiiiii,@function
_Z19_skinny_gemm_kernelILi4ELi4ELi2ELi16ELi4EEvPKhS1_P6__halfPKfiiiiiiii: ; @_Z19_skinny_gemm_kernelILi4ELi4ELi2ELi16ELi4EEvPKhS1_P6__halfPKfiiiiiiii
; %bb.0:
	v_cmp_gt_u32_e32 vcc, 16, v0
	v_lshlrev_b32_e32 v1, 2, v0
	s_and_saveexec_b64 s[4:5], vcc
; %bb.1:
	v_mov_b32_e32 v2, 0
	ds_write_b32 v1, v2 offset:32768
; %bb.2:
	s_or_b64 exec, exec, s[4:5]
	s_load_dwordx8 s[20:27], s[0:1], 0x20
	s_waitcnt lgkmcnt(0)
	s_barrier
	s_add_i32 s3, s20, 63
	s_ashr_i32 s5, s3, 31
	s_add_i32 s4, s21, 63
	s_lshr_b32 s5, s5, 26
	s_ashr_i32 s6, s4, 31
	s_add_i32 s3, s3, s5
	s_ashr_i32 s33, s3, 6
	s_lshr_b32 s3, s6, 26
	s_add_i32 s4, s4, s3
	s_ashr_i32 s52, s4, 6
	s_mul_i32 s3, s52, s33
	s_mul_i32 s3, s3, s24
	s_add_i32 s4, s3, 0x12f
	s_mul_hi_i32 s4, s4, 0x6bca1af3
	s_lshr_b32 s5, s4, 31
	s_ashr_i32 s4, s4, 7
	s_add_i32 s4, s4, s5
	s_add_i32 s5, s2, 1
	s_mul_i32 s5, s4, s5
	v_cvt_f64_i32_e32 v[2:3], s3
	v_cvt_f64_u32_e32 v[4:5], s5
	v_min_f64 v[2:3], v[2:3], v[4:5]
	v_cvt_i32_f64_e32 v65, v[2:3]
	s_mul_i32 s53, s4, s2
	v_cmp_ge_i32_e32 vcc, s53, v65
	s_cbranch_vccnz .LBB362_66
; %bb.3:
	v_lshrrev_b32_e32 v2, 6, v0
	s_add_i32 s4, s26, s25
	s_load_dwordx8 s[36:43], s[0:1], 0x0
	v_cmp_le_i32_e64 s[0:1], s4, v2
	v_mov_b32_e32 v3, s25
	v_cmp_le_i32_e64 s[2:3], s25, v2
	v_mov_b32_e32 v4, s26
	v_cndmask_b32_e64 v4, 0, v4, s[0:1]
	v_cndmask_b32_e64 v3, 0, v3, s[2:3]
	s_abs_i32 s5, s24
	v_add_u32_e32 v3, v3, v4
	v_cvt_f32_u32_e32 v4, s5
	v_sub_u32_e32 v80, v2, v3
	s_ashr_i32 s6, s22, 31
	s_lshr_b32 s6, s6, 25
	v_rcp_iflag_f32_e32 v3, v4
	s_sub_i32 s9, 0, s5
	s_add_i32 s6, s22, s6
	s_ashr_i32 s6, s6, 7
	v_mul_f32_e32 v3, 0x4f7ffffe, v3
	v_cvt_u32_f32_e32 v3, v3
	s_abs_i32 s8, s6
	s_xor_b32 s7, s6, s24
	s_ashr_i32 s7, s7, 31
	v_readfirstlane_b32 s10, v3
	s_mul_i32 s9, s9, s10
	s_mul_hi_u32 s9, s10, s9
	s_add_i32 s10, s10, s9
	s_mul_hi_u32 s9, s8, s10
	s_mul_i32 s10, s9, s5
	s_sub_i32 s8, s8, s10
	s_add_i32 s10, s9, 1
	s_sub_i32 s11, s8, s5
	s_cmp_ge_u32 s8, s5
	s_cselect_b32 s9, s10, s9
	s_cselect_b32 s8, s11, s8
	s_add_i32 s10, s9, 1
	s_cmp_ge_u32 s8, s5
	s_cselect_b32 s5, s10, s9
	s_xor_b32 s5, s5, s7
	s_sub_i32 s54, s5, s7
	s_add_i32 s24, s24, -1
	s_mul_i32 s5, s54, s24
	s_add_i32 s4, s4, s27
	s_sub_i32 s55, s6, s5
	v_cmp_gt_i32_e64 s[4:5], s4, v2
	v_lshlrev_b32_e32 v2, 1, v0
	v_lshlrev_b32_e32 v3, 4, v0
	v_and_b32_e32 v1, 60, v1
	v_and_b32_e32 v2, 64, v2
	;; [unrolled: 1-line block ×3, first 2 shown]
	v_or3_b32 v115, v1, v2, v4
	v_and_b32_e32 v1, 1, v0
	v_lshrrev_b32_e32 v4, 2, v0
	v_and_b32_e32 v64, 14, v0
	v_and_or_b32 v118, v4, 12, v1
	v_mad_u64_u32 v[66:67], s[6:7], s21, v118, v[64:65]
	s_lshl_b32 s6, s21, 4
	s_nop 0
	v_add_u32_e32 v68, s6, v66
	v_add_u32_e32 v4, s6, v68
	s_abs_i32 s56, s33
	v_ashrrev_i32_e32 v5, 31, v4
	v_and_b32_e32 v74, 48, v3
	v_cvt_f32_u32_e32 v3, s56
	scratch_store_dwordx2 off, v[4:5], off  ; 8-byte Folded Spill
	v_add_u32_e32 v4, s6, v4
	v_lshlrev_b32_e32 v2, 1, v1
	v_ashrrev_i32_e32 v5, 31, v4
	v_sub_u32_e32 v2, v0, v2
	v_bitop3_b32 v116, v0, 1, v0 bitop3:0xc
	v_bitop3_b32 v117, v0, 3, 1 bitop3:0x6c
	scratch_store_dwordx2 off, v[4:5], off offset:8 ; 8-byte Folded Spill
	v_bfe_u32 v119, v0, 2, 4
	v_and_b32_e32 v1, 60, v0
	v_lshlrev_b32_e32 v4, 8, v0
	v_lshlrev_b32_e32 v0, 6, v0
	v_and_b32_e32 v4, 0x200, v4
	v_rcp_iflag_f32_e32 v3, v3
	v_and_b32_e32 v0, 64, v0
	s_abs_i32 s58, s52
	v_or3_b32 v120, v1, v4, v0
	v_cvt_f32_u32_e32 v1, s58
	v_mul_f32_e32 v0, 0x4f7ffffe, v3
	v_cvt_u32_f32_e32 v0, v0
	s_sub_i32 s6, 0, s56
	v_rcp_iflag_f32_e32 v1, v1
	v_add_u32_e32 v2, 1, v2
	v_readfirstlane_b32 s7, v0
	s_mul_i32 s6, s6, s7
	v_mul_f32_e32 v0, 0x4f7ffffe, v1
	v_cvt_u32_f32_e32 v0, v0
	s_mul_hi_u32 s6, s7, s6
	s_add_i32 s60, s7, s6
	s_sub_i32 s6, 0, s58
	v_readfirstlane_b32 s7, v0
	v_mbcnt_lo_u32_b32 v0, -1, 0
	v_and_b32_e32 v2, 63, v2
	s_mul_i32 s6, s6, s7
	v_mbcnt_hi_u32_b32 v0, -1, v0
	v_mul_lo_u32 v76, s23, v119
	s_mul_hi_u32 s6, s7, s6
	v_and_or_b32 v0, v0, 64, v2
	v_cndmask_b32_e64 v114, 0, 1, s[0:1]
	s_ashr_i32 s29, s21, 31
	s_mov_b32 s28, s21
	v_ashrrev_i32_e32 v67, 31, v66
	v_ashrrev_i32_e32 v69, 31, v68
	;; [unrolled: 1-line block ×3, first 2 shown]
	v_mov_b32_e32 v75, 0
	s_lshl_b32 s57, s23, 4
	s_ashr_i32 s59, s33, 31
	s_ashr_i32 s61, s52, 31
	s_add_i32 s62, s7, s6
	s_mov_b64 s[30:31], 0x60
	v_lshlrev_b32_e32 v121, 2, v0
	v_mov_b32_e32 v122, v80
	s_branch .LBB362_7
.LBB362_4:                              ;   in Loop: Header=BB362_7 Depth=1
	s_or_b64 exec, exec, s[10:11]
.LBB362_5:                              ;   in Loop: Header=BB362_7 Depth=1
	s_or_b64 exec, exec, s[8:9]
	v_subrev_u32_e32 v122, s16, v122
.LBB362_6:                              ;   in Loop: Header=BB362_7 Depth=1
	s_or_b64 exec, exec, s[6:7]
	s_add_i32 s53, s53, 1
	v_cmp_ge_i32_e32 vcc, s53, v65
	s_cbranch_vccnz .LBB362_66
.LBB362_7:                              ; =>This Loop Header: Depth=1
                                        ;     Child Loop BB362_13 Depth 2
                                        ;       Child Loop BB362_15 Depth 3
                                        ;       Child Loop BB362_18 Depth 3
	;; [unrolled: 1-line block ×8, first 2 shown]
                                        ;     Child Loop BB362_53 Depth 2
                                        ;       Child Loop BB362_55 Depth 3
                                        ;     Child Loop BB362_63 Depth 2
                                        ;       Child Loop BB362_65 Depth 3
	s_abs_i32 s7, s53
	s_mul_hi_u32 s8, s7, s60
	s_mul_i32 s9, s8, s56
	s_ashr_i32 s6, s53, 31
	s_sub_i32 s7, s7, s9
	s_xor_b32 s6, s6, s59
	s_add_i32 s9, s8, 1
	s_sub_i32 s10, s7, s56
	s_cmp_ge_u32 s7, s56
	s_cselect_b32 s8, s9, s8
	s_cselect_b32 s7, s10, s7
	s_add_i32 s9, s8, 1
	s_cmp_ge_u32 s7, s56
	s_cselect_b32 s7, s9, s8
	s_xor_b32 s7, s7, s6
	s_sub_i32 s6, s7, s6
	s_abs_i32 s8, s6
	s_mul_i32 s7, s6, s33
	s_mul_hi_u32 s9, s8, s62
	s_sub_i32 s7, s53, s7
	s_mul_i32 s10, s9, s58
	s_lshl_b32 s63, s7, 6
	s_ashr_i32 s7, s6, 31
	s_sub_i32 s8, s8, s10
	s_xor_b32 s7, s7, s61
	s_add_i32 s10, s9, 1
	s_sub_i32 s11, s8, s58
	s_cmp_ge_u32 s8, s58
	s_cselect_b32 s9, s10, s9
	s_cselect_b32 s8, s11, s8
	s_add_i32 s10, s9, 1
	s_cmp_ge_u32 s8, s58
	s_cselect_b32 s8, s10, s9
	s_xor_b32 s8, s8, s7
	s_sub_i32 s7, s8, s7
	s_mul_i32 s8, s7, s54
	s_lshl_b32 s64, s8, 7
	s_cmp_eq_u32 s7, s24
	s_cselect_b32 s66, s55, s54
	s_sub_i32 s8, s63, s20
	s_add_i32 s8, s8, 64
	s_max_i32 s65, s8, 0
	s_and_saveexec_b64 s[8:9], s[2:3]
	s_xor_b64 s[34:35], exec, s[8:9]
	s_cbranch_execz .LBB362_59
; %bb.8:                                ;   in Loop: Header=BB362_7 Depth=1
	s_mul_i32 s7, s7, s52
	s_sub_i32 s6, s6, s7
	s_lshl_b32 s6, s6, 6
	s_sub_i32 s45, s6, s21
	s_add_i32 s45, s45, 64
	s_max_i32 s7, s45, 0
	s_sub_i32 s44, s6, s7
	s_and_saveexec_b64 s[6:7], s[0:1]
	s_xor_b64 s[46:47], exec, s[6:7]
	s_cbranch_execz .LBB362_49
; %bb.9:                                ;   in Loop: Header=BB362_7 Depth=1
	s_and_saveexec_b64 s[48:49], s[4:5]
	s_cbranch_execz .LBB362_48
; %bb.10:                               ;   in Loop: Header=BB362_7 Depth=1
	s_waitcnt lgkmcnt(0)
	global_load_dword v123, v75, s[42:43]
	v_mov_b32_e32 v63, 0
	v_cmp_gt_i32_e32 vcc, s66, v122
	v_mov_b32_e32 v62, v63
	v_mov_b32_e32 v61, v63
	;; [unrolled: 1-line block ×63, first 2 shown]
	s_and_saveexec_b64 s[6:7], vcc
	s_cbranch_execz .LBB362_38
; %bb.11:                               ;   in Loop: Header=BB362_7 Depth=1
	v_mov_b32_e32 v8, 0
	s_mov_b64 s[8:9], 0
	v_mov_b32_e32 v9, v8
	v_mov_b32_e32 v10, v8
	;; [unrolled: 1-line block ×63, first 2 shown]
	s_branch .LBB362_13
.LBB362_12:                             ;   in Loop: Header=BB362_13 Depth=2
	s_or_b64 exec, exec, s[10:11]
	v_add_u32_e32 v72, 0x1800, v127
	ds_read2_b32 v[70:71], v72 offset1:32
	ds_read2_b32 v[72:73], v72 offset0:128 offset1:160
	v_add_u32_e32 v104, 0x1c00, v127
	v_add_u32_e32 v122, s27, v122
	s_waitcnt lgkmcnt(1)
	v_mfma_f32_16x16x32_fp8_fp8 v[48:51], v[78:79], v[70:71], v[48:51]
	ds_read2_b32 v[78:79], v104 offset1:32
	v_mfma_f32_16x16x32_fp8_fp8 v[32:35], v[86:87], v[70:71], v[32:35]
	v_mfma_f32_16x16x32_fp8_fp8 v[16:19], v[94:95], v[70:71], v[16:19]
	;; [unrolled: 1-line block ×3, first 2 shown]
	v_add_u32_e32 v70, 2, v114
	s_waitcnt lgkmcnt(1)
	v_mfma_f32_16x16x32_fp8_fp8 v[48:51], v[80:81], v[72:73], v[48:51]
	v_add_u32_e32 v80, s27, v124
	v_cmp_lt_i32_e32 vcc, 1, v80
	v_mfma_f32_16x16x32_fp8_fp8 v[32:35], v[88:89], v[72:73], v[32:35]
	s_nop 0
	v_cndmask_b32_e32 v114, v114, v70, vcc
	v_cmp_le_i32_e32 vcc, s66, v122
	s_or_b64 s[8:9], vcc, s[8:9]
	v_mfma_f32_16x16x32_fp8_fp8 v[16:19], v[96:97], v[72:73], v[16:19]
	v_mfma_f32_16x16x32_fp8_fp8 v[8:11], v[112:113], v[72:73], v[8:11]
	s_waitcnt lgkmcnt(0)
	v_mfma_f32_16x16x32_fp8_fp8 v[48:51], v[82:83], v[78:79], v[48:51]
	ds_read2_b32 v[82:83], v104 offset0:128 offset1:160
	;;#ASMSTART
	s_waitcnt lgkmcnt(0)
	;;#ASMEND
	ds_write_b32 v125, v126 offset:32812
	v_mfma_f32_16x16x32_fp8_fp8 v[32:35], v[90:91], v[78:79], v[32:35]
	v_mfma_f32_16x16x32_fp8_fp8 v[16:19], v[98:99], v[78:79], v[16:19]
	;; [unrolled: 1-line block ×3, first 2 shown]
	s_waitcnt lgkmcnt(1)
	v_mfma_f32_16x16x32_fp8_fp8 v[48:51], v[84:85], v[82:83], v[48:51]
	v_mfma_f32_16x16x32_fp8_fp8 v[32:35], v[92:93], v[82:83], v[32:35]
	;; [unrolled: 1-line block ×4, first 2 shown]
	s_andn2_b64 exec, exec, s[8:9]
	s_cbranch_execz .LBB362_37
.LBB362_13:                             ;   Parent Loop BB362_7 Depth=1
                                        ; =>  This Loop Header: Depth=2
                                        ;       Child Loop BB362_15 Depth 3
                                        ;       Child Loop BB362_18 Depth 3
                                        ;       Child Loop BB362_21 Depth 3
                                        ;       Child Loop BB362_24 Depth 3
                                        ;       Child Loop BB362_27 Depth 3
                                        ;       Child Loop BB362_30 Depth 3
                                        ;       Child Loop BB362_33 Depth 3
                                        ;       Child Loop BB362_36 Depth 3
	v_cmp_gt_i32_e32 vcc, 2, v80
	s_nop 1
	v_cndmask_b32_e64 v70, -2, 0, vcc
	v_add_u32_e32 v124, v70, v80
	v_lshlrev_b32_e32 v125, 4, v124
	ds_read_b32 v70, v125 offset:32800
	s_waitcnt lgkmcnt(0)
	v_cmp_ne_u32_e32 vcc, v70, v114
	s_and_saveexec_b64 s[10:11], vcc
	s_cbranch_execz .LBB362_16
; %bb.14:                               ;   in Loop: Header=BB362_13 Depth=2
	s_mov_b64 s[12:13], 0
.LBB362_15:                             ;   Parent Loop BB362_7 Depth=1
                                        ;     Parent Loop BB362_13 Depth=2
                                        ; =>    This Inner Loop Header: Depth=3
	;;#ASMSTART
	s_sleep 0
	;;#ASMEND
	ds_read_b32 v70, v125 offset:32800
	s_waitcnt lgkmcnt(0)
	v_cmp_eq_u32_e32 vcc, v70, v114
	s_or_b64 s[12:13], vcc, s[12:13]
	s_andn2_b64 exec, exec, s[12:13]
	s_cbranch_execnz .LBB362_15
.LBB362_16:                             ;   in Loop: Header=BB362_13 Depth=2
	s_or_b64 exec, exec, s[10:11]
	v_lshlrev_b32_e32 v72, 13, v124
	v_or_b32_e32 v70, 0x4000, v115
	v_add_u32_e32 v127, v70, v72
	v_add_u32_e32 v70, 0x400, v127
	ds_read2_b32 v[106:107], v127 offset1:32
	ds_read2_b32 v[102:103], v127 offset0:128 offset1:160
	ds_read2_b32 v[108:109], v70 offset1:32
	ds_read2_b32 v[104:105], v70 offset0:128 offset1:160
	;;#ASMSTART
	s_waitcnt lgkmcnt(0)
	;;#ASMEND
	ds_read_b32 v70, v125 offset:32768
	v_add_u32_e32 v126, 1, v114
	ds_write_b32 v125, v126 offset:32800
	s_waitcnt lgkmcnt(1)
	v_cmp_ne_u32_e32 vcc, v70, v114
	s_and_saveexec_b64 s[10:11], vcc
	s_cbranch_execz .LBB362_19
; %bb.17:                               ;   in Loop: Header=BB362_13 Depth=2
	s_mov_b64 s[12:13], 0
.LBB362_18:                             ;   Parent Loop BB362_7 Depth=1
                                        ;     Parent Loop BB362_13 Depth=2
                                        ; =>    This Inner Loop Header: Depth=3
	;;#ASMSTART
	s_sleep 0
	;;#ASMEND
	ds_read_b32 v70, v125 offset:32768
	s_waitcnt lgkmcnt(0)
	v_cmp_eq_u32_e32 vcc, v70, v114
	s_or_b64 s[12:13], vcc, s[12:13]
	s_andn2_b64 exec, exec, s[12:13]
	s_cbranch_execnz .LBB362_18
.LBB362_19:                             ;   in Loop: Header=BB362_13 Depth=2
	s_or_b64 exec, exec, s[10:11]
	v_add_u32_e32 v72, v115, v72
	ds_read2_b32 v[78:79], v72 offset1:32
	ds_read2_b32 v[80:81], v72 offset0:128 offset1:160
	v_add_u32_e32 v70, 0x400, v72
	ds_read2_b32 v[82:83], v70 offset1:32
	ds_read2_b32 v[84:85], v70 offset0:128 offset1:160
	ds_read_b32 v70, v125 offset:32772
	ds_write_b32 v125, v126 offset:32768
	s_waitcnt lgkmcnt(5)
	v_mfma_f32_16x16x32_fp8_fp8 v[60:63], v[78:79], v[106:107], v[60:63]
	s_waitcnt lgkmcnt(1)
	v_cmp_ne_u32_e32 vcc, v70, v114
	v_mfma_f32_16x16x32_fp8_fp8 v[60:63], v[80:81], v[102:103], v[60:63]
	v_mfma_f32_16x16x32_fp8_fp8 v[60:63], v[82:83], v[108:109], v[60:63]
	;; [unrolled: 1-line block ×3, first 2 shown]
	s_and_saveexec_b64 s[10:11], vcc
	s_cbranch_execz .LBB362_22
; %bb.20:                               ;   in Loop: Header=BB362_13 Depth=2
	s_mov_b64 s[12:13], 0
.LBB362_21:                             ;   Parent Loop BB362_7 Depth=1
                                        ;     Parent Loop BB362_13 Depth=2
                                        ; =>    This Inner Loop Header: Depth=3
	;;#ASMSTART
	s_sleep 0
	;;#ASMEND
	ds_read_b32 v70, v125 offset:32772
	s_waitcnt lgkmcnt(0)
	v_cmp_eq_u32_e32 vcc, v70, v114
	s_or_b64 s[12:13], vcc, s[12:13]
	s_andn2_b64 exec, exec, s[12:13]
	s_cbranch_execnz .LBB362_21
.LBB362_22:                             ;   in Loop: Header=BB362_13 Depth=2
	s_or_b64 exec, exec, s[10:11]
	v_add_u32_e32 v70, 0x800, v72
	ds_read2_b32 v[86:87], v70 offset1:32
	ds_read2_b32 v[88:89], v70 offset0:128 offset1:160
	v_add_u32_e32 v70, 0xc00, v72
	ds_read2_b32 v[90:91], v70 offset1:32
	ds_read2_b32 v[92:93], v70 offset0:128 offset1:160
	ds_read_b32 v70, v125 offset:32776
	ds_write_b32 v125, v126 offset:32772
	s_waitcnt lgkmcnt(5)
	v_mfma_f32_16x16x32_fp8_fp8 v[44:47], v[86:87], v[106:107], v[44:47]
	s_waitcnt lgkmcnt(1)
	v_cmp_ne_u32_e32 vcc, v70, v114
	v_mfma_f32_16x16x32_fp8_fp8 v[44:47], v[88:89], v[102:103], v[44:47]
	v_mfma_f32_16x16x32_fp8_fp8 v[44:47], v[90:91], v[108:109], v[44:47]
	;; [unrolled: 1-line block ×3, first 2 shown]
	s_and_saveexec_b64 s[10:11], vcc
	s_cbranch_execz .LBB362_25
; %bb.23:                               ;   in Loop: Header=BB362_13 Depth=2
	s_mov_b64 s[12:13], 0
.LBB362_24:                             ;   Parent Loop BB362_7 Depth=1
                                        ;     Parent Loop BB362_13 Depth=2
                                        ; =>    This Inner Loop Header: Depth=3
	;;#ASMSTART
	s_sleep 0
	;;#ASMEND
	ds_read_b32 v70, v125 offset:32776
	s_waitcnt lgkmcnt(0)
	v_cmp_eq_u32_e32 vcc, v70, v114
	s_or_b64 s[12:13], vcc, s[12:13]
	s_andn2_b64 exec, exec, s[12:13]
	s_cbranch_execnz .LBB362_24
.LBB362_25:                             ;   in Loop: Header=BB362_13 Depth=2
	s_or_b64 exec, exec, s[10:11]
	v_add_u32_e32 v70, 0x1000, v72
	ds_read2_b32 v[94:95], v70 offset1:32
	ds_read2_b32 v[96:97], v70 offset0:128 offset1:160
	v_add_u32_e32 v70, 0x1400, v72
	ds_read2_b32 v[98:99], v70 offset1:32
	ds_read2_b32 v[100:101], v70 offset0:128 offset1:160
	ds_read_b32 v70, v125 offset:32780
	s_waitcnt lgkmcnt(4)
	v_mfma_f32_16x16x32_fp8_fp8 v[28:31], v[94:95], v[106:107], v[28:31]
	ds_write_b32 v125, v126 offset:32776
	s_waitcnt lgkmcnt(1)
	v_cmp_ne_u32_e32 vcc, v70, v114
	v_mfma_f32_16x16x32_fp8_fp8 v[28:31], v[96:97], v[102:103], v[28:31]
	v_mfma_f32_16x16x32_fp8_fp8 v[28:31], v[98:99], v[108:109], v[28:31]
	;; [unrolled: 1-line block ×3, first 2 shown]
	s_and_saveexec_b64 s[10:11], vcc
	s_cbranch_execz .LBB362_28
; %bb.26:                               ;   in Loop: Header=BB362_13 Depth=2
	s_mov_b64 s[12:13], 0
.LBB362_27:                             ;   Parent Loop BB362_7 Depth=1
                                        ;     Parent Loop BB362_13 Depth=2
                                        ; =>    This Inner Loop Header: Depth=3
	;;#ASMSTART
	s_sleep 0
	;;#ASMEND
	ds_read_b32 v70, v125 offset:32780
	s_waitcnt lgkmcnt(0)
	v_cmp_eq_u32_e32 vcc, v70, v114
	s_or_b64 s[12:13], vcc, s[12:13]
	s_andn2_b64 exec, exec, s[12:13]
	s_cbranch_execnz .LBB362_27
.LBB362_28:                             ;   in Loop: Header=BB362_13 Depth=2
	s_or_b64 exec, exec, s[10:11]
	v_add_u32_e32 v70, 0x1800, v72
	ds_read2_b32 v[110:111], v70 offset1:32
	ds_read2_b32 v[112:113], v70 offset0:128 offset1:160
	v_add_u32_e32 v70, 0x1c00, v72
	s_waitcnt lgkmcnt(1)
	v_mfma_f32_16x16x32_fp8_fp8 v[12:15], v[110:111], v[106:107], v[12:15]
	ds_read2_b32 v[106:107], v70 offset1:32
	s_waitcnt lgkmcnt(1)
	v_mfma_f32_16x16x32_fp8_fp8 v[12:15], v[112:113], v[102:103], v[12:15]
	ds_read2_b32 v[102:103], v70 offset0:128 offset1:160
	ds_read_b32 v70, v125 offset:32804
	ds_write_b32 v125, v126 offset:32780
	s_waitcnt lgkmcnt(1)
	v_cmp_ne_u32_e32 vcc, v70, v114
	v_mfma_f32_16x16x32_fp8_fp8 v[12:15], v[106:107], v[108:109], v[12:15]
	v_mfma_f32_16x16x32_fp8_fp8 v[12:15], v[102:103], v[104:105], v[12:15]
	s_and_saveexec_b64 s[10:11], vcc
	s_cbranch_execz .LBB362_31
; %bb.29:                               ;   in Loop: Header=BB362_13 Depth=2
	s_mov_b64 s[12:13], 0
.LBB362_30:                             ;   Parent Loop BB362_7 Depth=1
                                        ;     Parent Loop BB362_13 Depth=2
                                        ; =>    This Inner Loop Header: Depth=3
	;;#ASMSTART
	s_sleep 0
	;;#ASMEND
	ds_read_b32 v70, v125 offset:32804
	s_waitcnt lgkmcnt(0)
	v_cmp_eq_u32_e32 vcc, v70, v114
	s_or_b64 s[12:13], vcc, s[12:13]
	s_andn2_b64 exec, exec, s[12:13]
	s_cbranch_execnz .LBB362_30
.LBB362_31:                             ;   in Loop: Header=BB362_13 Depth=2
	s_or_b64 exec, exec, s[10:11]
	v_add_u32_e32 v70, 0x800, v127
	ds_read2_b32 v[72:73], v70 offset1:32
	ds_read2_b32 v[104:105], v70 offset0:128 offset1:160
	v_add_u32_e32 v70, 0xc00, v127
	ds_read2_b32 v[108:109], v70 offset1:32
	ds_read2_b32 v[70:71], v70 offset0:128 offset1:160
	s_waitcnt lgkmcnt(3)
	v_mfma_f32_16x16x32_fp8_fp8 v[56:59], v[78:79], v[72:73], v[56:59]
	;;#ASMSTART
	s_waitcnt lgkmcnt(0)
	;;#ASMEND
	ds_write_b32 v125, v126 offset:32804
	v_mfma_f32_16x16x32_fp8_fp8 v[40:43], v[86:87], v[72:73], v[40:43]
	v_mfma_f32_16x16x32_fp8_fp8 v[24:27], v[94:95], v[72:73], v[24:27]
	;; [unrolled: 1-line block ×3, first 2 shown]
	ds_read_b32 v72, v125 offset:32808
	s_waitcnt lgkmcnt(0)
	v_cmp_ne_u32_e32 vcc, v72, v114
	v_mfma_f32_16x16x32_fp8_fp8 v[56:59], v[80:81], v[104:105], v[56:59]
	v_mfma_f32_16x16x32_fp8_fp8 v[40:43], v[88:89], v[104:105], v[40:43]
	;; [unrolled: 1-line block ×12, first 2 shown]
	s_and_saveexec_b64 s[10:11], vcc
	s_cbranch_execz .LBB362_34
; %bb.32:                               ;   in Loop: Header=BB362_13 Depth=2
	s_mov_b64 s[12:13], 0
.LBB362_33:                             ;   Parent Loop BB362_7 Depth=1
                                        ;     Parent Loop BB362_13 Depth=2
                                        ; =>    This Inner Loop Header: Depth=3
	;;#ASMSTART
	s_sleep 0
	;;#ASMEND
	ds_read_b32 v70, v125 offset:32808
	s_waitcnt lgkmcnt(0)
	v_cmp_eq_u32_e32 vcc, v70, v114
	s_or_b64 s[12:13], vcc, s[12:13]
	s_andn2_b64 exec, exec, s[12:13]
	s_cbranch_execnz .LBB362_33
.LBB362_34:                             ;   in Loop: Header=BB362_13 Depth=2
	s_or_b64 exec, exec, s[10:11]
	v_add_u32_e32 v72, 0x1000, v127
	ds_read2_b32 v[70:71], v72 offset1:32
	ds_read2_b32 v[72:73], v72 offset0:128 offset1:160
	v_add_u32_e32 v108, 0x1400, v127
	ds_read2_b32 v[104:105], v108 offset1:32
	ds_read2_b32 v[108:109], v108 offset0:128 offset1:160
	s_waitcnt lgkmcnt(3)
	v_mfma_f32_16x16x32_fp8_fp8 v[52:55], v[78:79], v[70:71], v[52:55]
	;;#ASMSTART
	s_waitcnt lgkmcnt(0)
	;;#ASMEND
	ds_write_b32 v125, v126 offset:32808
	v_mfma_f32_16x16x32_fp8_fp8 v[36:39], v[86:87], v[70:71], v[36:39]
	v_mfma_f32_16x16x32_fp8_fp8 v[20:23], v[94:95], v[70:71], v[20:23]
	;; [unrolled: 1-line block ×3, first 2 shown]
	ds_read_b32 v70, v125 offset:32812
	s_waitcnt lgkmcnt(0)
	v_cmp_ne_u32_e32 vcc, v70, v114
	v_mfma_f32_16x16x32_fp8_fp8 v[52:55], v[80:81], v[72:73], v[52:55]
	v_mfma_f32_16x16x32_fp8_fp8 v[36:39], v[88:89], v[72:73], v[36:39]
	;; [unrolled: 1-line block ×12, first 2 shown]
	s_and_saveexec_b64 s[10:11], vcc
	s_cbranch_execz .LBB362_12
; %bb.35:                               ;   in Loop: Header=BB362_13 Depth=2
	s_mov_b64 s[12:13], 0
.LBB362_36:                             ;   Parent Loop BB362_7 Depth=1
                                        ;     Parent Loop BB362_13 Depth=2
                                        ; =>    This Inner Loop Header: Depth=3
	;;#ASMSTART
	s_sleep 0
	;;#ASMEND
	ds_read_b32 v70, v125 offset:32812
	s_waitcnt lgkmcnt(0)
	v_cmp_eq_u32_e32 vcc, v70, v114
	s_or_b64 s[12:13], vcc, s[12:13]
	s_andn2_b64 exec, exec, s[12:13]
	s_cbranch_execnz .LBB362_36
	s_branch .LBB362_12
.LBB362_37:                             ;   in Loop: Header=BB362_7 Depth=1
	s_or_b64 exec, exec, s[8:9]
.LBB362_38:                             ;   in Loop: Header=BB362_7 Depth=1
	s_or_b64 exec, exec, s[6:7]
	v_cmp_le_i32_e32 vcc, s45, v64
	v_cmp_eq_u32_e64 s[6:7], 2, v116
	v_cmp_eq_u32_e64 s[8:9], 3, v116
	s_waitcnt vmcnt(0)
	v_cndmask_b32_e32 v78, 0, v123, vcc
	v_pk_mul_f32 v[60:61], v[78:79], v[60:61] op_sel_hi:[0,1]
	v_cmp_eq_u32_e32 vcc, 1, v116
	v_pk_mul_f32 v[70:71], v[78:79], v[62:63] op_sel_hi:[0,1]
	v_cmp_eq_u32_e64 s[10:11], 0, v116
	v_cndmask_b32_e32 v62, v60, v61, vcc
	v_cndmask_b32_e64 v62, v62, v70, s[6:7]
	v_cndmask_b32_e64 v62, v62, v71, s[8:9]
	ds_bpermute_b32 v72, v121, v62
	v_cmp_eq_u32_e64 s[12:13], 1, v117
	v_cmp_eq_u32_e64 s[16:17], 3, v117
	s_waitcnt lgkmcnt(0)
	v_cndmask_b32_e64 v79, v60, v72, s[10:11]
	v_or_b32_e32 v60, 16, v64
	v_cmp_le_i32_e64 s[14:15], s45, v60
	v_cndmask_b32_e32 v61, v61, v72, vcc
	v_cndmask_b32_e64 v62, v71, v72, s[8:9]
	v_cndmask_b32_e64 v60, 0, v123, s[14:15]
	v_pk_mul_f32 v[56:57], v[60:61], v[56:57] op_sel_hi:[0,1]
	v_cndmask_b32_e64 v63, v70, v72, s[6:7]
	v_pk_mul_f32 v[70:71], v[60:61], v[58:59] op_sel_hi:[0,1]
	v_cndmask_b32_e32 v58, v56, v57, vcc
	v_cndmask_b32_e64 v58, v58, v70, s[6:7]
	v_cndmask_b32_e64 v58, v58, v71, s[8:9]
	ds_bpermute_b32 v73, v121, v58
	v_cndmask_b32_e64 v72, v79, v61, s[12:13]
	v_cmp_eq_u32_e64 s[14:15], 2, v117
	s_waitcnt lgkmcnt(0)
	v_cndmask_b32_e64 v83, v56, v73, s[10:11]
	v_or_b32_e32 v56, 32, v64
	v_cmp_le_i32_e64 s[18:19], s45, v56
	v_cndmask_b32_e32 v57, v57, v73, vcc
	v_cndmask_b32_e64 v58, v72, v63, s[14:15]
	v_cndmask_b32_e64 v56, 0, v123, s[18:19]
	v_pk_mul_f32 v[52:53], v[56:57], v[52:53] op_sel_hi:[0,1]
	v_cndmask_b32_e64 v59, v71, v73, s[8:9]
	v_cndmask_b32_e64 v72, v70, v73, s[6:7]
	v_pk_mul_f32 v[70:71], v[56:57], v[54:55] op_sel_hi:[0,1]
	v_cndmask_b32_e32 v54, v52, v53, vcc
	v_cndmask_b32_e64 v54, v54, v70, s[6:7]
	v_cndmask_b32_e64 v54, v54, v71, s[8:9]
	ds_bpermute_b32 v81, v121, v54
	v_cndmask_b32_e64 v54, v83, v57, s[12:13]
	v_cndmask_b32_e64 v54, v54, v72, s[14:15]
	;; [unrolled: 1-line block ×4, first 2 shown]
	s_waitcnt lgkmcnt(0)
	v_cndmask_b32_e64 v85, v52, v81, s[10:11]
	v_or_b32_e32 v52, 48, v64
	v_cmp_le_i32_e64 s[18:19], s45, v52
	v_cndmask_b32_e64 v55, v71, v81, s[8:9]
	v_cndmask_b32_e64 v73, v70, v81, s[6:7]
	;; [unrolled: 1-line block ×3, first 2 shown]
	v_pk_mul_f32 v[86:87], v[52:53], v[48:49] op_sel_hi:[0,1]
	v_pk_mul_f32 v[70:71], v[52:53], v[50:51] op_sel_hi:[0,1]
	v_cndmask_b32_e32 v48, v86, v87, vcc
	v_cndmask_b32_e64 v48, v48, v70, s[6:7]
	v_cndmask_b32_e64 v48, v48, v71, s[8:9]
	ds_bpermute_b32 v49, v121, v48
	v_cndmask_b32_e32 v84, v53, v81, vcc
	v_cndmask_b32_e64 v48, v85, v84, s[12:13]
	v_cndmask_b32_e64 v48, v48, v73, s[14:15]
	;; [unrolled: 1-line block ×3, first 2 shown]
	v_cmp_ne_u32_e32 vcc, 0, v116
	ds_bpermute_b32 v81, v121, v48
	s_waitcnt lgkmcnt(1)
	v_cndmask_b32_e64 v50, v71, v49, s[8:9]
	v_cndmask_b32_e64 v51, v70, v49, s[6:7]
	v_cndmask_b32_e32 v48, v87, v49, vcc
	v_cndmask_b32_e64 v49, v86, v49, s[10:11]
	v_cndmask_b32_e64 v53, v49, v48, s[12:13]
	;; [unrolled: 1-line block ×4, first 2 shown]
	ds_bpermute_b32 v58, v121, v58
	ds_bpermute_b32 v54, v121, v54
	;; [unrolled: 1-line block ×3, first 2 shown]
	v_add_u32_e32 v53, s65, v118
	v_cmp_gt_u32_e32 vcc, 64, v53
	s_and_saveexec_b64 s[18:19], vcc
	s_cbranch_execz .LBB362_47
; %bb.39:                               ;   in Loop: Header=BB362_7 Depth=1
	v_cmp_eq_u32_e64 s[8:9], 1, v117
	v_cmp_eq_u32_e64 s[10:11], 0, v117
	v_cmp_eq_u32_e32 vcc, 3, v117
	s_waitcnt lgkmcnt(2)
	v_cndmask_b32_e64 v61, v61, v58, s[8:9]
	v_cndmask_b32_e64 v70, v79, v58, s[10:11]
	s_waitcnt lgkmcnt(1)
	v_cndmask_b32_e64 v57, v57, v54, s[8:9]
	v_cndmask_b32_e64 v79, v84, v81, s[8:9]
	s_waitcnt lgkmcnt(0)
	v_cndmask_b32_e64 v84, v48, v82, s[8:9]
	s_mul_i32 s8, s63, s21
	s_ashr_i32 s9, s8, 31
	s_lshl_b64 s[8:9], s[8:9], 1
	v_cndmask_b32_e64 v71, v83, v54, s[10:11]
	v_cndmask_b32_e64 v83, v85, v81, s[10:11]
	;; [unrolled: 1-line block ×3, first 2 shown]
	s_add_u32 s10, s40, s8
	s_addc_u32 s11, s41, s9
	s_ashr_i32 s45, s44, 31
	v_cvt_f16_f32_e32 v70, v70
	v_cvt_f16_f32_sdwa v61, v61 dst_sel:WORD_1 dst_unused:UNUSED_PAD src0_sel:DWORD
	v_cvt_f16_f32_e32 v86, v71
	v_cvt_f16_f32_sdwa v57, v57 dst_sel:WORD_1 dst_unused:UNUSED_PAD src0_sel:DWORD
	s_lshl_b64 s[8:9], s[44:45], 1
	s_add_u32 s50, s10, s8
	s_addc_u32 s51, s11, s9
	v_lshl_add_u64 v[48:49], v[66:67], 1, s[50:51]
	v_or_b32_e32 v61, v61, v70
	v_or_b32_e32 v57, v57, v86
	;;#ASMSTART
	global_atomic_pk_add_f16 v[48:49], v61, off
	
	;;#ASMEND
	v_lshl_add_u64 v[70:71], v[48:49], 0, 32
	;;#ASMSTART
	global_atomic_pk_add_f16 v[70:71], v57, off
	
	;;#ASMEND
	v_cvt_f16_f32_e32 v57, v83
	v_cvt_f16_f32_sdwa v61, v79 dst_sel:WORD_1 dst_unused:UNUSED_PAD src0_sel:DWORD
	v_cvt_f16_f32_e32 v79, v85
	v_cvt_f16_f32_sdwa v83, v84 dst_sel:WORD_1 dst_unused:UNUSED_PAD src0_sel:DWORD
	v_cmp_eq_u32_e64 s[6:7], 2, v117
	v_lshl_add_u64 v[70:71], v[48:49], 0, 64
	v_or_b32_e32 v57, v61, v57
	v_cmp_gt_u32_e64 s[8:9], 62, v53
	;;#ASMSTART
	global_atomic_pk_add_f16 v[70:71], v57, off
	
	;;#ASMEND
	v_lshl_add_u64 v[70:71], v[48:49], 0, s[30:31]
	v_or_b32_e32 v57, v83, v79
	;;#ASMSTART
	global_atomic_pk_add_f16 v[70:71], v57, off
	
	;;#ASMEND
	s_and_b64 exec, exec, s[8:9]
	s_cbranch_execz .LBB362_47
; %bb.40:                               ;   in Loop: Header=BB362_7 Depth=1
	v_cndmask_b32_e32 v62, v62, v58, vcc
	v_cndmask_b32_e64 v58, v63, v58, s[6:7]
	v_cvt_f16_f32_e32 v58, v58
	v_cvt_f16_f32_sdwa v62, v62 dst_sel:WORD_1 dst_unused:UNUSED_PAD src0_sel:DWORD
	v_cndmask_b32_e32 v59, v59, v54, vcc
	v_cndmask_b32_e64 v54, v72, v54, s[6:7]
	v_cndmask_b32_e32 v55, v55, v81, vcc
	v_cndmask_b32_e64 v63, v73, v81, s[6:7]
	v_cndmask_b32_e32 v70, v50, v82, vcc
	v_or_b32_e32 v50, v62, v58
	v_cvt_f16_f32_e32 v54, v54
	v_cvt_f16_f32_sdwa v58, v59 dst_sel:WORD_1 dst_unused:UNUSED_PAD src0_sel:DWORD
	v_cvt_f16_f32_e32 v59, v63
	v_cvt_f16_f32_sdwa v55, v55 dst_sel:WORD_1 dst_unused:UNUSED_PAD src0_sel:DWORD
	v_lshl_add_u64 v[48:49], s[28:29], 2, v[48:49]
	v_or_b32_e32 v54, v58, v54
	v_mov_b32_e32 v79, v78
	v_cndmask_b32_e64 v71, v51, v82, s[6:7]
	;;#ASMSTART
	global_atomic_pk_add_f16 v[48:49], v50, off
	
	;;#ASMEND
	v_lshl_add_u64 v[50:51], v[48:49], 0, 32
	;;#ASMSTART
	global_atomic_pk_add_f16 v[50:51], v54, off
	
	;;#ASMEND
	v_or_b32_e32 v58, v55, v59
	v_mov_b32_e32 v54, v78
	v_mov_b32_e32 v55, v78
	v_pk_mul_f32 v[46:47], v[54:55], v[46:47]
	v_pk_mul_f32 v[54:55], v[78:79], v[44:45]
	v_cmp_eq_u32_e32 vcc, 1, v116
	v_mov_b32_e32 v61, v60
	v_lshl_add_u64 v[50:51], v[48:49], 0, 64
	v_cndmask_b32_e32 v44, v54, v55, vcc
	v_cmp_eq_u32_e64 s[6:7], 2, v116
	;;#ASMSTART
	global_atomic_pk_add_f16 v[50:51], v58, off
	
	;;#ASMEND
	v_lshl_add_u64 v[58:59], v[48:49], 0, s[30:31]
	v_mov_b32_e32 v48, v60
	v_mov_b32_e32 v49, v60
	v_cndmask_b32_e64 v44, v44, v46, s[6:7]
	v_cmp_eq_u32_e64 s[8:9], 3, v116
	v_pk_mul_f32 v[42:43], v[48:49], v[42:43]
	v_pk_mul_f32 v[48:49], v[60:61], v[40:41]
	v_cndmask_b32_e64 v44, v44, v47, s[8:9]
	v_cndmask_b32_e32 v40, v48, v49, vcc
	ds_bpermute_b32 v62, v121, v44
	v_cndmask_b32_e64 v40, v40, v42, s[6:7]
	v_cndmask_b32_e64 v40, v40, v43, s[8:9]
	ds_bpermute_b32 v51, v121, v40
	v_cmp_eq_u32_e64 s[10:11], 0, v116
	s_waitcnt lgkmcnt(1)
	v_cndmask_b32_e64 v44, v47, v62, s[8:9]
	v_cndmask_b32_e64 v45, v46, v62, s[6:7]
	v_cndmask_b32_e32 v46, v55, v62, vcc
	v_cndmask_b32_e64 v47, v54, v62, s[10:11]
	v_cmp_eq_u32_e64 s[12:13], 1, v117
	v_mov_b32_e32 v57, v56
	v_cmp_eq_u32_e64 s[14:15], 2, v117
	v_cndmask_b32_e64 v50, v47, v46, s[12:13]
	s_waitcnt lgkmcnt(0)
	v_cndmask_b32_e64 v41, v43, v51, s[8:9]
	v_cndmask_b32_e64 v40, v50, v45, s[14:15]
	;; [unrolled: 1-line block ×3, first 2 shown]
	v_cndmask_b32_e32 v43, v49, v51, vcc
	v_cndmask_b32_e64 v48, v48, v51, s[10:11]
	v_mov_b32_e32 v50, v56
	v_mov_b32_e32 v51, v56
	v_pk_mul_f32 v[54:55], v[56:57], v[36:37]
	v_pk_mul_f32 v[38:39], v[50:51], v[38:39]
	v_cndmask_b32_e32 v36, v54, v55, vcc
	v_cndmask_b32_e64 v36, v36, v38, s[6:7]
	v_cndmask_b32_e64 v36, v36, v39, s[8:9]
	ds_bpermute_b32 v49, v121, v36
	v_mov_b32_e32 v53, v52
	v_pk_mul_f32 v[62:63], v[52:53], v[32:33]
	v_cmp_eq_u32_e64 s[16:17], 3, v117
	v_cndmask_b32_e32 v32, v62, v63, vcc
	s_waitcnt lgkmcnt(0)
	v_cndmask_b32_e32 v50, v55, v49, vcc
	v_cndmask_b32_e64 v51, v54, v49, s[10:11]
	v_mov_b32_e32 v54, v52
	v_mov_b32_e32 v55, v52
	v_pk_mul_f32 v[54:55], v[54:55], v[34:35]
	v_cndmask_b32_e64 v38, v38, v49, s[6:7]
	v_cndmask_b32_e64 v32, v32, v54, s[6:7]
	;; [unrolled: 1-line block ×3, first 2 shown]
	ds_bpermute_b32 v33, v121, v32
	v_cndmask_b32_e64 v32, v51, v50, s[12:13]
	v_cndmask_b32_e64 v37, v39, v49, s[8:9]
	;; [unrolled: 1-line block ×4, first 2 shown]
	v_cmp_ne_u32_e32 vcc, 0, v116
	ds_bpermute_b32 v39, v121, v32
	s_waitcnt lgkmcnt(1)
	v_cndmask_b32_e64 v34, v55, v33, s[8:9]
	v_cndmask_b32_e64 v35, v54, v33, s[6:7]
	v_cndmask_b32_e32 v32, v63, v33, vcc
	v_cndmask_b32_e64 v33, v62, v33, s[10:11]
	v_cvt_f16_f32_e32 v71, v71
	v_cvt_f16_f32_sdwa v70, v70 dst_sel:WORD_1 dst_unused:UNUSED_PAD src0_sel:DWORD
	v_cndmask_b32_e64 v36, v48, v43, s[12:13]
	v_cndmask_b32_e64 v49, v33, v32, s[12:13]
	;; [unrolled: 1-line block ×7, first 2 shown]
	ds_bpermute_b32 v40, v121, v40
	ds_bpermute_b32 v36, v121, v36
	;; [unrolled: 1-line block ×3, first 2 shown]
	v_or_b32_e32 v54, v70, v71
	;;#ASMSTART
	global_atomic_pk_add_f16 v[58:59], v54, off
	
	;;#ASMEND
	v_or_b32_e32 v54, 16, v118
	v_add_u32_e32 v54, s65, v54
	v_cmp_gt_u32_e32 vcc, 64, v54
	s_and_b64 exec, exec, vcc
	s_cbranch_execz .LBB362_47
; %bb.41:                               ;   in Loop: Header=BB362_7 Depth=1
	v_cmp_eq_u32_e64 s[8:9], 1, v117
	v_cmp_eq_u32_e64 s[10:11], 0, v117
	v_cmp_eq_u32_e32 vcc, 3, v117
	s_waitcnt lgkmcnt(2)
	v_cndmask_b32_e64 v46, v46, v40, s[8:9]
	v_cndmask_b32_e64 v47, v47, v40, s[10:11]
	s_waitcnt lgkmcnt(1)
	v_cndmask_b32_e64 v43, v43, v36, s[8:9]
	v_cndmask_b32_e64 v48, v48, v36, s[10:11]
	v_cvt_f16_f32_e32 v47, v47
	v_cvt_f16_f32_sdwa v46, v46 dst_sel:WORD_1 dst_unused:UNUSED_PAD src0_sel:DWORD
	v_cvt_f16_f32_e32 v48, v48
	v_cvt_f16_f32_sdwa v43, v43 dst_sel:WORD_1 dst_unused:UNUSED_PAD src0_sel:DWORD
	v_cndmask_b32_e64 v50, v50, v39, s[8:9]
	v_cndmask_b32_e64 v51, v51, v39, s[10:11]
	s_waitcnt lgkmcnt(0)
	v_cndmask_b32_e64 v55, v32, v49, s[8:9]
	v_cndmask_b32_e64 v58, v33, v49, s[10:11]
	v_lshl_add_u64 v[32:33], v[68:69], 1, s[50:51]
	v_or_b32_e32 v46, v46, v47
	v_or_b32_e32 v43, v43, v48
	;;#ASMSTART
	global_atomic_pk_add_f16 v[32:33], v46, off
	
	;;#ASMEND
	v_lshl_add_u64 v[46:47], v[32:33], 0, 32
	;;#ASMSTART
	global_atomic_pk_add_f16 v[46:47], v43, off
	
	;;#ASMEND
	v_cvt_f16_f32_e32 v43, v51
	v_cvt_f16_f32_sdwa v48, v50 dst_sel:WORD_1 dst_unused:UNUSED_PAD src0_sel:DWORD
	v_cvt_f16_f32_e32 v50, v58
	v_cvt_f16_f32_sdwa v51, v55 dst_sel:WORD_1 dst_unused:UNUSED_PAD src0_sel:DWORD
	v_cmp_eq_u32_e64 s[6:7], 2, v117
	v_lshl_add_u64 v[46:47], v[32:33], 0, 64
	v_or_b32_e32 v43, v48, v43
	v_cmp_gt_u32_e64 s[8:9], 62, v54
	;;#ASMSTART
	global_atomic_pk_add_f16 v[46:47], v43, off
	
	;;#ASMEND
	v_lshl_add_u64 v[46:47], v[32:33], 0, s[30:31]
	v_or_b32_e32 v43, v51, v50
	;;#ASMSTART
	global_atomic_pk_add_f16 v[46:47], v43, off
	
	;;#ASMEND
	s_and_b64 exec, exec, s[8:9]
	s_cbranch_execz .LBB362_47
; %bb.42:                               ;   in Loop: Header=BB362_7 Depth=1
	v_cndmask_b32_e32 v43, v44, v40, vcc
	v_cndmask_b32_e64 v40, v45, v40, s[6:7]
	v_cndmask_b32_e32 v37, v37, v39, vcc
	v_cndmask_b32_e64 v38, v38, v39, s[6:7]
	v_cvt_f16_f32_e32 v39, v40
	v_cvt_f16_f32_sdwa v40, v43 dst_sel:WORD_1 dst_unused:UNUSED_PAD src0_sel:DWORD
	v_cndmask_b32_e32 v41, v41, v36, vcc
	v_cndmask_b32_e64 v36, v42, v36, s[6:7]
	v_cndmask_b32_e32 v42, v34, v49, vcc
	v_or_b32_e32 v34, v40, v39
	v_cvt_f16_f32_e32 v36, v36
	v_cvt_f16_f32_sdwa v39, v41 dst_sel:WORD_1 dst_unused:UNUSED_PAD src0_sel:DWORD
	v_cvt_f16_f32_e32 v38, v38
	v_cvt_f16_f32_sdwa v37, v37 dst_sel:WORD_1 dst_unused:UNUSED_PAD src0_sel:DWORD
	v_lshl_add_u64 v[32:33], s[28:29], 2, v[32:33]
	v_or_b32_e32 v36, v39, v36
	v_cndmask_b32_e64 v43, v35, v49, s[6:7]
	;;#ASMSTART
	global_atomic_pk_add_f16 v[32:33], v34, off
	
	;;#ASMEND
	v_lshl_add_u64 v[34:35], v[32:33], 0, 32
	;;#ASMSTART
	global_atomic_pk_add_f16 v[34:35], v36, off
	
	;;#ASMEND
	v_or_b32_e32 v38, v37, v38
	v_mov_b32_e32 v36, v78
	v_mov_b32_e32 v37, v78
	v_pk_mul_f32 v[30:31], v[36:37], v[30:31]
	v_pk_mul_f32 v[36:37], v[78:79], v[28:29]
	v_cmp_eq_u32_e32 vcc, 1, v116
	v_lshl_add_u64 v[34:35], v[32:33], 0, 64
	v_cmp_eq_u32_e64 s[6:7], 2, v116
	v_cndmask_b32_e32 v28, v36, v37, vcc
	;;#ASMSTART
	global_atomic_pk_add_f16 v[34:35], v38, off
	
	;;#ASMEND
	v_lshl_add_u64 v[38:39], v[32:33], 0, s[30:31]
	v_mov_b32_e32 v32, v60
	v_mov_b32_e32 v33, v60
	v_cndmask_b32_e64 v28, v28, v30, s[6:7]
	v_cmp_eq_u32_e64 s[8:9], 3, v116
	v_pk_mul_f32 v[26:27], v[32:33], v[26:27]
	v_pk_mul_f32 v[32:33], v[60:61], v[24:25]
	v_cndmask_b32_e64 v28, v28, v31, s[8:9]
	v_cndmask_b32_e32 v24, v32, v33, vcc
	ds_bpermute_b32 v40, v121, v28
	v_cndmask_b32_e64 v24, v24, v26, s[6:7]
	v_cndmask_b32_e64 v24, v24, v27, s[8:9]
	ds_bpermute_b32 v35, v121, v24
	v_cmp_eq_u32_e64 s[10:11], 0, v116
	s_waitcnt lgkmcnt(1)
	v_cndmask_b32_e64 v28, v31, v40, s[8:9]
	v_cndmask_b32_e64 v29, v30, v40, s[6:7]
	v_cndmask_b32_e32 v30, v37, v40, vcc
	v_cndmask_b32_e64 v31, v36, v40, s[10:11]
	v_cmp_eq_u32_e64 s[12:13], 1, v117
	v_cmp_eq_u32_e64 s[14:15], 2, v117
	s_waitcnt lgkmcnt(0)
	v_cndmask_b32_e64 v25, v27, v35, s[8:9]
	v_cndmask_b32_e64 v34, v31, v30, s[12:13]
	;; [unrolled: 1-line block ×4, first 2 shown]
	v_cndmask_b32_e32 v27, v33, v35, vcc
	v_cndmask_b32_e64 v32, v32, v35, s[10:11]
	v_mov_b32_e32 v34, v56
	v_mov_b32_e32 v35, v56
	v_pk_mul_f32 v[36:37], v[56:57], v[20:21]
	v_pk_mul_f32 v[22:23], v[34:35], v[22:23]
	v_cndmask_b32_e32 v20, v36, v37, vcc
	v_cndmask_b32_e64 v20, v20, v22, s[6:7]
	v_cndmask_b32_e64 v20, v20, v23, s[8:9]
	ds_bpermute_b32 v33, v121, v20
	v_pk_mul_f32 v[40:41], v[52:53], v[16:17]
	v_cmp_eq_u32_e64 s[16:17], 3, v117
	v_cndmask_b32_e32 v16, v40, v41, vcc
	v_cvt_f16_f32_e32 v43, v43
	s_waitcnt lgkmcnt(0)
	v_cndmask_b32_e32 v34, v37, v33, vcc
	v_cndmask_b32_e64 v35, v36, v33, s[10:11]
	v_mov_b32_e32 v36, v52
	v_mov_b32_e32 v37, v52
	v_pk_mul_f32 v[36:37], v[36:37], v[18:19]
	v_cndmask_b32_e64 v22, v22, v33, s[6:7]
	v_cndmask_b32_e64 v16, v16, v36, s[6:7]
	;; [unrolled: 1-line block ×3, first 2 shown]
	ds_bpermute_b32 v17, v121, v16
	v_cndmask_b32_e64 v16, v35, v34, s[12:13]
	v_cndmask_b32_e64 v21, v23, v33, s[8:9]
	;; [unrolled: 1-line block ×4, first 2 shown]
	v_cmp_ne_u32_e32 vcc, 0, v116
	ds_bpermute_b32 v23, v121, v16
	s_waitcnt lgkmcnt(1)
	v_cndmask_b32_e64 v18, v37, v17, s[8:9]
	v_cndmask_b32_e64 v19, v36, v17, s[6:7]
	v_cndmask_b32_e32 v16, v41, v17, vcc
	v_cndmask_b32_e64 v17, v40, v17, s[10:11]
	v_cvt_f16_f32_sdwa v42, v42 dst_sel:WORD_1 dst_unused:UNUSED_PAD src0_sel:DWORD
	v_cndmask_b32_e64 v20, v32, v27, s[12:13]
	v_cndmask_b32_e64 v33, v17, v16, s[12:13]
	;; [unrolled: 1-line block ×7, first 2 shown]
	ds_bpermute_b32 v24, v121, v24
	ds_bpermute_b32 v20, v121, v20
	;; [unrolled: 1-line block ×3, first 2 shown]
	v_or_b32_e32 v36, v42, v43
	;;#ASMSTART
	global_atomic_pk_add_f16 v[38:39], v36, off
	
	;;#ASMEND
	v_or_b32_e32 v36, 32, v118
	v_add_u32_e32 v36, s65, v36
	v_cmp_gt_u32_e32 vcc, 64, v36
	s_and_b64 exec, exec, vcc
	s_cbranch_execz .LBB362_47
; %bb.43:                               ;   in Loop: Header=BB362_7 Depth=1
	v_cmp_eq_u32_e64 s[8:9], 1, v117
	v_cmp_eq_u32_e64 s[10:11], 0, v117
	v_cmp_eq_u32_e32 vcc, 3, v117
	s_waitcnt lgkmcnt(0)
	v_cndmask_b32_e64 v37, v16, v33, s[8:9]
	v_cndmask_b32_e64 v38, v17, v33, s[10:11]
	scratch_load_dwordx2 v[16:17], off, off ; 8-byte Folded Reload
	v_cndmask_b32_e64 v30, v30, v24, s[8:9]
	v_cndmask_b32_e64 v31, v31, v24, s[10:11]
	;; [unrolled: 1-line block ×4, first 2 shown]
	v_cvt_f16_f32_e32 v31, v31
	v_cvt_f16_f32_sdwa v30, v30 dst_sel:WORD_1 dst_unused:UNUSED_PAD src0_sel:DWORD
	v_cvt_f16_f32_e32 v32, v32
	v_cvt_f16_f32_sdwa v27, v27 dst_sel:WORD_1 dst_unused:UNUSED_PAD src0_sel:DWORD
	v_cndmask_b32_e64 v34, v34, v23, s[8:9]
	v_cndmask_b32_e64 v35, v35, v23, s[10:11]
	v_or_b32_e32 v30, v30, v31
	v_or_b32_e32 v27, v27, v32
	v_cvt_f16_f32_sdwa v32, v34 dst_sel:WORD_1 dst_unused:UNUSED_PAD src0_sel:DWORD
	v_cvt_f16_f32_e32 v34, v38
	v_cmp_eq_u32_e64 s[6:7], 2, v117
	v_cmp_gt_u32_e64 s[8:9], 62, v36
	s_waitcnt vmcnt(0)
	v_lshl_add_u64 v[16:17], v[16:17], 1, s[50:51]
	;;#ASMSTART
	global_atomic_pk_add_f16 v[16:17], v30, off
	
	;;#ASMEND
	v_lshl_add_u64 v[30:31], v[16:17], 0, 32
	;;#ASMSTART
	global_atomic_pk_add_f16 v[30:31], v27, off
	
	;;#ASMEND
	v_cvt_f16_f32_e32 v27, v35
	v_cvt_f16_f32_sdwa v35, v37 dst_sel:WORD_1 dst_unused:UNUSED_PAD src0_sel:DWORD
	v_lshl_add_u64 v[30:31], v[16:17], 0, 64
	v_or_b32_e32 v27, v32, v27
	;;#ASMSTART
	global_atomic_pk_add_f16 v[30:31], v27, off
	
	;;#ASMEND
	v_lshl_add_u64 v[30:31], v[16:17], 0, s[30:31]
	v_or_b32_e32 v27, v35, v34
	;;#ASMSTART
	global_atomic_pk_add_f16 v[30:31], v27, off
	
	;;#ASMEND
	s_and_b64 exec, exec, s[8:9]
	s_cbranch_execz .LBB362_47
; %bb.44:                               ;   in Loop: Header=BB362_7 Depth=1
	v_cndmask_b32_e32 v27, v28, v24, vcc
	v_cndmask_b32_e64 v24, v29, v24, s[6:7]
	v_cndmask_b32_e32 v21, v21, v23, vcc
	v_cndmask_b32_e64 v22, v22, v23, s[6:7]
	v_cvt_f16_f32_e32 v23, v24
	v_cvt_f16_f32_sdwa v24, v27 dst_sel:WORD_1 dst_unused:UNUSED_PAD src0_sel:DWORD
	v_cndmask_b32_e32 v25, v25, v20, vcc
	v_cndmask_b32_e64 v20, v26, v20, s[6:7]
	v_cndmask_b32_e32 v26, v18, v33, vcc
	v_or_b32_e32 v18, v24, v23
	v_cvt_f16_f32_e32 v20, v20
	v_cvt_f16_f32_sdwa v23, v25 dst_sel:WORD_1 dst_unused:UNUSED_PAD src0_sel:DWORD
	v_cvt_f16_f32_e32 v22, v22
	v_cvt_f16_f32_sdwa v21, v21 dst_sel:WORD_1 dst_unused:UNUSED_PAD src0_sel:DWORD
	v_lshl_add_u64 v[16:17], s[28:29], 2, v[16:17]
	v_or_b32_e32 v20, v23, v20
	v_cndmask_b32_e64 v27, v19, v33, s[6:7]
	;;#ASMSTART
	global_atomic_pk_add_f16 v[16:17], v18, off
	
	;;#ASMEND
	v_lshl_add_u64 v[18:19], v[16:17], 0, 32
	;;#ASMSTART
	global_atomic_pk_add_f16 v[18:19], v20, off
	
	;;#ASMEND
	v_or_b32_e32 v22, v21, v22
	v_mov_b32_e32 v20, v78
	v_mov_b32_e32 v21, v78
	v_pk_mul_f32 v[14:15], v[20:21], v[14:15]
	v_pk_mul_f32 v[20:21], v[78:79], v[12:13]
	v_cmp_eq_u32_e32 vcc, 1, v116
	v_lshl_add_u64 v[18:19], v[16:17], 0, 64
	v_cmp_eq_u32_e64 s[6:7], 2, v116
	v_cndmask_b32_e32 v12, v20, v21, vcc
	v_cmp_eq_u32_e64 s[8:9], 3, v116
	v_cndmask_b32_e64 v12, v12, v14, s[6:7]
	;;#ASMSTART
	global_atomic_pk_add_f16 v[18:19], v22, off
	
	;;#ASMEND
	v_lshl_add_u64 v[22:23], v[16:17], 0, s[30:31]
	v_mov_b32_e32 v16, v60
	v_mov_b32_e32 v17, v60
	v_pk_mul_f32 v[18:19], v[60:61], v[4:5]
	v_cndmask_b32_e64 v12, v12, v15, s[8:9]
	v_pk_mul_f32 v[6:7], v[16:17], v[6:7]
	v_cndmask_b32_e32 v4, v18, v19, vcc
	ds_bpermute_b32 v24, v121, v12
	v_cndmask_b32_e64 v4, v4, v6, s[6:7]
	v_cndmask_b32_e64 v4, v4, v7, s[8:9]
	ds_bpermute_b32 v17, v121, v4
	v_cmp_eq_u32_e64 s[10:11], 0, v116
	s_waitcnt lgkmcnt(1)
	v_cndmask_b32_e64 v12, v15, v24, s[8:9]
	v_cndmask_b32_e64 v13, v14, v24, s[6:7]
	v_cndmask_b32_e32 v14, v21, v24, vcc
	v_cndmask_b32_e64 v15, v20, v24, s[10:11]
	v_cmp_eq_u32_e64 s[12:13], 1, v117
	v_cmp_eq_u32_e64 s[14:15], 2, v117
	s_waitcnt lgkmcnt(0)
	v_cndmask_b32_e64 v5, v7, v17, s[8:9]
	v_cndmask_b32_e64 v20, v15, v14, s[12:13]
	v_cndmask_b32_e64 v4, v20, v13, s[14:15]
	v_cndmask_b32_e64 v6, v6, v17, s[6:7]
	v_cndmask_b32_e32 v16, v19, v17, vcc
	v_cndmask_b32_e64 v17, v18, v17, s[10:11]
	v_mov_b32_e32 v18, v56
	v_mov_b32_e32 v19, v56
	v_pk_mul_f32 v[20:21], v[56:57], v[0:1]
	v_pk_mul_f32 v[18:19], v[18:19], v[2:3]
	v_cndmask_b32_e32 v0, v20, v21, vcc
	v_cndmask_b32_e64 v0, v0, v18, s[6:7]
	v_cndmask_b32_e64 v0, v0, v19, s[8:9]
	ds_bpermute_b32 v1, v121, v0
	v_cndmask_b32_e64 v0, v17, v16, s[12:13]
	v_cmp_eq_u32_e64 s[16:17], 3, v117
	v_cndmask_b32_e64 v0, v0, v6, s[14:15]
	v_cvt_f16_f32_e32 v25, v27
	s_waitcnt lgkmcnt(0)
	v_cndmask_b32_e64 v3, v19, v1, s[8:9]
	v_cndmask_b32_e64 v7, v18, v1, s[6:7]
	v_mov_b32_e32 v18, v52
	v_mov_b32_e32 v19, v52
	v_pk_mul_f32 v[10:11], v[18:19], v[10:11]
	v_pk_mul_f32 v[18:19], v[52:53], v[8:9]
	v_cndmask_b32_e64 v0, v0, v5, s[16:17]
	v_cndmask_b32_e32 v8, v18, v19, vcc
	v_cndmask_b32_e64 v8, v8, v10, s[6:7]
	v_cndmask_b32_e64 v8, v8, v11, s[8:9]
	ds_bpermute_b32 v2, v121, v0
	v_cndmask_b32_e32 v0, v21, v1, vcc
	v_cndmask_b32_e64 v1, v20, v1, s[10:11]
	ds_bpermute_b32 v20, v121, v8
	v_cmp_ne_u32_e32 vcc, 0, v116
	v_cvt_f16_f32_sdwa v26, v26 dst_sel:WORD_1 dst_unused:UNUSED_PAD src0_sel:DWORD
	v_cndmask_b32_e64 v8, v1, v0, s[12:13]
	v_cndmask_b32_e64 v8, v8, v7, s[14:15]
	s_waitcnt lgkmcnt(0)
	v_cndmask_b32_e64 v9, v11, v20, s[8:9]
	v_cndmask_b32_e64 v10, v10, v20, s[6:7]
	v_cndmask_b32_e32 v19, v19, v20, vcc
	v_cndmask_b32_e64 v20, v18, v20, s[10:11]
	v_cndmask_b32_e64 v11, v20, v19, s[12:13]
	;; [unrolled: 1-line block ×6, first 2 shown]
	ds_bpermute_b32 v4, v121, v4
	ds_bpermute_b32 v8, v121, v8
	;; [unrolled: 1-line block ×3, first 2 shown]
	v_or_b32_e32 v18, v26, v25
	;;#ASMSTART
	global_atomic_pk_add_f16 v[22:23], v18, off
	
	;;#ASMEND
	v_or_b32_e32 v18, 48, v118
	v_add_u32_e32 v18, s65, v18
	v_cmp_gt_u32_e32 vcc, 64, v18
	s_and_b64 exec, exec, vcc
	s_cbranch_execz .LBB362_47
; %bb.45:                               ;   in Loop: Header=BB362_7 Depth=1
	v_cmp_eq_u32_e64 s[8:9], 1, v117
	v_cmp_eq_u32_e64 s[10:11], 0, v117
	v_cmp_eq_u32_e32 vcc, 3, v117
	s_waitcnt lgkmcnt(1)
	v_cndmask_b32_e64 v21, v0, v8, s[8:9]
	v_cndmask_b32_e64 v22, v1, v8, s[10:11]
	scratch_load_dwordx2 v[0:1], off, off offset:8 ; 8-byte Folded Reload
	v_cndmask_b32_e64 v14, v14, v4, s[8:9]
	v_cndmask_b32_e64 v15, v15, v4, s[10:11]
	;; [unrolled: 1-line block ×4, first 2 shown]
	v_cvt_f16_f32_e32 v15, v15
	v_cvt_f16_f32_sdwa v14, v14 dst_sel:WORD_1 dst_unused:UNUSED_PAD src0_sel:DWORD
	v_cvt_f16_f32_e32 v17, v17
	v_cvt_f16_f32_sdwa v16, v16 dst_sel:WORD_1 dst_unused:UNUSED_PAD src0_sel:DWORD
	s_waitcnt lgkmcnt(0)
	v_cndmask_b32_e64 v19, v19, v11, s[8:9]
	v_or_b32_e32 v14, v14, v15
	v_cndmask_b32_e64 v20, v20, v11, s[10:11]
	v_or_b32_e32 v16, v16, v17
	v_cvt_f16_f32_sdwa v17, v21 dst_sel:WORD_1 dst_unused:UNUSED_PAD src0_sel:DWORD
	v_cvt_f16_f32_e32 v20, v20
	v_cvt_f16_f32_sdwa v19, v19 dst_sel:WORD_1 dst_unused:UNUSED_PAD src0_sel:DWORD
	v_cmp_eq_u32_e64 s[6:7], 2, v117
	v_cmp_gt_u32_e64 s[8:9], 62, v18
	s_waitcnt vmcnt(0)
	v_lshl_add_u64 v[0:1], v[0:1], 1, s[50:51]
	;;#ASMSTART
	global_atomic_pk_add_f16 v[0:1], v14, off
	
	;;#ASMEND
	v_lshl_add_u64 v[14:15], v[0:1], 0, 32
	;;#ASMSTART
	global_atomic_pk_add_f16 v[14:15], v16, off
	
	;;#ASMEND
	v_cvt_f16_f32_e32 v16, v22
	v_lshl_add_u64 v[14:15], v[0:1], 0, 64
	v_or_b32_e32 v16, v17, v16
	;;#ASMSTART
	global_atomic_pk_add_f16 v[14:15], v16, off
	
	;;#ASMEND
	v_lshl_add_u64 v[14:15], v[0:1], 0, s[30:31]
	v_or_b32_e32 v16, v19, v20
	;;#ASMSTART
	global_atomic_pk_add_f16 v[14:15], v16, off
	
	;;#ASMEND
	s_and_b64 exec, exec, s[8:9]
	s_cbranch_execz .LBB362_47
; %bb.46:                               ;   in Loop: Header=BB362_7 Depth=1
	v_cndmask_b32_e32 v12, v12, v4, vcc
	v_cndmask_b32_e64 v4, v13, v4, s[6:7]
	v_cndmask_b32_e32 v5, v5, v2, vcc
	v_cndmask_b32_e64 v2, v6, v2, s[6:7]
	;; [unrolled: 2-line block ×4, first 2 shown]
	v_cvt_f16_f32_e32 v3, v4
	v_cvt_f16_f32_sdwa v4, v12 dst_sel:WORD_1 dst_unused:UNUSED_PAD src0_sel:DWORD
	v_cvt_f16_f32_e32 v10, v2
	v_cvt_f16_f32_sdwa v5, v5 dst_sel:WORD_1 dst_unused:UNUSED_PAD src0_sel:DWORD
	v_lshl_add_u64 v[0:1], s[28:29], 2, v[0:1]
	v_or_b32_e32 v2, v4, v3
	;;#ASMSTART
	global_atomic_pk_add_f16 v[0:1], v2, off
	
	;;#ASMEND
	v_or_b32_e32 v4, v5, v10
	v_lshl_add_u64 v[2:3], v[0:1], 0, 32
	;;#ASMSTART
	global_atomic_pk_add_f16 v[2:3], v4, off
	
	;;#ASMEND
	v_cvt_f16_f32_e32 v4, v7
	v_cvt_f16_f32_sdwa v5, v6 dst_sel:WORD_1 dst_unused:UNUSED_PAD src0_sel:DWORD
	v_cvt_f16_f32_e32 v6, v9
	v_cvt_f16_f32_sdwa v7, v8 dst_sel:WORD_1 dst_unused:UNUSED_PAD src0_sel:DWORD
	v_lshl_add_u64 v[2:3], v[0:1], 0, 64
	v_or_b32_e32 v4, v5, v4
	;;#ASMSTART
	global_atomic_pk_add_f16 v[2:3], v4, off
	
	;;#ASMEND
	v_lshl_add_u64 v[0:1], v[0:1], 0, s[30:31]
	v_or_b32_e32 v2, v7, v6
	;;#ASMSTART
	global_atomic_pk_add_f16 v[0:1], v2, off
	
	;;#ASMEND
.LBB362_47:                             ;   in Loop: Header=BB362_7 Depth=1
	s_or_b64 exec, exec, s[18:19]
	v_subrev_u32_e32 v122, s66, v122
.LBB362_48:                             ;   in Loop: Header=BB362_7 Depth=1
	s_or_b64 exec, exec, s[48:49]
.LBB362_49:                             ;   in Loop: Header=BB362_7 Depth=1
	s_andn2_saveexec_b64 s[6:7], s[46:47]
	s_cbranch_execz .LBB362_58
; %bb.50:                               ;   in Loop: Header=BB362_7 Depth=1
	s_lshl_b32 s16, s66, 2
	v_cmp_gt_i32_e32 vcc, s16, v122
	s_and_saveexec_b64 s[8:9], vcc
	s_cbranch_execz .LBB362_57
; %bb.51:                               ;   in Loop: Header=BB362_7 Depth=1
	s_mul_i32 s10, s44, s23
	s_ashr_i32 s11, s10, 31
	s_waitcnt lgkmcnt(0)
	s_add_u32 s10, s38, s10
	s_addc_u32 s11, s39, s11
	s_ashr_i32 s12, s64, 31
	s_add_u32 s10, s10, s64
	s_addc_u32 s11, s11, s12
	v_lshl_add_u64 v[0:1], s[10:11], 0, v[76:77]
	v_lshl_add_u64 v[8:9], v[0:1], 0, v[74:75]
	s_mov_b64 s[10:11], 0
	s_branch .LBB362_53
.LBB362_52:                             ;   in Loop: Header=BB362_53 Depth=2
	s_or_b64 exec, exec, s[12:13]
	v_or_b32_e32 v12, 0x4000, v120
	v_lshl_add_u32 v12, v10, 11, v12
	;;#ASMSTART
	s_waitcnt vmcnt(1)
	;;#ASMEND
	ds_write2_b32 v12, v4, v5 offset1:32
	ds_write2_b32 v12, v6, v7 offset0:64 offset1:96
	v_add_u32_e32 v4, 0x400, v12
	v_add_u32_e32 v122, s26, v122
	;;#ASMSTART
	s_waitcnt vmcnt(0)
	;;#ASMEND
	ds_write2_b32 v4, v0, v1 offset1:32
	ds_write2_b32 v4, v2, v3 offset0:64 offset1:96
	v_add_u32_e32 v0, 1, v114
	v_add_u32_e32 v80, s26, v10
	v_cmp_le_i32_e32 vcc, s16, v122
	ds_write_b32 v11, v0 offset:32
	v_add_u32_e32 v0, 2, v114
	s_or_b64 s[10:11], vcc, s[10:11]
	v_cmp_lt_i32_e32 vcc, 7, v80
	s_nop 1
	v_cndmask_b32_e32 v114, v114, v0, vcc
	s_andn2_b64 exec, exec, s[10:11]
	s_cbranch_execz .LBB362_56
.LBB362_53:                             ;   Parent Loop BB362_7 Depth=1
                                        ; =>  This Loop Header: Depth=2
                                        ;       Child Loop BB362_55 Depth 3
	v_cmp_gt_i32_e32 vcc, 8, v80
	s_nop 1
	v_cndmask_b32_e64 v0, -8, 0, vcc
	v_add_u32_e32 v10, v0, v80
	v_ashrrev_i32_e32 v0, 31, v122
	v_lshrrev_b32_e32 v0, 30, v0
	v_add_u32_e32 v0, v122, v0
	v_and_b32_e32 v1, -4, v0
	v_lshlrev_b32_e32 v0, 5, v0
	v_sub_u32_e32 v2, v122, v1
	v_and_b32_e32 v0, 0xffffff80, v0
	v_ashrrev_i32_e32 v1, 31, v0
	v_mul_lo_u32 v2, s57, v2
	v_lshl_add_u64 v[0:1], v[8:9], 0, v[0:1]
	v_ashrrev_i32_e32 v3, 31, v2
	v_lshl_add_u64 v[0:1], v[0:1], 0, v[2:3]
	v_lshlrev_b32_e32 v11, 2, v10
	;;#ASMSTART
	global_load_dwordx4 v[4:7], v[0:1], off offset:0   sc0 sc1 nt  
	global_load_dwordx4 v[0:3], v[0:1], off offset:64  sc0 sc1 nt  
	
	;;#ASMEND
	ds_read_b32 v12, v11 offset:32800
	v_add_u32_e32 v11, 0x8000, v11
	s_waitcnt lgkmcnt(0)
	v_cmp_ne_u32_e32 vcc, v12, v114
	s_and_saveexec_b64 s[12:13], vcc
	s_cbranch_execz .LBB362_52
; %bb.54:                               ;   in Loop: Header=BB362_53 Depth=2
	s_mov_b64 s[14:15], 0
.LBB362_55:                             ;   Parent Loop BB362_7 Depth=1
                                        ;     Parent Loop BB362_53 Depth=2
                                        ; =>    This Inner Loop Header: Depth=3
	;;#ASMSTART
	s_sleep 0
	;;#ASMEND
	ds_read_b32 v12, v11 offset:32
	s_waitcnt lgkmcnt(0)
	v_cmp_eq_u32_e32 vcc, v12, v114
	s_or_b64 s[14:15], vcc, s[14:15]
	s_andn2_b64 exec, exec, s[14:15]
	s_cbranch_execnz .LBB362_55
	s_branch .LBB362_52
.LBB362_56:                             ;   in Loop: Header=BB362_7 Depth=1
	s_or_b64 exec, exec, s[10:11]
.LBB362_57:                             ;   in Loop: Header=BB362_7 Depth=1
	s_or_b64 exec, exec, s[8:9]
	v_subrev_u32_e32 v122, s16, v122
.LBB362_58:                             ;   in Loop: Header=BB362_7 Depth=1
	s_or_b64 exec, exec, s[6:7]
.LBB362_59:                             ;   in Loop: Header=BB362_7 Depth=1
	s_andn2_saveexec_b64 s[6:7], s[34:35]
	s_cbranch_execz .LBB362_6
; %bb.60:                               ;   in Loop: Header=BB362_7 Depth=1
	s_lshl_b32 s16, s66, 2
	v_cmp_gt_i32_e32 vcc, s16, v122
	s_and_saveexec_b64 s[8:9], vcc
	s_cbranch_execz .LBB362_5
; %bb.61:                               ;   in Loop: Header=BB362_7 Depth=1
	s_mul_i32 s63, s63, s22
	s_ashr_i32 s10, s63, 31
	s_waitcnt lgkmcnt(0)
	s_add_u32 s11, s36, s63
	v_add_u32_e32 v2, s65, v119
	s_addc_u32 s12, s37, s10
	s_ashr_i32 s13, s64, 31
	v_mul_lo_u32 v0, s22, v119
	v_cmp_gt_u32_e32 vcc, 64, v2
	s_add_u32 s10, s11, s64
	s_addc_u32 s11, s12, s13
	v_cndmask_b32_e32 v0, 0, v0, vcc
	v_ashrrev_i32_e32 v1, 31, v0
	v_lshl_add_u64 v[0:1], s[10:11], 0, v[0:1]
	v_lshl_add_u64 v[8:9], v[0:1], 0, v[74:75]
	v_sub_u32_e32 v10, 63, v2
	s_mov_b64 s[10:11], 0
	s_branch .LBB362_63
.LBB362_62:                             ;   in Loop: Header=BB362_63 Depth=2
	s_or_b64 exec, exec, s[12:13]
	v_lshl_or_b32 v13, v11, 11, v120
	;;#ASMSTART
	s_waitcnt vmcnt(1)
	;;#ASMEND
	ds_write2_b32 v13, v4, v5 offset1:32
	ds_write2_b32 v13, v6, v7 offset0:64 offset1:96
	v_add_u32_e32 v4, 0x400, v13
	v_add_u32_e32 v122, s25, v122
	;;#ASMSTART
	s_waitcnt vmcnt(0)
	;;#ASMEND
	ds_write2_b32 v4, v0, v1 offset1:32
	ds_write2_b32 v4, v2, v3 offset0:64 offset1:96
	v_add_u32_e32 v0, 1, v114
	v_add_u32_e32 v80, s25, v11
	v_cmp_le_i32_e32 vcc, s16, v122
	ds_write_b32 v12, v0
	v_add_u32_e32 v0, 2, v114
	s_or_b64 s[10:11], vcc, s[10:11]
	v_cmp_lt_i32_e32 vcc, 7, v80
	s_nop 1
	v_cndmask_b32_e32 v114, v114, v0, vcc
	s_andn2_b64 exec, exec, s[10:11]
	s_cbranch_execz .LBB362_4
.LBB362_63:                             ;   Parent Loop BB362_7 Depth=1
                                        ; =>  This Loop Header: Depth=2
                                        ;       Child Loop BB362_65 Depth 3
	v_cmp_gt_i32_e32 vcc, 8, v80
	s_nop 1
	v_cndmask_b32_e64 v0, -8, 0, vcc
	v_add_u32_e32 v11, v0, v80
	v_ashrrev_i32_e32 v0, 31, v122
	v_lshrrev_b32_e32 v0, 30, v0
	v_add_u32_e32 v0, v122, v0
	v_and_b32_e32 v1, 0xffffffc, v0
	v_sub_u32_e32 v1, v122, v1
	v_lshlrev_b32_e32 v1, 4, v1
	v_cmp_le_i32_e32 vcc, v1, v10
	v_lshlrev_b32_e32 v0, 5, v0
	v_and_b32_e32 v0, 0xffffff80, v0
	v_cndmask_b32_e32 v2, 0, v1, vcc
	v_ashrrev_i32_e32 v1, 31, v0
	v_mul_lo_u32 v2, v2, s22
	v_lshl_add_u64 v[0:1], v[8:9], 0, v[0:1]
	v_ashrrev_i32_e32 v3, 31, v2
	v_lshl_add_u64 v[0:1], v[0:1], 0, v[2:3]
	v_lshlrev_b32_e32 v12, 2, v11
	;;#ASMSTART
	global_load_dwordx4 v[4:7], v[0:1], off offset:0   
	global_load_dwordx4 v[0:3], v[0:1], off offset:64  
	
	;;#ASMEND
	ds_read_b32 v13, v12 offset:32768
	v_add_u32_e32 v12, 0x8000, v12
	s_waitcnt lgkmcnt(0)
	v_cmp_ne_u32_e32 vcc, v13, v114
	s_and_saveexec_b64 s[12:13], vcc
	s_cbranch_execz .LBB362_62
; %bb.64:                               ;   in Loop: Header=BB362_63 Depth=2
	s_mov_b64 s[14:15], 0
.LBB362_65:                             ;   Parent Loop BB362_7 Depth=1
                                        ;     Parent Loop BB362_63 Depth=2
                                        ; =>    This Inner Loop Header: Depth=3
	;;#ASMSTART
	s_sleep 0
	;;#ASMEND
	ds_read_b32 v13, v12
	s_waitcnt lgkmcnt(0)
	v_cmp_eq_u32_e32 vcc, v13, v114
	s_or_b64 s[14:15], vcc, s[14:15]
	s_andn2_b64 exec, exec, s[14:15]
	s_cbranch_execnz .LBB362_65
	s_branch .LBB362_62
.LBB362_66:
	s_endpgm
	.section	.rodata,"a",@progbits
	.p2align	6, 0x0
	.amdhsa_kernel _Z19_skinny_gemm_kernelILi4ELi4ELi2ELi16ELi4EEvPKhS1_P6__halfPKfiiiiiiii
		.amdhsa_group_segment_fixed_size 32832
		.amdhsa_private_segment_fixed_size 20
		.amdhsa_kernarg_size 64
		.amdhsa_user_sgpr_count 2
		.amdhsa_user_sgpr_dispatch_ptr 0
		.amdhsa_user_sgpr_queue_ptr 0
		.amdhsa_user_sgpr_kernarg_segment_ptr 1
		.amdhsa_user_sgpr_dispatch_id 0
		.amdhsa_user_sgpr_kernarg_preload_length 0
		.amdhsa_user_sgpr_kernarg_preload_offset 0
		.amdhsa_user_sgpr_private_segment_size 0
		.amdhsa_uses_dynamic_stack 0
		.amdhsa_enable_private_segment 1
		.amdhsa_system_sgpr_workgroup_id_x 1
		.amdhsa_system_sgpr_workgroup_id_y 0
		.amdhsa_system_sgpr_workgroup_id_z 0
		.amdhsa_system_sgpr_workgroup_info 0
		.amdhsa_system_vgpr_workitem_id 0
		.amdhsa_next_free_vgpr 128
		.amdhsa_next_free_sgpr 67
		.amdhsa_accum_offset 128
		.amdhsa_reserve_vcc 1
		.amdhsa_float_round_mode_32 0
		.amdhsa_float_round_mode_16_64 0
		.amdhsa_float_denorm_mode_32 3
		.amdhsa_float_denorm_mode_16_64 3
		.amdhsa_dx10_clamp 1
		.amdhsa_ieee_mode 1
		.amdhsa_fp16_overflow 0
		.amdhsa_tg_split 0
		.amdhsa_exception_fp_ieee_invalid_op 0
		.amdhsa_exception_fp_denorm_src 0
		.amdhsa_exception_fp_ieee_div_zero 0
		.amdhsa_exception_fp_ieee_overflow 0
		.amdhsa_exception_fp_ieee_underflow 0
		.amdhsa_exception_fp_ieee_inexact 0
		.amdhsa_exception_int_div_zero 0
	.end_amdhsa_kernel
	.section	.text._Z19_skinny_gemm_kernelILi4ELi4ELi2ELi16ELi4EEvPKhS1_P6__halfPKfiiiiiiii,"axG",@progbits,_Z19_skinny_gemm_kernelILi4ELi4ELi2ELi16ELi4EEvPKhS1_P6__halfPKfiiiiiiii,comdat
.Lfunc_end362:
	.size	_Z19_skinny_gemm_kernelILi4ELi4ELi2ELi16ELi4EEvPKhS1_P6__halfPKfiiiiiiii, .Lfunc_end362-_Z19_skinny_gemm_kernelILi4ELi4ELi2ELi16ELi4EEvPKhS1_P6__halfPKfiiiiiiii
                                        ; -- End function
	.set _Z19_skinny_gemm_kernelILi4ELi4ELi2ELi16ELi4EEvPKhS1_P6__halfPKfiiiiiiii.num_vgpr, 128
	.set _Z19_skinny_gemm_kernelILi4ELi4ELi2ELi16ELi4EEvPKhS1_P6__halfPKfiiiiiiii.num_agpr, 0
	.set _Z19_skinny_gemm_kernelILi4ELi4ELi2ELi16ELi4EEvPKhS1_P6__halfPKfiiiiiiii.numbered_sgpr, 67
	.set _Z19_skinny_gemm_kernelILi4ELi4ELi2ELi16ELi4EEvPKhS1_P6__halfPKfiiiiiiii.num_named_barrier, 0
	.set _Z19_skinny_gemm_kernelILi4ELi4ELi2ELi16ELi4EEvPKhS1_P6__halfPKfiiiiiiii.private_seg_size, 20
	.set _Z19_skinny_gemm_kernelILi4ELi4ELi2ELi16ELi4EEvPKhS1_P6__halfPKfiiiiiiii.uses_vcc, 1
	.set _Z19_skinny_gemm_kernelILi4ELi4ELi2ELi16ELi4EEvPKhS1_P6__halfPKfiiiiiiii.uses_flat_scratch, 0
	.set _Z19_skinny_gemm_kernelILi4ELi4ELi2ELi16ELi4EEvPKhS1_P6__halfPKfiiiiiiii.has_dyn_sized_stack, 0
	.set _Z19_skinny_gemm_kernelILi4ELi4ELi2ELi16ELi4EEvPKhS1_P6__halfPKfiiiiiiii.has_recursion, 0
	.set _Z19_skinny_gemm_kernelILi4ELi4ELi2ELi16ELi4EEvPKhS1_P6__halfPKfiiiiiiii.has_indirect_call, 0
	.section	.AMDGPU.csdata,"",@progbits
; Kernel info:
; codeLenInByte = 8432
; TotalNumSgprs: 73
; NumVgprs: 128
; NumAgprs: 0
; TotalNumVgprs: 128
; ScratchSize: 20
; MemoryBound: 0
; FloatMode: 240
; IeeeMode: 1
; LDSByteSize: 32832 bytes/workgroup (compile time only)
; SGPRBlocks: 9
; VGPRBlocks: 15
; NumSGPRsForWavesPerEU: 73
; NumVGPRsForWavesPerEU: 128
; AccumOffset: 128
; Occupancy: 4
; WaveLimiterHint : 0
; COMPUTE_PGM_RSRC2:SCRATCH_EN: 1
; COMPUTE_PGM_RSRC2:USER_SGPR: 2
; COMPUTE_PGM_RSRC2:TRAP_HANDLER: 0
; COMPUTE_PGM_RSRC2:TGID_X_EN: 1
; COMPUTE_PGM_RSRC2:TGID_Y_EN: 0
; COMPUTE_PGM_RSRC2:TGID_Z_EN: 0
; COMPUTE_PGM_RSRC2:TIDIG_COMP_CNT: 0
; COMPUTE_PGM_RSRC3_GFX90A:ACCUM_OFFSET: 31
; COMPUTE_PGM_RSRC3_GFX90A:TG_SPLIT: 0
	.section	.text._Z19_skinny_gemm_kernelILi4ELi4ELi2ELi32ELi4EEvPKhS1_P6__halfPKfiiiiiiii,"axG",@progbits,_Z19_skinny_gemm_kernelILi4ELi4ELi2ELi32ELi4EEvPKhS1_P6__halfPKfiiiiiiii,comdat
	.protected	_Z19_skinny_gemm_kernelILi4ELi4ELi2ELi32ELi4EEvPKhS1_P6__halfPKfiiiiiiii ; -- Begin function _Z19_skinny_gemm_kernelILi4ELi4ELi2ELi32ELi4EEvPKhS1_P6__halfPKfiiiiiiii
	.globl	_Z19_skinny_gemm_kernelILi4ELi4ELi2ELi32ELi4EEvPKhS1_P6__halfPKfiiiiiiii
	.p2align	8
	.type	_Z19_skinny_gemm_kernelILi4ELi4ELi2ELi32ELi4EEvPKhS1_P6__halfPKfiiiiiiii,@function
_Z19_skinny_gemm_kernelILi4ELi4ELi2ELi32ELi4EEvPKhS1_P6__halfPKfiiiiiiii: ; @_Z19_skinny_gemm_kernelILi4ELi4ELi2ELi32ELi4EEvPKhS1_P6__halfPKfiiiiiiii
; %bb.0:
	v_cmp_gt_u32_e32 vcc, 16, v0
	s_and_saveexec_b64 s[4:5], vcc
; %bb.1:
	v_lshlrev_b32_e32 v1, 2, v0
	v_mov_b32_e32 v2, 0
	ds_write_b32 v1, v2 offset:32768
; %bb.2:
	s_or_b64 exec, exec, s[4:5]
	s_load_dwordx8 s[20:27], s[0:1], 0x20
	s_waitcnt lgkmcnt(0)
	s_barrier
	s_add_i32 s3, s20, 0x7f
	s_ashr_i32 s5, s3, 31
	s_add_i32 s4, s21, 0x7f
	s_lshr_b32 s5, s5, 25
	s_ashr_i32 s6, s4, 31
	s_add_i32 s3, s3, s5
	s_ashr_i32 s12, s3, 7
	s_lshr_b32 s3, s6, 25
	s_add_i32 s4, s4, s3
	s_ashr_i32 s14, s4, 7
	s_mul_i32 s3, s14, s12
	s_mul_i32 s3, s3, s24
	s_add_i32 s4, s3, 0x12f
	s_mul_hi_i32 s4, s4, 0x6bca1af3
	s_lshr_b32 s5, s4, 31
	s_ashr_i32 s4, s4, 7
	s_add_i32 s4, s4, s5
	s_add_i32 s5, s2, 1
	s_mul_i32 s5, s4, s5
	v_cvt_f64_i32_e32 v[2:3], s3
	v_cvt_f64_u32_e32 v[4:5], s5
	v_min_f64 v[2:3], v[2:3], v[4:5]
	v_cvt_i32_f64_e32 v78, v[2:3]
	s_mul_i32 s33, s4, s2
	v_cmp_ge_i32_e32 vcc, s33, v78
	s_cbranch_vccnz .LBB363_54
; %bb.3:
	s_load_dwordx8 s[72:79], s[0:1], 0x0
	v_lshrrev_b32_e32 v1, 6, v0
	s_add_i32 s0, s26, s25
	v_cmp_le_i32_e64 s[18:19], s0, v1
	v_mov_b32_e32 v2, s25
	v_cmp_le_i32_e64 s[28:29], s25, v1
	v_mov_b32_e32 v3, s26
	v_cndmask_b32_e64 v3, 0, v3, s[18:19]
	v_cndmask_b32_e64 v2, 0, v2, s[28:29]
	s_abs_i32 s1, s24
	v_add_u32_e32 v2, v2, v3
	v_cvt_f32_u32_e32 v3, s1
	v_sub_u32_e32 v72, v1, v2
	s_ashr_i32 s2, s22, 31
	s_lshr_b32 s2, s2, 26
	v_rcp_iflag_f32_e32 v2, v3
	s_sub_i32 s5, 0, s1
	s_add_i32 s2, s22, s2
	s_ashr_i32 s2, s2, 6
	v_mul_f32_e32 v2, 0x4f7ffffe, v2
	v_cvt_u32_f32_e32 v2, v2
	s_abs_i32 s4, s2
	s_xor_b32 s3, s2, s24
	s_ashr_i32 s3, s3, 31
	v_readfirstlane_b32 s6, v2
	s_mul_i32 s5, s5, s6
	s_mul_hi_u32 s5, s6, s5
	s_add_i32 s6, s6, s5
	s_mul_hi_u32 s5, s4, s6
	s_mul_i32 s6, s5, s1
	s_sub_i32 s4, s4, s6
	s_add_i32 s6, s5, 1
	s_sub_i32 s7, s4, s1
	s_cmp_ge_u32 s4, s1
	s_cselect_b32 s5, s6, s5
	s_cselect_b32 s4, s7, s4
	s_add_i32 s6, s5, 1
	s_cmp_ge_u32 s4, s1
	s_cselect_b32 s1, s6, s5
	s_add_i32 s0, s0, s27
	v_and_b32_e32 v80, 31, v0
	v_lshrrev_b32_e32 v2, 3, v0
	v_cmp_gt_i32_e64 s[34:35], s0, v1
	v_lshlrev_b32_e32 v1, 2, v80
	v_and_b32_e32 v3, 4, v2
	v_lshlrev_b32_e32 v2, 6, v3
	v_or_b32_e32 v4, 0x4000, v1
	v_and_b32_e32 v5, 1, v0
	v_or_b32_e32 v81, v1, v2
	v_or_b32_e32 v82, v4, v2
	v_lshlrev_b32_e32 v2, 1, v5
	v_lshrrev_b32_e32 v7, 1, v0
	s_abs_i32 s97, s12
                                        ; implicit-def: $vgpr127 : SGPR spill to VGPR lane
	v_sub_u32_e32 v2, v0, v2
	v_and_b32_e32 v66, 16, v7
	v_cvt_f32_u32_e32 v7, s97
	v_writelane_b32 v127, s12, 0
	v_add_u32_e32 v2, 1, v2
	v_writelane_b32 v127, s14, 1
	v_and_b32_e32 v6, 63, v2
	v_bitop3_b32 v83, v0, 1, v0 bitop3:0xc
	v_bitop3_b32 v84, v0, 3, 1 bitop3:0x6c
	;; [unrolled: 1-line block ×8, first 2 shown]
	v_and_b32_e32 v2, 30, v0
	v_lshlrev_b32_e32 v0, 4, v0
	s_waitcnt lgkmcnt(0)
	v_writelane_b32 v127, s72, 2
	v_and_b32_e32 v0, 0x200, v0
	v_or_b32_e32 v94, v4, v0
	v_writelane_b32 v127, s73, 3
	v_rcp_iflag_f32_e32 v4, v7
	s_abs_i32 s98, s14
	v_writelane_b32 v127, s74, 4
	v_or_b32_e32 v96, v1, v0
	v_cvt_f32_u32_e32 v1, s98
	v_writelane_b32 v127, s75, 5
	v_writelane_b32 v127, s76, 6
	;; [unrolled: 1-line block ×3, first 2 shown]
	v_mul_f32_e32 v0, 0x4f7ffffe, v4
	v_writelane_b32 v127, s78, 8
	v_cvt_u32_f32_e32 v0, v0
	v_rcp_iflag_f32_e32 v1, v1
	v_writelane_b32 v127, s79, 9
	v_cndmask_b32_e64 v79, 0, 1, s[18:19]
	s_xor_b32 s1, s1, s3
	v_writelane_b32 v127, s18, 10
	s_sub_i32 s15, s1, s3
	s_add_i32 s30, s24, -1
	v_writelane_b32 v127, s19, 11
	s_mul_i32 s1, s15, s30
	v_writelane_b32 v127, s28, 12
	s_sub_i32 s31, s2, s1
	v_readfirstlane_b32 s1, v0
	v_mul_f32_e32 v0, 0x4f7ffffe, v1
	v_writelane_b32 v127, s29, 13
	v_cvt_u32_f32_e32 v0, v0
	v_writelane_b32 v127, s15, 14
	s_sub_i32 s0, 0, s97
	v_writelane_b32 v127, s30, 15
	s_mul_i32 s0, s0, s1
	v_writelane_b32 v127, s31, 16
	s_mul_hi_u32 s0, s1, s0
	v_writelane_b32 v127, s34, 17
	s_ashr_i32 s36, s12, 31
	s_add_i32 s37, s1, s0
	s_sub_i32 s0, 0, s98
	v_readfirstlane_b32 s1, v0
	v_writelane_b32 v127, s35, 18
	s_mul_i32 s0, s0, s1
	v_mbcnt_lo_u32_b32 v0, -1, 0
	v_writelane_b32 v127, s36, 19
	s_ashr_i32 s38, s14, 31
	s_mul_hi_u32 s0, s1, s0
	v_mbcnt_hi_u32_b32 v0, -1, v0
	v_writelane_b32 v127, s37, 20
	v_mov_b32_e32 v65, 0
	v_mul_lo_u32 v68, s23, v80
	v_or_b32_e32 v97, v5, v3
	s_add_i32 s39, s1, s0
	v_and_or_b32 v0, v0, 64, v6
	v_writelane_b32 v127, s38, 21
	v_ashrrev_i32_e32 v69, 31, v68
	v_mov_b32_e32 v67, v65
	s_lshl_b32 s24, s23, 5
	v_mul_lo_u32 v95, s22, v80
	v_or_b32_e32 v98, 2, v97
	v_lshlrev_b32_e32 v64, 1, v2
	v_lshlrev_b32_e32 v99, 2, v0
	v_mov_b32_e32 v100, v72
	v_writelane_b32 v127, s39, 22
	s_branch .LBB363_7
.LBB363_4:                              ;   in Loop: Header=BB363_7 Depth=1
	s_or_b64 exec, exec, s[4:5]
.LBB363_5:                              ;   in Loop: Header=BB363_7 Depth=1
	s_or_b64 exec, exec, s[2:3]
	v_subrev_u32_e32 v100, s10, v100
.LBB363_6:                              ;   in Loop: Header=BB363_7 Depth=1
	s_or_b64 exec, exec, s[0:1]
	s_add_i32 s33, s33, 1
	v_cmp_ge_i32_e32 vcc, s33, v78
	s_cbranch_vccnz .LBB363_54
.LBB363_7:                              ; =>This Loop Header: Depth=1
                                        ;     Child Loop BB363_13 Depth 2
                                        ;       Child Loop BB363_15 Depth 3
                                        ;       Child Loop BB363_18 Depth 3
	;; [unrolled: 1-line block ×5, first 2 shown]
                                        ;     Child Loop BB363_32 Depth 2
                                        ;     Child Loop BB363_41 Depth 2
                                        ;       Child Loop BB363_43 Depth 3
                                        ;     Child Loop BB363_51 Depth 2
                                        ;       Child Loop BB363_53 Depth 3
	s_abs_i32 s1, s33
	s_mul_hi_u32 s2, s1, s37
	s_mul_i32 s3, s2, s97
	s_ashr_i32 s0, s33, 31
	s_sub_i32 s1, s1, s3
	s_xor_b32 s0, s0, s36
	s_add_i32 s3, s2, 1
	s_sub_i32 s4, s1, s97
	s_cmp_ge_u32 s1, s97
	s_cselect_b32 s2, s3, s2
	s_cselect_b32 s1, s4, s1
	s_add_i32 s3, s2, 1
	s_cmp_ge_u32 s1, s97
	s_cselect_b32 s1, s3, s2
	s_xor_b32 s1, s1, s0
	s_sub_i32 s0, s1, s0
	s_abs_i32 s2, s0
	s_mul_i32 s1, s0, s12
	s_mul_hi_u32 s3, s2, s39
	s_sub_i32 s1, s33, s1
	s_mul_i32 s4, s3, s98
	s_lshl_b32 s99, s1, 7
	s_ashr_i32 s1, s0, 31
	s_sub_i32 s2, s2, s4
	s_xor_b32 s1, s1, s38
	s_add_i32 s4, s3, 1
	s_sub_i32 s5, s2, s98
	s_cmp_ge_u32 s2, s98
	s_cselect_b32 s3, s4, s3
	s_cselect_b32 s2, s5, s2
	s_add_i32 s4, s3, 1
	s_cmp_ge_u32 s2, s98
	s_cselect_b32 s2, s4, s3
	s_xor_b32 s2, s2, s1
	s_sub_i32 s1, s2, s1
	s_mul_i32 s2, s1, s15
	s_lshl_b32 s44, s2, 6
	s_cmp_eq_u32 s1, s30
	s_cselect_b32 s4, s31, s15
	s_sub_i32 s2, s99, s20
	s_addk_i32 s2, 0x80
	s_max_i32 s96, s2, 0
	s_and_saveexec_b64 s[2:3], s[28:29]
	s_xor_b64 s[46:47], exec, s[2:3]
	s_cbranch_execz .LBB363_47
; %bb.8:                                ;   in Loop: Header=BB363_7 Depth=1
	s_mul_i32 s1, s1, s14
	s_sub_i32 s0, s0, s1
	s_lshl_b32 s0, s0, 7
	s_sub_i32 s5, s0, s21
	s_addk_i32 s5, 0x80
	s_max_i32 s1, s5, 0
	s_sub_i32 s0, s0, s1
	s_and_saveexec_b64 s[2:3], s[18:19]
	s_xor_b64 s[2:3], exec, s[2:3]
	s_cbranch_execz .LBB363_37
; %bb.9:                                ;   in Loop: Header=BB363_7 Depth=1
	s_and_saveexec_b64 s[48:49], s[34:35]
	s_cbranch_execz .LBB363_36
; %bb.10:                               ;   in Loop: Header=BB363_7 Depth=1
	global_load_dword v101, v65, s[78:79]
	v_mov_b32_e32 v63, 0
	v_cmp_gt_i32_e32 vcc, s4, v100
	v_mov_b32_e32 v62, v63
	v_mov_b32_e32 v61, v63
	;; [unrolled: 1-line block ×63, first 2 shown]
	s_and_saveexec_b64 s[6:7], vcc
	s_cbranch_execz .LBB363_29
; %bb.11:                               ;   in Loop: Header=BB363_7 Depth=1
	v_mov_b32_e32 v0, 0
	s_mov_b64 s[8:9], 0
	v_mov_b32_e32 v1, v0
	v_mov_b32_e32 v2, v0
	v_mov_b32_e32 v3, v0
	v_mov_b32_e32 v4, v0
	v_mov_b32_e32 v5, v0
	v_mov_b32_e32 v6, v0
	v_mov_b32_e32 v7, v0
	v_mov_b32_e32 v8, v0
	v_mov_b32_e32 v9, v0
	v_mov_b32_e32 v10, v0
	v_mov_b32_e32 v11, v0
	v_mov_b32_e32 v12, v0
	v_mov_b32_e32 v13, v0
	v_mov_b32_e32 v14, v0
	v_mov_b32_e32 v15, v0
	v_mov_b32_e32 v16, v0
	v_mov_b32_e32 v17, v0
	v_mov_b32_e32 v18, v0
	v_mov_b32_e32 v19, v0
	v_mov_b32_e32 v20, v0
	v_mov_b32_e32 v21, v0
	v_mov_b32_e32 v22, v0
	v_mov_b32_e32 v23, v0
	v_mov_b32_e32 v24, v0
	v_mov_b32_e32 v25, v0
	v_mov_b32_e32 v26, v0
	v_mov_b32_e32 v27, v0
	v_mov_b32_e32 v28, v0
	v_mov_b32_e32 v29, v0
	v_mov_b32_e32 v30, v0
	v_mov_b32_e32 v31, v0
	v_mov_b32_e32 v32, v0
	v_mov_b32_e32 v33, v0
	v_mov_b32_e32 v34, v0
	v_mov_b32_e32 v35, v0
	v_mov_b32_e32 v36, v0
	v_mov_b32_e32 v37, v0
	v_mov_b32_e32 v38, v0
	v_mov_b32_e32 v39, v0
	v_mov_b32_e32 v40, v0
	v_mov_b32_e32 v41, v0
	v_mov_b32_e32 v42, v0
	v_mov_b32_e32 v43, v0
	v_mov_b32_e32 v44, v0
	v_mov_b32_e32 v45, v0
	v_mov_b32_e32 v46, v0
	v_mov_b32_e32 v47, v0
	v_mov_b32_e32 v48, v0
	v_mov_b32_e32 v49, v0
	v_mov_b32_e32 v50, v0
	v_mov_b32_e32 v51, v0
	v_mov_b32_e32 v52, v0
	v_mov_b32_e32 v53, v0
	v_mov_b32_e32 v54, v0
	v_mov_b32_e32 v55, v0
	v_mov_b32_e32 v56, v0
	v_mov_b32_e32 v57, v0
	v_mov_b32_e32 v58, v0
	v_mov_b32_e32 v59, v0
	v_mov_b32_e32 v60, v0
	v_mov_b32_e32 v61, v0
	v_mov_b32_e32 v62, v0
	v_mov_b32_e32 v63, v0
	s_branch .LBB363_13
.LBB363_12:                             ;   in Loop: Header=BB363_13 Depth=2
	s_or_b64 exec, exec, s[10:11]
	v_add_u32_e32 v108, 0x1800, v105
	ds_read2_b32 v[106:107], v108 offset1:32
	v_add_u32_e32 v100, s27, v100
	s_waitcnt lgkmcnt(0)
	v_mfma_f32_32x32x16_fp8_fp8 v[0:15], v[76:77], v[106:107], v[0:15]
	ds_read2_b32 v[76:77], v108 offset0:128 offset1:160
	s_waitcnt lgkmcnt(0)
	v_mfma_f32_32x32x16_fp8_fp8 v[0:15], v[74:75], v[76:77], v[0:15]
	v_add_u32_e32 v76, 0x1c00, v105
	ds_read2_b32 v[74:75], v76 offset1:32
	ds_read2_b32 v[76:77], v76 offset0:128 offset1:160
	ds_write_b32 v103, v104 offset:32796
	s_waitcnt lgkmcnt(2)
	v_mfma_f32_32x32x16_fp8_fp8 v[0:15], v[72:73], v[74:75], v[0:15]
	v_add_u32_e32 v72, s27, v102
	v_add_u32_e32 v73, 2, v79
	v_cmp_lt_i32_e32 vcc, 1, v72
	s_nop 1
	v_cndmask_b32_e32 v79, v79, v73, vcc
	v_cmp_le_i32_e32 vcc, s4, v100
	s_waitcnt lgkmcnt(1)
	v_mfma_f32_32x32x16_fp8_fp8 v[0:15], v[70:71], v[76:77], v[0:15]
	s_or_b64 s[8:9], vcc, s[8:9]
	s_andn2_b64 exec, exec, s[8:9]
	s_cbranch_execz .LBB363_28
.LBB363_13:                             ;   Parent Loop BB363_7 Depth=1
                                        ; =>  This Loop Header: Depth=2
                                        ;       Child Loop BB363_15 Depth 3
                                        ;       Child Loop BB363_18 Depth 3
	;; [unrolled: 1-line block ×5, first 2 shown]
	v_cmp_gt_i32_e32 vcc, 2, v72
	s_nop 1
	v_cndmask_b32_e64 v70, -2, 0, vcc
	v_add_u32_e32 v102, v70, v72
	v_lshlrev_b32_e32 v103, 5, v102
	ds_read_b32 v70, v103 offset:32768
	s_waitcnt lgkmcnt(0)
	v_cmp_ne_u32_e32 vcc, v70, v79
	s_and_saveexec_b64 s[10:11], vcc
	s_cbranch_execz .LBB363_16
; %bb.14:                               ;   in Loop: Header=BB363_13 Depth=2
	s_mov_b64 s[12:13], 0
.LBB363_15:                             ;   Parent Loop BB363_7 Depth=1
                                        ;     Parent Loop BB363_13 Depth=2
                                        ; =>    This Inner Loop Header: Depth=3
	;;#ASMSTART
	s_sleep 0
	;;#ASMEND
	ds_read_b32 v70, v103 offset:32768
	s_waitcnt lgkmcnt(0)
	v_cmp_eq_u32_e32 vcc, v70, v79
	s_or_b64 s[12:13], vcc, s[12:13]
	s_andn2_b64 exec, exec, s[12:13]
	s_cbranch_execnz .LBB363_15
.LBB363_16:                             ;   in Loop: Header=BB363_13 Depth=2
	s_or_b64 exec, exec, s[10:11]
	v_lshl_or_b32 v70, v102, 11, v81
	ds_read2_b32 v[76:77], v70 offset1:32
	ds_read2_b32 v[74:75], v70 offset0:128 offset1:160
	v_add_u32_e32 v70, 0x400, v70
	ds_read2_b32 v[72:73], v70 offset1:32
	ds_read_b32 v105, v103 offset:32772
	ds_read2_b32 v[70:71], v70 offset0:128 offset1:160
	v_add_u32_e32 v104, 1, v79
	ds_write_b32 v103, v104 offset:32768
	s_waitcnt lgkmcnt(2)
	v_cmp_ne_u32_e32 vcc, v105, v79
	s_and_saveexec_b64 s[10:11], vcc
	s_cbranch_execz .LBB363_19
; %bb.17:                               ;   in Loop: Header=BB363_13 Depth=2
	s_mov_b64 s[12:13], 0
.LBB363_18:                             ;   Parent Loop BB363_7 Depth=1
                                        ;     Parent Loop BB363_13 Depth=2
                                        ; =>    This Inner Loop Header: Depth=3
	;;#ASMSTART
	s_sleep 0
	;;#ASMEND
	ds_read_b32 v105, v103 offset:32772
	s_waitcnt lgkmcnt(0)
	v_cmp_eq_u32_e32 vcc, v105, v79
	s_or_b64 s[12:13], vcc, s[12:13]
	s_andn2_b64 exec, exec, s[12:13]
	s_cbranch_execnz .LBB363_18
.LBB363_19:                             ;   in Loop: Header=BB363_13 Depth=2
	s_or_b64 exec, exec, s[10:11]
	v_lshlrev_b32_e32 v105, 13, v102
	v_add_u32_e32 v105, v82, v105
	ds_read2_b32 v[106:107], v105 offset1:32
	v_add_u32_e32 v108, 0x400, v105
	ds_write_b32 v103, v104 offset:32772
	s_waitcnt lgkmcnt(1)
	v_mfma_f32_32x32x16_fp8_fp8 v[48:63], v[76:77], v[106:107], v[48:63]
	ds_read2_b32 v[106:107], v105 offset0:128 offset1:160
	s_waitcnt lgkmcnt(0)
	v_mfma_f32_32x32x16_fp8_fp8 v[48:63], v[74:75], v[106:107], v[48:63]
	ds_read2_b32 v[106:107], v108 offset1:32
	s_waitcnt lgkmcnt(0)
	v_mfma_f32_32x32x16_fp8_fp8 v[48:63], v[72:73], v[106:107], v[48:63]
	ds_read2_b32 v[106:107], v108 offset0:128 offset1:160
	ds_read_b32 v108, v103 offset:32780
	s_waitcnt lgkmcnt(0)
	v_cmp_ne_u32_e32 vcc, v108, v79
	v_mfma_f32_32x32x16_fp8_fp8 v[48:63], v[70:71], v[106:107], v[48:63]
	s_and_saveexec_b64 s[10:11], vcc
	s_cbranch_execz .LBB363_22
; %bb.20:                               ;   in Loop: Header=BB363_13 Depth=2
	s_mov_b64 s[12:13], 0
.LBB363_21:                             ;   Parent Loop BB363_7 Depth=1
                                        ;     Parent Loop BB363_13 Depth=2
                                        ; =>    This Inner Loop Header: Depth=3
	;;#ASMSTART
	s_sleep 0
	;;#ASMEND
	ds_read_b32 v106, v103 offset:32780
	s_waitcnt lgkmcnt(0)
	v_cmp_eq_u32_e32 vcc, v106, v79
	s_or_b64 s[12:13], vcc, s[12:13]
	s_andn2_b64 exec, exec, s[12:13]
	s_cbranch_execnz .LBB363_21
.LBB363_22:                             ;   in Loop: Header=BB363_13 Depth=2
	s_or_b64 exec, exec, s[10:11]
	v_add_u32_e32 v108, 0x800, v105
	ds_read2_b32 v[106:107], v108 offset1:32
	s_waitcnt lgkmcnt(0)
	v_mfma_f32_32x32x16_fp8_fp8 v[32:47], v[76:77], v[106:107], v[32:47]
	ds_read2_b32 v[106:107], v108 offset0:128 offset1:160
	v_add_u32_e32 v108, 0xc00, v105
	s_waitcnt lgkmcnt(0)
	v_mfma_f32_32x32x16_fp8_fp8 v[32:47], v[74:75], v[106:107], v[32:47]
	ds_read2_b32 v[106:107], v108 offset1:32
	s_waitcnt lgkmcnt(0)
	v_mfma_f32_32x32x16_fp8_fp8 v[32:47], v[72:73], v[106:107], v[32:47]
	ds_read_b32 v109, v103 offset:32788
	ds_read2_b32 v[106:107], v108 offset0:128 offset1:160
	ds_write_b32 v103, v104 offset:32780
	s_waitcnt lgkmcnt(2)
	v_cmp_ne_u32_e32 vcc, v109, v79
	s_waitcnt lgkmcnt(1)
	v_mfma_f32_32x32x16_fp8_fp8 v[32:47], v[70:71], v[106:107], v[32:47]
	s_and_saveexec_b64 s[10:11], vcc
	s_cbranch_execz .LBB363_25
; %bb.23:                               ;   in Loop: Header=BB363_13 Depth=2
	s_mov_b64 s[12:13], 0
.LBB363_24:                             ;   Parent Loop BB363_7 Depth=1
                                        ;     Parent Loop BB363_13 Depth=2
                                        ; =>    This Inner Loop Header: Depth=3
	;;#ASMSTART
	s_sleep 0
	;;#ASMEND
	ds_read_b32 v106, v103 offset:32788
	s_waitcnt lgkmcnt(0)
	v_cmp_eq_u32_e32 vcc, v106, v79
	s_or_b64 s[12:13], vcc, s[12:13]
	s_andn2_b64 exec, exec, s[12:13]
	s_cbranch_execnz .LBB363_24
.LBB363_25:                             ;   in Loop: Header=BB363_13 Depth=2
	s_or_b64 exec, exec, s[10:11]
	v_add_u32_e32 v108, 0x1000, v105
	ds_read2_b32 v[106:107], v108 offset1:32
	s_waitcnt lgkmcnt(0)
	v_mfma_f32_32x32x16_fp8_fp8 v[16:31], v[76:77], v[106:107], v[16:31]
	ds_read2_b32 v[106:107], v108 offset0:128 offset1:160
	v_add_u32_e32 v108, 0x1400, v105
	s_waitcnt lgkmcnt(0)
	v_mfma_f32_32x32x16_fp8_fp8 v[16:31], v[74:75], v[106:107], v[16:31]
	ds_read2_b32 v[106:107], v108 offset1:32
	s_waitcnt lgkmcnt(0)
	v_mfma_f32_32x32x16_fp8_fp8 v[16:31], v[72:73], v[106:107], v[16:31]
	ds_read_b32 v109, v103 offset:32796
	ds_read2_b32 v[106:107], v108 offset0:128 offset1:160
	ds_write_b32 v103, v104 offset:32788
	s_waitcnt lgkmcnt(2)
	v_cmp_ne_u32_e32 vcc, v109, v79
	s_waitcnt lgkmcnt(1)
	v_mfma_f32_32x32x16_fp8_fp8 v[16:31], v[70:71], v[106:107], v[16:31]
	s_and_saveexec_b64 s[10:11], vcc
	s_cbranch_execz .LBB363_12
; %bb.26:                               ;   in Loop: Header=BB363_13 Depth=2
	s_mov_b64 s[12:13], 0
.LBB363_27:                             ;   Parent Loop BB363_7 Depth=1
                                        ;     Parent Loop BB363_13 Depth=2
                                        ; =>    This Inner Loop Header: Depth=3
	;;#ASMSTART
	s_sleep 0
	;;#ASMEND
	ds_read_b32 v106, v103 offset:32796
	s_waitcnt lgkmcnt(0)
	v_cmp_eq_u32_e32 vcc, v106, v79
	s_or_b64 s[12:13], vcc, s[12:13]
	s_andn2_b64 exec, exec, s[12:13]
	s_cbranch_execnz .LBB363_27
	s_branch .LBB363_12
.LBB363_28:                             ;   in Loop: Header=BB363_7 Depth=1
	s_or_b64 exec, exec, s[8:9]
.LBB363_29:                             ;   in Loop: Header=BB363_7 Depth=1
	v_writelane_b32 v127, s48, 23
	s_nop 1
	v_writelane_b32 v127, s49, 24
	v_writelane_b32 v127, s46, 25
	s_nop 1
	v_writelane_b32 v127, s47, 26
	v_writelane_b32 v127, s44, 27
	s_or_b64 exec, exec, s[6:7]
	v_cmp_le_i32_e32 vcc, s5, v80
	v_cmp_eq_u32_e64 s[64:65], 1, v83
	v_cmp_eq_u32_e64 s[30:31], 2, v83
	s_waitcnt vmcnt(0)
	v_cndmask_b32_e32 v70, 0, v101, vcc
	v_pk_mul_f32 v[48:49], v[70:71], v[48:49] op_sel_hi:[0,1]
	v_pk_mul_f32 v[62:63], v[70:71], v[62:63] op_sel_hi:[0,1]
	;; [unrolled: 1-line block ×8, first 2 shown]
	v_cndmask_b32_e64 v70, v48, v49, s[64:65]
	v_cndmask_b32_e64 v70, v70, v50, s[30:31]
	v_cmp_eq_u32_e64 s[40:41], 3, v83
	v_cmp_eq_u32_e64 s[42:43], 4, v83
	v_cmp_eq_u32_e64 s[44:45], 5, v83
	v_cndmask_b32_e64 v70, v70, v51, s[40:41]
	v_cndmask_b32_e64 v70, v70, v52, s[42:43]
	v_cndmask_b32_e64 v70, v70, v53, s[44:45]
	v_cmp_eq_u32_e64 s[46:47], 6, v83
	v_cmp_eq_u32_e64 s[48:49], 7, v83
	v_cmp_eq_u32_e64 s[50:51], 8, v83
	v_cndmask_b32_e64 v70, v70, v54, s[46:47]
	v_cndmask_b32_e64 v70, v70, v55, s[48:49]
	v_cndmask_b32_e64 v70, v70, v56, s[50:51]
	v_cmp_eq_u32_e64 s[52:53], 9, v83
	v_cmp_eq_u32_e64 s[54:55], 10, v83
	v_cmp_eq_u32_e64 s[56:57], 11, v83
	v_cndmask_b32_e64 v70, v70, v57, s[52:53]
	v_cndmask_b32_e64 v70, v70, v58, s[54:55]
	v_cndmask_b32_e64 v70, v70, v59, s[56:57]
	v_cmp_eq_u32_e64 s[58:59], 12, v83
	v_cmp_eq_u32_e64 s[60:61], 13, v83
	v_cmp_eq_u32_e64 s[62:63], 14, v83
	v_cndmask_b32_e64 v70, v70, v60, s[58:59]
	v_cndmask_b32_e64 v70, v70, v61, s[60:61]
	v_cndmask_b32_e64 v70, v70, v62, s[62:63]
	v_cmp_eq_u32_e64 s[66:67], 15, v83
	s_mul_i32 s6, s99, s21
	s_ashr_i32 s7, s6, 31
	v_cndmask_b32_e64 v70, v70, v63, s[66:67]
	ds_bpermute_b32 v70, v99, v70
	s_lshl_b64 s[6:7], s[6:7], 1
	v_cmp_eq_u32_e64 s[36:37], 0, v83
	s_add_u32 s70, s76, s6
	v_cmp_eq_u32_e32 vcc, 1, v84
	s_waitcnt lgkmcnt(0)
	v_cndmask_b32_e64 v63, v63, v70, s[66:67]
	v_cndmask_b32_e64 v62, v62, v70, s[62:63]
	v_cndmask_b32_e64 v61, v61, v70, s[60:61]
	v_cndmask_b32_e64 v60, v60, v70, s[58:59]
	v_cndmask_b32_e64 v59, v59, v70, s[56:57]
	v_cndmask_b32_e64 v58, v58, v70, s[54:55]
	v_cndmask_b32_e64 v57, v57, v70, s[52:53]
	v_cndmask_b32_e64 v56, v56, v70, s[50:51]
	v_cndmask_b32_e64 v73, v55, v70, s[48:49]
	v_cndmask_b32_e64 v74, v54, v70, s[46:47]
	v_cndmask_b32_e64 v75, v53, v70, s[44:45]
	v_cndmask_b32_e64 v76, v52, v70, s[42:43]
	v_cndmask_b32_e64 v77, v51, v70, s[40:41]
	v_cndmask_b32_e64 v102, v50, v70, s[30:31]
	v_cndmask_b32_e64 v103, v49, v70, s[64:65]
	v_cndmask_b32_e64 v70, v48, v70, s[36:37]
	s_addc_u32 s71, s77, s7
	v_cndmask_b32_e32 v48, v70, v103, vcc
	v_cmp_eq_u32_e64 s[6:7], 2, v84
	v_cmp_eq_u32_e64 s[8:9], 3, v84
	v_cmp_eq_u32_e64 s[10:11], 4, v84
	v_cndmask_b32_e64 v48, v48, v102, s[6:7]
	v_cndmask_b32_e64 v48, v48, v77, s[8:9]
	v_cndmask_b32_e64 v48, v48, v76, s[10:11]
	v_cmp_eq_u32_e64 s[12:13], 5, v84
	v_cmp_eq_u32_e64 s[14:15], 6, v84
	v_cmp_eq_u32_e64 s[16:17], 7, v84
	v_cndmask_b32_e64 v48, v48, v75, s[12:13]
	v_cndmask_b32_e64 v48, v48, v74, s[14:15]
	v_cndmask_b32_e64 v48, v48, v73, s[16:17]
	;; [unrolled: 6-line block ×4, first 2 shown]
	v_cmp_eq_u32_e64 s[34:35], 14, v84
	v_cmp_eq_u32_e64 s[38:39], 15, v84
	s_ashr_i32 s1, s0, 31
	v_cndmask_b32_e64 v48, v48, v62, s[34:35]
	v_cndmask_b32_e64 v48, v48, v63, s[38:39]
	ds_bpermute_b32 v71, v99, v48
	s_lshl_b64 s[68:69], s[0:1], 1
	s_add_u32 s68, s70, s68
	s_addc_u32 s69, s71, s69
	v_writelane_b32 v127, s68, 28
	v_or_b32_e32 v48, 32, v80
	s_waitcnt lgkmcnt(0)
	v_cndmask_b32_e64 v55, v57, v71, s[76:77]
	v_writelane_b32 v127, s69, 29
	v_cndmask_b32_e64 v57, v73, v71, s[16:17]
	v_cmp_le_i32_e64 s[68:69], s5, v48
	v_or_b32_e32 v73, 64, v80
	v_cndmask_b32_e64 v49, v63, v71, s[38:39]
	v_cndmask_b32_e64 v48, 0, v101, s[68:69]
	v_cmp_le_i32_e64 s[68:69], s5, v73
	v_or_b32_e32 v73, 0x60, v80
	v_cndmask_b32_e64 v54, v58, v71, s[78:79]
	v_cndmask_b32_e64 v58, v74, v71, s[14:15]
	v_cndmask_b32_e64 v74, 0, v101, s[68:69]
	v_cmp_le_i32_e64 s[70:71], s5, v73
	v_cmp_eq_u32_e64 s[68:69], 0, v84
	v_pk_mul_f32 v[32:33], v[48:49], v[32:33] op_sel_hi:[0,1]
	v_pk_mul_f32 v[30:31], v[74:75], v[30:31] op_sel_hi:[0,1]
	;; [unrolled: 1-line block ×9, first 2 shown]
	v_cndmask_b32_e64 v74, 0, v101, s[70:71]
	v_cndmask_b32_e64 v50, v62, v71, s[34:35]
	v_cndmask_b32_e64 v51, v61, v71, s[28:29]
	v_cndmask_b32_e64 v52, v60, v71, s[82:83]
	v_cndmask_b32_e64 v53, v59, v71, s[80:81]
	v_cndmask_b32_e64 v56, v56, v71, s[18:19]
	v_cndmask_b32_e64 v59, v75, v71, s[12:13]
	v_cndmask_b32_e64 v60, v76, v71, s[10:11]
	v_cndmask_b32_e64 v61, v77, v71, s[8:9]
	v_cndmask_b32_e64 v62, v102, v71, s[6:7]
	v_cndmask_b32_e32 v63, v103, v71, vcc
	v_cndmask_b32_e64 v70, v70, v71, s[68:69]
	v_pk_mul_f32 v[46:47], v[48:49], v[46:47] op_sel_hi:[0,1]
	v_pk_mul_f32 v[44:45], v[48:49], v[44:45] op_sel_hi:[0,1]
	;; [unrolled: 1-line block ×7, first 2 shown]
	v_cndmask_b32_e64 v48, v32, v33, s[64:65]
	v_cndmask_b32_e64 v71, v16, v17, s[64:65]
	v_pk_mul_f32 v[0:1], v[74:75], v[0:1] op_sel_hi:[0,1]
	v_cndmask_b32_e64 v48, v48, v34, s[30:31]
	v_cndmask_b32_e64 v71, v71, v18, s[30:31]
	v_pk_mul_f32 v[14:15], v[74:75], v[14:15] op_sel_hi:[0,1]
	v_pk_mul_f32 v[12:13], v[74:75], v[12:13] op_sel_hi:[0,1]
	;; [unrolled: 1-line block ×7, first 2 shown]
	v_cndmask_b32_e64 v74, v0, v1, s[64:65]
	v_cndmask_b32_e64 v48, v48, v35, s[40:41]
	;; [unrolled: 1-line block ×40, first 2 shown]
	ds_bpermute_b32 v48, v99, v48
	ds_bpermute_b32 v71, v99, v71
	v_cndmask_b32_e64 v74, v74, v15, s[66:67]
	ds_bpermute_b32 v74, v99, v74
	v_cmp_eq_u32_e64 s[70:71], 1, v85
	s_waitcnt lgkmcnt(2)
	v_cndmask_b32_e64 v33, v33, v48, s[64:65]
	s_waitcnt lgkmcnt(1)
	v_cndmask_b32_e64 v17, v17, v71, s[64:65]
	v_cndmask_b32_e64 v73, v70, v63, s[70:71]
	v_cmp_eq_u32_e64 s[64:65], 2, v85
	v_cndmask_b32_e64 v47, v47, v48, s[66:67]
	v_cndmask_b32_e64 v31, v31, v71, s[66:67]
	;; [unrolled: 1-line block ×3, first 2 shown]
	s_waitcnt lgkmcnt(0)
	v_cndmask_b32_e64 v15, v15, v74, s[66:67]
	v_cmp_eq_u32_e64 s[66:67], 3, v85
	v_cndmask_b32_e64 v46, v46, v48, s[62:63]
	v_cndmask_b32_e64 v30, v30, v71, s[62:63]
	v_cndmask_b32_e64 v73, v73, v61, s[66:67]
	v_cndmask_b32_e64 v14, v14, v74, s[62:63]
	v_cmp_eq_u32_e64 s[62:63], 4, v85
	v_cndmask_b32_e64 v45, v45, v48, s[60:61]
	v_cndmask_b32_e64 v29, v29, v71, s[60:61]
	v_cndmask_b32_e64 v73, v73, v60, s[62:63]
	v_cndmask_b32_e64 v13, v13, v74, s[60:61]
	v_cmp_eq_u32_e64 s[60:61], 5, v85
	v_cndmask_b32_e64 v44, v44, v48, s[58:59]
	v_cndmask_b32_e64 v28, v28, v71, s[58:59]
	v_cndmask_b32_e64 v73, v73, v59, s[60:61]
	v_cndmask_b32_e64 v12, v12, v74, s[58:59]
	v_cmp_eq_u32_e64 s[58:59], 6, v85
	v_cndmask_b32_e64 v43, v43, v48, s[56:57]
	v_cndmask_b32_e64 v27, v27, v71, s[56:57]
	v_cndmask_b32_e64 v73, v73, v58, s[58:59]
	v_cndmask_b32_e64 v11, v11, v74, s[56:57]
	v_cmp_eq_u32_e64 s[56:57], 7, v85
	v_cmp_eq_u32_e64 s[72:73], 8, v85
	v_cndmask_b32_e64 v41, v41, v48, s[52:53]
	v_cndmask_b32_e64 v73, v73, v57, s[56:57]
	;; [unrolled: 1-line block ×5, first 2 shown]
	v_cmp_eq_u32_e64 s[52:53], 9, v85
	v_cmp_eq_u32_e64 s[74:75], 10, v85
	v_cndmask_b32_e64 v42, v42, v48, s[54:55]
	v_cndmask_b32_e64 v73, v73, v55, s[52:53]
	;; [unrolled: 1-line block ×5, first 2 shown]
	v_cmp_eq_u32_e64 s[54:55], 11, v85
	v_cndmask_b32_e64 v39, v39, v48, s[48:49]
	v_cndmask_b32_e64 v23, v23, v71, s[48:49]
	v_cndmask_b32_e64 v7, v7, v74, s[48:49]
	v_cndmask_b32_e64 v73, v73, v53, s[54:55]
	v_cmp_eq_u32_e64 s[48:49], 12, v85
	v_cndmask_b32_e64 v37, v37, v48, s[44:45]
	v_cndmask_b32_e64 v21, v21, v71, s[44:45]
	v_cndmask_b32_e64 v73, v73, v52, s[48:49]
	v_cndmask_b32_e64 v5, v5, v74, s[44:45]
	;; [unrolled: 5-line block ×4, first 2 shown]
	v_cmp_eq_u32_e64 s[42:43], 15, v85
	v_cndmask_b32_e64 v34, v34, v48, s[30:31]
	v_cndmask_b32_e64 v18, v18, v71, s[30:31]
	;; [unrolled: 1-line block ×3, first 2 shown]
	ds_bpermute_b32 v73, v99, v73
	v_cndmask_b32_e64 v2, v2, v74, s[30:31]
	v_cmp_ne_u32_e64 s[30:31], 0, v83
	v_cndmask_b32_e64 v32, v32, v48, s[36:37]
	v_cndmask_b32_e64 v40, v40, v48, s[50:51]
	;; [unrolled: 1-line block ×6, first 2 shown]
	v_cmp_eq_u32_e64 s[50:51], 0, v85
	v_cndmask_b32_e32 v48, v32, v33, vcc
	v_cndmask_b32_e64 v0, v0, v74, s[36:37]
	s_waitcnt lgkmcnt(0)
	v_cndmask_b32_e64 v49, v49, v73, s[42:43]
	v_cndmask_b32_e64 v50, v50, v73, s[46:47]
	;; [unrolled: 1-line block ×17, first 2 shown]
	v_cndmask_b32_e32 v73, v0, v1, vcc
	v_cndmask_b32_e64 v3, v3, v74, s[40:41]
	v_cndmask_b32_e64 v48, v48, v35, s[8:9]
	;; [unrolled: 1-line block ×22, first 2 shown]
	v_cndmask_b32_e32 v71, v16, v17, vcc
	v_cndmask_b32_e64 v73, v73, v11, s[80:81]
	v_cndmask_b32_e64 v48, v48, v45, s[28:29]
	;; [unrolled: 1-line block ×10, first 2 shown]
	ds_bpermute_b32 v48, v99, v48
	v_cndmask_b32_e64 v71, v71, v21, s[12:13]
	v_cndmask_b32_e64 v73, v73, v15, s[38:39]
	;; [unrolled: 1-line block ×3, first 2 shown]
	ds_bpermute_b32 v73, v99, v73
	v_cndmask_b32_e64 v71, v71, v23, s[16:17]
	v_cndmask_b32_e64 v71, v71, v24, s[18:19]
	v_cndmask_b32_e64 v71, v71, v25, s[76:77]
	v_cndmask_b32_e64 v71, v71, v26, s[78:79]
	s_waitcnt lgkmcnt(1)
	v_cndmask_b32_e32 v33, v33, v48, vcc
	v_cndmask_b32_e64 v32, v32, v48, s[68:69]
	v_cndmask_b32_e64 v71, v71, v27, s[80:81]
	;; [unrolled: 1-line block ×16, first 2 shown]
	s_waitcnt lgkmcnt(0)
	v_cndmask_b32_e32 v1, v1, v73, vcc
	v_cndmask_b32_e64 v48, v32, v33, s[70:71]
	v_cndmask_b32_e64 v0, v0, v73, s[68:69]
	;; [unrolled: 1-line block ×28, first 2 shown]
	ds_bpermute_b32 v71, v99, v71
	v_cndmask_b32_e64 v48, v48, v38, s[58:59]
	v_cndmask_b32_e64 v73, v73, v5, s[60:61]
	;; [unrolled: 1-line block ×8, first 2 shown]
	v_cmp_eq_u32_e64 s[30:31], 1, v86
	v_cndmask_b32_e64 v48, v48, v42, s[74:75]
	v_cndmask_b32_e64 v73, v73, v9, s[52:53]
	;; [unrolled: 1-line block ×3, first 2 shown]
	v_cmp_eq_u32_e64 s[36:37], 2, v86
	s_waitcnt lgkmcnt(0)
	v_cndmask_b32_e32 v17, v17, v71, vcc
	v_cndmask_b32_e64 v48, v48, v43, s[54:55]
	v_cndmask_b32_e64 v16, v16, v71, s[68:69]
	;; [unrolled: 1-line block ×6, first 2 shown]
	v_cmp_eq_u32_e64 s[34:35], 3, v86
	v_cndmask_b32_e64 v29, v29, v71, s[28:29]
	v_cndmask_b32_e64 v28, v28, v71, s[82:83]
	;; [unrolled: 1-line block ×16, first 2 shown]
	v_cmp_eq_u32_e64 s[40:41], 4, v86
	v_cndmask_b32_e64 v48, v48, v45, s[44:45]
	v_cndmask_b32_e64 v71, v71, v18, s[64:65]
	v_cndmask_b32_e64 v73, v73, v12, s[48:49]
	v_cndmask_b32_e64 v74, v74, v60, s[40:41]
	v_cmp_eq_u32_e64 s[84:85], 5, v86
	v_cndmask_b32_e64 v48, v48, v46, s[46:47]
	v_cndmask_b32_e64 v71, v71, v19, s[66:67]
	v_cndmask_b32_e64 v73, v73, v13, s[44:45]
	v_cndmask_b32_e64 v74, v74, v59, s[84:85]
	;; [unrolled: 5-line block ×3, first 2 shown]
	v_cmp_eq_u32_e64 s[78:79], 7, v86
	ds_bpermute_b32 v48, v99, v48
	v_cndmask_b32_e64 v71, v71, v21, s[60:61]
	v_cndmask_b32_e64 v73, v73, v15, s[42:43]
	;; [unrolled: 1-line block ×3, first 2 shown]
	v_cmp_eq_u32_e64 s[92:93], 8, v86
	v_cndmask_b32_e64 v71, v71, v22, s[58:59]
	ds_bpermute_b32 v73, v99, v73
	v_cndmask_b32_e64 v74, v74, v56, s[92:93]
	v_cmp_eq_u32_e64 s[18:19], 9, v86
	v_cndmask_b32_e64 v71, v71, v23, s[56:57]
	v_cmp_eq_u32_e64 s[16:17], 10, v86
	v_cndmask_b32_e64 v74, v74, v55, s[18:19]
	v_cndmask_b32_e64 v71, v71, v24, s[72:73]
	;; [unrolled: 1-line block ×3, first 2 shown]
	v_cmp_eq_u32_e64 s[14:15], 11, v86
	v_cndmask_b32_e64 v71, v71, v25, s[52:53]
	v_cmp_eq_u32_e64 s[12:13], 12, v86
	v_cndmask_b32_e64 v74, v74, v53, s[14:15]
	v_cndmask_b32_e64 v71, v71, v26, s[74:75]
	s_waitcnt lgkmcnt(1)
	v_cndmask_b32_e64 v33, v33, v48, s[70:71]
	v_cndmask_b32_e64 v32, v32, v48, s[50:51]
	v_cndmask_b32_e64 v74, v74, v52, s[12:13]
	v_cmp_eq_u32_e64 s[38:39], 13, v86
	v_cndmask_b32_e64 v71, v71, v27, s[54:55]
	v_cndmask_b32_e64 v47, v47, v48, s[42:43]
	;; [unrolled: 1-line block ×15, first 2 shown]
	s_waitcnt lgkmcnt(0)
	v_cndmask_b32_e64 v1, v1, v73, s[70:71]
	v_cndmask_b32_e64 v48, v32, v33, s[30:31]
	;; [unrolled: 1-line block ×4, first 2 shown]
	v_cmp_eq_u32_e64 s[8:9], 14, v86
	v_cndmask_b32_e64 v71, v71, v28, s[48:49]
	v_cndmask_b32_e64 v15, v15, v73, s[42:43]
	;; [unrolled: 1-line block ×18, first 2 shown]
	v_cmp_eq_u32_e64 s[6:7], 15, v86
	v_cndmask_b32_e64 v71, v71, v29, s[44:45]
	v_cndmask_b32_e64 v48, v48, v35, s[34:35]
	;; [unrolled: 1-line block ×7, first 2 shown]
	ds_bpermute_b32 v74, v99, v74
	v_cndmask_b32_e64 v71, v71, v31, s[42:43]
	v_cndmask_b32_e64 v48, v48, v37, s[84:85]
	;; [unrolled: 1-line block ×3, first 2 shown]
	ds_bpermute_b32 v71, v99, v71
	v_cndmask_b32_e64 v48, v48, v38, s[88:89]
	v_cndmask_b32_e64 v73, v73, v5, s[84:85]
	;; [unrolled: 1-line block ×6, first 2 shown]
	v_cmp_eq_u32_e64 s[10:11], 0, v86
	v_cndmask_b32_e64 v48, v48, v41, s[18:19]
	v_cndmask_b32_e64 v73, v73, v8, s[92:93]
	s_waitcnt lgkmcnt(1)
	v_cndmask_b32_e64 v63, v63, v74, s[30:31]
	v_cndmask_b32_e64 v70, v70, v74, s[10:11]
	v_cmp_eq_u32_e64 s[28:29], 1, v87
	v_cndmask_b32_e64 v48, v48, v42, s[16:17]
	v_cndmask_b32_e64 v73, v73, v9, s[18:19]
	;; [unrolled: 1-line block ×17, first 2 shown]
	s_waitcnt lgkmcnt(0)
	v_cndmask_b32_e64 v31, v31, v71, s[42:43]
	v_cmp_eq_u32_e64 s[42:43], 2, v87
	v_cndmask_b32_e64 v17, v17, v71, s[70:71]
	v_cndmask_b32_e64 v48, v48, v43, s[14:15]
	;; [unrolled: 1-line block ×6, first 2 shown]
	v_cmp_eq_u32_e64 s[46:47], 3, v87
	v_cndmask_b32_e64 v29, v29, v71, s[44:45]
	v_cndmask_b32_e64 v28, v28, v71, s[48:49]
	;; [unrolled: 1-line block ×16, first 2 shown]
	v_cmp_eq_u32_e64 s[44:45], 4, v87
	v_cndmask_b32_e64 v48, v48, v45, s[38:39]
	v_cndmask_b32_e64 v71, v71, v18, s[36:37]
	v_cndmask_b32_e64 v73, v73, v12, s[12:13]
	v_cndmask_b32_e64 v74, v74, v60, s[44:45]
	v_cmp_eq_u32_e64 s[48:49], 5, v87
	v_cndmask_b32_e64 v48, v48, v46, s[8:9]
	v_cndmask_b32_e64 v71, v71, v19, s[34:35]
	v_cndmask_b32_e64 v73, v73, v13, s[38:39]
	v_cndmask_b32_e64 v74, v74, v59, s[48:49]
	;; [unrolled: 5-line block ×3, first 2 shown]
	v_cmp_eq_u32_e64 s[68:69], 7, v87
	ds_bpermute_b32 v48, v99, v48
	v_cndmask_b32_e64 v71, v71, v21, s[84:85]
	v_cndmask_b32_e64 v73, v73, v15, s[6:7]
	;; [unrolled: 1-line block ×3, first 2 shown]
	v_cmp_eq_u32_e64 s[74:75], 8, v87
	v_cndmask_b32_e64 v71, v71, v22, s[88:89]
	ds_bpermute_b32 v73, v99, v73
	v_cndmask_b32_e64 v74, v74, v56, s[74:75]
	v_cmp_eq_u32_e64 s[72:73], 9, v87
	v_cndmask_b32_e64 v71, v71, v23, s[78:79]
	v_cmp_eq_u32_e64 s[76:77], 10, v87
	v_cndmask_b32_e64 v74, v74, v55, s[72:73]
	v_cndmask_b32_e64 v71, v71, v24, s[92:93]
	;; [unrolled: 1-line block ×3, first 2 shown]
	v_cmp_eq_u32_e64 s[80:81], 11, v87
	v_cndmask_b32_e64 v71, v71, v25, s[18:19]
	v_cmp_eq_u32_e64 s[60:61], 12, v87
	v_cndmask_b32_e64 v74, v74, v53, s[80:81]
	v_cndmask_b32_e64 v71, v71, v26, s[16:17]
	s_waitcnt lgkmcnt(1)
	v_cndmask_b32_e64 v33, v33, v48, s[30:31]
	v_cndmask_b32_e64 v32, v32, v48, s[10:11]
	;; [unrolled: 1-line block ×3, first 2 shown]
	v_cmp_eq_u32_e64 s[82:83], 13, v87
	v_cndmask_b32_e64 v71, v71, v27, s[14:15]
	v_cndmask_b32_e64 v34, v34, v48, s[36:37]
	s_waitcnt lgkmcnt(0)
	v_cndmask_b32_e64 v102, v1, v73, s[30:31]
	v_cndmask_b32_e64 v1, v32, v33, s[28:29]
	;; [unrolled: 1-line block ×3, first 2 shown]
	v_cmp_eq_u32_e64 s[86:87], 14, v87
	v_cndmask_b32_e64 v71, v71, v28, s[12:13]
	v_cndmask_b32_e64 v35, v35, v48, s[34:35]
	;; [unrolled: 1-line block ×4, first 2 shown]
	v_cmp_eq_u32_e64 s[90:91], 15, v87
	v_cndmask_b32_e64 v71, v71, v29, s[38:39]
	v_cndmask_b32_e64 v36, v36, v48, s[40:41]
	v_cndmask_b32_e64 v1, v1, v35, s[46:47]
	v_cndmask_b32_e64 v74, v74, v49, s[90:91]
	v_cndmask_b32_e64 v71, v71, v30, s[8:9]
	v_cndmask_b32_e64 v37, v37, v48, s[84:85]
	v_cndmask_b32_e64 v1, v1, v36, s[44:45]
	ds_bpermute_b32 v74, v99, v74
	v_cndmask_b32_e64 v71, v71, v31, s[6:7]
	v_cndmask_b32_e64 v38, v38, v48, s[88:89]
	;; [unrolled: 1-line block ×3, first 2 shown]
	ds_bpermute_b32 v71, v99, v71
	v_cndmask_b32_e64 v39, v39, v48, s[78:79]
	v_cndmask_b32_e64 v1, v1, v38, s[54:55]
	;; [unrolled: 1-line block ×6, first 2 shown]
	v_cmp_eq_u32_e64 s[52:53], 0, v87
	v_cndmask_b32_e64 v42, v42, v48, s[16:17]
	v_cndmask_b32_e64 v1, v1, v41, s[72:73]
	s_waitcnt lgkmcnt(1)
	v_cndmask_b32_e64 v63, v63, v74, s[28:29]
	v_cndmask_b32_e64 v70, v70, v74, s[52:53]
	v_cmp_eq_u32_e32 vcc, 1, v88
	v_cndmask_b32_e64 v43, v43, v48, s[14:15]
	v_cndmask_b32_e64 v1, v1, v42, s[76:77]
	;; [unrolled: 1-line block ×16, first 2 shown]
	v_cndmask_b32_e32 v74, v70, v63, vcc
	v_cndmask_b32_e64 v47, v47, v48, s[6:7]
	s_waitcnt lgkmcnt(0)
	v_cndmask_b32_e64 v31, v31, v71, s[6:7]
	v_cndmask_b32_e64 v15, v15, v73, s[6:7]
	v_cmp_eq_u32_e64 s[6:7], 2, v88
	v_cndmask_b32_e64 v44, v44, v48, s[12:13]
	v_cndmask_b32_e64 v1, v1, v43, s[80:81]
	v_cndmask_b32_e64 v74, v74, v62, s[6:7]
	v_cndmask_b32_e64 v46, v46, v48, s[8:9]
	v_cndmask_b32_e64 v30, v30, v71, s[8:9]
	v_cndmask_b32_e64 v14, v14, v73, s[8:9]
	v_cmp_eq_u32_e64 s[8:9], 3, v88
	v_cndmask_b32_e64 v45, v45, v48, s[38:39]
	v_cndmask_b32_e64 v1, v1, v44, s[60:61]
	;; [unrolled: 1-line block ×5, first 2 shown]
	v_cmp_eq_u32_e64 s[38:39], 4, v88
	v_cndmask_b32_e64 v1, v1, v45, s[82:83]
	v_cmp_eq_u32_e64 s[50:51], 5, v88
	v_cndmask_b32_e64 v74, v74, v60, s[38:39]
	v_cndmask_b32_e64 v1, v1, v46, s[86:87]
	;; [unrolled: 1-line block ×5, first 2 shown]
	v_cmp_eq_u32_e64 s[56:57], 6, v88
	v_cndmask_b32_e64 v10, v10, v73, s[16:17]
	v_cndmask_b32_e64 v9, v9, v73, s[18:19]
	;; [unrolled: 1-line block ×14, first 2 shown]
	v_cmp_eq_u32_e64 s[58:59], 7, v88
	v_cndmask_b32_e64 v18, v18, v71, s[36:37]
	ds_bpermute_b32 v48, v99, v1
	v_cndmask_b32_e64 v1, v16, v101, s[28:29]
	v_cndmask_b32_e64 v0, v73, v102, s[28:29]
	;; [unrolled: 1-line block ×3, first 2 shown]
	v_cmp_eq_u32_e64 s[64:65], 8, v88
	v_cndmask_b32_e64 v19, v19, v71, s[34:35]
	v_cndmask_b32_e64 v1, v1, v18, s[42:43]
	v_cndmask_b32_e64 v0, v0, v2, s[42:43]
	v_cndmask_b32_e64 v74, v74, v56, s[64:65]
	v_cmp_eq_u32_e64 s[70:71], 9, v88
	v_cndmask_b32_e64 v20, v20, v71, s[40:41]
	v_cndmask_b32_e64 v1, v1, v19, s[46:47]
	v_cndmask_b32_e64 v0, v0, v3, s[46:47]
	v_cndmask_b32_e64 v74, v74, v55, s[70:71]
	v_cndmask_b32_e64 v23, v23, v71, s[78:79]
	v_cmp_eq_u32_e64 s[78:79], 10, v88
	v_cndmask_b32_e64 v21, v21, v71, s[84:85]
	;; [unrolled: 6-line block ×3, first 2 shown]
	v_cndmask_b32_e64 v0, v0, v5, s[48:49]
	v_cndmask_b32_e64 v74, v74, v53, s[66:67]
	v_cmp_eq_u32_e64 s[62:63], 12, v88
	v_cndmask_b32_e64 v1, v1, v22, s[54:55]
	v_cndmask_b32_e64 v0, v0, v6, s[54:55]
	v_cndmask_b32_e64 v24, v24, v71, s[92:93]
	v_cndmask_b32_e64 v74, v74, v52, s[62:63]
	v_cmp_eq_u32_e64 s[84:85], 13, v88
	v_cndmask_b32_e64 v1, v1, v23, s[68:69]
	v_cndmask_b32_e64 v0, v0, v7, s[68:69]
	;; [unrolled: 5-line block ×4, first 2 shown]
	v_cndmask_b32_e64 v27, v27, v71, s[14:15]
	v_cndmask_b32_e64 v74, v74, v49, s[92:93]
	;; [unrolled: 1-line block ×5, first 2 shown]
	ds_bpermute_b32 v74, v99, v74
	v_cndmask_b32_e64 v1, v1, v27, s[80:81]
	v_cndmask_b32_e64 v0, v0, v11, s[80:81]
	v_cndmask_b32_e64 v1, v1, v28, s[60:61]
	v_cndmask_b32_e64 v0, v0, v12, s[60:61]
	v_cndmask_b32_e64 v1, v1, v29, s[82:83]
	v_cndmask_b32_e64 v0, v0, v13, s[82:83]
	v_cndmask_b32_e64 v1, v1, v30, s[86:87]
	v_cndmask_b32_e64 v0, v0, v14, s[86:87]
	v_cmp_eq_u32_e64 s[94:95], 0, v88
	v_cndmask_b32_e64 v1, v1, v31, s[90:91]
	v_cndmask_b32_e64 v0, v0, v15, s[90:91]
	s_waitcnt lgkmcnt(0)
	v_cndmask_b32_e64 v49, v49, v74, s[92:93]
	v_cndmask_b32_e64 v50, v50, v74, s[88:89]
	;; [unrolled: 1-line block ×14, first 2 shown]
	v_cndmask_b32_e32 v63, v63, v74, vcc
	v_cndmask_b32_e64 v70, v70, v74, s[94:95]
	ds_bpermute_b32 v71, v99, v1
	ds_bpermute_b32 v74, v99, v0
	v_cndmask_b32_e64 v57, v35, v48, s[46:47]
	v_cndmask_b32_e64 v93, v36, v48, s[44:45]
	;; [unrolled: 1-line block ×3, first 2 shown]
	s_waitcnt lgkmcnt(1)
	v_cndmask_b32_e64 v107, v29, v71, s[82:83]
	s_waitcnt lgkmcnt(0)
	v_cndmask_b32_e64 v110, v12, v74, s[60:61]
	v_cndmask_b32_e64 v12, v33, v48, s[28:29]
	;; [unrolled: 1-line block ×7, first 2 shown]
	v_cndmask_b32_e32 v19, v29, v12, vcc
	v_cndmask_b32_e64 v19, v19, v4, s[6:7]
	v_cndmask_b32_e64 v19, v19, v57, s[8:9]
	;; [unrolled: 1-line block ×30, first 2 shown]
	ds_bpermute_b32 v30, v99, v19
	v_cndmask_b32_e32 v19, v16, v13, vcc
	v_cndmask_b32_e64 v19, v19, v5, s[6:7]
	v_cndmask_b32_e64 v55, v20, v71, s[44:45]
	;; [unrolled: 1-line block ×17, first 2 shown]
	v_cmp_eq_u32_e64 s[10:11], 1, v89
	v_cndmask_b32_e64 v109, v28, v71, s[60:61]
	v_cndmask_b32_e64 v19, v19, v111, s[66:67]
	;; [unrolled: 1-line block ×3, first 2 shown]
	v_cmp_eq_u32_e64 s[12:13], 2, v89
	v_cndmask_b32_e64 v19, v19, v109, s[62:63]
	v_cmp_eq_u32_e64 s[14:15], 3, v89
	v_cndmask_b32_e64 v0, v0, v62, s[12:13]
	v_cndmask_b32_e64 v19, v19, v107, s[84:85]
	;; [unrolled: 1-line block ×4, first 2 shown]
	v_cmp_eq_u32_e64 s[16:17], 4, v89
	v_cndmask_b32_e64 v19, v19, v105, s[88:89]
	v_cndmask_b32_e64 v106, v14, v74, s[86:87]
	v_cndmask_b32_e64 v0, v0, v60, s[16:17]
	v_cmp_eq_u32_e64 s[18:19], 5, v89
	v_cndmask_b32_e64 v14, v102, v74, s[28:29]
	v_cndmask_b32_e64 v19, v19, v103, s[92:93]
	;; [unrolled: 1-line block ×5, first 2 shown]
	v_cmp_eq_u32_e64 s[80:81], 6, v89
	v_cndmask_b32_e64 v125, v6, v74, s[54:55]
	v_cndmask_b32_e64 v6, v2, v74, s[42:43]
	ds_bpermute_b32 v20, v99, v19
	v_cndmask_b32_e32 v19, v21, v14, vcc
	v_cndmask_b32_e64 v0, v0, v58, s[80:81]
	v_cndmask_b32_e64 v114, v10, v74, s[76:77]
	v_cmp_eq_u32_e64 s[76:77], 7, v89
	v_cndmask_b32_e64 v3, v3, v74, s[46:47]
	v_cndmask_b32_e64 v19, v19, v6, s[6:7]
	;; [unrolled: 1-line block ×4, first 2 shown]
	v_cmp_eq_u32_e64 s[72:73], 8, v89
	v_cndmask_b32_e64 v19, v19, v3, s[8:9]
	v_cmp_eq_u32_e64 s[30:31], 9, v89
	v_cndmask_b32_e64 v0, v0, v76, s[72:73]
	v_cndmask_b32_e64 v19, v19, v56, s[38:39]
	v_cndmask_b32_e64 v0, v0, v75, s[30:31]
	v_cmp_eq_u32_e64 s[34:35], 10, v89
	v_cndmask_b32_e64 v19, v19, v92, s[50:51]
	v_cndmask_b32_e64 v122, v7, v74, s[68:69]
	;; [unrolled: 4-line block ×3, first 2 shown]
	v_cndmask_b32_e64 v0, v0, v53, s[36:37]
	v_cmp_eq_u32_e64 s[40:41], 12, v89
	v_cndmask_b32_e64 v19, v19, v122, s[58:59]
	v_cmp_eq_u32_e64 s[44:45], 13, v89
	v_cndmask_b32_e64 v0, v0, v52, s[40:41]
	v_cndmask_b32_e64 v19, v19, v119, s[64:65]
	;; [unrolled: 1-line block ×3, first 2 shown]
	v_cmp_eq_u32_e64 s[46:47], 14, v89
	v_cndmask_b32_e64 v19, v19, v116, s[70:71]
	v_cmp_eq_u32_e64 s[42:43], 15, v89
	v_cndmask_b32_e64 v0, v0, v50, s[46:47]
	v_cndmask_b32_e64 v19, v19, v114, s[78:79]
	;; [unrolled: 1-line block ×4, first 2 shown]
	ds_bpermute_b32 v0, v99, v0
	v_cndmask_b32_e64 v19, v19, v110, s[62:63]
	v_cndmask_b32_e64 v19, v19, v108, s[84:85]
	;; [unrolled: 1-line block ×4, first 2 shown]
	v_cmp_eq_u32_e64 s[28:29], 0, v89
	ds_bpermute_b32 v28, v99, v19
	s_waitcnt lgkmcnt(1)
	v_cndmask_b32_e64 v7, v49, v0, s[42:43]
	v_cndmask_b32_e64 v8, v50, v0, s[46:47]
	;; [unrolled: 1-line block ×16, first 2 shown]
	v_cmp_eq_u32_e64 s[48:49], 1, v90
	v_cmp_eq_u32_e64 s[52:53], 2, v90
	v_cmp_eq_u32_e64 s[54:55], 3, v90
	v_cndmask_b32_e64 v33, v0, v18, s[48:49]
	v_cndmask_b32_e64 v34, v33, v17, s[52:53]
	;; [unrolled: 1-line block ×3, first 2 shown]
	v_cmp_eq_u32_e64 s[60:61], 4, v90
	v_cndmask_b32_e64 v58, v44, v30, s[62:63]
	v_cndmask_b32_e64 v38, v109, v20, s[62:63]
	v_cndmask_b32_e64 v39, v35, v1, s[60:61]
	s_waitcnt lgkmcnt(0)
	v_cndmask_b32_e64 v35, v110, v28, s[62:63]
	v_cmp_eq_u32_e64 s[62:63], 5, v90
	v_cndmask_b32_e64 v59, v43, v30, s[66:67]
	v_cndmask_b32_e64 v48, v112, v28, s[66:67]
	;; [unrolled: 1-line block ×4, first 2 shown]
	v_cmp_eq_u32_e64 s[66:67], 6, v90
	v_cmp_eq_u32_e64 s[68:69], 7, v90
	v_cndmask_b32_e64 v60, v42, v30, s[78:79]
	v_cndmask_b32_e64 v43, v40, v26, s[66:67]
	;; [unrolled: 1-line block ×6, first 2 shown]
	v_cmp_eq_u32_e64 s[70:71], 8, v90
	v_cndmask_b32_e64 v62, v117, v30, s[64:65]
	v_cndmask_b32_e64 v51, v119, v28, s[64:65]
	v_cndmask_b32_e64 v43, v42, v24, s[70:71]
	v_cndmask_b32_e64 v42, v118, v20, s[64:65]
	v_cmp_eq_u32_e64 s[64:65], 9, v90
	v_cndmask_b32_e64 v63, v120, v30, s[58:59]
	v_cndmask_b32_e64 v52, v122, v28, s[58:59]
	v_cndmask_b32_e64 v44, v43, v23, s[64:65]
	v_cndmask_b32_e64 v43, v121, v20, s[58:59]
	v_cmp_eq_u32_e64 s[58:59], 10, v90
	v_cndmask_b32_e64 v31, v47, v30, s[92:93]
	v_cndmask_b32_e64 v47, v45, v30, s[84:85]
	v_cndmask_b32_e64 v45, v44, v22, s[58:59]
	v_cndmask_b32_e64 v70, v123, v30, s[56:57]
	v_cndmask_b32_e64 v44, v124, v20, s[56:57]
	v_cndmask_b32_e64 v53, v125, v28, s[56:57]
	v_cmp_eq_u32_e64 s[56:57], 11, v90
	v_cndmask_b32_e64 v73, v126, v30, s[50:51]
	v_cndmask_b32_e64 v54, v92, v28, s[50:51]
	v_cndmask_b32_e64 v71, v45, v11, s[56:57]
	v_cndmask_b32_e64 v45, v91, v20, s[50:51]
	v_cmp_eq_u32_e64 s[50:51], 12, v90
	v_cndmask_b32_e64 v74, v93, v30, s[38:39]
	v_cndmask_b32_e64 v75, v55, v20, s[38:39]
	;; [unrolled: 5-line block ×4, first 2 shown]
	v_cndmask_b32_e64 v3, v56, v8, s[8:9]
	v_cndmask_b32_e64 v56, v4, v30, s[6:7]
	v_cmp_eq_u32_e64 s[6:7], 15, v90
	v_cndmask_b32_e32 v93, v12, v30, vcc
	v_cndmask_b32_e64 v46, v46, v30, s[88:89]
	v_cndmask_b32_e64 v3, v3, v7, s[6:7]
	ds_bpermute_b32 v92, v99, v3
	v_cndmask_b32_e32 v101, v13, v20, vcc
	v_cndmask_b32_e32 v102, v14, v28, vcc
	v_cndmask_b32_e64 v16, v16, v20, s[94:95]
	v_cndmask_b32_e64 v40, v113, v20, s[78:79]
	s_waitcnt lgkmcnt(0)
	v_cndmask_b32_e64 v12, v10, v92, s[50:51]
	v_cndmask_b32_e64 v10, v22, v92, s[58:59]
	;; [unrolled: 1-line block ×20, first 2 shown]
	ds_bpermute_b32 v23, v99, v3
	v_cndmask_b32_e64 v6, v26, v92, s[66:67]
	v_cndmask_b32_e64 v4, v1, v92, s[60:61]
	;; [unrolled: 1-line block ×4, first 2 shown]
	s_waitcnt lgkmcnt(0)
	v_cndmask_b32_e64 v18, v46, v23, s[46:47]
	v_cndmask_b32_e64 v26, v59, v23, s[36:37]
	;; [unrolled: 1-line block ×36, first 2 shown]
	ds_bpermute_b32 v73, v99, v22
	v_cndmask_b32_e64 v37, v107, v20, s[84:85]
	v_cndmask_b32_e64 v36, v105, v20, s[88:89]
	;; [unrolled: 1-line block ×3, first 2 shown]
	v_cmp_eq_u32_e32 vcc, 0, v90
	s_waitcnt lgkmcnt(0)
	v_cndmask_b32_e64 v31, v17, v73, s[6:7]
	v_cndmask_b32_e64 v17, v16, v101, s[10:11]
	;; [unrolled: 1-line block ×16, first 2 shown]
	ds_bpermute_b32 v17, v99, v17
	v_cndmask_b32_e64 v11, v11, v92, s[56:57]
	v_cndmask_b32_e64 v5, v27, v92, s[62:63]
	v_cndmask_b32_e32 v0, v0, v92, vcc
	v_cndmask_b32_e64 v20, v62, v73, s[60:61]
	s_waitcnt lgkmcnt(0)
	v_cndmask_b32_e64 v62, v75, v17, s[16:17]
	v_cndmask_b32_e64 v75, v77, v17, s[12:13]
	;; [unrolled: 1-line block ×39, first 2 shown]
	ds_bpermute_b32 v93, v99, v16
	v_cndmask_b32_e64 v32, v104, v28, s[92:93]
	v_cndmask_b32_e64 v33, v106, v28, s[88:89]
	;; [unrolled: 1-line block ×6, first 2 shown]
	s_waitcnt lgkmcnt(0)
	v_cndmask_b32_e64 v47, v46, v93, s[6:7]
	v_cndmask_b32_e64 v46, v36, v93, s[8:9]
	;; [unrolled: 1-line block ×19, first 2 shown]
	ds_bpermute_b32 v56, v99, v36
	v_cndmask_b32_e64 v19, v57, v73, s[54:55]
	v_cndmask_b32_e64 v17, v63, v73, s[48:49]
	v_cndmask_b32_e32 v16, v70, v73, vcc
	v_cndmask_b32_e64 v44, v38, v93, s[50:51]
	s_waitcnt lgkmcnt(0)
	v_cndmask_b32_e64 v101, v102, v56, s[10:11]
	v_cndmask_b32_e64 v74, v74, v56, s[28:29]
	;; [unrolled: 1-line block ×36, first 2 shown]
	ds_bpermute_b32 v102, v99, v32
	v_cndmask_b32_e64 v36, v62, v93, s[60:61]
	v_cndmask_b32_e64 v33, v77, v93, s[48:49]
	v_readlane_b32 s18, v127, 10
	v_readlane_b32 s28, v127, 12
	s_waitcnt lgkmcnt(0)
	v_cndmask_b32_e64 v63, v57, v102, s[6:7]
	v_readlane_b32 s6, v127, 28
	v_cndmask_b32_e64 v62, v58, v102, s[8:9]
	v_cndmask_b32_e64 v58, v49, v102, s[58:59]
	;; [unrolled: 1-line block ×3, first 2 shown]
	v_readlane_b32 s7, v127, 29
	v_readlane_b32 s34, v127, 17
	;; [unrolled: 1-line block ×4, first 2 shown]
	v_subrev_u32_e32 v100, s4, v100
	s_mov_b32 s1, 0
	v_cndmask_b32_e64 v45, v37, v93, s[38:39]
	v_cndmask_b32_e64 v41, v41, v93, s[64:65]
	;; [unrolled: 1-line block ×5, first 2 shown]
	v_cndmask_b32_e32 v32, v92, v93, vcc
	v_cndmask_b32_e64 v61, v59, v102, s[38:39]
	v_cndmask_b32_e64 v60, v60, v102, s[50:51]
	;; [unrolled: 1-line block ×11, first 2 shown]
	v_cndmask_b32_e32 v48, v74, v102, vcc
	v_lshl_add_u64 v[70:71], s[6:7], 0, v[64:65]
	s_mov_b64 s[6:7], 0
	s_mov_b32 s5, 0
	v_readlane_b32 s19, v127, 11
	v_readlane_b32 s29, v127, 13
	;; [unrolled: 1-line block ×9, first 2 shown]
	s_mov_b64 s[40:41], 0x80
	s_mov_b64 s[42:43], 0xc0
	v_readlane_b32 s44, v127, 27
	v_readlane_b32 s47, v127, 26
	;; [unrolled: 1-line block ×3, first 2 shown]
                                        ; implicit-def: $sgpr8_sgpr9
	s_branch .LBB363_32
.LBB363_30:                             ;   in Loop: Header=BB363_32 Depth=2
	s_or_b64 exec, exec, s[12:13]
	s_andn2_b64 s[8:9], s[8:9], exec
	s_and_b64 s[12:13], s[14:15], exec
	s_or_b64 s[8:9], s[8:9], s[12:13]
.LBB363_31:                             ;   in Loop: Header=BB363_32 Depth=2
	s_or_b64 exec, exec, s[10:11]
	s_and_b64 s[10:11], exec, s[8:9]
	s_or_b64 s[6:7], s[10:11], s[6:7]
	s_andn2_b64 exec, exec, s[6:7]
	s_cbranch_execz .LBB363_35
.LBB363_32:                             ;   Parent Loop BB363_7 Depth=1
                                        ; =>  This Inner Loop Header: Depth=2
	s_and_b32 s12, s1, 24
	v_or_b32_e32 v73, s12, v97
	v_add_u32_e32 v74, s96, v73
	v_cmp_gt_u32_e32 vcc, 32, v74
	s_or_b64 s[8:9], s[8:9], exec
	s_and_saveexec_b64 s[10:11], vcc
	s_cbranch_execz .LBB363_31
; %bb.33:                               ;   in Loop: Header=BB363_32 Depth=2
	s_add_i32 s13, s5, 1
	s_set_gpr_idx_on s5, gpr_idx(SRC0)
	v_mov_b32_e32 v74, v0
	s_set_gpr_idx_off
	v_cvt_f16_f32_e32 v76, v74
	s_set_gpr_idx_on s13, gpr_idx(SRC0)
	v_mov_b32_e32 v74, v0
	s_set_gpr_idx_off
	v_cvt_f16_f32_sdwa v77, v74 dst_sel:WORD_1 dst_unused:UNUSED_PAD src0_sel:DWORD
	v_mul_lo_u32 v74, v73, s21
	v_ashrrev_i32_e32 v75, 31, v74
	v_lshl_add_u64 v[74:75], v[74:75], 1, v[70:71]
	v_or_b32_e32 v73, v77, v76
	;;#ASMSTART
	global_atomic_pk_add_f16 v[74:75], v73, off
	
	;;#ASMEND
	s_set_gpr_idx_on s5, gpr_idx(SRC0)
	v_mov_b32_e32 v73, v16
	s_set_gpr_idx_off
	v_cvt_f16_f32_e32 v73, v73
	s_set_gpr_idx_on s13, gpr_idx(SRC0)
	v_mov_b32_e32 v76, v16
	s_set_gpr_idx_off
	v_cvt_f16_f32_sdwa v91, v76 dst_sel:WORD_1 dst_unused:UNUSED_PAD src0_sel:DWORD
	v_lshl_add_u64 v[76:77], v[74:75], 0, 64
	s_mov_b64 s[14:15], -1
	v_or_b32_e32 v73, v91, v73
	;;#ASMSTART
	global_atomic_pk_add_f16 v[76:77], v73, off
	
	;;#ASMEND
	s_set_gpr_idx_on s5, gpr_idx(SRC0)
	v_mov_b32_e32 v73, v32
	s_set_gpr_idx_off
	v_cvt_f16_f32_e32 v73, v73
	s_set_gpr_idx_on s13, gpr_idx(SRC0)
	v_mov_b32_e32 v76, v32
	s_set_gpr_idx_off
	v_cvt_f16_f32_sdwa v91, v76 dst_sel:WORD_1 dst_unused:UNUSED_PAD src0_sel:DWORD
	v_lshl_add_u64 v[76:77], v[74:75], 0, s[40:41]
	v_lshl_add_u64 v[74:75], v[74:75], 0, s[42:43]
	v_or_b32_e32 v73, v91, v73
	;;#ASMSTART
	global_atomic_pk_add_f16 v[76:77], v73, off
	
	;;#ASMEND
	s_set_gpr_idx_on s5, gpr_idx(SRC0)
	v_mov_b32_e32 v73, v48
	s_set_gpr_idx_off
	v_cvt_f16_f32_e32 v73, v73
	s_set_gpr_idx_on s13, gpr_idx(SRC0)
	v_mov_b32_e32 v76, v48
	s_set_gpr_idx_off
	v_cvt_f16_f32_sdwa v76, v76 dst_sel:WORD_1 dst_unused:UNUSED_PAD src0_sel:DWORD
	s_nop 0
	v_or_b32_e32 v73, v76, v73
	;;#ASMSTART
	global_atomic_pk_add_f16 v[74:75], v73, off
	
	;;#ASMEND
	v_or_b32_e32 v73, s12, v98
	v_add_u32_e32 v74, s96, v73
	v_cmp_gt_u32_e32 vcc, 32, v74
	s_and_saveexec_b64 s[12:13], vcc
	s_cbranch_execz .LBB363_30
; %bb.34:                               ;   in Loop: Header=BB363_32 Depth=2
	s_add_i32 s14, s5, 2
	s_add_i32 s15, s5, 3
	s_set_gpr_idx_on s14, gpr_idx(SRC0)
	v_mov_b32_e32 v74, v0
	s_set_gpr_idx_off
	v_cvt_f16_f32_e32 v76, v74
	s_set_gpr_idx_on s15, gpr_idx(SRC0)
	v_mov_b32_e32 v74, v0
	s_set_gpr_idx_off
	v_cvt_f16_f32_sdwa v77, v74 dst_sel:WORD_1 dst_unused:UNUSED_PAD src0_sel:DWORD
	v_mul_lo_u32 v74, v73, s21
	v_ashrrev_i32_e32 v75, 31, v74
	v_lshl_add_u64 v[74:75], v[74:75], 1, v[70:71]
	v_or_b32_e32 v73, v77, v76
	;;#ASMSTART
	global_atomic_pk_add_f16 v[74:75], v73, off
	
	;;#ASMEND
	s_set_gpr_idx_on s14, gpr_idx(SRC0)
	v_mov_b32_e32 v73, v16
	s_set_gpr_idx_off
	v_cvt_f16_f32_e32 v73, v73
	s_set_gpr_idx_on s15, gpr_idx(SRC0)
	v_mov_b32_e32 v76, v16
	s_set_gpr_idx_off
	v_cvt_f16_f32_sdwa v91, v76 dst_sel:WORD_1 dst_unused:UNUSED_PAD src0_sel:DWORD
	v_lshl_add_u64 v[76:77], v[74:75], 0, 64
	s_add_i32 s5, s5, 4
	s_add_i32 s1, s1, 8
	v_or_b32_e32 v73, v91, v73
	;;#ASMSTART
	global_atomic_pk_add_f16 v[76:77], v73, off
	
	;;#ASMEND
	s_set_gpr_idx_on s14, gpr_idx(SRC0)
	v_mov_b32_e32 v73, v32
	s_set_gpr_idx_off
	v_cvt_f16_f32_e32 v73, v73
	s_set_gpr_idx_on s15, gpr_idx(SRC0)
	v_mov_b32_e32 v76, v32
	s_set_gpr_idx_off
	v_cvt_f16_f32_sdwa v91, v76 dst_sel:WORD_1 dst_unused:UNUSED_PAD src0_sel:DWORD
	v_lshl_add_u64 v[76:77], v[74:75], 0, s[40:41]
	s_cmp_eq_u32 s5, 16
	v_lshl_add_u64 v[74:75], v[74:75], 0, s[42:43]
	v_or_b32_e32 v73, v91, v73
	;;#ASMSTART
	global_atomic_pk_add_f16 v[76:77], v73, off
	
	;;#ASMEND
	s_set_gpr_idx_on s14, gpr_idx(SRC0)
	v_mov_b32_e32 v73, v48
	s_set_gpr_idx_off
	v_cvt_f16_f32_e32 v73, v73
	s_set_gpr_idx_on s15, gpr_idx(SRC0)
	v_mov_b32_e32 v76, v48
	s_set_gpr_idx_off
	v_cvt_f16_f32_sdwa v76, v76 dst_sel:WORD_1 dst_unused:UNUSED_PAD src0_sel:DWORD
	s_cselect_b64 s[14:15], -1, 0
	s_orn2_b64 s[14:15], s[14:15], exec
	v_or_b32_e32 v73, v76, v73
	;;#ASMSTART
	global_atomic_pk_add_f16 v[74:75], v73, off
	
	;;#ASMEND
	s_branch .LBB363_30
.LBB363_35:                             ;   in Loop: Header=BB363_7 Depth=1
	s_or_b64 exec, exec, s[6:7]
	v_readlane_b32 s72, v127, 2
	v_readlane_b32 s12, v127, 0
	;; [unrolled: 1-line block ×11, first 2 shown]
.LBB363_36:                             ;   in Loop: Header=BB363_7 Depth=1
	s_or_b64 exec, exec, s[48:49]
.LBB363_37:                             ;   in Loop: Header=BB363_7 Depth=1
	s_andn2_saveexec_b64 s[2:3], s[2:3]
	s_cbranch_execz .LBB363_46
; %bb.38:                               ;   in Loop: Header=BB363_7 Depth=1
	s_lshl_b32 s5, s4, 2
	v_cmp_gt_i32_e32 vcc, s5, v100
	s_and_saveexec_b64 s[6:7], vcc
	s_cbranch_execz .LBB363_45
; %bb.39:                               ;   in Loop: Header=BB363_7 Depth=1
	s_mul_i32 s0, s0, s23
	s_ashr_i32 s1, s0, 31
	s_add_u32 s0, s74, s0
	s_addc_u32 s1, s75, s1
	s_ashr_i32 s8, s44, 31
	s_add_u32 s0, s0, s44
	s_addc_u32 s1, s1, s8
	v_lshl_add_u64 v[0:1], s[0:1], 0, v[68:69]
	v_lshl_add_u64 v[8:9], v[0:1], 0, v[66:67]
	s_mov_b64 s[0:1], 0
	s_branch .LBB363_41
.LBB363_40:                             ;   in Loop: Header=BB363_41 Depth=2
	s_or_b64 exec, exec, s[8:9]
	v_lshl_add_u32 v12, v10, 11, v94
	;;#ASMSTART
	s_waitcnt vmcnt(1)
	;;#ASMEND
	ds_write2_b32 v12, v4, v5 offset1:32
	ds_write2_b32 v12, v6, v7 offset0:64 offset1:96
	v_add_u32_e32 v4, 0x400, v12
	v_add_u32_e32 v100, s26, v100
	;;#ASMSTART
	s_waitcnt vmcnt(0)
	;;#ASMEND
	ds_write2_b32 v4, v0, v1 offset1:32
	ds_write2_b32 v4, v2, v3 offset0:64 offset1:96
	v_add_u32_e32 v0, 1, v79
	v_add_u32_e32 v72, s26, v10
	v_cmp_le_i32_e32 vcc, s5, v100
	ds_write_b32 v11, v0 offset:32
	v_add_u32_e32 v0, 2, v79
	s_or_b64 s[0:1], vcc, s[0:1]
	v_cmp_lt_i32_e32 vcc, 7, v72
	s_nop 1
	v_cndmask_b32_e32 v79, v79, v0, vcc
	s_andn2_b64 exec, exec, s[0:1]
	s_cbranch_execz .LBB363_44
.LBB363_41:                             ;   Parent Loop BB363_7 Depth=1
                                        ; =>  This Loop Header: Depth=2
                                        ;       Child Loop BB363_43 Depth 3
	v_cmp_gt_i32_e32 vcc, 8, v72
	s_nop 1
	v_cndmask_b32_e64 v0, -8, 0, vcc
	v_add_u32_e32 v10, v0, v72
	v_ashrrev_i32_e32 v0, 31, v100
	v_lshrrev_b32_e32 v0, 30, v0
	v_add_u32_e32 v0, v100, v0
	v_and_b32_e32 v1, -4, v0
	v_lshlrev_b32_e32 v0, 4, v0
	v_sub_u32_e32 v2, v100, v1
	v_and_b32_e32 v0, 0xffffffc0, v0
	v_ashrrev_i32_e32 v1, 31, v0
	v_mul_lo_u32 v2, s24, v2
	v_lshl_add_u64 v[0:1], v[8:9], 0, v[0:1]
	v_ashrrev_i32_e32 v3, 31, v2
	v_lshl_add_u64 v[0:1], v[0:1], 0, v[2:3]
	v_lshlrev_b32_e32 v11, 2, v10
	;;#ASMSTART
	global_load_dwordx4 v[4:7], v[0:1], off offset:0   sc0 sc1 nt  
	global_load_dwordx4 v[0:3], v[0:1], off offset:32  sc0 sc1 nt  
	
	;;#ASMEND
	ds_read_b32 v12, v11 offset:32800
	v_add_u32_e32 v11, 0x8000, v11
	s_waitcnt lgkmcnt(0)
	v_cmp_ne_u32_e32 vcc, v12, v79
	s_and_saveexec_b64 s[8:9], vcc
	s_cbranch_execz .LBB363_40
; %bb.42:                               ;   in Loop: Header=BB363_41 Depth=2
	s_mov_b64 s[10:11], 0
.LBB363_43:                             ;   Parent Loop BB363_7 Depth=1
                                        ;     Parent Loop BB363_41 Depth=2
                                        ; =>    This Inner Loop Header: Depth=3
	;;#ASMSTART
	s_sleep 0
	;;#ASMEND
	ds_read_b32 v12, v11 offset:32
	s_waitcnt lgkmcnt(0)
	v_cmp_eq_u32_e32 vcc, v12, v79
	s_or_b64 s[10:11], vcc, s[10:11]
	s_andn2_b64 exec, exec, s[10:11]
	s_cbranch_execnz .LBB363_43
	s_branch .LBB363_40
.LBB363_44:                             ;   in Loop: Header=BB363_7 Depth=1
	s_or_b64 exec, exec, s[0:1]
.LBB363_45:                             ;   in Loop: Header=BB363_7 Depth=1
	s_or_b64 exec, exec, s[6:7]
	v_subrev_u32_e32 v100, s5, v100
.LBB363_46:                             ;   in Loop: Header=BB363_7 Depth=1
	s_or_b64 exec, exec, s[2:3]
.LBB363_47:                             ;   in Loop: Header=BB363_7 Depth=1
	s_andn2_saveexec_b64 s[0:1], s[46:47]
	s_cbranch_execz .LBB363_6
; %bb.48:                               ;   in Loop: Header=BB363_7 Depth=1
	s_lshl_b32 s10, s4, 2
	v_cmp_gt_i32_e32 vcc, s10, v100
	s_and_saveexec_b64 s[2:3], vcc
	s_cbranch_execz .LBB363_5
; %bb.49:                               ;   in Loop: Header=BB363_7 Depth=1
	s_mul_i32 s99, s99, s22
	s_ashr_i32 s4, s99, 31
	s_add_u32 s5, s72, s99
	s_addc_u32 s6, s73, s4
	s_ashr_i32 s7, s44, 31
	s_add_u32 s4, s5, s44
	s_addc_u32 s5, s6, s7
	v_add_u32_e32 v2, s96, v80
	s_movk_i32 s6, 0x80
	v_cmp_gt_u32_e32 vcc, s6, v2
	v_sub_u32_e32 v10, 0x7f, v2
	s_nop 0
	v_cndmask_b32_e32 v0, 0, v95, vcc
	v_ashrrev_i32_e32 v1, 31, v0
	v_lshl_add_u64 v[0:1], s[4:5], 0, v[0:1]
	v_lshl_add_u64 v[8:9], v[0:1], 0, v[66:67]
	s_mov_b64 s[4:5], 0
	s_branch .LBB363_51
.LBB363_50:                             ;   in Loop: Header=BB363_51 Depth=2
	s_or_b64 exec, exec, s[6:7]
	v_lshl_or_b32 v13, v11, 11, v96
	;;#ASMSTART
	s_waitcnt vmcnt(1)
	;;#ASMEND
	ds_write2_b32 v13, v4, v5 offset1:32
	ds_write2_b32 v13, v6, v7 offset0:64 offset1:96
	v_add_u32_e32 v4, 0x400, v13
	v_add_u32_e32 v100, s25, v100
	;;#ASMSTART
	s_waitcnt vmcnt(0)
	;;#ASMEND
	ds_write2_b32 v4, v0, v1 offset1:32
	ds_write2_b32 v4, v2, v3 offset0:64 offset1:96
	v_add_u32_e32 v0, 1, v79
	v_add_u32_e32 v72, s25, v11
	v_cmp_le_i32_e32 vcc, s10, v100
	ds_write_b32 v12, v0
	v_add_u32_e32 v0, 2, v79
	s_or_b64 s[4:5], vcc, s[4:5]
	v_cmp_lt_i32_e32 vcc, 7, v72
	s_nop 1
	v_cndmask_b32_e32 v79, v79, v0, vcc
	s_andn2_b64 exec, exec, s[4:5]
	s_cbranch_execz .LBB363_4
.LBB363_51:                             ;   Parent Loop BB363_7 Depth=1
                                        ; =>  This Loop Header: Depth=2
                                        ;       Child Loop BB363_53 Depth 3
	v_cmp_gt_i32_e32 vcc, 8, v72
	s_nop 1
	v_cndmask_b32_e64 v0, -8, 0, vcc
	v_add_u32_e32 v11, v0, v72
	v_ashrrev_i32_e32 v0, 31, v100
	v_lshrrev_b32_e32 v0, 30, v0
	v_add_u32_e32 v0, v100, v0
	v_and_b32_e32 v1, 0x7fffffc, v0
	v_sub_u32_e32 v1, v100, v1
	v_lshlrev_b32_e32 v1, 5, v1
	v_cmp_le_i32_e32 vcc, v1, v10
	v_lshlrev_b32_e32 v0, 4, v0
	v_and_b32_e32 v0, 0xffffffc0, v0
	v_cndmask_b32_e32 v2, 0, v1, vcc
	v_ashrrev_i32_e32 v1, 31, v0
	v_mul_lo_u32 v2, v2, s22
	v_lshl_add_u64 v[0:1], v[8:9], 0, v[0:1]
	v_ashrrev_i32_e32 v3, 31, v2
	v_lshl_add_u64 v[0:1], v[0:1], 0, v[2:3]
	v_lshlrev_b32_e32 v12, 2, v11
	;;#ASMSTART
	global_load_dwordx4 v[4:7], v[0:1], off offset:0   
	global_load_dwordx4 v[0:3], v[0:1], off offset:32  
	
	;;#ASMEND
	ds_read_b32 v13, v12 offset:32768
	v_add_u32_e32 v12, 0x8000, v12
	s_waitcnt lgkmcnt(0)
	v_cmp_ne_u32_e32 vcc, v13, v79
	s_and_saveexec_b64 s[6:7], vcc
	s_cbranch_execz .LBB363_50
; %bb.52:                               ;   in Loop: Header=BB363_51 Depth=2
	s_mov_b64 s[8:9], 0
.LBB363_53:                             ;   Parent Loop BB363_7 Depth=1
                                        ;     Parent Loop BB363_51 Depth=2
                                        ; =>    This Inner Loop Header: Depth=3
	;;#ASMSTART
	s_sleep 0
	;;#ASMEND
	ds_read_b32 v13, v12
	s_waitcnt lgkmcnt(0)
	v_cmp_eq_u32_e32 vcc, v13, v79
	s_or_b64 s[8:9], vcc, s[8:9]
	s_andn2_b64 exec, exec, s[8:9]
	s_cbranch_execnz .LBB363_53
	s_branch .LBB363_50
.LBB363_54:
	s_endpgm
	.section	.rodata,"a",@progbits
	.p2align	6, 0x0
	.amdhsa_kernel _Z19_skinny_gemm_kernelILi4ELi4ELi2ELi32ELi4EEvPKhS1_P6__halfPKfiiiiiiii
		.amdhsa_group_segment_fixed_size 32832
		.amdhsa_private_segment_fixed_size 0
		.amdhsa_kernarg_size 64
		.amdhsa_user_sgpr_count 2
		.amdhsa_user_sgpr_dispatch_ptr 0
		.amdhsa_user_sgpr_queue_ptr 0
		.amdhsa_user_sgpr_kernarg_segment_ptr 1
		.amdhsa_user_sgpr_dispatch_id 0
		.amdhsa_user_sgpr_kernarg_preload_length 0
		.amdhsa_user_sgpr_kernarg_preload_offset 0
		.amdhsa_user_sgpr_private_segment_size 0
		.amdhsa_uses_dynamic_stack 0
		.amdhsa_enable_private_segment 0
		.amdhsa_system_sgpr_workgroup_id_x 1
		.amdhsa_system_sgpr_workgroup_id_y 0
		.amdhsa_system_sgpr_workgroup_id_z 0
		.amdhsa_system_sgpr_workgroup_info 0
		.amdhsa_system_vgpr_workitem_id 0
		.amdhsa_next_free_vgpr 128
		.amdhsa_next_free_sgpr 100
		.amdhsa_accum_offset 128
		.amdhsa_reserve_vcc 1
		.amdhsa_float_round_mode_32 0
		.amdhsa_float_round_mode_16_64 0
		.amdhsa_float_denorm_mode_32 3
		.amdhsa_float_denorm_mode_16_64 3
		.amdhsa_dx10_clamp 1
		.amdhsa_ieee_mode 1
		.amdhsa_fp16_overflow 0
		.amdhsa_tg_split 0
		.amdhsa_exception_fp_ieee_invalid_op 0
		.amdhsa_exception_fp_denorm_src 0
		.amdhsa_exception_fp_ieee_div_zero 0
		.amdhsa_exception_fp_ieee_overflow 0
		.amdhsa_exception_fp_ieee_underflow 0
		.amdhsa_exception_fp_ieee_inexact 0
		.amdhsa_exception_int_div_zero 0
	.end_amdhsa_kernel
	.section	.text._Z19_skinny_gemm_kernelILi4ELi4ELi2ELi32ELi4EEvPKhS1_P6__halfPKfiiiiiiii,"axG",@progbits,_Z19_skinny_gemm_kernelILi4ELi4ELi2ELi32ELi4EEvPKhS1_P6__halfPKfiiiiiiii,comdat
.Lfunc_end363:
	.size	_Z19_skinny_gemm_kernelILi4ELi4ELi2ELi32ELi4EEvPKhS1_P6__halfPKfiiiiiiii, .Lfunc_end363-_Z19_skinny_gemm_kernelILi4ELi4ELi2ELi32ELi4EEvPKhS1_P6__halfPKfiiiiiiii
                                        ; -- End function
	.set _Z19_skinny_gemm_kernelILi4ELi4ELi2ELi32ELi4EEvPKhS1_P6__halfPKfiiiiiiii.num_vgpr, 128
	.set _Z19_skinny_gemm_kernelILi4ELi4ELi2ELi32ELi4EEvPKhS1_P6__halfPKfiiiiiiii.num_agpr, 0
	.set _Z19_skinny_gemm_kernelILi4ELi4ELi2ELi32ELi4EEvPKhS1_P6__halfPKfiiiiiiii.numbered_sgpr, 100
	.set _Z19_skinny_gemm_kernelILi4ELi4ELi2ELi32ELi4EEvPKhS1_P6__halfPKfiiiiiiii.num_named_barrier, 0
	.set _Z19_skinny_gemm_kernelILi4ELi4ELi2ELi32ELi4EEvPKhS1_P6__halfPKfiiiiiiii.private_seg_size, 0
	.set _Z19_skinny_gemm_kernelILi4ELi4ELi2ELi32ELi4EEvPKhS1_P6__halfPKfiiiiiiii.uses_vcc, 1
	.set _Z19_skinny_gemm_kernelILi4ELi4ELi2ELi32ELi4EEvPKhS1_P6__halfPKfiiiiiiii.uses_flat_scratch, 0
	.set _Z19_skinny_gemm_kernelILi4ELi4ELi2ELi32ELi4EEvPKhS1_P6__halfPKfiiiiiiii.has_dyn_sized_stack, 0
	.set _Z19_skinny_gemm_kernelILi4ELi4ELi2ELi32ELi4EEvPKhS1_P6__halfPKfiiiiiiii.has_recursion, 0
	.set _Z19_skinny_gemm_kernelILi4ELi4ELi2ELi32ELi4EEvPKhS1_P6__halfPKfiiiiiiii.has_indirect_call, 0
	.section	.AMDGPU.csdata,"",@progbits
; Kernel info:
; codeLenInByte = 14164
; TotalNumSgprs: 106
; NumVgprs: 128
; NumAgprs: 0
; TotalNumVgprs: 128
; ScratchSize: 0
; MemoryBound: 0
; FloatMode: 240
; IeeeMode: 1
; LDSByteSize: 32832 bytes/workgroup (compile time only)
; SGPRBlocks: 13
; VGPRBlocks: 15
; NumSGPRsForWavesPerEU: 106
; NumVGPRsForWavesPerEU: 128
; AccumOffset: 128
; Occupancy: 4
; WaveLimiterHint : 0
; COMPUTE_PGM_RSRC2:SCRATCH_EN: 0
; COMPUTE_PGM_RSRC2:USER_SGPR: 2
; COMPUTE_PGM_RSRC2:TRAP_HANDLER: 0
; COMPUTE_PGM_RSRC2:TGID_X_EN: 1
; COMPUTE_PGM_RSRC2:TGID_Y_EN: 0
; COMPUTE_PGM_RSRC2:TGID_Z_EN: 0
; COMPUTE_PGM_RSRC2:TIDIG_COMP_CNT: 0
; COMPUTE_PGM_RSRC3_GFX90A:ACCUM_OFFSET: 31
; COMPUTE_PGM_RSRC3_GFX90A:TG_SPLIT: 0
	.section	.text._Z19_skinny_gemm_kernelILi4ELi4ELi3ELi16ELi4EEvPKhS1_P6__halfPKfiiiiiiii,"axG",@progbits,_Z19_skinny_gemm_kernelILi4ELi4ELi3ELi16ELi4EEvPKhS1_P6__halfPKfiiiiiiii,comdat
	.protected	_Z19_skinny_gemm_kernelILi4ELi4ELi3ELi16ELi4EEvPKhS1_P6__halfPKfiiiiiiii ; -- Begin function _Z19_skinny_gemm_kernelILi4ELi4ELi3ELi16ELi4EEvPKhS1_P6__halfPKfiiiiiiii
	.globl	_Z19_skinny_gemm_kernelILi4ELi4ELi3ELi16ELi4EEvPKhS1_P6__halfPKfiiiiiiii
	.p2align	8
	.type	_Z19_skinny_gemm_kernelILi4ELi4ELi3ELi16ELi4EEvPKhS1_P6__halfPKfiiiiiiii,@function
_Z19_skinny_gemm_kernelILi4ELi4ELi3ELi16ELi4EEvPKhS1_P6__halfPKfiiiiiiii: ; @_Z19_skinny_gemm_kernelILi4ELi4ELi3ELi16ELi4EEvPKhS1_P6__halfPKfiiiiiiii
; %bb.0:
	v_cmp_gt_u32_e32 vcc, 24, v0
	v_lshlrev_b32_e32 v1, 2, v0
	s_and_saveexec_b64 s[4:5], vcc
; %bb.1:
	v_mov_b32_e32 v2, 0
	ds_write_b32 v1, v2 offset:49152
; %bb.2:
	s_or_b64 exec, exec, s[4:5]
	s_load_dwordx8 s[20:27], s[0:1], 0x20
	s_waitcnt lgkmcnt(0)
	s_barrier
	s_add_i32 s3, s20, 63
	s_ashr_i32 s5, s3, 31
	s_add_i32 s4, s21, 63
	s_lshr_b32 s5, s5, 26
	s_ashr_i32 s6, s4, 31
	s_add_i32 s3, s3, s5
	s_ashr_i32 s33, s3, 6
	s_lshr_b32 s3, s6, 26
	s_add_i32 s4, s4, s3
	s_ashr_i32 s52, s4, 6
	s_mul_i32 s3, s52, s33
	s_mul_i32 s3, s3, s24
	s_add_i32 s4, s3, 0x12f
	s_mul_hi_i32 s4, s4, 0x6bca1af3
	s_lshr_b32 s5, s4, 31
	s_ashr_i32 s4, s4, 7
	s_add_i32 s4, s4, s5
	s_add_i32 s5, s2, 1
	s_mul_i32 s5, s4, s5
	v_cvt_f64_i32_e32 v[2:3], s3
	v_cvt_f64_u32_e32 v[4:5], s5
	v_min_f64 v[2:3], v[2:3], v[4:5]
	v_cvt_i32_f64_e32 v65, v[2:3]
	s_mul_i32 s53, s4, s2
	v_cmp_ge_i32_e32 vcc, s53, v65
	s_cbranch_vccnz .LBB364_66
; %bb.3:
	v_lshrrev_b32_e32 v2, 6, v0
	s_add_i32 s4, s26, s25
	s_load_dwordx8 s[36:43], s[0:1], 0x0
	v_cmp_le_i32_e64 s[0:1], s4, v2
	v_mov_b32_e32 v3, s25
	v_cmp_le_i32_e64 s[2:3], s25, v2
	v_mov_b32_e32 v4, s26
	v_cndmask_b32_e64 v4, 0, v4, s[0:1]
	v_cndmask_b32_e64 v3, 0, v3, s[2:3]
	s_abs_i32 s5, s24
	v_add_u32_e32 v3, v3, v4
	v_cvt_f32_u32_e32 v4, s5
	v_sub_u32_e32 v80, v2, v3
	s_ashr_i32 s6, s22, 31
	s_lshr_b32 s6, s6, 25
	v_rcp_iflag_f32_e32 v3, v4
	s_sub_i32 s9, 0, s5
	s_add_i32 s6, s22, s6
	s_ashr_i32 s6, s6, 7
	v_mul_f32_e32 v3, 0x4f7ffffe, v3
	v_cvt_u32_f32_e32 v3, v3
	s_abs_i32 s8, s6
	s_xor_b32 s7, s6, s24
	s_ashr_i32 s7, s7, 31
	v_readfirstlane_b32 s10, v3
	s_mul_i32 s9, s9, s10
	s_mul_hi_u32 s9, s10, s9
	s_add_i32 s10, s10, s9
	s_mul_hi_u32 s9, s8, s10
	s_mul_i32 s10, s9, s5
	s_sub_i32 s8, s8, s10
	s_add_i32 s10, s9, 1
	s_sub_i32 s11, s8, s5
	s_cmp_ge_u32 s8, s5
	s_cselect_b32 s9, s10, s9
	s_cselect_b32 s8, s11, s8
	s_add_i32 s10, s9, 1
	s_cmp_ge_u32 s8, s5
	s_cselect_b32 s5, s10, s9
	s_xor_b32 s5, s5, s7
	s_sub_i32 s54, s5, s7
	s_add_i32 s24, s24, -1
	s_mul_i32 s5, s54, s24
	s_add_i32 s4, s4, s27
	s_sub_i32 s55, s6, s5
	v_cmp_gt_i32_e64 s[4:5], s4, v2
	v_lshlrev_b32_e32 v2, 1, v0
	v_lshlrev_b32_e32 v3, 4, v0
	v_and_b32_e32 v1, 60, v1
	v_and_b32_e32 v2, 64, v2
	;; [unrolled: 1-line block ×3, first 2 shown]
	v_or3_b32 v115, v1, v2, v4
	v_and_b32_e32 v1, 1, v0
	v_lshrrev_b32_e32 v4, 2, v0
	v_and_b32_e32 v64, 14, v0
	v_and_or_b32 v118, v4, 12, v1
	v_mad_u64_u32 v[66:67], s[6:7], s21, v118, v[64:65]
	s_lshl_b32 s6, s21, 4
	s_nop 0
	v_add_u32_e32 v68, s6, v66
	v_add_u32_e32 v4, s6, v68
	s_abs_i32 s56, s33
	v_ashrrev_i32_e32 v5, 31, v4
	v_and_b32_e32 v74, 48, v3
	v_cvt_f32_u32_e32 v3, s56
	scratch_store_dwordx2 off, v[4:5], off  ; 8-byte Folded Spill
	v_add_u32_e32 v4, s6, v4
	v_lshlrev_b32_e32 v2, 1, v1
	v_ashrrev_i32_e32 v5, 31, v4
	v_sub_u32_e32 v2, v0, v2
	v_bitop3_b32 v116, v0, 1, v0 bitop3:0xc
	v_bitop3_b32 v117, v0, 3, 1 bitop3:0x6c
	scratch_store_dwordx2 off, v[4:5], off offset:8 ; 8-byte Folded Spill
	v_bfe_u32 v119, v0, 2, 4
	v_and_b32_e32 v1, 60, v0
	v_lshlrev_b32_e32 v4, 8, v0
	v_lshlrev_b32_e32 v0, 6, v0
	v_and_b32_e32 v4, 0x200, v4
	v_rcp_iflag_f32_e32 v3, v3
	v_and_b32_e32 v0, 64, v0
	s_abs_i32 s58, s52
	v_or3_b32 v120, v1, v4, v0
	v_cvt_f32_u32_e32 v1, s58
	v_mul_f32_e32 v0, 0x4f7ffffe, v3
	v_cvt_u32_f32_e32 v0, v0
	s_sub_i32 s6, 0, s56
	v_rcp_iflag_f32_e32 v1, v1
	v_add_u32_e32 v2, 1, v2
	v_readfirstlane_b32 s7, v0
	s_mul_i32 s6, s6, s7
	v_mul_f32_e32 v0, 0x4f7ffffe, v1
	v_cvt_u32_f32_e32 v0, v0
	s_mul_hi_u32 s6, s7, s6
	s_add_i32 s60, s7, s6
	s_sub_i32 s6, 0, s58
	v_readfirstlane_b32 s7, v0
	v_mbcnt_lo_u32_b32 v0, -1, 0
	v_and_b32_e32 v2, 63, v2
	s_mul_i32 s6, s6, s7
	v_mbcnt_hi_u32_b32 v0, -1, v0
	v_mul_lo_u32 v76, s23, v119
	s_mul_hi_u32 s6, s7, s6
	v_and_or_b32 v0, v0, 64, v2
	v_cndmask_b32_e64 v114, 0, 1, s[0:1]
	s_ashr_i32 s29, s21, 31
	s_mov_b32 s28, s21
	v_ashrrev_i32_e32 v67, 31, v66
	v_ashrrev_i32_e32 v69, 31, v68
	;; [unrolled: 1-line block ×3, first 2 shown]
	v_mov_b32_e32 v75, 0
	s_lshl_b32 s57, s23, 4
	s_ashr_i32 s59, s33, 31
	s_ashr_i32 s61, s52, 31
	s_add_i32 s62, s7, s6
	s_mov_b64 s[30:31], 0x60
	v_lshlrev_b32_e32 v121, 2, v0
	v_mov_b32_e32 v122, v80
	s_branch .LBB364_7
.LBB364_4:                              ;   in Loop: Header=BB364_7 Depth=1
	s_or_b64 exec, exec, s[10:11]
.LBB364_5:                              ;   in Loop: Header=BB364_7 Depth=1
	s_or_b64 exec, exec, s[8:9]
	v_subrev_u32_e32 v122, s16, v122
.LBB364_6:                              ;   in Loop: Header=BB364_7 Depth=1
	s_or_b64 exec, exec, s[6:7]
	s_add_i32 s53, s53, 1
	v_cmp_ge_i32_e32 vcc, s53, v65
	s_cbranch_vccnz .LBB364_66
.LBB364_7:                              ; =>This Loop Header: Depth=1
                                        ;     Child Loop BB364_13 Depth 2
                                        ;       Child Loop BB364_15 Depth 3
                                        ;       Child Loop BB364_18 Depth 3
                                        ;       Child Loop BB364_21 Depth 3
                                        ;       Child Loop BB364_24 Depth 3
                                        ;       Child Loop BB364_27 Depth 3
                                        ;       Child Loop BB364_30 Depth 3
                                        ;       Child Loop BB364_33 Depth 3
                                        ;       Child Loop BB364_36 Depth 3
                                        ;     Child Loop BB364_53 Depth 2
                                        ;       Child Loop BB364_55 Depth 3
                                        ;     Child Loop BB364_63 Depth 2
                                        ;       Child Loop BB364_65 Depth 3
	s_abs_i32 s7, s53
	s_mul_hi_u32 s8, s7, s60
	s_mul_i32 s9, s8, s56
	s_ashr_i32 s6, s53, 31
	s_sub_i32 s7, s7, s9
	s_xor_b32 s6, s6, s59
	s_add_i32 s9, s8, 1
	s_sub_i32 s10, s7, s56
	s_cmp_ge_u32 s7, s56
	s_cselect_b32 s8, s9, s8
	s_cselect_b32 s7, s10, s7
	s_add_i32 s9, s8, 1
	s_cmp_ge_u32 s7, s56
	s_cselect_b32 s7, s9, s8
	s_xor_b32 s7, s7, s6
	s_sub_i32 s6, s7, s6
	s_abs_i32 s8, s6
	s_mul_i32 s7, s6, s33
	s_mul_hi_u32 s9, s8, s62
	s_sub_i32 s7, s53, s7
	s_mul_i32 s10, s9, s58
	s_lshl_b32 s63, s7, 6
	s_ashr_i32 s7, s6, 31
	s_sub_i32 s8, s8, s10
	s_xor_b32 s7, s7, s61
	s_add_i32 s10, s9, 1
	s_sub_i32 s11, s8, s58
	s_cmp_ge_u32 s8, s58
	s_cselect_b32 s9, s10, s9
	s_cselect_b32 s8, s11, s8
	s_add_i32 s10, s9, 1
	s_cmp_ge_u32 s8, s58
	s_cselect_b32 s8, s10, s9
	s_xor_b32 s8, s8, s7
	s_sub_i32 s7, s8, s7
	s_mul_i32 s8, s7, s54
	s_lshl_b32 s64, s8, 7
	s_cmp_eq_u32 s7, s24
	s_cselect_b32 s66, s55, s54
	s_sub_i32 s8, s63, s20
	s_add_i32 s8, s8, 64
	s_max_i32 s65, s8, 0
	s_and_saveexec_b64 s[8:9], s[2:3]
	s_xor_b64 s[34:35], exec, s[8:9]
	s_cbranch_execz .LBB364_59
; %bb.8:                                ;   in Loop: Header=BB364_7 Depth=1
	s_mul_i32 s7, s7, s52
	s_sub_i32 s6, s6, s7
	s_lshl_b32 s6, s6, 6
	s_sub_i32 s45, s6, s21
	s_add_i32 s45, s45, 64
	s_max_i32 s7, s45, 0
	s_sub_i32 s44, s6, s7
	s_and_saveexec_b64 s[6:7], s[0:1]
	s_xor_b64 s[46:47], exec, s[6:7]
	s_cbranch_execz .LBB364_49
; %bb.9:                                ;   in Loop: Header=BB364_7 Depth=1
	s_and_saveexec_b64 s[48:49], s[4:5]
	s_cbranch_execz .LBB364_48
; %bb.10:                               ;   in Loop: Header=BB364_7 Depth=1
	s_waitcnt lgkmcnt(0)
	global_load_dword v123, v75, s[42:43]
	v_mov_b32_e32 v63, 0
	v_cmp_gt_i32_e32 vcc, s66, v122
	v_mov_b32_e32 v62, v63
	v_mov_b32_e32 v61, v63
	v_mov_b32_e32 v60, v63
	v_mov_b32_e32 v59, v63
	v_mov_b32_e32 v58, v63
	v_mov_b32_e32 v57, v63
	v_mov_b32_e32 v56, v63
	v_mov_b32_e32 v55, v63
	v_mov_b32_e32 v54, v63
	v_mov_b32_e32 v53, v63
	v_mov_b32_e32 v52, v63
	v_mov_b32_e32 v51, v63
	v_mov_b32_e32 v50, v63
	v_mov_b32_e32 v49, v63
	v_mov_b32_e32 v48, v63
	v_mov_b32_e32 v47, v63
	v_mov_b32_e32 v46, v63
	v_mov_b32_e32 v45, v63
	v_mov_b32_e32 v44, v63
	v_mov_b32_e32 v43, v63
	v_mov_b32_e32 v42, v63
	v_mov_b32_e32 v41, v63
	v_mov_b32_e32 v40, v63
	v_mov_b32_e32 v39, v63
	v_mov_b32_e32 v38, v63
	v_mov_b32_e32 v37, v63
	v_mov_b32_e32 v36, v63
	v_mov_b32_e32 v35, v63
	v_mov_b32_e32 v34, v63
	v_mov_b32_e32 v33, v63
	v_mov_b32_e32 v32, v63
	v_mov_b32_e32 v31, v63
	v_mov_b32_e32 v30, v63
	v_mov_b32_e32 v29, v63
	v_mov_b32_e32 v28, v63
	v_mov_b32_e32 v27, v63
	v_mov_b32_e32 v26, v63
	v_mov_b32_e32 v25, v63
	v_mov_b32_e32 v24, v63
	v_mov_b32_e32 v23, v63
	v_mov_b32_e32 v22, v63
	v_mov_b32_e32 v21, v63
	v_mov_b32_e32 v20, v63
	v_mov_b32_e32 v19, v63
	v_mov_b32_e32 v18, v63
	v_mov_b32_e32 v17, v63
	v_mov_b32_e32 v16, v63
	v_mov_b32_e32 v15, v63
	v_mov_b32_e32 v14, v63
	v_mov_b32_e32 v13, v63
	v_mov_b32_e32 v12, v63
	v_mov_b32_e32 v7, v63
	v_mov_b32_e32 v6, v63
	v_mov_b32_e32 v5, v63
	v_mov_b32_e32 v4, v63
	v_mov_b32_e32 v3, v63
	v_mov_b32_e32 v2, v63
	v_mov_b32_e32 v1, v63
	v_mov_b32_e32 v0, v63
	v_mov_b32_e32 v11, v63
	v_mov_b32_e32 v10, v63
	v_mov_b32_e32 v9, v63
	v_mov_b32_e32 v8, v63
	s_and_saveexec_b64 s[6:7], vcc
	s_cbranch_execz .LBB364_38
; %bb.11:                               ;   in Loop: Header=BB364_7 Depth=1
	v_mov_b32_e32 v8, 0
	s_mov_b64 s[8:9], 0
	v_mov_b32_e32 v9, v8
	v_mov_b32_e32 v10, v8
	v_mov_b32_e32 v11, v8
	v_mov_b32_e32 v0, v8
	v_mov_b32_e32 v1, v8
	v_mov_b32_e32 v2, v8
	v_mov_b32_e32 v3, v8
	v_mov_b32_e32 v4, v8
	v_mov_b32_e32 v5, v8
	v_mov_b32_e32 v6, v8
	v_mov_b32_e32 v7, v8
	v_mov_b32_e32 v12, v8
	v_mov_b32_e32 v13, v8
	v_mov_b32_e32 v14, v8
	v_mov_b32_e32 v15, v8
	v_mov_b32_e32 v16, v8
	v_mov_b32_e32 v17, v8
	v_mov_b32_e32 v18, v8
	v_mov_b32_e32 v19, v8
	v_mov_b32_e32 v20, v8
	v_mov_b32_e32 v21, v8
	v_mov_b32_e32 v22, v8
	v_mov_b32_e32 v23, v8
	v_mov_b32_e32 v24, v8
	v_mov_b32_e32 v25, v8
	v_mov_b32_e32 v26, v8
	v_mov_b32_e32 v27, v8
	v_mov_b32_e32 v28, v8
	v_mov_b32_e32 v29, v8
	v_mov_b32_e32 v30, v8
	v_mov_b32_e32 v31, v8
	v_mov_b32_e32 v32, v8
	v_mov_b32_e32 v33, v8
	v_mov_b32_e32 v34, v8
	v_mov_b32_e32 v35, v8
	v_mov_b32_e32 v36, v8
	v_mov_b32_e32 v37, v8
	v_mov_b32_e32 v38, v8
	v_mov_b32_e32 v39, v8
	v_mov_b32_e32 v40, v8
	v_mov_b32_e32 v41, v8
	v_mov_b32_e32 v42, v8
	v_mov_b32_e32 v43, v8
	v_mov_b32_e32 v44, v8
	v_mov_b32_e32 v45, v8
	v_mov_b32_e32 v46, v8
	v_mov_b32_e32 v47, v8
	v_mov_b32_e32 v48, v8
	v_mov_b32_e32 v49, v8
	v_mov_b32_e32 v50, v8
	v_mov_b32_e32 v51, v8
	v_mov_b32_e32 v52, v8
	v_mov_b32_e32 v53, v8
	v_mov_b32_e32 v54, v8
	v_mov_b32_e32 v55, v8
	v_mov_b32_e32 v56, v8
	v_mov_b32_e32 v57, v8
	v_mov_b32_e32 v58, v8
	v_mov_b32_e32 v59, v8
	v_mov_b32_e32 v60, v8
	v_mov_b32_e32 v61, v8
	v_mov_b32_e32 v62, v8
	v_mov_b32_e32 v63, v8
	s_branch .LBB364_13
.LBB364_12:                             ;   in Loop: Header=BB364_13 Depth=2
	s_or_b64 exec, exec, s[10:11]
	v_add_u32_e32 v72, 0x1800, v127
	ds_read2_b32 v[70:71], v72 offset1:32
	ds_read2_b32 v[72:73], v72 offset0:128 offset1:160
	v_add_u32_e32 v104, 0x1c00, v127
	v_add_u32_e32 v122, s27, v122
	s_waitcnt lgkmcnt(1)
	v_mfma_f32_16x16x32_fp8_fp8 v[48:51], v[78:79], v[70:71], v[48:51]
	ds_read2_b32 v[78:79], v104 offset1:32
	v_mfma_f32_16x16x32_fp8_fp8 v[32:35], v[86:87], v[70:71], v[32:35]
	v_mfma_f32_16x16x32_fp8_fp8 v[16:19], v[94:95], v[70:71], v[16:19]
	v_mfma_f32_16x16x32_fp8_fp8 v[8:11], v[110:111], v[70:71], v[8:11]
	v_add_u32_e32 v70, 2, v114
	s_waitcnt lgkmcnt(1)
	v_mfma_f32_16x16x32_fp8_fp8 v[48:51], v[80:81], v[72:73], v[48:51]
	v_add_u32_e32 v80, s27, v124
	v_cmp_lt_i32_e32 vcc, 2, v80
	v_mfma_f32_16x16x32_fp8_fp8 v[32:35], v[88:89], v[72:73], v[32:35]
	s_nop 0
	v_cndmask_b32_e32 v114, v114, v70, vcc
	v_cmp_le_i32_e32 vcc, s66, v122
	s_or_b64 s[8:9], vcc, s[8:9]
	v_mfma_f32_16x16x32_fp8_fp8 v[16:19], v[96:97], v[72:73], v[16:19]
	v_mfma_f32_16x16x32_fp8_fp8 v[8:11], v[112:113], v[72:73], v[8:11]
	s_waitcnt lgkmcnt(0)
	v_mfma_f32_16x16x32_fp8_fp8 v[48:51], v[82:83], v[78:79], v[48:51]
	ds_read2_b32 v[82:83], v104 offset0:128 offset1:160
	;;#ASMSTART
	s_waitcnt lgkmcnt(0)
	;;#ASMEND
	ds_write_b32 v125, v126 offset:49212
	v_mfma_f32_16x16x32_fp8_fp8 v[32:35], v[90:91], v[78:79], v[32:35]
	v_mfma_f32_16x16x32_fp8_fp8 v[16:19], v[98:99], v[78:79], v[16:19]
	;; [unrolled: 1-line block ×3, first 2 shown]
	s_waitcnt lgkmcnt(1)
	v_mfma_f32_16x16x32_fp8_fp8 v[48:51], v[84:85], v[82:83], v[48:51]
	v_mfma_f32_16x16x32_fp8_fp8 v[32:35], v[92:93], v[82:83], v[32:35]
	;; [unrolled: 1-line block ×4, first 2 shown]
	s_andn2_b64 exec, exec, s[8:9]
	s_cbranch_execz .LBB364_37
.LBB364_13:                             ;   Parent Loop BB364_7 Depth=1
                                        ; =>  This Loop Header: Depth=2
                                        ;       Child Loop BB364_15 Depth 3
                                        ;       Child Loop BB364_18 Depth 3
	;; [unrolled: 1-line block ×8, first 2 shown]
	v_cmp_gt_i32_e32 vcc, 3, v80
	s_nop 1
	v_cndmask_b32_e64 v70, -3, 0, vcc
	v_add_u32_e32 v124, v70, v80
	v_lshlrev_b32_e32 v125, 4, v124
	ds_read_b32 v70, v125 offset:49200
	s_waitcnt lgkmcnt(0)
	v_cmp_ne_u32_e32 vcc, v70, v114
	s_and_saveexec_b64 s[10:11], vcc
	s_cbranch_execz .LBB364_16
; %bb.14:                               ;   in Loop: Header=BB364_13 Depth=2
	s_mov_b64 s[12:13], 0
.LBB364_15:                             ;   Parent Loop BB364_7 Depth=1
                                        ;     Parent Loop BB364_13 Depth=2
                                        ; =>    This Inner Loop Header: Depth=3
	;;#ASMSTART
	s_sleep 0
	;;#ASMEND
	ds_read_b32 v70, v125 offset:49200
	s_waitcnt lgkmcnt(0)
	v_cmp_eq_u32_e32 vcc, v70, v114
	s_or_b64 s[12:13], vcc, s[12:13]
	s_andn2_b64 exec, exec, s[12:13]
	s_cbranch_execnz .LBB364_15
.LBB364_16:                             ;   in Loop: Header=BB364_13 Depth=2
	s_or_b64 exec, exec, s[10:11]
	v_lshlrev_b32_e32 v72, 13, v124
	v_or_b32_e32 v70, 0x6000, v115
	v_add_u32_e32 v127, v70, v72
	v_add_u32_e32 v70, 0x400, v127
	ds_read2_b32 v[106:107], v127 offset1:32
	ds_read2_b32 v[102:103], v127 offset0:128 offset1:160
	ds_read2_b32 v[108:109], v70 offset1:32
	ds_read2_b32 v[104:105], v70 offset0:128 offset1:160
	;;#ASMSTART
	s_waitcnt lgkmcnt(0)
	;;#ASMEND
	ds_read_b32 v70, v125 offset:49152
	v_add_u32_e32 v126, 1, v114
	ds_write_b32 v125, v126 offset:49200
	s_waitcnt lgkmcnt(1)
	v_cmp_ne_u32_e32 vcc, v70, v114
	s_and_saveexec_b64 s[10:11], vcc
	s_cbranch_execz .LBB364_19
; %bb.17:                               ;   in Loop: Header=BB364_13 Depth=2
	s_mov_b64 s[12:13], 0
.LBB364_18:                             ;   Parent Loop BB364_7 Depth=1
                                        ;     Parent Loop BB364_13 Depth=2
                                        ; =>    This Inner Loop Header: Depth=3
	;;#ASMSTART
	s_sleep 0
	;;#ASMEND
	ds_read_b32 v70, v125 offset:49152
	s_waitcnt lgkmcnt(0)
	v_cmp_eq_u32_e32 vcc, v70, v114
	s_or_b64 s[12:13], vcc, s[12:13]
	s_andn2_b64 exec, exec, s[12:13]
	s_cbranch_execnz .LBB364_18
.LBB364_19:                             ;   in Loop: Header=BB364_13 Depth=2
	s_or_b64 exec, exec, s[10:11]
	v_add_u32_e32 v72, v115, v72
	ds_read2_b32 v[78:79], v72 offset1:32
	ds_read2_b32 v[80:81], v72 offset0:128 offset1:160
	v_add_u32_e32 v70, 0x400, v72
	ds_read2_b32 v[82:83], v70 offset1:32
	ds_read2_b32 v[84:85], v70 offset0:128 offset1:160
	ds_read_b32 v70, v125 offset:49156
	ds_write_b32 v125, v126 offset:49152
	s_waitcnt lgkmcnt(5)
	v_mfma_f32_16x16x32_fp8_fp8 v[60:63], v[78:79], v[106:107], v[60:63]
	s_waitcnt lgkmcnt(1)
	v_cmp_ne_u32_e32 vcc, v70, v114
	v_mfma_f32_16x16x32_fp8_fp8 v[60:63], v[80:81], v[102:103], v[60:63]
	v_mfma_f32_16x16x32_fp8_fp8 v[60:63], v[82:83], v[108:109], v[60:63]
	v_mfma_f32_16x16x32_fp8_fp8 v[60:63], v[84:85], v[104:105], v[60:63]
	s_and_saveexec_b64 s[10:11], vcc
	s_cbranch_execz .LBB364_22
; %bb.20:                               ;   in Loop: Header=BB364_13 Depth=2
	s_mov_b64 s[12:13], 0
.LBB364_21:                             ;   Parent Loop BB364_7 Depth=1
                                        ;     Parent Loop BB364_13 Depth=2
                                        ; =>    This Inner Loop Header: Depth=3
	;;#ASMSTART
	s_sleep 0
	;;#ASMEND
	ds_read_b32 v70, v125 offset:49156
	s_waitcnt lgkmcnt(0)
	v_cmp_eq_u32_e32 vcc, v70, v114
	s_or_b64 s[12:13], vcc, s[12:13]
	s_andn2_b64 exec, exec, s[12:13]
	s_cbranch_execnz .LBB364_21
.LBB364_22:                             ;   in Loop: Header=BB364_13 Depth=2
	s_or_b64 exec, exec, s[10:11]
	v_add_u32_e32 v70, 0x800, v72
	ds_read2_b32 v[86:87], v70 offset1:32
	ds_read2_b32 v[88:89], v70 offset0:128 offset1:160
	v_add_u32_e32 v70, 0xc00, v72
	ds_read2_b32 v[90:91], v70 offset1:32
	ds_read2_b32 v[92:93], v70 offset0:128 offset1:160
	ds_read_b32 v70, v125 offset:49160
	ds_write_b32 v125, v126 offset:49156
	s_waitcnt lgkmcnt(5)
	v_mfma_f32_16x16x32_fp8_fp8 v[44:47], v[86:87], v[106:107], v[44:47]
	s_waitcnt lgkmcnt(1)
	v_cmp_ne_u32_e32 vcc, v70, v114
	v_mfma_f32_16x16x32_fp8_fp8 v[44:47], v[88:89], v[102:103], v[44:47]
	v_mfma_f32_16x16x32_fp8_fp8 v[44:47], v[90:91], v[108:109], v[44:47]
	;; [unrolled: 1-line block ×3, first 2 shown]
	s_and_saveexec_b64 s[10:11], vcc
	s_cbranch_execz .LBB364_25
; %bb.23:                               ;   in Loop: Header=BB364_13 Depth=2
	s_mov_b64 s[12:13], 0
.LBB364_24:                             ;   Parent Loop BB364_7 Depth=1
                                        ;     Parent Loop BB364_13 Depth=2
                                        ; =>    This Inner Loop Header: Depth=3
	;;#ASMSTART
	s_sleep 0
	;;#ASMEND
	ds_read_b32 v70, v125 offset:49160
	s_waitcnt lgkmcnt(0)
	v_cmp_eq_u32_e32 vcc, v70, v114
	s_or_b64 s[12:13], vcc, s[12:13]
	s_andn2_b64 exec, exec, s[12:13]
	s_cbranch_execnz .LBB364_24
.LBB364_25:                             ;   in Loop: Header=BB364_13 Depth=2
	s_or_b64 exec, exec, s[10:11]
	v_add_u32_e32 v70, 0x1000, v72
	ds_read2_b32 v[94:95], v70 offset1:32
	ds_read2_b32 v[96:97], v70 offset0:128 offset1:160
	v_add_u32_e32 v70, 0x1400, v72
	ds_read2_b32 v[98:99], v70 offset1:32
	ds_read2_b32 v[100:101], v70 offset0:128 offset1:160
	ds_read_b32 v70, v125 offset:49164
	s_waitcnt lgkmcnt(4)
	v_mfma_f32_16x16x32_fp8_fp8 v[28:31], v[94:95], v[106:107], v[28:31]
	ds_write_b32 v125, v126 offset:49160
	s_waitcnt lgkmcnt(1)
	v_cmp_ne_u32_e32 vcc, v70, v114
	v_mfma_f32_16x16x32_fp8_fp8 v[28:31], v[96:97], v[102:103], v[28:31]
	v_mfma_f32_16x16x32_fp8_fp8 v[28:31], v[98:99], v[108:109], v[28:31]
	;; [unrolled: 1-line block ×3, first 2 shown]
	s_and_saveexec_b64 s[10:11], vcc
	s_cbranch_execz .LBB364_28
; %bb.26:                               ;   in Loop: Header=BB364_13 Depth=2
	s_mov_b64 s[12:13], 0
.LBB364_27:                             ;   Parent Loop BB364_7 Depth=1
                                        ;     Parent Loop BB364_13 Depth=2
                                        ; =>    This Inner Loop Header: Depth=3
	;;#ASMSTART
	s_sleep 0
	;;#ASMEND
	ds_read_b32 v70, v125 offset:49164
	s_waitcnt lgkmcnt(0)
	v_cmp_eq_u32_e32 vcc, v70, v114
	s_or_b64 s[12:13], vcc, s[12:13]
	s_andn2_b64 exec, exec, s[12:13]
	s_cbranch_execnz .LBB364_27
.LBB364_28:                             ;   in Loop: Header=BB364_13 Depth=2
	s_or_b64 exec, exec, s[10:11]
	v_add_u32_e32 v70, 0x1800, v72
	ds_read2_b32 v[110:111], v70 offset1:32
	ds_read2_b32 v[112:113], v70 offset0:128 offset1:160
	v_add_u32_e32 v70, 0x1c00, v72
	s_waitcnt lgkmcnt(1)
	v_mfma_f32_16x16x32_fp8_fp8 v[12:15], v[110:111], v[106:107], v[12:15]
	ds_read2_b32 v[106:107], v70 offset1:32
	s_waitcnt lgkmcnt(1)
	v_mfma_f32_16x16x32_fp8_fp8 v[12:15], v[112:113], v[102:103], v[12:15]
	ds_read2_b32 v[102:103], v70 offset0:128 offset1:160
	ds_read_b32 v70, v125 offset:49204
	ds_write_b32 v125, v126 offset:49164
	s_waitcnt lgkmcnt(1)
	v_cmp_ne_u32_e32 vcc, v70, v114
	v_mfma_f32_16x16x32_fp8_fp8 v[12:15], v[106:107], v[108:109], v[12:15]
	v_mfma_f32_16x16x32_fp8_fp8 v[12:15], v[102:103], v[104:105], v[12:15]
	s_and_saveexec_b64 s[10:11], vcc
	s_cbranch_execz .LBB364_31
; %bb.29:                               ;   in Loop: Header=BB364_13 Depth=2
	s_mov_b64 s[12:13], 0
.LBB364_30:                             ;   Parent Loop BB364_7 Depth=1
                                        ;     Parent Loop BB364_13 Depth=2
                                        ; =>    This Inner Loop Header: Depth=3
	;;#ASMSTART
	s_sleep 0
	;;#ASMEND
	ds_read_b32 v70, v125 offset:49204
	s_waitcnt lgkmcnt(0)
	v_cmp_eq_u32_e32 vcc, v70, v114
	s_or_b64 s[12:13], vcc, s[12:13]
	s_andn2_b64 exec, exec, s[12:13]
	s_cbranch_execnz .LBB364_30
.LBB364_31:                             ;   in Loop: Header=BB364_13 Depth=2
	s_or_b64 exec, exec, s[10:11]
	v_add_u32_e32 v70, 0x800, v127
	ds_read2_b32 v[72:73], v70 offset1:32
	ds_read2_b32 v[104:105], v70 offset0:128 offset1:160
	v_add_u32_e32 v70, 0xc00, v127
	ds_read2_b32 v[108:109], v70 offset1:32
	ds_read2_b32 v[70:71], v70 offset0:128 offset1:160
	s_waitcnt lgkmcnt(3)
	v_mfma_f32_16x16x32_fp8_fp8 v[56:59], v[78:79], v[72:73], v[56:59]
	;;#ASMSTART
	s_waitcnt lgkmcnt(0)
	;;#ASMEND
	ds_write_b32 v125, v126 offset:49204
	v_mfma_f32_16x16x32_fp8_fp8 v[40:43], v[86:87], v[72:73], v[40:43]
	v_mfma_f32_16x16x32_fp8_fp8 v[24:27], v[94:95], v[72:73], v[24:27]
	;; [unrolled: 1-line block ×3, first 2 shown]
	ds_read_b32 v72, v125 offset:49208
	s_waitcnt lgkmcnt(0)
	v_cmp_ne_u32_e32 vcc, v72, v114
	v_mfma_f32_16x16x32_fp8_fp8 v[56:59], v[80:81], v[104:105], v[56:59]
	v_mfma_f32_16x16x32_fp8_fp8 v[40:43], v[88:89], v[104:105], v[40:43]
	;; [unrolled: 1-line block ×12, first 2 shown]
	s_and_saveexec_b64 s[10:11], vcc
	s_cbranch_execz .LBB364_34
; %bb.32:                               ;   in Loop: Header=BB364_13 Depth=2
	s_mov_b64 s[12:13], 0
.LBB364_33:                             ;   Parent Loop BB364_7 Depth=1
                                        ;     Parent Loop BB364_13 Depth=2
                                        ; =>    This Inner Loop Header: Depth=3
	;;#ASMSTART
	s_sleep 0
	;;#ASMEND
	ds_read_b32 v70, v125 offset:49208
	s_waitcnt lgkmcnt(0)
	v_cmp_eq_u32_e32 vcc, v70, v114
	s_or_b64 s[12:13], vcc, s[12:13]
	s_andn2_b64 exec, exec, s[12:13]
	s_cbranch_execnz .LBB364_33
.LBB364_34:                             ;   in Loop: Header=BB364_13 Depth=2
	s_or_b64 exec, exec, s[10:11]
	v_add_u32_e32 v72, 0x1000, v127
	ds_read2_b32 v[70:71], v72 offset1:32
	ds_read2_b32 v[72:73], v72 offset0:128 offset1:160
	v_add_u32_e32 v108, 0x1400, v127
	ds_read2_b32 v[104:105], v108 offset1:32
	ds_read2_b32 v[108:109], v108 offset0:128 offset1:160
	s_waitcnt lgkmcnt(3)
	v_mfma_f32_16x16x32_fp8_fp8 v[52:55], v[78:79], v[70:71], v[52:55]
	;;#ASMSTART
	s_waitcnt lgkmcnt(0)
	;;#ASMEND
	ds_write_b32 v125, v126 offset:49208
	v_mfma_f32_16x16x32_fp8_fp8 v[36:39], v[86:87], v[70:71], v[36:39]
	v_mfma_f32_16x16x32_fp8_fp8 v[20:23], v[94:95], v[70:71], v[20:23]
	;; [unrolled: 1-line block ×3, first 2 shown]
	ds_read_b32 v70, v125 offset:49212
	s_waitcnt lgkmcnt(0)
	v_cmp_ne_u32_e32 vcc, v70, v114
	v_mfma_f32_16x16x32_fp8_fp8 v[52:55], v[80:81], v[72:73], v[52:55]
	v_mfma_f32_16x16x32_fp8_fp8 v[36:39], v[88:89], v[72:73], v[36:39]
	;; [unrolled: 1-line block ×12, first 2 shown]
	s_and_saveexec_b64 s[10:11], vcc
	s_cbranch_execz .LBB364_12
; %bb.35:                               ;   in Loop: Header=BB364_13 Depth=2
	s_mov_b64 s[12:13], 0
.LBB364_36:                             ;   Parent Loop BB364_7 Depth=1
                                        ;     Parent Loop BB364_13 Depth=2
                                        ; =>    This Inner Loop Header: Depth=3
	;;#ASMSTART
	s_sleep 0
	;;#ASMEND
	ds_read_b32 v70, v125 offset:49212
	s_waitcnt lgkmcnt(0)
	v_cmp_eq_u32_e32 vcc, v70, v114
	s_or_b64 s[12:13], vcc, s[12:13]
	s_andn2_b64 exec, exec, s[12:13]
	s_cbranch_execnz .LBB364_36
	s_branch .LBB364_12
.LBB364_37:                             ;   in Loop: Header=BB364_7 Depth=1
	s_or_b64 exec, exec, s[8:9]
.LBB364_38:                             ;   in Loop: Header=BB364_7 Depth=1
	s_or_b64 exec, exec, s[6:7]
	v_cmp_le_i32_e32 vcc, s45, v64
	v_cmp_eq_u32_e64 s[6:7], 2, v116
	v_cmp_eq_u32_e64 s[8:9], 3, v116
	s_waitcnt vmcnt(0)
	v_cndmask_b32_e32 v78, 0, v123, vcc
	v_pk_mul_f32 v[60:61], v[78:79], v[60:61] op_sel_hi:[0,1]
	v_cmp_eq_u32_e32 vcc, 1, v116
	v_pk_mul_f32 v[70:71], v[78:79], v[62:63] op_sel_hi:[0,1]
	v_cmp_eq_u32_e64 s[10:11], 0, v116
	v_cndmask_b32_e32 v62, v60, v61, vcc
	v_cndmask_b32_e64 v62, v62, v70, s[6:7]
	v_cndmask_b32_e64 v62, v62, v71, s[8:9]
	ds_bpermute_b32 v72, v121, v62
	v_cmp_eq_u32_e64 s[12:13], 1, v117
	v_cmp_eq_u32_e64 s[16:17], 3, v117
	s_waitcnt lgkmcnt(0)
	v_cndmask_b32_e64 v79, v60, v72, s[10:11]
	v_or_b32_e32 v60, 16, v64
	v_cmp_le_i32_e64 s[14:15], s45, v60
	v_cndmask_b32_e32 v61, v61, v72, vcc
	v_cndmask_b32_e64 v62, v71, v72, s[8:9]
	v_cndmask_b32_e64 v60, 0, v123, s[14:15]
	v_pk_mul_f32 v[56:57], v[60:61], v[56:57] op_sel_hi:[0,1]
	v_cndmask_b32_e64 v63, v70, v72, s[6:7]
	v_pk_mul_f32 v[70:71], v[60:61], v[58:59] op_sel_hi:[0,1]
	v_cndmask_b32_e32 v58, v56, v57, vcc
	v_cndmask_b32_e64 v58, v58, v70, s[6:7]
	v_cndmask_b32_e64 v58, v58, v71, s[8:9]
	ds_bpermute_b32 v73, v121, v58
	v_cndmask_b32_e64 v72, v79, v61, s[12:13]
	v_cmp_eq_u32_e64 s[14:15], 2, v117
	s_waitcnt lgkmcnt(0)
	v_cndmask_b32_e64 v83, v56, v73, s[10:11]
	v_or_b32_e32 v56, 32, v64
	v_cmp_le_i32_e64 s[18:19], s45, v56
	v_cndmask_b32_e32 v57, v57, v73, vcc
	v_cndmask_b32_e64 v58, v72, v63, s[14:15]
	v_cndmask_b32_e64 v56, 0, v123, s[18:19]
	v_pk_mul_f32 v[52:53], v[56:57], v[52:53] op_sel_hi:[0,1]
	v_cndmask_b32_e64 v59, v71, v73, s[8:9]
	v_cndmask_b32_e64 v72, v70, v73, s[6:7]
	v_pk_mul_f32 v[70:71], v[56:57], v[54:55] op_sel_hi:[0,1]
	v_cndmask_b32_e32 v54, v52, v53, vcc
	v_cndmask_b32_e64 v54, v54, v70, s[6:7]
	v_cndmask_b32_e64 v54, v54, v71, s[8:9]
	ds_bpermute_b32 v81, v121, v54
	v_cndmask_b32_e64 v54, v83, v57, s[12:13]
	v_cndmask_b32_e64 v54, v54, v72, s[14:15]
	v_cndmask_b32_e64 v58, v58, v62, s[16:17]
	v_cndmask_b32_e64 v54, v54, v59, s[16:17]
	s_waitcnt lgkmcnt(0)
	v_cndmask_b32_e64 v85, v52, v81, s[10:11]
	v_or_b32_e32 v52, 48, v64
	v_cmp_le_i32_e64 s[18:19], s45, v52
	v_cndmask_b32_e64 v55, v71, v81, s[8:9]
	v_cndmask_b32_e64 v73, v70, v81, s[6:7]
	;; [unrolled: 1-line block ×3, first 2 shown]
	v_pk_mul_f32 v[86:87], v[52:53], v[48:49] op_sel_hi:[0,1]
	v_pk_mul_f32 v[70:71], v[52:53], v[50:51] op_sel_hi:[0,1]
	v_cndmask_b32_e32 v48, v86, v87, vcc
	v_cndmask_b32_e64 v48, v48, v70, s[6:7]
	v_cndmask_b32_e64 v48, v48, v71, s[8:9]
	ds_bpermute_b32 v49, v121, v48
	v_cndmask_b32_e32 v84, v53, v81, vcc
	v_cndmask_b32_e64 v48, v85, v84, s[12:13]
	v_cndmask_b32_e64 v48, v48, v73, s[14:15]
	;; [unrolled: 1-line block ×3, first 2 shown]
	v_cmp_ne_u32_e32 vcc, 0, v116
	ds_bpermute_b32 v81, v121, v48
	s_waitcnt lgkmcnt(1)
	v_cndmask_b32_e64 v50, v71, v49, s[8:9]
	v_cndmask_b32_e64 v51, v70, v49, s[6:7]
	v_cndmask_b32_e32 v48, v87, v49, vcc
	v_cndmask_b32_e64 v49, v86, v49, s[10:11]
	v_cndmask_b32_e64 v53, v49, v48, s[12:13]
	v_cndmask_b32_e64 v53, v53, v51, s[14:15]
	v_cndmask_b32_e64 v53, v53, v50, s[16:17]
	ds_bpermute_b32 v58, v121, v58
	ds_bpermute_b32 v54, v121, v54
	;; [unrolled: 1-line block ×3, first 2 shown]
	v_add_u32_e32 v53, s65, v118
	v_cmp_gt_u32_e32 vcc, 64, v53
	s_and_saveexec_b64 s[18:19], vcc
	s_cbranch_execz .LBB364_47
; %bb.39:                               ;   in Loop: Header=BB364_7 Depth=1
	v_cmp_eq_u32_e64 s[8:9], 1, v117
	v_cmp_eq_u32_e64 s[10:11], 0, v117
	v_cmp_eq_u32_e32 vcc, 3, v117
	s_waitcnt lgkmcnt(2)
	v_cndmask_b32_e64 v61, v61, v58, s[8:9]
	v_cndmask_b32_e64 v70, v79, v58, s[10:11]
	s_waitcnt lgkmcnt(1)
	v_cndmask_b32_e64 v57, v57, v54, s[8:9]
	v_cndmask_b32_e64 v79, v84, v81, s[8:9]
	s_waitcnt lgkmcnt(0)
	v_cndmask_b32_e64 v84, v48, v82, s[8:9]
	s_mul_i32 s8, s63, s21
	s_ashr_i32 s9, s8, 31
	s_lshl_b64 s[8:9], s[8:9], 1
	v_cndmask_b32_e64 v71, v83, v54, s[10:11]
	v_cndmask_b32_e64 v83, v85, v81, s[10:11]
	v_cndmask_b32_e64 v85, v49, v82, s[10:11]
	s_add_u32 s10, s40, s8
	s_addc_u32 s11, s41, s9
	s_ashr_i32 s45, s44, 31
	v_cvt_f16_f32_e32 v70, v70
	v_cvt_f16_f32_sdwa v61, v61 dst_sel:WORD_1 dst_unused:UNUSED_PAD src0_sel:DWORD
	v_cvt_f16_f32_e32 v86, v71
	v_cvt_f16_f32_sdwa v57, v57 dst_sel:WORD_1 dst_unused:UNUSED_PAD src0_sel:DWORD
	s_lshl_b64 s[8:9], s[44:45], 1
	s_add_u32 s50, s10, s8
	s_addc_u32 s51, s11, s9
	v_lshl_add_u64 v[48:49], v[66:67], 1, s[50:51]
	v_or_b32_e32 v61, v61, v70
	v_or_b32_e32 v57, v57, v86
	;;#ASMSTART
	global_atomic_pk_add_f16 v[48:49], v61, off
	
	;;#ASMEND
	v_lshl_add_u64 v[70:71], v[48:49], 0, 32
	;;#ASMSTART
	global_atomic_pk_add_f16 v[70:71], v57, off
	
	;;#ASMEND
	v_cvt_f16_f32_e32 v57, v83
	v_cvt_f16_f32_sdwa v61, v79 dst_sel:WORD_1 dst_unused:UNUSED_PAD src0_sel:DWORD
	v_cvt_f16_f32_e32 v79, v85
	v_cvt_f16_f32_sdwa v83, v84 dst_sel:WORD_1 dst_unused:UNUSED_PAD src0_sel:DWORD
	v_cmp_eq_u32_e64 s[6:7], 2, v117
	v_lshl_add_u64 v[70:71], v[48:49], 0, 64
	v_or_b32_e32 v57, v61, v57
	v_cmp_gt_u32_e64 s[8:9], 62, v53
	;;#ASMSTART
	global_atomic_pk_add_f16 v[70:71], v57, off
	
	;;#ASMEND
	v_lshl_add_u64 v[70:71], v[48:49], 0, s[30:31]
	v_or_b32_e32 v57, v83, v79
	;;#ASMSTART
	global_atomic_pk_add_f16 v[70:71], v57, off
	
	;;#ASMEND
	s_and_b64 exec, exec, s[8:9]
	s_cbranch_execz .LBB364_47
; %bb.40:                               ;   in Loop: Header=BB364_7 Depth=1
	v_cndmask_b32_e32 v62, v62, v58, vcc
	v_cndmask_b32_e64 v58, v63, v58, s[6:7]
	v_cvt_f16_f32_e32 v58, v58
	v_cvt_f16_f32_sdwa v62, v62 dst_sel:WORD_1 dst_unused:UNUSED_PAD src0_sel:DWORD
	v_cndmask_b32_e32 v59, v59, v54, vcc
	v_cndmask_b32_e64 v54, v72, v54, s[6:7]
	v_cndmask_b32_e32 v55, v55, v81, vcc
	v_cndmask_b32_e64 v63, v73, v81, s[6:7]
	v_cndmask_b32_e32 v70, v50, v82, vcc
	v_or_b32_e32 v50, v62, v58
	v_cvt_f16_f32_e32 v54, v54
	v_cvt_f16_f32_sdwa v58, v59 dst_sel:WORD_1 dst_unused:UNUSED_PAD src0_sel:DWORD
	v_cvt_f16_f32_e32 v59, v63
	v_cvt_f16_f32_sdwa v55, v55 dst_sel:WORD_1 dst_unused:UNUSED_PAD src0_sel:DWORD
	v_lshl_add_u64 v[48:49], s[28:29], 2, v[48:49]
	v_or_b32_e32 v54, v58, v54
	v_mov_b32_e32 v79, v78
	v_cndmask_b32_e64 v71, v51, v82, s[6:7]
	;;#ASMSTART
	global_atomic_pk_add_f16 v[48:49], v50, off
	
	;;#ASMEND
	v_lshl_add_u64 v[50:51], v[48:49], 0, 32
	;;#ASMSTART
	global_atomic_pk_add_f16 v[50:51], v54, off
	
	;;#ASMEND
	v_or_b32_e32 v58, v55, v59
	v_mov_b32_e32 v54, v78
	v_mov_b32_e32 v55, v78
	v_pk_mul_f32 v[46:47], v[54:55], v[46:47]
	v_pk_mul_f32 v[54:55], v[78:79], v[44:45]
	v_cmp_eq_u32_e32 vcc, 1, v116
	v_mov_b32_e32 v61, v60
	v_lshl_add_u64 v[50:51], v[48:49], 0, 64
	v_cndmask_b32_e32 v44, v54, v55, vcc
	v_cmp_eq_u32_e64 s[6:7], 2, v116
	;;#ASMSTART
	global_atomic_pk_add_f16 v[50:51], v58, off
	
	;;#ASMEND
	v_lshl_add_u64 v[58:59], v[48:49], 0, s[30:31]
	v_mov_b32_e32 v48, v60
	v_mov_b32_e32 v49, v60
	v_cndmask_b32_e64 v44, v44, v46, s[6:7]
	v_cmp_eq_u32_e64 s[8:9], 3, v116
	v_pk_mul_f32 v[42:43], v[48:49], v[42:43]
	v_pk_mul_f32 v[48:49], v[60:61], v[40:41]
	v_cndmask_b32_e64 v44, v44, v47, s[8:9]
	v_cndmask_b32_e32 v40, v48, v49, vcc
	ds_bpermute_b32 v62, v121, v44
	v_cndmask_b32_e64 v40, v40, v42, s[6:7]
	v_cndmask_b32_e64 v40, v40, v43, s[8:9]
	ds_bpermute_b32 v51, v121, v40
	v_cmp_eq_u32_e64 s[10:11], 0, v116
	s_waitcnt lgkmcnt(1)
	v_cndmask_b32_e64 v44, v47, v62, s[8:9]
	v_cndmask_b32_e64 v45, v46, v62, s[6:7]
	v_cndmask_b32_e32 v46, v55, v62, vcc
	v_cndmask_b32_e64 v47, v54, v62, s[10:11]
	v_cmp_eq_u32_e64 s[12:13], 1, v117
	v_mov_b32_e32 v57, v56
	v_cmp_eq_u32_e64 s[14:15], 2, v117
	v_cndmask_b32_e64 v50, v47, v46, s[12:13]
	s_waitcnt lgkmcnt(0)
	v_cndmask_b32_e64 v41, v43, v51, s[8:9]
	v_cndmask_b32_e64 v40, v50, v45, s[14:15]
	;; [unrolled: 1-line block ×3, first 2 shown]
	v_cndmask_b32_e32 v43, v49, v51, vcc
	v_cndmask_b32_e64 v48, v48, v51, s[10:11]
	v_mov_b32_e32 v50, v56
	v_mov_b32_e32 v51, v56
	v_pk_mul_f32 v[54:55], v[56:57], v[36:37]
	v_pk_mul_f32 v[38:39], v[50:51], v[38:39]
	v_cndmask_b32_e32 v36, v54, v55, vcc
	v_cndmask_b32_e64 v36, v36, v38, s[6:7]
	v_cndmask_b32_e64 v36, v36, v39, s[8:9]
	ds_bpermute_b32 v49, v121, v36
	v_mov_b32_e32 v53, v52
	v_pk_mul_f32 v[62:63], v[52:53], v[32:33]
	v_cmp_eq_u32_e64 s[16:17], 3, v117
	v_cndmask_b32_e32 v32, v62, v63, vcc
	s_waitcnt lgkmcnt(0)
	v_cndmask_b32_e32 v50, v55, v49, vcc
	v_cndmask_b32_e64 v51, v54, v49, s[10:11]
	v_mov_b32_e32 v54, v52
	v_mov_b32_e32 v55, v52
	v_pk_mul_f32 v[54:55], v[54:55], v[34:35]
	v_cndmask_b32_e64 v38, v38, v49, s[6:7]
	v_cndmask_b32_e64 v32, v32, v54, s[6:7]
	;; [unrolled: 1-line block ×3, first 2 shown]
	ds_bpermute_b32 v33, v121, v32
	v_cndmask_b32_e64 v32, v51, v50, s[12:13]
	v_cndmask_b32_e64 v37, v39, v49, s[8:9]
	;; [unrolled: 1-line block ×4, first 2 shown]
	v_cmp_ne_u32_e32 vcc, 0, v116
	ds_bpermute_b32 v39, v121, v32
	s_waitcnt lgkmcnt(1)
	v_cndmask_b32_e64 v34, v55, v33, s[8:9]
	v_cndmask_b32_e64 v35, v54, v33, s[6:7]
	v_cndmask_b32_e32 v32, v63, v33, vcc
	v_cndmask_b32_e64 v33, v62, v33, s[10:11]
	v_cvt_f16_f32_e32 v71, v71
	v_cvt_f16_f32_sdwa v70, v70 dst_sel:WORD_1 dst_unused:UNUSED_PAD src0_sel:DWORD
	v_cndmask_b32_e64 v36, v48, v43, s[12:13]
	v_cndmask_b32_e64 v49, v33, v32, s[12:13]
	;; [unrolled: 1-line block ×7, first 2 shown]
	ds_bpermute_b32 v40, v121, v40
	ds_bpermute_b32 v36, v121, v36
	;; [unrolled: 1-line block ×3, first 2 shown]
	v_or_b32_e32 v54, v70, v71
	;;#ASMSTART
	global_atomic_pk_add_f16 v[58:59], v54, off
	
	;;#ASMEND
	v_or_b32_e32 v54, 16, v118
	v_add_u32_e32 v54, s65, v54
	v_cmp_gt_u32_e32 vcc, 64, v54
	s_and_b64 exec, exec, vcc
	s_cbranch_execz .LBB364_47
; %bb.41:                               ;   in Loop: Header=BB364_7 Depth=1
	v_cmp_eq_u32_e64 s[8:9], 1, v117
	v_cmp_eq_u32_e64 s[10:11], 0, v117
	v_cmp_eq_u32_e32 vcc, 3, v117
	s_waitcnt lgkmcnt(2)
	v_cndmask_b32_e64 v46, v46, v40, s[8:9]
	v_cndmask_b32_e64 v47, v47, v40, s[10:11]
	s_waitcnt lgkmcnt(1)
	v_cndmask_b32_e64 v43, v43, v36, s[8:9]
	v_cndmask_b32_e64 v48, v48, v36, s[10:11]
	v_cvt_f16_f32_e32 v47, v47
	v_cvt_f16_f32_sdwa v46, v46 dst_sel:WORD_1 dst_unused:UNUSED_PAD src0_sel:DWORD
	v_cvt_f16_f32_e32 v48, v48
	v_cvt_f16_f32_sdwa v43, v43 dst_sel:WORD_1 dst_unused:UNUSED_PAD src0_sel:DWORD
	v_cndmask_b32_e64 v50, v50, v39, s[8:9]
	v_cndmask_b32_e64 v51, v51, v39, s[10:11]
	s_waitcnt lgkmcnt(0)
	v_cndmask_b32_e64 v55, v32, v49, s[8:9]
	v_cndmask_b32_e64 v58, v33, v49, s[10:11]
	v_lshl_add_u64 v[32:33], v[68:69], 1, s[50:51]
	v_or_b32_e32 v46, v46, v47
	v_or_b32_e32 v43, v43, v48
	;;#ASMSTART
	global_atomic_pk_add_f16 v[32:33], v46, off
	
	;;#ASMEND
	v_lshl_add_u64 v[46:47], v[32:33], 0, 32
	;;#ASMSTART
	global_atomic_pk_add_f16 v[46:47], v43, off
	
	;;#ASMEND
	v_cvt_f16_f32_e32 v43, v51
	v_cvt_f16_f32_sdwa v48, v50 dst_sel:WORD_1 dst_unused:UNUSED_PAD src0_sel:DWORD
	v_cvt_f16_f32_e32 v50, v58
	v_cvt_f16_f32_sdwa v51, v55 dst_sel:WORD_1 dst_unused:UNUSED_PAD src0_sel:DWORD
	v_cmp_eq_u32_e64 s[6:7], 2, v117
	v_lshl_add_u64 v[46:47], v[32:33], 0, 64
	v_or_b32_e32 v43, v48, v43
	v_cmp_gt_u32_e64 s[8:9], 62, v54
	;;#ASMSTART
	global_atomic_pk_add_f16 v[46:47], v43, off
	
	;;#ASMEND
	v_lshl_add_u64 v[46:47], v[32:33], 0, s[30:31]
	v_or_b32_e32 v43, v51, v50
	;;#ASMSTART
	global_atomic_pk_add_f16 v[46:47], v43, off
	
	;;#ASMEND
	s_and_b64 exec, exec, s[8:9]
	s_cbranch_execz .LBB364_47
; %bb.42:                               ;   in Loop: Header=BB364_7 Depth=1
	v_cndmask_b32_e32 v43, v44, v40, vcc
	v_cndmask_b32_e64 v40, v45, v40, s[6:7]
	v_cndmask_b32_e32 v37, v37, v39, vcc
	v_cndmask_b32_e64 v38, v38, v39, s[6:7]
	v_cvt_f16_f32_e32 v39, v40
	v_cvt_f16_f32_sdwa v40, v43 dst_sel:WORD_1 dst_unused:UNUSED_PAD src0_sel:DWORD
	v_cndmask_b32_e32 v41, v41, v36, vcc
	v_cndmask_b32_e64 v36, v42, v36, s[6:7]
	v_cndmask_b32_e32 v42, v34, v49, vcc
	v_or_b32_e32 v34, v40, v39
	v_cvt_f16_f32_e32 v36, v36
	v_cvt_f16_f32_sdwa v39, v41 dst_sel:WORD_1 dst_unused:UNUSED_PAD src0_sel:DWORD
	v_cvt_f16_f32_e32 v38, v38
	v_cvt_f16_f32_sdwa v37, v37 dst_sel:WORD_1 dst_unused:UNUSED_PAD src0_sel:DWORD
	v_lshl_add_u64 v[32:33], s[28:29], 2, v[32:33]
	v_or_b32_e32 v36, v39, v36
	v_cndmask_b32_e64 v43, v35, v49, s[6:7]
	;;#ASMSTART
	global_atomic_pk_add_f16 v[32:33], v34, off
	
	;;#ASMEND
	v_lshl_add_u64 v[34:35], v[32:33], 0, 32
	;;#ASMSTART
	global_atomic_pk_add_f16 v[34:35], v36, off
	
	;;#ASMEND
	v_or_b32_e32 v38, v37, v38
	v_mov_b32_e32 v36, v78
	v_mov_b32_e32 v37, v78
	v_pk_mul_f32 v[30:31], v[36:37], v[30:31]
	v_pk_mul_f32 v[36:37], v[78:79], v[28:29]
	v_cmp_eq_u32_e32 vcc, 1, v116
	v_lshl_add_u64 v[34:35], v[32:33], 0, 64
	v_cmp_eq_u32_e64 s[6:7], 2, v116
	v_cndmask_b32_e32 v28, v36, v37, vcc
	;;#ASMSTART
	global_atomic_pk_add_f16 v[34:35], v38, off
	
	;;#ASMEND
	v_lshl_add_u64 v[38:39], v[32:33], 0, s[30:31]
	v_mov_b32_e32 v32, v60
	v_mov_b32_e32 v33, v60
	v_cndmask_b32_e64 v28, v28, v30, s[6:7]
	v_cmp_eq_u32_e64 s[8:9], 3, v116
	v_pk_mul_f32 v[26:27], v[32:33], v[26:27]
	v_pk_mul_f32 v[32:33], v[60:61], v[24:25]
	v_cndmask_b32_e64 v28, v28, v31, s[8:9]
	v_cndmask_b32_e32 v24, v32, v33, vcc
	ds_bpermute_b32 v40, v121, v28
	v_cndmask_b32_e64 v24, v24, v26, s[6:7]
	v_cndmask_b32_e64 v24, v24, v27, s[8:9]
	ds_bpermute_b32 v35, v121, v24
	v_cmp_eq_u32_e64 s[10:11], 0, v116
	s_waitcnt lgkmcnt(1)
	v_cndmask_b32_e64 v28, v31, v40, s[8:9]
	v_cndmask_b32_e64 v29, v30, v40, s[6:7]
	v_cndmask_b32_e32 v30, v37, v40, vcc
	v_cndmask_b32_e64 v31, v36, v40, s[10:11]
	v_cmp_eq_u32_e64 s[12:13], 1, v117
	v_cmp_eq_u32_e64 s[14:15], 2, v117
	s_waitcnt lgkmcnt(0)
	v_cndmask_b32_e64 v25, v27, v35, s[8:9]
	v_cndmask_b32_e64 v34, v31, v30, s[12:13]
	;; [unrolled: 1-line block ×4, first 2 shown]
	v_cndmask_b32_e32 v27, v33, v35, vcc
	v_cndmask_b32_e64 v32, v32, v35, s[10:11]
	v_mov_b32_e32 v34, v56
	v_mov_b32_e32 v35, v56
	v_pk_mul_f32 v[36:37], v[56:57], v[20:21]
	v_pk_mul_f32 v[22:23], v[34:35], v[22:23]
	v_cndmask_b32_e32 v20, v36, v37, vcc
	v_cndmask_b32_e64 v20, v20, v22, s[6:7]
	v_cndmask_b32_e64 v20, v20, v23, s[8:9]
	ds_bpermute_b32 v33, v121, v20
	v_pk_mul_f32 v[40:41], v[52:53], v[16:17]
	v_cmp_eq_u32_e64 s[16:17], 3, v117
	v_cndmask_b32_e32 v16, v40, v41, vcc
	v_cvt_f16_f32_e32 v43, v43
	s_waitcnt lgkmcnt(0)
	v_cndmask_b32_e32 v34, v37, v33, vcc
	v_cndmask_b32_e64 v35, v36, v33, s[10:11]
	v_mov_b32_e32 v36, v52
	v_mov_b32_e32 v37, v52
	v_pk_mul_f32 v[36:37], v[36:37], v[18:19]
	v_cndmask_b32_e64 v22, v22, v33, s[6:7]
	v_cndmask_b32_e64 v16, v16, v36, s[6:7]
	;; [unrolled: 1-line block ×3, first 2 shown]
	ds_bpermute_b32 v17, v121, v16
	v_cndmask_b32_e64 v16, v35, v34, s[12:13]
	v_cndmask_b32_e64 v21, v23, v33, s[8:9]
	;; [unrolled: 1-line block ×4, first 2 shown]
	v_cmp_ne_u32_e32 vcc, 0, v116
	ds_bpermute_b32 v23, v121, v16
	s_waitcnt lgkmcnt(1)
	v_cndmask_b32_e64 v18, v37, v17, s[8:9]
	v_cndmask_b32_e64 v19, v36, v17, s[6:7]
	v_cndmask_b32_e32 v16, v41, v17, vcc
	v_cndmask_b32_e64 v17, v40, v17, s[10:11]
	v_cvt_f16_f32_sdwa v42, v42 dst_sel:WORD_1 dst_unused:UNUSED_PAD src0_sel:DWORD
	v_cndmask_b32_e64 v20, v32, v27, s[12:13]
	v_cndmask_b32_e64 v33, v17, v16, s[12:13]
	v_cndmask_b32_e64 v20, v20, v26, s[14:15]
	v_cndmask_b32_e64 v33, v33, v19, s[14:15]
	v_cndmask_b32_e64 v24, v24, v28, s[16:17]
	v_cndmask_b32_e64 v20, v20, v25, s[16:17]
	v_cndmask_b32_e64 v33, v33, v18, s[16:17]
	ds_bpermute_b32 v24, v121, v24
	ds_bpermute_b32 v20, v121, v20
	;; [unrolled: 1-line block ×3, first 2 shown]
	v_or_b32_e32 v36, v42, v43
	;;#ASMSTART
	global_atomic_pk_add_f16 v[38:39], v36, off
	
	;;#ASMEND
	v_or_b32_e32 v36, 32, v118
	v_add_u32_e32 v36, s65, v36
	v_cmp_gt_u32_e32 vcc, 64, v36
	s_and_b64 exec, exec, vcc
	s_cbranch_execz .LBB364_47
; %bb.43:                               ;   in Loop: Header=BB364_7 Depth=1
	v_cmp_eq_u32_e64 s[8:9], 1, v117
	v_cmp_eq_u32_e64 s[10:11], 0, v117
	v_cmp_eq_u32_e32 vcc, 3, v117
	s_waitcnt lgkmcnt(0)
	v_cndmask_b32_e64 v37, v16, v33, s[8:9]
	v_cndmask_b32_e64 v38, v17, v33, s[10:11]
	scratch_load_dwordx2 v[16:17], off, off ; 8-byte Folded Reload
	v_cndmask_b32_e64 v30, v30, v24, s[8:9]
	v_cndmask_b32_e64 v31, v31, v24, s[10:11]
	;; [unrolled: 1-line block ×4, first 2 shown]
	v_cvt_f16_f32_e32 v31, v31
	v_cvt_f16_f32_sdwa v30, v30 dst_sel:WORD_1 dst_unused:UNUSED_PAD src0_sel:DWORD
	v_cvt_f16_f32_e32 v32, v32
	v_cvt_f16_f32_sdwa v27, v27 dst_sel:WORD_1 dst_unused:UNUSED_PAD src0_sel:DWORD
	v_cndmask_b32_e64 v34, v34, v23, s[8:9]
	v_cndmask_b32_e64 v35, v35, v23, s[10:11]
	v_or_b32_e32 v30, v30, v31
	v_or_b32_e32 v27, v27, v32
	v_cvt_f16_f32_sdwa v32, v34 dst_sel:WORD_1 dst_unused:UNUSED_PAD src0_sel:DWORD
	v_cvt_f16_f32_e32 v34, v38
	v_cmp_eq_u32_e64 s[6:7], 2, v117
	v_cmp_gt_u32_e64 s[8:9], 62, v36
	s_waitcnt vmcnt(0)
	v_lshl_add_u64 v[16:17], v[16:17], 1, s[50:51]
	;;#ASMSTART
	global_atomic_pk_add_f16 v[16:17], v30, off
	
	;;#ASMEND
	v_lshl_add_u64 v[30:31], v[16:17], 0, 32
	;;#ASMSTART
	global_atomic_pk_add_f16 v[30:31], v27, off
	
	;;#ASMEND
	v_cvt_f16_f32_e32 v27, v35
	v_cvt_f16_f32_sdwa v35, v37 dst_sel:WORD_1 dst_unused:UNUSED_PAD src0_sel:DWORD
	v_lshl_add_u64 v[30:31], v[16:17], 0, 64
	v_or_b32_e32 v27, v32, v27
	;;#ASMSTART
	global_atomic_pk_add_f16 v[30:31], v27, off
	
	;;#ASMEND
	v_lshl_add_u64 v[30:31], v[16:17], 0, s[30:31]
	v_or_b32_e32 v27, v35, v34
	;;#ASMSTART
	global_atomic_pk_add_f16 v[30:31], v27, off
	
	;;#ASMEND
	s_and_b64 exec, exec, s[8:9]
	s_cbranch_execz .LBB364_47
; %bb.44:                               ;   in Loop: Header=BB364_7 Depth=1
	v_cndmask_b32_e32 v27, v28, v24, vcc
	v_cndmask_b32_e64 v24, v29, v24, s[6:7]
	v_cndmask_b32_e32 v21, v21, v23, vcc
	v_cndmask_b32_e64 v22, v22, v23, s[6:7]
	v_cvt_f16_f32_e32 v23, v24
	v_cvt_f16_f32_sdwa v24, v27 dst_sel:WORD_1 dst_unused:UNUSED_PAD src0_sel:DWORD
	v_cndmask_b32_e32 v25, v25, v20, vcc
	v_cndmask_b32_e64 v20, v26, v20, s[6:7]
	v_cndmask_b32_e32 v26, v18, v33, vcc
	v_or_b32_e32 v18, v24, v23
	v_cvt_f16_f32_e32 v20, v20
	v_cvt_f16_f32_sdwa v23, v25 dst_sel:WORD_1 dst_unused:UNUSED_PAD src0_sel:DWORD
	v_cvt_f16_f32_e32 v22, v22
	v_cvt_f16_f32_sdwa v21, v21 dst_sel:WORD_1 dst_unused:UNUSED_PAD src0_sel:DWORD
	v_lshl_add_u64 v[16:17], s[28:29], 2, v[16:17]
	v_or_b32_e32 v20, v23, v20
	v_cndmask_b32_e64 v27, v19, v33, s[6:7]
	;;#ASMSTART
	global_atomic_pk_add_f16 v[16:17], v18, off
	
	;;#ASMEND
	v_lshl_add_u64 v[18:19], v[16:17], 0, 32
	;;#ASMSTART
	global_atomic_pk_add_f16 v[18:19], v20, off
	
	;;#ASMEND
	v_or_b32_e32 v22, v21, v22
	v_mov_b32_e32 v20, v78
	v_mov_b32_e32 v21, v78
	v_pk_mul_f32 v[14:15], v[20:21], v[14:15]
	v_pk_mul_f32 v[20:21], v[78:79], v[12:13]
	v_cmp_eq_u32_e32 vcc, 1, v116
	v_lshl_add_u64 v[18:19], v[16:17], 0, 64
	v_cmp_eq_u32_e64 s[6:7], 2, v116
	v_cndmask_b32_e32 v12, v20, v21, vcc
	v_cmp_eq_u32_e64 s[8:9], 3, v116
	v_cndmask_b32_e64 v12, v12, v14, s[6:7]
	;;#ASMSTART
	global_atomic_pk_add_f16 v[18:19], v22, off
	
	;;#ASMEND
	v_lshl_add_u64 v[22:23], v[16:17], 0, s[30:31]
	v_mov_b32_e32 v16, v60
	v_mov_b32_e32 v17, v60
	v_pk_mul_f32 v[18:19], v[60:61], v[4:5]
	v_cndmask_b32_e64 v12, v12, v15, s[8:9]
	v_pk_mul_f32 v[6:7], v[16:17], v[6:7]
	v_cndmask_b32_e32 v4, v18, v19, vcc
	ds_bpermute_b32 v24, v121, v12
	v_cndmask_b32_e64 v4, v4, v6, s[6:7]
	v_cndmask_b32_e64 v4, v4, v7, s[8:9]
	ds_bpermute_b32 v17, v121, v4
	v_cmp_eq_u32_e64 s[10:11], 0, v116
	s_waitcnt lgkmcnt(1)
	v_cndmask_b32_e64 v12, v15, v24, s[8:9]
	v_cndmask_b32_e64 v13, v14, v24, s[6:7]
	v_cndmask_b32_e32 v14, v21, v24, vcc
	v_cndmask_b32_e64 v15, v20, v24, s[10:11]
	v_cmp_eq_u32_e64 s[12:13], 1, v117
	v_cmp_eq_u32_e64 s[14:15], 2, v117
	s_waitcnt lgkmcnt(0)
	v_cndmask_b32_e64 v5, v7, v17, s[8:9]
	v_cndmask_b32_e64 v20, v15, v14, s[12:13]
	;; [unrolled: 1-line block ×4, first 2 shown]
	v_cndmask_b32_e32 v16, v19, v17, vcc
	v_cndmask_b32_e64 v17, v18, v17, s[10:11]
	v_mov_b32_e32 v18, v56
	v_mov_b32_e32 v19, v56
	v_pk_mul_f32 v[20:21], v[56:57], v[0:1]
	v_pk_mul_f32 v[18:19], v[18:19], v[2:3]
	v_cndmask_b32_e32 v0, v20, v21, vcc
	v_cndmask_b32_e64 v0, v0, v18, s[6:7]
	v_cndmask_b32_e64 v0, v0, v19, s[8:9]
	ds_bpermute_b32 v1, v121, v0
	v_cndmask_b32_e64 v0, v17, v16, s[12:13]
	v_cmp_eq_u32_e64 s[16:17], 3, v117
	v_cndmask_b32_e64 v0, v0, v6, s[14:15]
	v_cvt_f16_f32_e32 v25, v27
	s_waitcnt lgkmcnt(0)
	v_cndmask_b32_e64 v3, v19, v1, s[8:9]
	v_cndmask_b32_e64 v7, v18, v1, s[6:7]
	v_mov_b32_e32 v18, v52
	v_mov_b32_e32 v19, v52
	v_pk_mul_f32 v[10:11], v[18:19], v[10:11]
	v_pk_mul_f32 v[18:19], v[52:53], v[8:9]
	v_cndmask_b32_e64 v0, v0, v5, s[16:17]
	v_cndmask_b32_e32 v8, v18, v19, vcc
	v_cndmask_b32_e64 v8, v8, v10, s[6:7]
	v_cndmask_b32_e64 v8, v8, v11, s[8:9]
	ds_bpermute_b32 v2, v121, v0
	v_cndmask_b32_e32 v0, v21, v1, vcc
	v_cndmask_b32_e64 v1, v20, v1, s[10:11]
	ds_bpermute_b32 v20, v121, v8
	v_cmp_ne_u32_e32 vcc, 0, v116
	v_cvt_f16_f32_sdwa v26, v26 dst_sel:WORD_1 dst_unused:UNUSED_PAD src0_sel:DWORD
	v_cndmask_b32_e64 v8, v1, v0, s[12:13]
	v_cndmask_b32_e64 v8, v8, v7, s[14:15]
	s_waitcnt lgkmcnt(0)
	v_cndmask_b32_e64 v9, v11, v20, s[8:9]
	v_cndmask_b32_e64 v10, v10, v20, s[6:7]
	v_cndmask_b32_e32 v19, v19, v20, vcc
	v_cndmask_b32_e64 v20, v18, v20, s[10:11]
	v_cndmask_b32_e64 v11, v20, v19, s[12:13]
	;; [unrolled: 1-line block ×6, first 2 shown]
	ds_bpermute_b32 v4, v121, v4
	ds_bpermute_b32 v8, v121, v8
	;; [unrolled: 1-line block ×3, first 2 shown]
	v_or_b32_e32 v18, v26, v25
	;;#ASMSTART
	global_atomic_pk_add_f16 v[22:23], v18, off
	
	;;#ASMEND
	v_or_b32_e32 v18, 48, v118
	v_add_u32_e32 v18, s65, v18
	v_cmp_gt_u32_e32 vcc, 64, v18
	s_and_b64 exec, exec, vcc
	s_cbranch_execz .LBB364_47
; %bb.45:                               ;   in Loop: Header=BB364_7 Depth=1
	v_cmp_eq_u32_e64 s[8:9], 1, v117
	v_cmp_eq_u32_e64 s[10:11], 0, v117
	v_cmp_eq_u32_e32 vcc, 3, v117
	s_waitcnt lgkmcnt(1)
	v_cndmask_b32_e64 v21, v0, v8, s[8:9]
	v_cndmask_b32_e64 v22, v1, v8, s[10:11]
	scratch_load_dwordx2 v[0:1], off, off offset:8 ; 8-byte Folded Reload
	v_cndmask_b32_e64 v14, v14, v4, s[8:9]
	v_cndmask_b32_e64 v15, v15, v4, s[10:11]
	;; [unrolled: 1-line block ×4, first 2 shown]
	v_cvt_f16_f32_e32 v15, v15
	v_cvt_f16_f32_sdwa v14, v14 dst_sel:WORD_1 dst_unused:UNUSED_PAD src0_sel:DWORD
	v_cvt_f16_f32_e32 v17, v17
	v_cvt_f16_f32_sdwa v16, v16 dst_sel:WORD_1 dst_unused:UNUSED_PAD src0_sel:DWORD
	s_waitcnt lgkmcnt(0)
	v_cndmask_b32_e64 v19, v19, v11, s[8:9]
	v_or_b32_e32 v14, v14, v15
	v_cndmask_b32_e64 v20, v20, v11, s[10:11]
	v_or_b32_e32 v16, v16, v17
	v_cvt_f16_f32_sdwa v17, v21 dst_sel:WORD_1 dst_unused:UNUSED_PAD src0_sel:DWORD
	v_cvt_f16_f32_e32 v20, v20
	v_cvt_f16_f32_sdwa v19, v19 dst_sel:WORD_1 dst_unused:UNUSED_PAD src0_sel:DWORD
	v_cmp_eq_u32_e64 s[6:7], 2, v117
	v_cmp_gt_u32_e64 s[8:9], 62, v18
	s_waitcnt vmcnt(0)
	v_lshl_add_u64 v[0:1], v[0:1], 1, s[50:51]
	;;#ASMSTART
	global_atomic_pk_add_f16 v[0:1], v14, off
	
	;;#ASMEND
	v_lshl_add_u64 v[14:15], v[0:1], 0, 32
	;;#ASMSTART
	global_atomic_pk_add_f16 v[14:15], v16, off
	
	;;#ASMEND
	v_cvt_f16_f32_e32 v16, v22
	v_lshl_add_u64 v[14:15], v[0:1], 0, 64
	v_or_b32_e32 v16, v17, v16
	;;#ASMSTART
	global_atomic_pk_add_f16 v[14:15], v16, off
	
	;;#ASMEND
	v_lshl_add_u64 v[14:15], v[0:1], 0, s[30:31]
	v_or_b32_e32 v16, v19, v20
	;;#ASMSTART
	global_atomic_pk_add_f16 v[14:15], v16, off
	
	;;#ASMEND
	s_and_b64 exec, exec, s[8:9]
	s_cbranch_execz .LBB364_47
; %bb.46:                               ;   in Loop: Header=BB364_7 Depth=1
	v_cndmask_b32_e32 v12, v12, v4, vcc
	v_cndmask_b32_e64 v4, v13, v4, s[6:7]
	v_cndmask_b32_e32 v5, v5, v2, vcc
	v_cndmask_b32_e64 v2, v6, v2, s[6:7]
	;; [unrolled: 2-line block ×4, first 2 shown]
	v_cvt_f16_f32_e32 v3, v4
	v_cvt_f16_f32_sdwa v4, v12 dst_sel:WORD_1 dst_unused:UNUSED_PAD src0_sel:DWORD
	v_cvt_f16_f32_e32 v10, v2
	v_cvt_f16_f32_sdwa v5, v5 dst_sel:WORD_1 dst_unused:UNUSED_PAD src0_sel:DWORD
	v_lshl_add_u64 v[0:1], s[28:29], 2, v[0:1]
	v_or_b32_e32 v2, v4, v3
	;;#ASMSTART
	global_atomic_pk_add_f16 v[0:1], v2, off
	
	;;#ASMEND
	v_or_b32_e32 v4, v5, v10
	v_lshl_add_u64 v[2:3], v[0:1], 0, 32
	;;#ASMSTART
	global_atomic_pk_add_f16 v[2:3], v4, off
	
	;;#ASMEND
	v_cvt_f16_f32_e32 v4, v7
	v_cvt_f16_f32_sdwa v5, v6 dst_sel:WORD_1 dst_unused:UNUSED_PAD src0_sel:DWORD
	v_cvt_f16_f32_e32 v6, v9
	v_cvt_f16_f32_sdwa v7, v8 dst_sel:WORD_1 dst_unused:UNUSED_PAD src0_sel:DWORD
	v_lshl_add_u64 v[2:3], v[0:1], 0, 64
	v_or_b32_e32 v4, v5, v4
	;;#ASMSTART
	global_atomic_pk_add_f16 v[2:3], v4, off
	
	;;#ASMEND
	v_lshl_add_u64 v[0:1], v[0:1], 0, s[30:31]
	v_or_b32_e32 v2, v7, v6
	;;#ASMSTART
	global_atomic_pk_add_f16 v[0:1], v2, off
	
	;;#ASMEND
.LBB364_47:                             ;   in Loop: Header=BB364_7 Depth=1
	s_or_b64 exec, exec, s[18:19]
	v_subrev_u32_e32 v122, s66, v122
.LBB364_48:                             ;   in Loop: Header=BB364_7 Depth=1
	s_or_b64 exec, exec, s[48:49]
.LBB364_49:                             ;   in Loop: Header=BB364_7 Depth=1
	s_andn2_saveexec_b64 s[6:7], s[46:47]
	s_cbranch_execz .LBB364_58
; %bb.50:                               ;   in Loop: Header=BB364_7 Depth=1
	s_lshl_b32 s16, s66, 2
	v_cmp_gt_i32_e32 vcc, s16, v122
	s_and_saveexec_b64 s[8:9], vcc
	s_cbranch_execz .LBB364_57
; %bb.51:                               ;   in Loop: Header=BB364_7 Depth=1
	s_mul_i32 s10, s44, s23
	s_ashr_i32 s11, s10, 31
	s_waitcnt lgkmcnt(0)
	s_add_u32 s10, s38, s10
	s_addc_u32 s11, s39, s11
	s_ashr_i32 s12, s64, 31
	s_add_u32 s10, s10, s64
	s_addc_u32 s11, s11, s12
	v_lshl_add_u64 v[0:1], s[10:11], 0, v[76:77]
	v_lshl_add_u64 v[8:9], v[0:1], 0, v[74:75]
	s_mov_b64 s[10:11], 0
	s_branch .LBB364_53
.LBB364_52:                             ;   in Loop: Header=BB364_53 Depth=2
	s_or_b64 exec, exec, s[12:13]
	v_or_b32_e32 v12, 0x6000, v120
	v_lshl_add_u32 v12, v10, 11, v12
	;;#ASMSTART
	s_waitcnt vmcnt(1)
	;;#ASMEND
	ds_write2_b32 v12, v4, v5 offset1:32
	ds_write2_b32 v12, v6, v7 offset0:64 offset1:96
	v_add_u32_e32 v4, 0x400, v12
	v_add_u32_e32 v122, s26, v122
	;;#ASMSTART
	s_waitcnt vmcnt(0)
	;;#ASMEND
	ds_write2_b32 v4, v0, v1 offset1:32
	ds_write2_b32 v4, v2, v3 offset0:64 offset1:96
	v_add_u32_e32 v0, 1, v114
	v_add_u32_e32 v80, s26, v10
	v_cmp_le_i32_e32 vcc, s16, v122
	ds_write_b32 v11, v0 offset:48
	v_add_u32_e32 v0, 2, v114
	s_or_b64 s[10:11], vcc, s[10:11]
	v_cmp_lt_i32_e32 vcc, 11, v80
	s_nop 1
	v_cndmask_b32_e32 v114, v114, v0, vcc
	s_andn2_b64 exec, exec, s[10:11]
	s_cbranch_execz .LBB364_56
.LBB364_53:                             ;   Parent Loop BB364_7 Depth=1
                                        ; =>  This Loop Header: Depth=2
                                        ;       Child Loop BB364_55 Depth 3
	v_cmp_gt_i32_e32 vcc, 12, v80
	s_nop 1
	v_cndmask_b32_e64 v0, -12, 0, vcc
	v_add_u32_e32 v10, v0, v80
	v_ashrrev_i32_e32 v0, 31, v122
	v_lshrrev_b32_e32 v0, 30, v0
	v_add_u32_e32 v0, v122, v0
	v_and_b32_e32 v1, -4, v0
	v_lshlrev_b32_e32 v0, 5, v0
	v_sub_u32_e32 v2, v122, v1
	v_and_b32_e32 v0, 0xffffff80, v0
	v_ashrrev_i32_e32 v1, 31, v0
	v_mul_lo_u32 v2, s57, v2
	v_lshl_add_u64 v[0:1], v[8:9], 0, v[0:1]
	v_ashrrev_i32_e32 v3, 31, v2
	v_lshl_add_u64 v[0:1], v[0:1], 0, v[2:3]
	v_lshlrev_b32_e32 v11, 2, v10
	;;#ASMSTART
	global_load_dwordx4 v[4:7], v[0:1], off offset:0   sc0 sc1 nt  
	global_load_dwordx4 v[0:3], v[0:1], off offset:64  sc0 sc1 nt  
	
	;;#ASMEND
	ds_read_b32 v12, v11 offset:49200
	v_add_u32_e32 v11, 0xc000, v11
	s_waitcnt lgkmcnt(0)
	v_cmp_ne_u32_e32 vcc, v12, v114
	s_and_saveexec_b64 s[12:13], vcc
	s_cbranch_execz .LBB364_52
; %bb.54:                               ;   in Loop: Header=BB364_53 Depth=2
	s_mov_b64 s[14:15], 0
.LBB364_55:                             ;   Parent Loop BB364_7 Depth=1
                                        ;     Parent Loop BB364_53 Depth=2
                                        ; =>    This Inner Loop Header: Depth=3
	;;#ASMSTART
	s_sleep 0
	;;#ASMEND
	ds_read_b32 v12, v11 offset:48
	s_waitcnt lgkmcnt(0)
	v_cmp_eq_u32_e32 vcc, v12, v114
	s_or_b64 s[14:15], vcc, s[14:15]
	s_andn2_b64 exec, exec, s[14:15]
	s_cbranch_execnz .LBB364_55
	s_branch .LBB364_52
.LBB364_56:                             ;   in Loop: Header=BB364_7 Depth=1
	s_or_b64 exec, exec, s[10:11]
.LBB364_57:                             ;   in Loop: Header=BB364_7 Depth=1
	s_or_b64 exec, exec, s[8:9]
	v_subrev_u32_e32 v122, s16, v122
.LBB364_58:                             ;   in Loop: Header=BB364_7 Depth=1
	s_or_b64 exec, exec, s[6:7]
.LBB364_59:                             ;   in Loop: Header=BB364_7 Depth=1
	s_andn2_saveexec_b64 s[6:7], s[34:35]
	s_cbranch_execz .LBB364_6
; %bb.60:                               ;   in Loop: Header=BB364_7 Depth=1
	s_lshl_b32 s16, s66, 2
	v_cmp_gt_i32_e32 vcc, s16, v122
	s_and_saveexec_b64 s[8:9], vcc
	s_cbranch_execz .LBB364_5
; %bb.61:                               ;   in Loop: Header=BB364_7 Depth=1
	s_mul_i32 s63, s63, s22
	s_ashr_i32 s10, s63, 31
	s_waitcnt lgkmcnt(0)
	s_add_u32 s11, s36, s63
	v_add_u32_e32 v2, s65, v119
	s_addc_u32 s12, s37, s10
	s_ashr_i32 s13, s64, 31
	v_mul_lo_u32 v0, s22, v119
	v_cmp_gt_u32_e32 vcc, 64, v2
	s_add_u32 s10, s11, s64
	s_addc_u32 s11, s12, s13
	v_cndmask_b32_e32 v0, 0, v0, vcc
	v_ashrrev_i32_e32 v1, 31, v0
	v_lshl_add_u64 v[0:1], s[10:11], 0, v[0:1]
	v_lshl_add_u64 v[8:9], v[0:1], 0, v[74:75]
	v_sub_u32_e32 v10, 63, v2
	s_mov_b64 s[10:11], 0
	s_branch .LBB364_63
.LBB364_62:                             ;   in Loop: Header=BB364_63 Depth=2
	s_or_b64 exec, exec, s[12:13]
	v_lshl_or_b32 v13, v11, 11, v120
	;;#ASMSTART
	s_waitcnt vmcnt(1)
	;;#ASMEND
	ds_write2_b32 v13, v4, v5 offset1:32
	ds_write2_b32 v13, v6, v7 offset0:64 offset1:96
	v_add_u32_e32 v4, 0x400, v13
	v_add_u32_e32 v122, s25, v122
	;;#ASMSTART
	s_waitcnt vmcnt(0)
	;;#ASMEND
	ds_write2_b32 v4, v0, v1 offset1:32
	ds_write2_b32 v4, v2, v3 offset0:64 offset1:96
	v_add_u32_e32 v0, 1, v114
	v_add_u32_e32 v80, s25, v11
	v_cmp_le_i32_e32 vcc, s16, v122
	ds_write_b32 v12, v0
	v_add_u32_e32 v0, 2, v114
	s_or_b64 s[10:11], vcc, s[10:11]
	v_cmp_lt_i32_e32 vcc, 11, v80
	s_nop 1
	v_cndmask_b32_e32 v114, v114, v0, vcc
	s_andn2_b64 exec, exec, s[10:11]
	s_cbranch_execz .LBB364_4
.LBB364_63:                             ;   Parent Loop BB364_7 Depth=1
                                        ; =>  This Loop Header: Depth=2
                                        ;       Child Loop BB364_65 Depth 3
	v_cmp_gt_i32_e32 vcc, 12, v80
	s_nop 1
	v_cndmask_b32_e64 v0, -12, 0, vcc
	v_add_u32_e32 v11, v0, v80
	v_ashrrev_i32_e32 v0, 31, v122
	v_lshrrev_b32_e32 v0, 30, v0
	v_add_u32_e32 v0, v122, v0
	v_and_b32_e32 v1, 0xffffffc, v0
	v_sub_u32_e32 v1, v122, v1
	v_lshlrev_b32_e32 v1, 4, v1
	v_cmp_le_i32_e32 vcc, v1, v10
	v_lshlrev_b32_e32 v0, 5, v0
	v_and_b32_e32 v0, 0xffffff80, v0
	v_cndmask_b32_e32 v2, 0, v1, vcc
	v_ashrrev_i32_e32 v1, 31, v0
	v_mul_lo_u32 v2, v2, s22
	v_lshl_add_u64 v[0:1], v[8:9], 0, v[0:1]
	v_ashrrev_i32_e32 v3, 31, v2
	v_lshl_add_u64 v[0:1], v[0:1], 0, v[2:3]
	v_lshlrev_b32_e32 v12, 2, v11
	;;#ASMSTART
	global_load_dwordx4 v[4:7], v[0:1], off offset:0   
	global_load_dwordx4 v[0:3], v[0:1], off offset:64  
	
	;;#ASMEND
	ds_read_b32 v13, v12 offset:49152
	v_add_u32_e32 v12, 0xc000, v12
	s_waitcnt lgkmcnt(0)
	v_cmp_ne_u32_e32 vcc, v13, v114
	s_and_saveexec_b64 s[12:13], vcc
	s_cbranch_execz .LBB364_62
; %bb.64:                               ;   in Loop: Header=BB364_63 Depth=2
	s_mov_b64 s[14:15], 0
.LBB364_65:                             ;   Parent Loop BB364_7 Depth=1
                                        ;     Parent Loop BB364_63 Depth=2
                                        ; =>    This Inner Loop Header: Depth=3
	;;#ASMSTART
	s_sleep 0
	;;#ASMEND
	ds_read_b32 v13, v12
	s_waitcnt lgkmcnt(0)
	v_cmp_eq_u32_e32 vcc, v13, v114
	s_or_b64 s[14:15], vcc, s[14:15]
	s_andn2_b64 exec, exec, s[14:15]
	s_cbranch_execnz .LBB364_65
	s_branch .LBB364_62
.LBB364_66:
	s_endpgm
	.section	.rodata,"a",@progbits
	.p2align	6, 0x0
	.amdhsa_kernel _Z19_skinny_gemm_kernelILi4ELi4ELi3ELi16ELi4EEvPKhS1_P6__halfPKfiiiiiiii
		.amdhsa_group_segment_fixed_size 49248
		.amdhsa_private_segment_fixed_size 20
		.amdhsa_kernarg_size 64
		.amdhsa_user_sgpr_count 2
		.amdhsa_user_sgpr_dispatch_ptr 0
		.amdhsa_user_sgpr_queue_ptr 0
		.amdhsa_user_sgpr_kernarg_segment_ptr 1
		.amdhsa_user_sgpr_dispatch_id 0
		.amdhsa_user_sgpr_kernarg_preload_length 0
		.amdhsa_user_sgpr_kernarg_preload_offset 0
		.amdhsa_user_sgpr_private_segment_size 0
		.amdhsa_uses_dynamic_stack 0
		.amdhsa_enable_private_segment 1
		.amdhsa_system_sgpr_workgroup_id_x 1
		.amdhsa_system_sgpr_workgroup_id_y 0
		.amdhsa_system_sgpr_workgroup_id_z 0
		.amdhsa_system_sgpr_workgroup_info 0
		.amdhsa_system_vgpr_workitem_id 0
		.amdhsa_next_free_vgpr 128
		.amdhsa_next_free_sgpr 67
		.amdhsa_accum_offset 128
		.amdhsa_reserve_vcc 1
		.amdhsa_float_round_mode_32 0
		.amdhsa_float_round_mode_16_64 0
		.amdhsa_float_denorm_mode_32 3
		.amdhsa_float_denorm_mode_16_64 3
		.amdhsa_dx10_clamp 1
		.amdhsa_ieee_mode 1
		.amdhsa_fp16_overflow 0
		.amdhsa_tg_split 0
		.amdhsa_exception_fp_ieee_invalid_op 0
		.amdhsa_exception_fp_denorm_src 0
		.amdhsa_exception_fp_ieee_div_zero 0
		.amdhsa_exception_fp_ieee_overflow 0
		.amdhsa_exception_fp_ieee_underflow 0
		.amdhsa_exception_fp_ieee_inexact 0
		.amdhsa_exception_int_div_zero 0
	.end_amdhsa_kernel
	.section	.text._Z19_skinny_gemm_kernelILi4ELi4ELi3ELi16ELi4EEvPKhS1_P6__halfPKfiiiiiiii,"axG",@progbits,_Z19_skinny_gemm_kernelILi4ELi4ELi3ELi16ELi4EEvPKhS1_P6__halfPKfiiiiiiii,comdat
.Lfunc_end364:
	.size	_Z19_skinny_gemm_kernelILi4ELi4ELi3ELi16ELi4EEvPKhS1_P6__halfPKfiiiiiiii, .Lfunc_end364-_Z19_skinny_gemm_kernelILi4ELi4ELi3ELi16ELi4EEvPKhS1_P6__halfPKfiiiiiiii
                                        ; -- End function
	.set _Z19_skinny_gemm_kernelILi4ELi4ELi3ELi16ELi4EEvPKhS1_P6__halfPKfiiiiiiii.num_vgpr, 128
	.set _Z19_skinny_gemm_kernelILi4ELi4ELi3ELi16ELi4EEvPKhS1_P6__halfPKfiiiiiiii.num_agpr, 0
	.set _Z19_skinny_gemm_kernelILi4ELi4ELi3ELi16ELi4EEvPKhS1_P6__halfPKfiiiiiiii.numbered_sgpr, 67
	.set _Z19_skinny_gemm_kernelILi4ELi4ELi3ELi16ELi4EEvPKhS1_P6__halfPKfiiiiiiii.num_named_barrier, 0
	.set _Z19_skinny_gemm_kernelILi4ELi4ELi3ELi16ELi4EEvPKhS1_P6__halfPKfiiiiiiii.private_seg_size, 20
	.set _Z19_skinny_gemm_kernelILi4ELi4ELi3ELi16ELi4EEvPKhS1_P6__halfPKfiiiiiiii.uses_vcc, 1
	.set _Z19_skinny_gemm_kernelILi4ELi4ELi3ELi16ELi4EEvPKhS1_P6__halfPKfiiiiiiii.uses_flat_scratch, 0
	.set _Z19_skinny_gemm_kernelILi4ELi4ELi3ELi16ELi4EEvPKhS1_P6__halfPKfiiiiiiii.has_dyn_sized_stack, 0
	.set _Z19_skinny_gemm_kernelILi4ELi4ELi3ELi16ELi4EEvPKhS1_P6__halfPKfiiiiiiii.has_recursion, 0
	.set _Z19_skinny_gemm_kernelILi4ELi4ELi3ELi16ELi4EEvPKhS1_P6__halfPKfiiiiiiii.has_indirect_call, 0
	.section	.AMDGPU.csdata,"",@progbits
; Kernel info:
; codeLenInByte = 8432
; TotalNumSgprs: 73
; NumVgprs: 128
; NumAgprs: 0
; TotalNumVgprs: 128
; ScratchSize: 20
; MemoryBound: 0
; FloatMode: 240
; IeeeMode: 1
; LDSByteSize: 49248 bytes/workgroup (compile time only)
; SGPRBlocks: 9
; VGPRBlocks: 15
; NumSGPRsForWavesPerEU: 73
; NumVGPRsForWavesPerEU: 128
; AccumOffset: 128
; Occupancy: 4
; WaveLimiterHint : 0
; COMPUTE_PGM_RSRC2:SCRATCH_EN: 1
; COMPUTE_PGM_RSRC2:USER_SGPR: 2
; COMPUTE_PGM_RSRC2:TRAP_HANDLER: 0
; COMPUTE_PGM_RSRC2:TGID_X_EN: 1
; COMPUTE_PGM_RSRC2:TGID_Y_EN: 0
; COMPUTE_PGM_RSRC2:TGID_Z_EN: 0
; COMPUTE_PGM_RSRC2:TIDIG_COMP_CNT: 0
; COMPUTE_PGM_RSRC3_GFX90A:ACCUM_OFFSET: 31
; COMPUTE_PGM_RSRC3_GFX90A:TG_SPLIT: 0
	.section	.text._Z19_skinny_gemm_kernelILi4ELi4ELi3ELi32ELi4EEvPKhS1_P6__halfPKfiiiiiiii,"axG",@progbits,_Z19_skinny_gemm_kernelILi4ELi4ELi3ELi32ELi4EEvPKhS1_P6__halfPKfiiiiiiii,comdat
	.protected	_Z19_skinny_gemm_kernelILi4ELi4ELi3ELi32ELi4EEvPKhS1_P6__halfPKfiiiiiiii ; -- Begin function _Z19_skinny_gemm_kernelILi4ELi4ELi3ELi32ELi4EEvPKhS1_P6__halfPKfiiiiiiii
	.globl	_Z19_skinny_gemm_kernelILi4ELi4ELi3ELi32ELi4EEvPKhS1_P6__halfPKfiiiiiiii
	.p2align	8
	.type	_Z19_skinny_gemm_kernelILi4ELi4ELi3ELi32ELi4EEvPKhS1_P6__halfPKfiiiiiiii,@function
_Z19_skinny_gemm_kernelILi4ELi4ELi3ELi32ELi4EEvPKhS1_P6__halfPKfiiiiiiii: ; @_Z19_skinny_gemm_kernelILi4ELi4ELi3ELi32ELi4EEvPKhS1_P6__halfPKfiiiiiiii
; %bb.0:
	v_cmp_gt_u32_e32 vcc, 24, v0
	s_and_saveexec_b64 s[4:5], vcc
; %bb.1:
	v_lshlrev_b32_e32 v1, 2, v0
	v_mov_b32_e32 v2, 0
	ds_write_b32 v1, v2 offset:49152
; %bb.2:
	s_or_b64 exec, exec, s[4:5]
	s_load_dwordx8 s[20:27], s[0:1], 0x20
	s_waitcnt lgkmcnt(0)
	s_barrier
	s_add_i32 s3, s20, 0x7f
	s_ashr_i32 s5, s3, 31
	s_add_i32 s4, s21, 0x7f
	s_lshr_b32 s5, s5, 25
	s_ashr_i32 s6, s4, 31
	s_add_i32 s3, s3, s5
	s_ashr_i32 s12, s3, 7
	s_lshr_b32 s3, s6, 25
	s_add_i32 s4, s4, s3
	s_ashr_i32 s14, s4, 7
	s_mul_i32 s3, s14, s12
	s_mul_i32 s3, s3, s24
	s_add_i32 s4, s3, 0x12f
	s_mul_hi_i32 s4, s4, 0x6bca1af3
	s_lshr_b32 s5, s4, 31
	s_ashr_i32 s4, s4, 7
	s_add_i32 s4, s4, s5
	s_add_i32 s5, s2, 1
	s_mul_i32 s5, s4, s5
	v_cvt_f64_i32_e32 v[2:3], s3
	v_cvt_f64_u32_e32 v[4:5], s5
	v_min_f64 v[2:3], v[2:3], v[4:5]
	v_cvt_i32_f64_e32 v78, v[2:3]
	s_mul_i32 s33, s4, s2
	v_cmp_ge_i32_e32 vcc, s33, v78
	s_cbranch_vccnz .LBB365_54
; %bb.3:
	s_load_dwordx8 s[72:79], s[0:1], 0x0
	v_lshrrev_b32_e32 v1, 6, v0
	s_add_i32 s0, s26, s25
	v_cmp_le_i32_e64 s[18:19], s0, v1
	v_mov_b32_e32 v2, s25
	v_cmp_le_i32_e64 s[28:29], s25, v1
	v_mov_b32_e32 v3, s26
	v_cndmask_b32_e64 v3, 0, v3, s[18:19]
	v_cndmask_b32_e64 v2, 0, v2, s[28:29]
	s_abs_i32 s1, s24
	v_add_u32_e32 v2, v2, v3
	v_cvt_f32_u32_e32 v3, s1
	v_sub_u32_e32 v72, v1, v2
	s_ashr_i32 s2, s22, 31
	s_lshr_b32 s2, s2, 26
	v_rcp_iflag_f32_e32 v2, v3
	s_sub_i32 s5, 0, s1
	s_add_i32 s2, s22, s2
	s_ashr_i32 s2, s2, 6
	v_mul_f32_e32 v2, 0x4f7ffffe, v2
	v_cvt_u32_f32_e32 v2, v2
	s_abs_i32 s4, s2
	s_xor_b32 s3, s2, s24
	s_ashr_i32 s3, s3, 31
	v_readfirstlane_b32 s6, v2
	s_mul_i32 s5, s5, s6
	s_mul_hi_u32 s5, s6, s5
	s_add_i32 s6, s6, s5
	s_mul_hi_u32 s5, s4, s6
	s_mul_i32 s6, s5, s1
	s_sub_i32 s4, s4, s6
	s_add_i32 s6, s5, 1
	s_sub_i32 s7, s4, s1
	s_cmp_ge_u32 s4, s1
	s_cselect_b32 s5, s6, s5
	s_cselect_b32 s4, s7, s4
	s_add_i32 s6, s5, 1
	s_cmp_ge_u32 s4, s1
	s_cselect_b32 s1, s6, s5
	s_add_i32 s0, s0, s27
	v_and_b32_e32 v80, 31, v0
	v_lshrrev_b32_e32 v2, 3, v0
	v_cmp_gt_i32_e64 s[34:35], s0, v1
	v_lshlrev_b32_e32 v1, 2, v80
	v_and_b32_e32 v3, 4, v2
	v_lshlrev_b32_e32 v2, 6, v3
	v_or_b32_e32 v4, 0x6000, v1
	v_and_b32_e32 v5, 1, v0
	v_or_b32_e32 v81, v1, v2
	v_or_b32_e32 v82, v4, v2
	v_lshlrev_b32_e32 v2, 1, v5
	v_lshrrev_b32_e32 v7, 1, v0
	s_abs_i32 s97, s12
                                        ; implicit-def: $vgpr127 : SGPR spill to VGPR lane
	v_sub_u32_e32 v2, v0, v2
	v_and_b32_e32 v66, 16, v7
	v_cvt_f32_u32_e32 v7, s97
	v_writelane_b32 v127, s12, 0
	v_add_u32_e32 v2, 1, v2
	v_writelane_b32 v127, s14, 1
	v_and_b32_e32 v6, 63, v2
	v_bitop3_b32 v83, v0, 1, v0 bitop3:0xc
	v_bitop3_b32 v84, v0, 3, 1 bitop3:0x6c
	;; [unrolled: 1-line block ×8, first 2 shown]
	v_and_b32_e32 v2, 30, v0
	v_lshlrev_b32_e32 v0, 4, v0
	s_waitcnt lgkmcnt(0)
	v_writelane_b32 v127, s72, 2
	v_and_b32_e32 v0, 0x200, v0
	v_or_b32_e32 v94, v4, v0
	v_writelane_b32 v127, s73, 3
	v_rcp_iflag_f32_e32 v4, v7
	s_abs_i32 s98, s14
	v_writelane_b32 v127, s74, 4
	v_or_b32_e32 v96, v1, v0
	v_cvt_f32_u32_e32 v1, s98
	v_writelane_b32 v127, s75, 5
	v_writelane_b32 v127, s76, 6
	;; [unrolled: 1-line block ×3, first 2 shown]
	v_mul_f32_e32 v0, 0x4f7ffffe, v4
	v_writelane_b32 v127, s78, 8
	v_cvt_u32_f32_e32 v0, v0
	v_rcp_iflag_f32_e32 v1, v1
	v_writelane_b32 v127, s79, 9
	v_cndmask_b32_e64 v79, 0, 1, s[18:19]
	s_xor_b32 s1, s1, s3
	v_writelane_b32 v127, s18, 10
	s_sub_i32 s15, s1, s3
	s_add_i32 s30, s24, -1
	v_writelane_b32 v127, s19, 11
	s_mul_i32 s1, s15, s30
	v_writelane_b32 v127, s28, 12
	s_sub_i32 s31, s2, s1
	v_readfirstlane_b32 s1, v0
	v_mul_f32_e32 v0, 0x4f7ffffe, v1
	v_writelane_b32 v127, s29, 13
	v_cvt_u32_f32_e32 v0, v0
	v_writelane_b32 v127, s15, 14
	s_sub_i32 s0, 0, s97
	v_writelane_b32 v127, s30, 15
	s_mul_i32 s0, s0, s1
	v_writelane_b32 v127, s31, 16
	s_mul_hi_u32 s0, s1, s0
	v_writelane_b32 v127, s34, 17
	s_ashr_i32 s36, s12, 31
	s_add_i32 s37, s1, s0
	s_sub_i32 s0, 0, s98
	v_readfirstlane_b32 s1, v0
	v_writelane_b32 v127, s35, 18
	s_mul_i32 s0, s0, s1
	v_mbcnt_lo_u32_b32 v0, -1, 0
	v_writelane_b32 v127, s36, 19
	s_ashr_i32 s38, s14, 31
	s_mul_hi_u32 s0, s1, s0
	v_mbcnt_hi_u32_b32 v0, -1, v0
	v_writelane_b32 v127, s37, 20
	v_mov_b32_e32 v65, 0
	v_mul_lo_u32 v68, s23, v80
	v_or_b32_e32 v97, v5, v3
	s_add_i32 s39, s1, s0
	v_and_or_b32 v0, v0, 64, v6
	v_writelane_b32 v127, s38, 21
	v_ashrrev_i32_e32 v69, 31, v68
	v_mov_b32_e32 v67, v65
	s_lshl_b32 s24, s23, 5
	v_mul_lo_u32 v95, s22, v80
	v_or_b32_e32 v98, 2, v97
	v_lshlrev_b32_e32 v64, 1, v2
	v_lshlrev_b32_e32 v99, 2, v0
	v_mov_b32_e32 v100, v72
	v_writelane_b32 v127, s39, 22
	s_branch .LBB365_7
.LBB365_4:                              ;   in Loop: Header=BB365_7 Depth=1
	s_or_b64 exec, exec, s[4:5]
.LBB365_5:                              ;   in Loop: Header=BB365_7 Depth=1
	s_or_b64 exec, exec, s[2:3]
	v_subrev_u32_e32 v100, s10, v100
.LBB365_6:                              ;   in Loop: Header=BB365_7 Depth=1
	s_or_b64 exec, exec, s[0:1]
	s_add_i32 s33, s33, 1
	v_cmp_ge_i32_e32 vcc, s33, v78
	s_cbranch_vccnz .LBB365_54
.LBB365_7:                              ; =>This Loop Header: Depth=1
                                        ;     Child Loop BB365_13 Depth 2
                                        ;       Child Loop BB365_15 Depth 3
                                        ;       Child Loop BB365_18 Depth 3
	;; [unrolled: 1-line block ×5, first 2 shown]
                                        ;     Child Loop BB365_32 Depth 2
                                        ;     Child Loop BB365_41 Depth 2
                                        ;       Child Loop BB365_43 Depth 3
                                        ;     Child Loop BB365_51 Depth 2
                                        ;       Child Loop BB365_53 Depth 3
	s_abs_i32 s1, s33
	s_mul_hi_u32 s2, s1, s37
	s_mul_i32 s3, s2, s97
	s_ashr_i32 s0, s33, 31
	s_sub_i32 s1, s1, s3
	s_xor_b32 s0, s0, s36
	s_add_i32 s3, s2, 1
	s_sub_i32 s4, s1, s97
	s_cmp_ge_u32 s1, s97
	s_cselect_b32 s2, s3, s2
	s_cselect_b32 s1, s4, s1
	s_add_i32 s3, s2, 1
	s_cmp_ge_u32 s1, s97
	s_cselect_b32 s1, s3, s2
	s_xor_b32 s1, s1, s0
	s_sub_i32 s0, s1, s0
	s_abs_i32 s2, s0
	s_mul_i32 s1, s0, s12
	s_mul_hi_u32 s3, s2, s39
	s_sub_i32 s1, s33, s1
	s_mul_i32 s4, s3, s98
	s_lshl_b32 s99, s1, 7
	s_ashr_i32 s1, s0, 31
	s_sub_i32 s2, s2, s4
	s_xor_b32 s1, s1, s38
	s_add_i32 s4, s3, 1
	s_sub_i32 s5, s2, s98
	s_cmp_ge_u32 s2, s98
	s_cselect_b32 s3, s4, s3
	s_cselect_b32 s2, s5, s2
	s_add_i32 s4, s3, 1
	s_cmp_ge_u32 s2, s98
	s_cselect_b32 s2, s4, s3
	s_xor_b32 s2, s2, s1
	s_sub_i32 s1, s2, s1
	s_mul_i32 s2, s1, s15
	s_lshl_b32 s44, s2, 6
	s_cmp_eq_u32 s1, s30
	s_cselect_b32 s4, s31, s15
	s_sub_i32 s2, s99, s20
	s_addk_i32 s2, 0x80
	s_max_i32 s96, s2, 0
	s_and_saveexec_b64 s[2:3], s[28:29]
	s_xor_b64 s[46:47], exec, s[2:3]
	s_cbranch_execz .LBB365_47
; %bb.8:                                ;   in Loop: Header=BB365_7 Depth=1
	s_mul_i32 s1, s1, s14
	s_sub_i32 s0, s0, s1
	s_lshl_b32 s0, s0, 7
	s_sub_i32 s5, s0, s21
	s_addk_i32 s5, 0x80
	s_max_i32 s1, s5, 0
	s_sub_i32 s0, s0, s1
	s_and_saveexec_b64 s[2:3], s[18:19]
	s_xor_b64 s[2:3], exec, s[2:3]
	s_cbranch_execz .LBB365_37
; %bb.9:                                ;   in Loop: Header=BB365_7 Depth=1
	s_and_saveexec_b64 s[48:49], s[34:35]
	s_cbranch_execz .LBB365_36
; %bb.10:                               ;   in Loop: Header=BB365_7 Depth=1
	global_load_dword v101, v65, s[78:79]
	v_mov_b32_e32 v63, 0
	v_cmp_gt_i32_e32 vcc, s4, v100
	v_mov_b32_e32 v62, v63
	v_mov_b32_e32 v61, v63
	;; [unrolled: 1-line block ×63, first 2 shown]
	s_and_saveexec_b64 s[6:7], vcc
	s_cbranch_execz .LBB365_29
; %bb.11:                               ;   in Loop: Header=BB365_7 Depth=1
	v_mov_b32_e32 v0, 0
	s_mov_b64 s[8:9], 0
	v_mov_b32_e32 v1, v0
	v_mov_b32_e32 v2, v0
	;; [unrolled: 1-line block ×63, first 2 shown]
	s_branch .LBB365_13
.LBB365_12:                             ;   in Loop: Header=BB365_13 Depth=2
	s_or_b64 exec, exec, s[10:11]
	v_add_u32_e32 v108, 0x1800, v105
	ds_read2_b32 v[106:107], v108 offset1:32
	v_add_u32_e32 v100, s27, v100
	s_waitcnt lgkmcnt(0)
	v_mfma_f32_32x32x16_fp8_fp8 v[0:15], v[76:77], v[106:107], v[0:15]
	ds_read2_b32 v[76:77], v108 offset0:128 offset1:160
	s_waitcnt lgkmcnt(0)
	v_mfma_f32_32x32x16_fp8_fp8 v[0:15], v[74:75], v[76:77], v[0:15]
	v_add_u32_e32 v76, 0x1c00, v105
	ds_read2_b32 v[74:75], v76 offset1:32
	ds_read2_b32 v[76:77], v76 offset0:128 offset1:160
	ds_write_b32 v103, v104 offset:49180
	s_waitcnt lgkmcnt(2)
	v_mfma_f32_32x32x16_fp8_fp8 v[0:15], v[72:73], v[74:75], v[0:15]
	v_add_u32_e32 v72, s27, v102
	v_add_u32_e32 v73, 2, v79
	v_cmp_lt_i32_e32 vcc, 2, v72
	s_nop 1
	v_cndmask_b32_e32 v79, v79, v73, vcc
	v_cmp_le_i32_e32 vcc, s4, v100
	s_waitcnt lgkmcnt(1)
	v_mfma_f32_32x32x16_fp8_fp8 v[0:15], v[70:71], v[76:77], v[0:15]
	s_or_b64 s[8:9], vcc, s[8:9]
	s_andn2_b64 exec, exec, s[8:9]
	s_cbranch_execz .LBB365_28
.LBB365_13:                             ;   Parent Loop BB365_7 Depth=1
                                        ; =>  This Loop Header: Depth=2
                                        ;       Child Loop BB365_15 Depth 3
                                        ;       Child Loop BB365_18 Depth 3
	;; [unrolled: 1-line block ×5, first 2 shown]
	v_cmp_gt_i32_e32 vcc, 3, v72
	s_nop 1
	v_cndmask_b32_e64 v70, -3, 0, vcc
	v_add_u32_e32 v102, v70, v72
	v_lshlrev_b32_e32 v103, 5, v102
	ds_read_b32 v70, v103 offset:49152
	s_waitcnt lgkmcnt(0)
	v_cmp_ne_u32_e32 vcc, v70, v79
	s_and_saveexec_b64 s[10:11], vcc
	s_cbranch_execz .LBB365_16
; %bb.14:                               ;   in Loop: Header=BB365_13 Depth=2
	s_mov_b64 s[12:13], 0
.LBB365_15:                             ;   Parent Loop BB365_7 Depth=1
                                        ;     Parent Loop BB365_13 Depth=2
                                        ; =>    This Inner Loop Header: Depth=3
	;;#ASMSTART
	s_sleep 0
	;;#ASMEND
	ds_read_b32 v70, v103 offset:49152
	s_waitcnt lgkmcnt(0)
	v_cmp_eq_u32_e32 vcc, v70, v79
	s_or_b64 s[12:13], vcc, s[12:13]
	s_andn2_b64 exec, exec, s[12:13]
	s_cbranch_execnz .LBB365_15
.LBB365_16:                             ;   in Loop: Header=BB365_13 Depth=2
	s_or_b64 exec, exec, s[10:11]
	v_lshl_or_b32 v70, v102, 11, v81
	ds_read2_b32 v[76:77], v70 offset1:32
	ds_read2_b32 v[74:75], v70 offset0:128 offset1:160
	v_add_u32_e32 v70, 0x400, v70
	ds_read2_b32 v[72:73], v70 offset1:32
	ds_read_b32 v105, v103 offset:49156
	ds_read2_b32 v[70:71], v70 offset0:128 offset1:160
	v_add_u32_e32 v104, 1, v79
	ds_write_b32 v103, v104 offset:49152
	s_waitcnt lgkmcnt(2)
	v_cmp_ne_u32_e32 vcc, v105, v79
	s_and_saveexec_b64 s[10:11], vcc
	s_cbranch_execz .LBB365_19
; %bb.17:                               ;   in Loop: Header=BB365_13 Depth=2
	s_mov_b64 s[12:13], 0
.LBB365_18:                             ;   Parent Loop BB365_7 Depth=1
                                        ;     Parent Loop BB365_13 Depth=2
                                        ; =>    This Inner Loop Header: Depth=3
	;;#ASMSTART
	s_sleep 0
	;;#ASMEND
	ds_read_b32 v105, v103 offset:49156
	s_waitcnt lgkmcnt(0)
	v_cmp_eq_u32_e32 vcc, v105, v79
	s_or_b64 s[12:13], vcc, s[12:13]
	s_andn2_b64 exec, exec, s[12:13]
	s_cbranch_execnz .LBB365_18
.LBB365_19:                             ;   in Loop: Header=BB365_13 Depth=2
	s_or_b64 exec, exec, s[10:11]
	v_lshlrev_b32_e32 v105, 13, v102
	v_add_u32_e32 v105, v82, v105
	ds_read2_b32 v[106:107], v105 offset1:32
	v_add_u32_e32 v108, 0x400, v105
	ds_write_b32 v103, v104 offset:49156
	s_waitcnt lgkmcnt(1)
	v_mfma_f32_32x32x16_fp8_fp8 v[48:63], v[76:77], v[106:107], v[48:63]
	ds_read2_b32 v[106:107], v105 offset0:128 offset1:160
	s_waitcnt lgkmcnt(0)
	v_mfma_f32_32x32x16_fp8_fp8 v[48:63], v[74:75], v[106:107], v[48:63]
	ds_read2_b32 v[106:107], v108 offset1:32
	s_waitcnt lgkmcnt(0)
	v_mfma_f32_32x32x16_fp8_fp8 v[48:63], v[72:73], v[106:107], v[48:63]
	ds_read2_b32 v[106:107], v108 offset0:128 offset1:160
	ds_read_b32 v108, v103 offset:49164
	s_waitcnt lgkmcnt(0)
	v_cmp_ne_u32_e32 vcc, v108, v79
	v_mfma_f32_32x32x16_fp8_fp8 v[48:63], v[70:71], v[106:107], v[48:63]
	s_and_saveexec_b64 s[10:11], vcc
	s_cbranch_execz .LBB365_22
; %bb.20:                               ;   in Loop: Header=BB365_13 Depth=2
	s_mov_b64 s[12:13], 0
.LBB365_21:                             ;   Parent Loop BB365_7 Depth=1
                                        ;     Parent Loop BB365_13 Depth=2
                                        ; =>    This Inner Loop Header: Depth=3
	;;#ASMSTART
	s_sleep 0
	;;#ASMEND
	ds_read_b32 v106, v103 offset:49164
	s_waitcnt lgkmcnt(0)
	v_cmp_eq_u32_e32 vcc, v106, v79
	s_or_b64 s[12:13], vcc, s[12:13]
	s_andn2_b64 exec, exec, s[12:13]
	s_cbranch_execnz .LBB365_21
.LBB365_22:                             ;   in Loop: Header=BB365_13 Depth=2
	s_or_b64 exec, exec, s[10:11]
	v_add_u32_e32 v108, 0x800, v105
	ds_read2_b32 v[106:107], v108 offset1:32
	s_waitcnt lgkmcnt(0)
	v_mfma_f32_32x32x16_fp8_fp8 v[32:47], v[76:77], v[106:107], v[32:47]
	ds_read2_b32 v[106:107], v108 offset0:128 offset1:160
	v_add_u32_e32 v108, 0xc00, v105
	s_waitcnt lgkmcnt(0)
	v_mfma_f32_32x32x16_fp8_fp8 v[32:47], v[74:75], v[106:107], v[32:47]
	ds_read2_b32 v[106:107], v108 offset1:32
	s_waitcnt lgkmcnt(0)
	v_mfma_f32_32x32x16_fp8_fp8 v[32:47], v[72:73], v[106:107], v[32:47]
	ds_read_b32 v109, v103 offset:49172
	ds_read2_b32 v[106:107], v108 offset0:128 offset1:160
	ds_write_b32 v103, v104 offset:49164
	s_waitcnt lgkmcnt(2)
	v_cmp_ne_u32_e32 vcc, v109, v79
	s_waitcnt lgkmcnt(1)
	v_mfma_f32_32x32x16_fp8_fp8 v[32:47], v[70:71], v[106:107], v[32:47]
	s_and_saveexec_b64 s[10:11], vcc
	s_cbranch_execz .LBB365_25
; %bb.23:                               ;   in Loop: Header=BB365_13 Depth=2
	s_mov_b64 s[12:13], 0
.LBB365_24:                             ;   Parent Loop BB365_7 Depth=1
                                        ;     Parent Loop BB365_13 Depth=2
                                        ; =>    This Inner Loop Header: Depth=3
	;;#ASMSTART
	s_sleep 0
	;;#ASMEND
	ds_read_b32 v106, v103 offset:49172
	s_waitcnt lgkmcnt(0)
	v_cmp_eq_u32_e32 vcc, v106, v79
	s_or_b64 s[12:13], vcc, s[12:13]
	s_andn2_b64 exec, exec, s[12:13]
	s_cbranch_execnz .LBB365_24
.LBB365_25:                             ;   in Loop: Header=BB365_13 Depth=2
	s_or_b64 exec, exec, s[10:11]
	v_add_u32_e32 v108, 0x1000, v105
	ds_read2_b32 v[106:107], v108 offset1:32
	s_waitcnt lgkmcnt(0)
	v_mfma_f32_32x32x16_fp8_fp8 v[16:31], v[76:77], v[106:107], v[16:31]
	ds_read2_b32 v[106:107], v108 offset0:128 offset1:160
	v_add_u32_e32 v108, 0x1400, v105
	s_waitcnt lgkmcnt(0)
	v_mfma_f32_32x32x16_fp8_fp8 v[16:31], v[74:75], v[106:107], v[16:31]
	ds_read2_b32 v[106:107], v108 offset1:32
	s_waitcnt lgkmcnt(0)
	v_mfma_f32_32x32x16_fp8_fp8 v[16:31], v[72:73], v[106:107], v[16:31]
	ds_read_b32 v109, v103 offset:49180
	ds_read2_b32 v[106:107], v108 offset0:128 offset1:160
	ds_write_b32 v103, v104 offset:49172
	s_waitcnt lgkmcnt(2)
	v_cmp_ne_u32_e32 vcc, v109, v79
	s_waitcnt lgkmcnt(1)
	v_mfma_f32_32x32x16_fp8_fp8 v[16:31], v[70:71], v[106:107], v[16:31]
	s_and_saveexec_b64 s[10:11], vcc
	s_cbranch_execz .LBB365_12
; %bb.26:                               ;   in Loop: Header=BB365_13 Depth=2
	s_mov_b64 s[12:13], 0
.LBB365_27:                             ;   Parent Loop BB365_7 Depth=1
                                        ;     Parent Loop BB365_13 Depth=2
                                        ; =>    This Inner Loop Header: Depth=3
	;;#ASMSTART
	s_sleep 0
	;;#ASMEND
	ds_read_b32 v106, v103 offset:49180
	s_waitcnt lgkmcnt(0)
	v_cmp_eq_u32_e32 vcc, v106, v79
	s_or_b64 s[12:13], vcc, s[12:13]
	s_andn2_b64 exec, exec, s[12:13]
	s_cbranch_execnz .LBB365_27
	s_branch .LBB365_12
.LBB365_28:                             ;   in Loop: Header=BB365_7 Depth=1
	s_or_b64 exec, exec, s[8:9]
.LBB365_29:                             ;   in Loop: Header=BB365_7 Depth=1
	v_writelane_b32 v127, s48, 23
	s_nop 1
	v_writelane_b32 v127, s49, 24
	v_writelane_b32 v127, s46, 25
	s_nop 1
	v_writelane_b32 v127, s47, 26
	v_writelane_b32 v127, s44, 27
	s_or_b64 exec, exec, s[6:7]
	v_cmp_le_i32_e32 vcc, s5, v80
	v_cmp_eq_u32_e64 s[64:65], 1, v83
	v_cmp_eq_u32_e64 s[30:31], 2, v83
	s_waitcnt vmcnt(0)
	v_cndmask_b32_e32 v70, 0, v101, vcc
	v_pk_mul_f32 v[48:49], v[70:71], v[48:49] op_sel_hi:[0,1]
	v_pk_mul_f32 v[62:63], v[70:71], v[62:63] op_sel_hi:[0,1]
	;; [unrolled: 1-line block ×8, first 2 shown]
	v_cndmask_b32_e64 v70, v48, v49, s[64:65]
	v_cndmask_b32_e64 v70, v70, v50, s[30:31]
	v_cmp_eq_u32_e64 s[40:41], 3, v83
	v_cmp_eq_u32_e64 s[42:43], 4, v83
	v_cmp_eq_u32_e64 s[44:45], 5, v83
	v_cndmask_b32_e64 v70, v70, v51, s[40:41]
	v_cndmask_b32_e64 v70, v70, v52, s[42:43]
	v_cndmask_b32_e64 v70, v70, v53, s[44:45]
	v_cmp_eq_u32_e64 s[46:47], 6, v83
	v_cmp_eq_u32_e64 s[48:49], 7, v83
	v_cmp_eq_u32_e64 s[50:51], 8, v83
	v_cndmask_b32_e64 v70, v70, v54, s[46:47]
	;; [unrolled: 6-line block ×4, first 2 shown]
	v_cndmask_b32_e64 v70, v70, v61, s[60:61]
	v_cndmask_b32_e64 v70, v70, v62, s[62:63]
	v_cmp_eq_u32_e64 s[66:67], 15, v83
	s_mul_i32 s6, s99, s21
	s_ashr_i32 s7, s6, 31
	v_cndmask_b32_e64 v70, v70, v63, s[66:67]
	ds_bpermute_b32 v70, v99, v70
	s_lshl_b64 s[6:7], s[6:7], 1
	v_cmp_eq_u32_e64 s[36:37], 0, v83
	s_add_u32 s70, s76, s6
	v_cmp_eq_u32_e32 vcc, 1, v84
	s_waitcnt lgkmcnt(0)
	v_cndmask_b32_e64 v63, v63, v70, s[66:67]
	v_cndmask_b32_e64 v62, v62, v70, s[62:63]
	;; [unrolled: 1-line block ×16, first 2 shown]
	s_addc_u32 s71, s77, s7
	v_cndmask_b32_e32 v48, v70, v103, vcc
	v_cmp_eq_u32_e64 s[6:7], 2, v84
	v_cmp_eq_u32_e64 s[8:9], 3, v84
	v_cmp_eq_u32_e64 s[10:11], 4, v84
	v_cndmask_b32_e64 v48, v48, v102, s[6:7]
	v_cndmask_b32_e64 v48, v48, v77, s[8:9]
	v_cndmask_b32_e64 v48, v48, v76, s[10:11]
	v_cmp_eq_u32_e64 s[12:13], 5, v84
	v_cmp_eq_u32_e64 s[14:15], 6, v84
	v_cmp_eq_u32_e64 s[16:17], 7, v84
	v_cndmask_b32_e64 v48, v48, v75, s[12:13]
	v_cndmask_b32_e64 v48, v48, v74, s[14:15]
	v_cndmask_b32_e64 v48, v48, v73, s[16:17]
	;; [unrolled: 6-line block ×4, first 2 shown]
	v_cmp_eq_u32_e64 s[34:35], 14, v84
	v_cmp_eq_u32_e64 s[38:39], 15, v84
	s_ashr_i32 s1, s0, 31
	v_cndmask_b32_e64 v48, v48, v62, s[34:35]
	v_cndmask_b32_e64 v48, v48, v63, s[38:39]
	ds_bpermute_b32 v71, v99, v48
	s_lshl_b64 s[68:69], s[0:1], 1
	s_add_u32 s68, s70, s68
	s_addc_u32 s69, s71, s69
	v_writelane_b32 v127, s68, 28
	v_or_b32_e32 v48, 32, v80
	s_waitcnt lgkmcnt(0)
	v_cndmask_b32_e64 v55, v57, v71, s[76:77]
	v_writelane_b32 v127, s69, 29
	v_cndmask_b32_e64 v57, v73, v71, s[16:17]
	v_cmp_le_i32_e64 s[68:69], s5, v48
	v_or_b32_e32 v73, 64, v80
	v_cndmask_b32_e64 v49, v63, v71, s[38:39]
	v_cndmask_b32_e64 v48, 0, v101, s[68:69]
	v_cmp_le_i32_e64 s[68:69], s5, v73
	v_or_b32_e32 v73, 0x60, v80
	v_cndmask_b32_e64 v54, v58, v71, s[78:79]
	v_cndmask_b32_e64 v58, v74, v71, s[14:15]
	;; [unrolled: 1-line block ×3, first 2 shown]
	v_cmp_le_i32_e64 s[70:71], s5, v73
	v_cmp_eq_u32_e64 s[68:69], 0, v84
	v_pk_mul_f32 v[32:33], v[48:49], v[32:33] op_sel_hi:[0,1]
	v_pk_mul_f32 v[30:31], v[74:75], v[30:31] op_sel_hi:[0,1]
	;; [unrolled: 1-line block ×9, first 2 shown]
	v_cndmask_b32_e64 v74, 0, v101, s[70:71]
	v_cndmask_b32_e64 v50, v62, v71, s[34:35]
	;; [unrolled: 1-line block ×10, first 2 shown]
	v_cndmask_b32_e32 v63, v103, v71, vcc
	v_cndmask_b32_e64 v70, v70, v71, s[68:69]
	v_pk_mul_f32 v[46:47], v[48:49], v[46:47] op_sel_hi:[0,1]
	v_pk_mul_f32 v[44:45], v[48:49], v[44:45] op_sel_hi:[0,1]
	;; [unrolled: 1-line block ×7, first 2 shown]
	v_cndmask_b32_e64 v48, v32, v33, s[64:65]
	v_cndmask_b32_e64 v71, v16, v17, s[64:65]
	v_pk_mul_f32 v[0:1], v[74:75], v[0:1] op_sel_hi:[0,1]
	v_cndmask_b32_e64 v48, v48, v34, s[30:31]
	v_cndmask_b32_e64 v71, v71, v18, s[30:31]
	v_pk_mul_f32 v[14:15], v[74:75], v[14:15] op_sel_hi:[0,1]
	v_pk_mul_f32 v[12:13], v[74:75], v[12:13] op_sel_hi:[0,1]
	;; [unrolled: 1-line block ×7, first 2 shown]
	v_cndmask_b32_e64 v74, v0, v1, s[64:65]
	v_cndmask_b32_e64 v48, v48, v35, s[40:41]
	v_cndmask_b32_e64 v71, v71, v19, s[40:41]
	v_cndmask_b32_e64 v74, v74, v2, s[30:31]
	v_cndmask_b32_e64 v48, v48, v36, s[42:43]
	v_cndmask_b32_e64 v71, v71, v20, s[42:43]
	v_cndmask_b32_e64 v74, v74, v3, s[40:41]
	v_cndmask_b32_e64 v48, v48, v37, s[44:45]
	v_cndmask_b32_e64 v71, v71, v21, s[44:45]
	v_cndmask_b32_e64 v74, v74, v4, s[42:43]
	v_cndmask_b32_e64 v48, v48, v38, s[46:47]
	v_cndmask_b32_e64 v71, v71, v22, s[46:47]
	v_cndmask_b32_e64 v74, v74, v5, s[44:45]
	v_cndmask_b32_e64 v48, v48, v39, s[48:49]
	v_cndmask_b32_e64 v71, v71, v23, s[48:49]
	v_cndmask_b32_e64 v74, v74, v6, s[46:47]
	v_cndmask_b32_e64 v48, v48, v40, s[50:51]
	v_cndmask_b32_e64 v71, v71, v24, s[50:51]
	v_cndmask_b32_e64 v74, v74, v7, s[48:49]
	v_cndmask_b32_e64 v48, v48, v41, s[52:53]
	v_cndmask_b32_e64 v71, v71, v25, s[52:53]
	v_cndmask_b32_e64 v74, v74, v8, s[50:51]
	v_cndmask_b32_e64 v48, v48, v42, s[54:55]
	v_cndmask_b32_e64 v71, v71, v26, s[54:55]
	v_cndmask_b32_e64 v74, v74, v9, s[52:53]
	v_cndmask_b32_e64 v48, v48, v43, s[56:57]
	v_cndmask_b32_e64 v71, v71, v27, s[56:57]
	v_cndmask_b32_e64 v74, v74, v10, s[54:55]
	v_cndmask_b32_e64 v48, v48, v44, s[58:59]
	v_cndmask_b32_e64 v71, v71, v28, s[58:59]
	v_cndmask_b32_e64 v74, v74, v11, s[56:57]
	v_cndmask_b32_e64 v48, v48, v45, s[60:61]
	v_cndmask_b32_e64 v71, v71, v29, s[60:61]
	v_cndmask_b32_e64 v74, v74, v12, s[58:59]
	v_cndmask_b32_e64 v48, v48, v46, s[62:63]
	v_cndmask_b32_e64 v71, v71, v30, s[62:63]
	v_cndmask_b32_e64 v74, v74, v13, s[60:61]
	v_cndmask_b32_e64 v48, v48, v47, s[66:67]
	v_cndmask_b32_e64 v71, v71, v31, s[66:67]
	v_cndmask_b32_e64 v74, v74, v14, s[62:63]
	ds_bpermute_b32 v48, v99, v48
	ds_bpermute_b32 v71, v99, v71
	v_cndmask_b32_e64 v74, v74, v15, s[66:67]
	ds_bpermute_b32 v74, v99, v74
	v_cmp_eq_u32_e64 s[70:71], 1, v85
	s_waitcnt lgkmcnt(2)
	v_cndmask_b32_e64 v33, v33, v48, s[64:65]
	s_waitcnt lgkmcnt(1)
	v_cndmask_b32_e64 v17, v17, v71, s[64:65]
	v_cndmask_b32_e64 v73, v70, v63, s[70:71]
	v_cmp_eq_u32_e64 s[64:65], 2, v85
	v_cndmask_b32_e64 v47, v47, v48, s[66:67]
	v_cndmask_b32_e64 v31, v31, v71, s[66:67]
	;; [unrolled: 1-line block ×3, first 2 shown]
	s_waitcnt lgkmcnt(0)
	v_cndmask_b32_e64 v15, v15, v74, s[66:67]
	v_cmp_eq_u32_e64 s[66:67], 3, v85
	v_cndmask_b32_e64 v46, v46, v48, s[62:63]
	v_cndmask_b32_e64 v30, v30, v71, s[62:63]
	v_cndmask_b32_e64 v73, v73, v61, s[66:67]
	v_cndmask_b32_e64 v14, v14, v74, s[62:63]
	v_cmp_eq_u32_e64 s[62:63], 4, v85
	v_cndmask_b32_e64 v45, v45, v48, s[60:61]
	v_cndmask_b32_e64 v29, v29, v71, s[60:61]
	v_cndmask_b32_e64 v73, v73, v60, s[62:63]
	;; [unrolled: 5-line block ×4, first 2 shown]
	v_cndmask_b32_e64 v11, v11, v74, s[56:57]
	v_cmp_eq_u32_e64 s[56:57], 7, v85
	v_cmp_eq_u32_e64 s[72:73], 8, v85
	v_cndmask_b32_e64 v41, v41, v48, s[52:53]
	v_cndmask_b32_e64 v73, v73, v57, s[56:57]
	;; [unrolled: 1-line block ×5, first 2 shown]
	v_cmp_eq_u32_e64 s[52:53], 9, v85
	v_cmp_eq_u32_e64 s[74:75], 10, v85
	v_cndmask_b32_e64 v42, v42, v48, s[54:55]
	v_cndmask_b32_e64 v73, v73, v55, s[52:53]
	;; [unrolled: 1-line block ×5, first 2 shown]
	v_cmp_eq_u32_e64 s[54:55], 11, v85
	v_cndmask_b32_e64 v39, v39, v48, s[48:49]
	v_cndmask_b32_e64 v23, v23, v71, s[48:49]
	v_cndmask_b32_e64 v7, v7, v74, s[48:49]
	v_cndmask_b32_e64 v73, v73, v53, s[54:55]
	v_cmp_eq_u32_e64 s[48:49], 12, v85
	v_cndmask_b32_e64 v37, v37, v48, s[44:45]
	v_cndmask_b32_e64 v21, v21, v71, s[44:45]
	v_cndmask_b32_e64 v73, v73, v52, s[48:49]
	v_cndmask_b32_e64 v5, v5, v74, s[44:45]
	;; [unrolled: 5-line block ×4, first 2 shown]
	v_cmp_eq_u32_e64 s[42:43], 15, v85
	v_cndmask_b32_e64 v34, v34, v48, s[30:31]
	v_cndmask_b32_e64 v18, v18, v71, s[30:31]
	;; [unrolled: 1-line block ×3, first 2 shown]
	ds_bpermute_b32 v73, v99, v73
	v_cndmask_b32_e64 v2, v2, v74, s[30:31]
	v_cmp_ne_u32_e64 s[30:31], 0, v83
	v_cndmask_b32_e64 v32, v32, v48, s[36:37]
	v_cndmask_b32_e64 v40, v40, v48, s[50:51]
	;; [unrolled: 1-line block ×6, first 2 shown]
	v_cmp_eq_u32_e64 s[50:51], 0, v85
	v_cndmask_b32_e32 v48, v32, v33, vcc
	v_cndmask_b32_e64 v0, v0, v74, s[36:37]
	s_waitcnt lgkmcnt(0)
	v_cndmask_b32_e64 v49, v49, v73, s[42:43]
	v_cndmask_b32_e64 v50, v50, v73, s[46:47]
	v_cndmask_b32_e64 v51, v51, v73, s[44:45]
	v_cndmask_b32_e64 v52, v52, v73, s[48:49]
	v_cndmask_b32_e64 v53, v53, v73, s[54:55]
	v_cndmask_b32_e64 v54, v54, v73, s[74:75]
	v_cndmask_b32_e64 v55, v55, v73, s[52:53]
	v_cndmask_b32_e64 v56, v56, v73, s[72:73]
	v_cndmask_b32_e64 v57, v57, v73, s[56:57]
	v_cndmask_b32_e64 v58, v58, v73, s[58:59]
	v_cndmask_b32_e64 v59, v59, v73, s[60:61]
	v_cndmask_b32_e64 v60, v60, v73, s[62:63]
	v_cndmask_b32_e64 v61, v61, v73, s[66:67]
	v_cndmask_b32_e64 v62, v62, v73, s[64:65]
	v_cndmask_b32_e64 v63, v63, v73, s[70:71]
	v_cndmask_b32_e64 v70, v70, v73, s[50:51]
	v_cndmask_b32_e64 v48, v48, v34, s[6:7]
	v_cndmask_b32_e32 v73, v0, v1, vcc
	v_cndmask_b32_e64 v3, v3, v74, s[40:41]
	v_cndmask_b32_e64 v48, v48, v35, s[8:9]
	;; [unrolled: 1-line block ×22, first 2 shown]
	v_cndmask_b32_e32 v71, v16, v17, vcc
	v_cndmask_b32_e64 v73, v73, v11, s[80:81]
	v_cndmask_b32_e64 v48, v48, v45, s[28:29]
	;; [unrolled: 1-line block ×10, first 2 shown]
	ds_bpermute_b32 v48, v99, v48
	v_cndmask_b32_e64 v71, v71, v21, s[12:13]
	v_cndmask_b32_e64 v73, v73, v15, s[38:39]
	;; [unrolled: 1-line block ×3, first 2 shown]
	ds_bpermute_b32 v73, v99, v73
	v_cndmask_b32_e64 v71, v71, v23, s[16:17]
	v_cndmask_b32_e64 v71, v71, v24, s[18:19]
	;; [unrolled: 1-line block ×4, first 2 shown]
	s_waitcnt lgkmcnt(1)
	v_cndmask_b32_e32 v33, v33, v48, vcc
	v_cndmask_b32_e64 v32, v32, v48, s[68:69]
	v_cndmask_b32_e64 v71, v71, v27, s[80:81]
	;; [unrolled: 1-line block ×16, first 2 shown]
	s_waitcnt lgkmcnt(0)
	v_cndmask_b32_e32 v1, v1, v73, vcc
	v_cndmask_b32_e64 v48, v32, v33, s[70:71]
	v_cndmask_b32_e64 v0, v0, v73, s[68:69]
	;; [unrolled: 1-line block ×28, first 2 shown]
	ds_bpermute_b32 v71, v99, v71
	v_cndmask_b32_e64 v48, v48, v38, s[58:59]
	v_cndmask_b32_e64 v73, v73, v5, s[60:61]
	;; [unrolled: 1-line block ×8, first 2 shown]
	v_cmp_eq_u32_e64 s[30:31], 1, v86
	v_cndmask_b32_e64 v48, v48, v42, s[74:75]
	v_cndmask_b32_e64 v73, v73, v9, s[52:53]
	;; [unrolled: 1-line block ×3, first 2 shown]
	v_cmp_eq_u32_e64 s[36:37], 2, v86
	s_waitcnt lgkmcnt(0)
	v_cndmask_b32_e32 v17, v17, v71, vcc
	v_cndmask_b32_e64 v48, v48, v43, s[54:55]
	v_cndmask_b32_e64 v16, v16, v71, s[68:69]
	;; [unrolled: 1-line block ×6, first 2 shown]
	v_cmp_eq_u32_e64 s[34:35], 3, v86
	v_cndmask_b32_e64 v29, v29, v71, s[28:29]
	v_cndmask_b32_e64 v28, v28, v71, s[82:83]
	;; [unrolled: 1-line block ×16, first 2 shown]
	v_cmp_eq_u32_e64 s[40:41], 4, v86
	v_cndmask_b32_e64 v48, v48, v45, s[44:45]
	v_cndmask_b32_e64 v71, v71, v18, s[64:65]
	v_cndmask_b32_e64 v73, v73, v12, s[48:49]
	v_cndmask_b32_e64 v74, v74, v60, s[40:41]
	v_cmp_eq_u32_e64 s[84:85], 5, v86
	v_cndmask_b32_e64 v48, v48, v46, s[46:47]
	v_cndmask_b32_e64 v71, v71, v19, s[66:67]
	v_cndmask_b32_e64 v73, v73, v13, s[44:45]
	v_cndmask_b32_e64 v74, v74, v59, s[84:85]
	;; [unrolled: 5-line block ×3, first 2 shown]
	v_cmp_eq_u32_e64 s[78:79], 7, v86
	ds_bpermute_b32 v48, v99, v48
	v_cndmask_b32_e64 v71, v71, v21, s[60:61]
	v_cndmask_b32_e64 v73, v73, v15, s[42:43]
	;; [unrolled: 1-line block ×3, first 2 shown]
	v_cmp_eq_u32_e64 s[92:93], 8, v86
	v_cndmask_b32_e64 v71, v71, v22, s[58:59]
	ds_bpermute_b32 v73, v99, v73
	v_cndmask_b32_e64 v74, v74, v56, s[92:93]
	v_cmp_eq_u32_e64 s[18:19], 9, v86
	v_cndmask_b32_e64 v71, v71, v23, s[56:57]
	v_cmp_eq_u32_e64 s[16:17], 10, v86
	v_cndmask_b32_e64 v74, v74, v55, s[18:19]
	v_cndmask_b32_e64 v71, v71, v24, s[72:73]
	;; [unrolled: 1-line block ×3, first 2 shown]
	v_cmp_eq_u32_e64 s[14:15], 11, v86
	v_cndmask_b32_e64 v71, v71, v25, s[52:53]
	v_cmp_eq_u32_e64 s[12:13], 12, v86
	v_cndmask_b32_e64 v74, v74, v53, s[14:15]
	v_cndmask_b32_e64 v71, v71, v26, s[74:75]
	s_waitcnt lgkmcnt(1)
	v_cndmask_b32_e64 v33, v33, v48, s[70:71]
	v_cndmask_b32_e64 v32, v32, v48, s[50:51]
	;; [unrolled: 1-line block ×3, first 2 shown]
	v_cmp_eq_u32_e64 s[38:39], 13, v86
	v_cndmask_b32_e64 v71, v71, v27, s[54:55]
	v_cndmask_b32_e64 v47, v47, v48, s[42:43]
	;; [unrolled: 1-line block ×15, first 2 shown]
	s_waitcnt lgkmcnt(0)
	v_cndmask_b32_e64 v1, v1, v73, s[70:71]
	v_cndmask_b32_e64 v48, v32, v33, s[30:31]
	;; [unrolled: 1-line block ×4, first 2 shown]
	v_cmp_eq_u32_e64 s[8:9], 14, v86
	v_cndmask_b32_e64 v71, v71, v28, s[48:49]
	v_cndmask_b32_e64 v15, v15, v73, s[42:43]
	;; [unrolled: 1-line block ×18, first 2 shown]
	v_cmp_eq_u32_e64 s[6:7], 15, v86
	v_cndmask_b32_e64 v71, v71, v29, s[44:45]
	v_cndmask_b32_e64 v48, v48, v35, s[34:35]
	;; [unrolled: 1-line block ×7, first 2 shown]
	ds_bpermute_b32 v74, v99, v74
	v_cndmask_b32_e64 v71, v71, v31, s[42:43]
	v_cndmask_b32_e64 v48, v48, v37, s[84:85]
	;; [unrolled: 1-line block ×3, first 2 shown]
	ds_bpermute_b32 v71, v99, v71
	v_cndmask_b32_e64 v48, v48, v38, s[88:89]
	v_cndmask_b32_e64 v73, v73, v5, s[84:85]
	;; [unrolled: 1-line block ×6, first 2 shown]
	v_cmp_eq_u32_e64 s[10:11], 0, v86
	v_cndmask_b32_e64 v48, v48, v41, s[18:19]
	v_cndmask_b32_e64 v73, v73, v8, s[92:93]
	s_waitcnt lgkmcnt(1)
	v_cndmask_b32_e64 v63, v63, v74, s[30:31]
	v_cndmask_b32_e64 v70, v70, v74, s[10:11]
	v_cmp_eq_u32_e64 s[28:29], 1, v87
	v_cndmask_b32_e64 v48, v48, v42, s[16:17]
	v_cndmask_b32_e64 v73, v73, v9, s[18:19]
	;; [unrolled: 1-line block ×17, first 2 shown]
	s_waitcnt lgkmcnt(0)
	v_cndmask_b32_e64 v31, v31, v71, s[42:43]
	v_cmp_eq_u32_e64 s[42:43], 2, v87
	v_cndmask_b32_e64 v17, v17, v71, s[70:71]
	v_cndmask_b32_e64 v48, v48, v43, s[14:15]
	;; [unrolled: 1-line block ×6, first 2 shown]
	v_cmp_eq_u32_e64 s[46:47], 3, v87
	v_cndmask_b32_e64 v29, v29, v71, s[44:45]
	v_cndmask_b32_e64 v28, v28, v71, s[48:49]
	;; [unrolled: 1-line block ×16, first 2 shown]
	v_cmp_eq_u32_e64 s[44:45], 4, v87
	v_cndmask_b32_e64 v48, v48, v45, s[38:39]
	v_cndmask_b32_e64 v71, v71, v18, s[36:37]
	v_cndmask_b32_e64 v73, v73, v12, s[12:13]
	v_cndmask_b32_e64 v74, v74, v60, s[44:45]
	v_cmp_eq_u32_e64 s[48:49], 5, v87
	v_cndmask_b32_e64 v48, v48, v46, s[8:9]
	v_cndmask_b32_e64 v71, v71, v19, s[34:35]
	v_cndmask_b32_e64 v73, v73, v13, s[38:39]
	v_cndmask_b32_e64 v74, v74, v59, s[48:49]
	;; [unrolled: 5-line block ×3, first 2 shown]
	v_cmp_eq_u32_e64 s[68:69], 7, v87
	ds_bpermute_b32 v48, v99, v48
	v_cndmask_b32_e64 v71, v71, v21, s[84:85]
	v_cndmask_b32_e64 v73, v73, v15, s[6:7]
	;; [unrolled: 1-line block ×3, first 2 shown]
	v_cmp_eq_u32_e64 s[74:75], 8, v87
	v_cndmask_b32_e64 v71, v71, v22, s[88:89]
	ds_bpermute_b32 v73, v99, v73
	v_cndmask_b32_e64 v74, v74, v56, s[74:75]
	v_cmp_eq_u32_e64 s[72:73], 9, v87
	v_cndmask_b32_e64 v71, v71, v23, s[78:79]
	v_cmp_eq_u32_e64 s[76:77], 10, v87
	v_cndmask_b32_e64 v74, v74, v55, s[72:73]
	v_cndmask_b32_e64 v71, v71, v24, s[92:93]
	;; [unrolled: 1-line block ×3, first 2 shown]
	v_cmp_eq_u32_e64 s[80:81], 11, v87
	v_cndmask_b32_e64 v71, v71, v25, s[18:19]
	v_cmp_eq_u32_e64 s[60:61], 12, v87
	v_cndmask_b32_e64 v74, v74, v53, s[80:81]
	v_cndmask_b32_e64 v71, v71, v26, s[16:17]
	s_waitcnt lgkmcnt(1)
	v_cndmask_b32_e64 v33, v33, v48, s[30:31]
	v_cndmask_b32_e64 v32, v32, v48, s[10:11]
	;; [unrolled: 1-line block ×3, first 2 shown]
	v_cmp_eq_u32_e64 s[82:83], 13, v87
	v_cndmask_b32_e64 v71, v71, v27, s[14:15]
	v_cndmask_b32_e64 v34, v34, v48, s[36:37]
	s_waitcnt lgkmcnt(0)
	v_cndmask_b32_e64 v102, v1, v73, s[30:31]
	v_cndmask_b32_e64 v1, v32, v33, s[28:29]
	v_cndmask_b32_e64 v74, v74, v51, s[82:83]
	v_cmp_eq_u32_e64 s[86:87], 14, v87
	v_cndmask_b32_e64 v71, v71, v28, s[12:13]
	v_cndmask_b32_e64 v35, v35, v48, s[34:35]
	;; [unrolled: 1-line block ×4, first 2 shown]
	v_cmp_eq_u32_e64 s[90:91], 15, v87
	v_cndmask_b32_e64 v71, v71, v29, s[38:39]
	v_cndmask_b32_e64 v36, v36, v48, s[40:41]
	v_cndmask_b32_e64 v1, v1, v35, s[46:47]
	v_cndmask_b32_e64 v74, v74, v49, s[90:91]
	v_cndmask_b32_e64 v71, v71, v30, s[8:9]
	v_cndmask_b32_e64 v37, v37, v48, s[84:85]
	v_cndmask_b32_e64 v1, v1, v36, s[44:45]
	ds_bpermute_b32 v74, v99, v74
	v_cndmask_b32_e64 v71, v71, v31, s[6:7]
	v_cndmask_b32_e64 v38, v38, v48, s[88:89]
	;; [unrolled: 1-line block ×3, first 2 shown]
	ds_bpermute_b32 v71, v99, v71
	v_cndmask_b32_e64 v39, v39, v48, s[78:79]
	v_cndmask_b32_e64 v1, v1, v38, s[54:55]
	;; [unrolled: 1-line block ×6, first 2 shown]
	v_cmp_eq_u32_e64 s[52:53], 0, v87
	v_cndmask_b32_e64 v42, v42, v48, s[16:17]
	v_cndmask_b32_e64 v1, v1, v41, s[72:73]
	s_waitcnt lgkmcnt(1)
	v_cndmask_b32_e64 v63, v63, v74, s[28:29]
	v_cndmask_b32_e64 v70, v70, v74, s[52:53]
	v_cmp_eq_u32_e32 vcc, 1, v88
	v_cndmask_b32_e64 v43, v43, v48, s[14:15]
	v_cndmask_b32_e64 v1, v1, v42, s[76:77]
	;; [unrolled: 1-line block ×16, first 2 shown]
	v_cndmask_b32_e32 v74, v70, v63, vcc
	v_cndmask_b32_e64 v47, v47, v48, s[6:7]
	s_waitcnt lgkmcnt(0)
	v_cndmask_b32_e64 v31, v31, v71, s[6:7]
	v_cndmask_b32_e64 v15, v15, v73, s[6:7]
	v_cmp_eq_u32_e64 s[6:7], 2, v88
	v_cndmask_b32_e64 v44, v44, v48, s[12:13]
	v_cndmask_b32_e64 v1, v1, v43, s[80:81]
	;; [unrolled: 1-line block ×6, first 2 shown]
	v_cmp_eq_u32_e64 s[8:9], 3, v88
	v_cndmask_b32_e64 v45, v45, v48, s[38:39]
	v_cndmask_b32_e64 v1, v1, v44, s[60:61]
	;; [unrolled: 1-line block ×5, first 2 shown]
	v_cmp_eq_u32_e64 s[38:39], 4, v88
	v_cndmask_b32_e64 v1, v1, v45, s[82:83]
	v_cmp_eq_u32_e64 s[50:51], 5, v88
	v_cndmask_b32_e64 v74, v74, v60, s[38:39]
	v_cndmask_b32_e64 v1, v1, v46, s[86:87]
	v_cndmask_b32_e64 v12, v12, v73, s[12:13]
	v_cndmask_b32_e64 v74, v74, v59, s[50:51]
	v_cndmask_b32_e64 v11, v11, v73, s[14:15]
	v_cmp_eq_u32_e64 s[56:57], 6, v88
	v_cndmask_b32_e64 v10, v10, v73, s[16:17]
	v_cndmask_b32_e64 v9, v9, v73, s[18:19]
	v_cndmask_b32_e64 v8, v8, v73, s[92:93]
	v_cndmask_b32_e64 v7, v7, v73, s[78:79]
	v_cndmask_b32_e64 v6, v6, v73, s[88:89]
	v_cndmask_b32_e64 v5, v5, v73, s[84:85]
	v_cndmask_b32_e64 v4, v4, v73, s[40:41]
	v_cndmask_b32_e64 v3, v3, v73, s[34:35]
	v_cndmask_b32_e64 v2, v2, v73, s[36:37]
	v_cndmask_b32_e64 v101, v17, v71, s[30:31]
	v_cndmask_b32_e64 v1, v1, v47, s[90:91]
	v_cndmask_b32_e64 v16, v16, v71, s[10:11]
	v_cndmask_b32_e64 v73, v0, v73, s[10:11]
	v_cndmask_b32_e64 v74, v74, v58, s[56:57]
	v_cmp_eq_u32_e64 s[58:59], 7, v88
	v_cndmask_b32_e64 v18, v18, v71, s[36:37]
	ds_bpermute_b32 v48, v99, v1
	v_cndmask_b32_e64 v1, v16, v101, s[28:29]
	v_cndmask_b32_e64 v0, v73, v102, s[28:29]
	;; [unrolled: 1-line block ×3, first 2 shown]
	v_cmp_eq_u32_e64 s[64:65], 8, v88
	v_cndmask_b32_e64 v19, v19, v71, s[34:35]
	v_cndmask_b32_e64 v1, v1, v18, s[42:43]
	v_cndmask_b32_e64 v0, v0, v2, s[42:43]
	v_cndmask_b32_e64 v74, v74, v56, s[64:65]
	v_cmp_eq_u32_e64 s[70:71], 9, v88
	v_cndmask_b32_e64 v20, v20, v71, s[40:41]
	v_cndmask_b32_e64 v1, v1, v19, s[46:47]
	v_cndmask_b32_e64 v0, v0, v3, s[46:47]
	v_cndmask_b32_e64 v74, v74, v55, s[70:71]
	v_cndmask_b32_e64 v23, v23, v71, s[78:79]
	v_cmp_eq_u32_e64 s[78:79], 10, v88
	v_cndmask_b32_e64 v21, v21, v71, s[84:85]
	;; [unrolled: 6-line block ×3, first 2 shown]
	v_cndmask_b32_e64 v0, v0, v5, s[48:49]
	v_cndmask_b32_e64 v74, v74, v53, s[66:67]
	v_cmp_eq_u32_e64 s[62:63], 12, v88
	v_cndmask_b32_e64 v1, v1, v22, s[54:55]
	v_cndmask_b32_e64 v0, v0, v6, s[54:55]
	v_cndmask_b32_e64 v24, v24, v71, s[92:93]
	v_cndmask_b32_e64 v74, v74, v52, s[62:63]
	v_cmp_eq_u32_e64 s[84:85], 13, v88
	v_cndmask_b32_e64 v1, v1, v23, s[68:69]
	v_cndmask_b32_e64 v0, v0, v7, s[68:69]
	v_cndmask_b32_e64 v25, v25, v71, s[18:19]
	v_cndmask_b32_e64 v74, v74, v51, s[84:85]
	v_cmp_eq_u32_e64 s[88:89], 14, v88
	v_cndmask_b32_e64 v1, v1, v24, s[74:75]
	v_cndmask_b32_e64 v0, v0, v8, s[74:75]
	v_cndmask_b32_e64 v26, v26, v71, s[16:17]
	v_cndmask_b32_e64 v74, v74, v50, s[88:89]
	v_cmp_eq_u32_e64 s[92:93], 15, v88
	v_cndmask_b32_e64 v1, v1, v25, s[72:73]
	v_cndmask_b32_e64 v0, v0, v9, s[72:73]
	v_cndmask_b32_e64 v27, v27, v71, s[14:15]
	v_cndmask_b32_e64 v74, v74, v49, s[92:93]
	;; [unrolled: 1-line block ×5, first 2 shown]
	ds_bpermute_b32 v74, v99, v74
	v_cndmask_b32_e64 v1, v1, v27, s[80:81]
	v_cndmask_b32_e64 v0, v0, v11, s[80:81]
	;; [unrolled: 1-line block ×8, first 2 shown]
	v_cmp_eq_u32_e64 s[94:95], 0, v88
	v_cndmask_b32_e64 v1, v1, v31, s[90:91]
	v_cndmask_b32_e64 v0, v0, v15, s[90:91]
	s_waitcnt lgkmcnt(0)
	v_cndmask_b32_e64 v49, v49, v74, s[92:93]
	v_cndmask_b32_e64 v50, v50, v74, s[88:89]
	v_cndmask_b32_e64 v51, v51, v74, s[84:85]
	v_cndmask_b32_e64 v52, v52, v74, s[62:63]
	v_cndmask_b32_e64 v53, v53, v74, s[66:67]
	v_cndmask_b32_e64 v54, v54, v74, s[78:79]
	v_cndmask_b32_e64 v75, v55, v74, s[70:71]
	v_cndmask_b32_e64 v76, v56, v74, s[64:65]
	v_cndmask_b32_e64 v77, v57, v74, s[58:59]
	v_cndmask_b32_e64 v58, v58, v74, s[56:57]
	v_cndmask_b32_e64 v59, v59, v74, s[50:51]
	v_cndmask_b32_e64 v60, v60, v74, s[38:39]
	v_cndmask_b32_e64 v61, v61, v74, s[8:9]
	v_cndmask_b32_e64 v62, v62, v74, s[6:7]
	v_cndmask_b32_e32 v63, v63, v74, vcc
	v_cndmask_b32_e64 v70, v70, v74, s[94:95]
	ds_bpermute_b32 v71, v99, v1
	ds_bpermute_b32 v74, v99, v0
	v_cndmask_b32_e64 v57, v35, v48, s[46:47]
	v_cndmask_b32_e64 v93, v36, v48, s[44:45]
	;; [unrolled: 1-line block ×3, first 2 shown]
	s_waitcnt lgkmcnt(1)
	v_cndmask_b32_e64 v107, v29, v71, s[82:83]
	s_waitcnt lgkmcnt(0)
	v_cndmask_b32_e64 v110, v12, v74, s[60:61]
	v_cndmask_b32_e64 v12, v33, v48, s[28:29]
	;; [unrolled: 1-line block ×7, first 2 shown]
	v_cndmask_b32_e32 v19, v29, v12, vcc
	v_cndmask_b32_e64 v19, v19, v4, s[6:7]
	v_cndmask_b32_e64 v19, v19, v57, s[8:9]
	v_cndmask_b32_e64 v19, v19, v93, s[38:39]
	v_cndmask_b32_e64 v123, v38, v48, s[54:55]
	v_cndmask_b32_e64 v19, v19, v126, s[50:51]
	v_cndmask_b32_e64 v120, v39, v48, s[68:69]
	v_cndmask_b32_e64 v19, v19, v123, s[56:57]
	v_cndmask_b32_e64 v117, v40, v48, s[74:75]
	v_cndmask_b32_e64 v19, v19, v120, s[58:59]
	v_cndmask_b32_e64 v41, v41, v48, s[72:73]
	v_cndmask_b32_e64 v19, v19, v117, s[64:65]
	v_cndmask_b32_e64 v42, v42, v48, s[76:77]
	v_cndmask_b32_e64 v19, v19, v41, s[70:71]
	v_cndmask_b32_e64 v43, v43, v48, s[80:81]
	v_cndmask_b32_e64 v19, v19, v42, s[78:79]
	v_cndmask_b32_e64 v44, v44, v48, s[60:61]
	v_cndmask_b32_e64 v19, v19, v43, s[66:67]
	v_cndmask_b32_e64 v45, v45, v48, s[82:83]
	v_cndmask_b32_e64 v19, v19, v44, s[62:63]
	v_cndmask_b32_e64 v46, v46, v48, s[86:87]
	v_cndmask_b32_e64 v19, v19, v45, s[84:85]
	v_cndmask_b32_e64 v47, v47, v48, s[90:91]
	v_cndmask_b32_e64 v19, v19, v46, s[88:89]
	v_cndmask_b32_e64 v108, v13, v74, s[82:83]
	v_cndmask_b32_e64 v13, v101, v71, s[28:29]
	v_cndmask_b32_e64 v19, v19, v47, s[92:93]
	v_cndmask_b32_e64 v16, v16, v71, s[52:53]
	v_cndmask_b32_e64 v105, v30, v71, s[86:87]
	v_cndmask_b32_e64 v92, v5, v74, s[48:49]
	v_cndmask_b32_e64 v5, v18, v71, s[42:43]
	ds_bpermute_b32 v30, v99, v19
	v_cndmask_b32_e32 v19, v16, v13, vcc
	v_cndmask_b32_e64 v19, v19, v5, s[6:7]
	v_cndmask_b32_e64 v55, v20, v71, s[44:45]
	;; [unrolled: 1-line block ×17, first 2 shown]
	v_cmp_eq_u32_e64 s[10:11], 1, v89
	v_cndmask_b32_e64 v109, v28, v71, s[60:61]
	v_cndmask_b32_e64 v19, v19, v111, s[66:67]
	;; [unrolled: 1-line block ×3, first 2 shown]
	v_cmp_eq_u32_e64 s[12:13], 2, v89
	v_cndmask_b32_e64 v19, v19, v109, s[62:63]
	v_cmp_eq_u32_e64 s[14:15], 3, v89
	v_cndmask_b32_e64 v0, v0, v62, s[12:13]
	v_cndmask_b32_e64 v19, v19, v107, s[84:85]
	;; [unrolled: 1-line block ×4, first 2 shown]
	v_cmp_eq_u32_e64 s[16:17], 4, v89
	v_cndmask_b32_e64 v19, v19, v105, s[88:89]
	v_cndmask_b32_e64 v106, v14, v74, s[86:87]
	;; [unrolled: 1-line block ×3, first 2 shown]
	v_cmp_eq_u32_e64 s[18:19], 5, v89
	v_cndmask_b32_e64 v14, v102, v74, s[28:29]
	v_cndmask_b32_e64 v19, v19, v103, s[92:93]
	;; [unrolled: 1-line block ×5, first 2 shown]
	v_cmp_eq_u32_e64 s[80:81], 6, v89
	v_cndmask_b32_e64 v125, v6, v74, s[54:55]
	v_cndmask_b32_e64 v6, v2, v74, s[42:43]
	ds_bpermute_b32 v20, v99, v19
	v_cndmask_b32_e32 v19, v21, v14, vcc
	v_cndmask_b32_e64 v0, v0, v58, s[80:81]
	v_cndmask_b32_e64 v114, v10, v74, s[76:77]
	v_cmp_eq_u32_e64 s[76:77], 7, v89
	v_cndmask_b32_e64 v3, v3, v74, s[46:47]
	v_cndmask_b32_e64 v19, v19, v6, s[6:7]
	;; [unrolled: 1-line block ×4, first 2 shown]
	v_cmp_eq_u32_e64 s[72:73], 8, v89
	v_cndmask_b32_e64 v19, v19, v3, s[8:9]
	v_cmp_eq_u32_e64 s[30:31], 9, v89
	v_cndmask_b32_e64 v0, v0, v76, s[72:73]
	v_cndmask_b32_e64 v19, v19, v56, s[38:39]
	v_cndmask_b32_e64 v0, v0, v75, s[30:31]
	v_cmp_eq_u32_e64 s[34:35], 10, v89
	v_cndmask_b32_e64 v19, v19, v92, s[50:51]
	v_cndmask_b32_e64 v122, v7, v74, s[68:69]
	;; [unrolled: 4-line block ×3, first 2 shown]
	v_cndmask_b32_e64 v0, v0, v53, s[36:37]
	v_cmp_eq_u32_e64 s[40:41], 12, v89
	v_cndmask_b32_e64 v19, v19, v122, s[58:59]
	v_cmp_eq_u32_e64 s[44:45], 13, v89
	v_cndmask_b32_e64 v0, v0, v52, s[40:41]
	v_cndmask_b32_e64 v19, v19, v119, s[64:65]
	;; [unrolled: 1-line block ×3, first 2 shown]
	v_cmp_eq_u32_e64 s[46:47], 14, v89
	v_cndmask_b32_e64 v19, v19, v116, s[70:71]
	v_cmp_eq_u32_e64 s[42:43], 15, v89
	v_cndmask_b32_e64 v0, v0, v50, s[46:47]
	v_cndmask_b32_e64 v19, v19, v114, s[78:79]
	;; [unrolled: 1-line block ×4, first 2 shown]
	ds_bpermute_b32 v0, v99, v0
	v_cndmask_b32_e64 v19, v19, v110, s[62:63]
	v_cndmask_b32_e64 v19, v19, v108, s[84:85]
	;; [unrolled: 1-line block ×4, first 2 shown]
	v_cmp_eq_u32_e64 s[28:29], 0, v89
	ds_bpermute_b32 v28, v99, v19
	s_waitcnt lgkmcnt(1)
	v_cndmask_b32_e64 v7, v49, v0, s[42:43]
	v_cndmask_b32_e64 v8, v50, v0, s[46:47]
	;; [unrolled: 1-line block ×16, first 2 shown]
	v_cmp_eq_u32_e64 s[48:49], 1, v90
	v_cmp_eq_u32_e64 s[52:53], 2, v90
	;; [unrolled: 1-line block ×3, first 2 shown]
	v_cndmask_b32_e64 v33, v0, v18, s[48:49]
	v_cndmask_b32_e64 v34, v33, v17, s[52:53]
	v_cndmask_b32_e64 v35, v34, v2, s[54:55]
	v_cmp_eq_u32_e64 s[60:61], 4, v90
	v_cndmask_b32_e64 v58, v44, v30, s[62:63]
	v_cndmask_b32_e64 v38, v109, v20, s[62:63]
	v_cndmask_b32_e64 v39, v35, v1, s[60:61]
	s_waitcnt lgkmcnt(0)
	v_cndmask_b32_e64 v35, v110, v28, s[62:63]
	v_cmp_eq_u32_e64 s[62:63], 5, v90
	v_cndmask_b32_e64 v59, v43, v30, s[66:67]
	v_cndmask_b32_e64 v48, v112, v28, s[66:67]
	;; [unrolled: 1-line block ×4, first 2 shown]
	v_cmp_eq_u32_e64 s[66:67], 6, v90
	v_cmp_eq_u32_e64 s[68:69], 7, v90
	v_cndmask_b32_e64 v60, v42, v30, s[78:79]
	v_cndmask_b32_e64 v43, v40, v26, s[66:67]
	v_cndmask_b32_e64 v42, v43, v25, s[68:69]
	v_cndmask_b32_e64 v61, v41, v30, s[70:71]
	v_cndmask_b32_e64 v41, v115, v20, s[70:71]
	v_cndmask_b32_e64 v50, v116, v28, s[70:71]
	v_cmp_eq_u32_e64 s[70:71], 8, v90
	v_cndmask_b32_e64 v62, v117, v30, s[64:65]
	v_cndmask_b32_e64 v51, v119, v28, s[64:65]
	v_cndmask_b32_e64 v43, v42, v24, s[70:71]
	v_cndmask_b32_e64 v42, v118, v20, s[64:65]
	v_cmp_eq_u32_e64 s[64:65], 9, v90
	v_cndmask_b32_e64 v63, v120, v30, s[58:59]
	v_cndmask_b32_e64 v52, v122, v28, s[58:59]
	v_cndmask_b32_e64 v44, v43, v23, s[64:65]
	v_cndmask_b32_e64 v43, v121, v20, s[58:59]
	;; [unrolled: 5-line block ×3, first 2 shown]
	v_cndmask_b32_e64 v44, v124, v20, s[56:57]
	v_cndmask_b32_e64 v53, v125, v28, s[56:57]
	v_cmp_eq_u32_e64 s[56:57], 11, v90
	v_cndmask_b32_e64 v73, v126, v30, s[50:51]
	v_cndmask_b32_e64 v54, v92, v28, s[50:51]
	v_cndmask_b32_e64 v71, v45, v11, s[56:57]
	v_cndmask_b32_e64 v45, v91, v20, s[50:51]
	v_cmp_eq_u32_e64 s[50:51], 12, v90
	v_cndmask_b32_e64 v74, v93, v30, s[38:39]
	v_cndmask_b32_e64 v75, v55, v20, s[38:39]
	;; [unrolled: 5-line block ×4, first 2 shown]
	v_cndmask_b32_e64 v3, v56, v8, s[8:9]
	v_cndmask_b32_e64 v56, v4, v30, s[6:7]
	v_cmp_eq_u32_e64 s[6:7], 15, v90
	v_cndmask_b32_e32 v93, v12, v30, vcc
	v_cndmask_b32_e64 v46, v46, v30, s[88:89]
	v_cndmask_b32_e64 v3, v3, v7, s[6:7]
	ds_bpermute_b32 v92, v99, v3
	v_cndmask_b32_e32 v101, v13, v20, vcc
	v_cndmask_b32_e32 v102, v14, v28, vcc
	v_cndmask_b32_e64 v16, v16, v20, s[94:95]
	v_cndmask_b32_e64 v40, v113, v20, s[78:79]
	s_waitcnt lgkmcnt(0)
	v_cndmask_b32_e64 v12, v10, v92, s[50:51]
	v_cndmask_b32_e64 v10, v22, v92, s[58:59]
	;; [unrolled: 1-line block ×20, first 2 shown]
	ds_bpermute_b32 v23, v99, v3
	v_cndmask_b32_e64 v6, v26, v92, s[66:67]
	v_cndmask_b32_e64 v4, v1, v92, s[60:61]
	;; [unrolled: 1-line block ×4, first 2 shown]
	s_waitcnt lgkmcnt(0)
	v_cndmask_b32_e64 v18, v46, v23, s[46:47]
	v_cndmask_b32_e64 v26, v59, v23, s[36:37]
	;; [unrolled: 1-line block ×36, first 2 shown]
	ds_bpermute_b32 v73, v99, v22
	v_cndmask_b32_e64 v37, v107, v20, s[84:85]
	v_cndmask_b32_e64 v36, v105, v20, s[88:89]
	;; [unrolled: 1-line block ×3, first 2 shown]
	v_cmp_eq_u32_e32 vcc, 0, v90
	s_waitcnt lgkmcnt(0)
	v_cndmask_b32_e64 v31, v17, v73, s[6:7]
	v_cndmask_b32_e64 v17, v16, v101, s[10:11]
	;; [unrolled: 1-line block ×16, first 2 shown]
	ds_bpermute_b32 v17, v99, v17
	v_cndmask_b32_e64 v11, v11, v92, s[56:57]
	v_cndmask_b32_e64 v5, v27, v92, s[62:63]
	v_cndmask_b32_e32 v0, v0, v92, vcc
	v_cndmask_b32_e64 v20, v62, v73, s[60:61]
	s_waitcnt lgkmcnt(0)
	v_cndmask_b32_e64 v62, v75, v17, s[16:17]
	v_cndmask_b32_e64 v75, v77, v17, s[12:13]
	;; [unrolled: 1-line block ×39, first 2 shown]
	ds_bpermute_b32 v93, v99, v16
	v_cndmask_b32_e64 v32, v104, v28, s[92:93]
	v_cndmask_b32_e64 v33, v106, v28, s[88:89]
	;; [unrolled: 1-line block ×6, first 2 shown]
	s_waitcnt lgkmcnt(0)
	v_cndmask_b32_e64 v47, v46, v93, s[6:7]
	v_cndmask_b32_e64 v46, v36, v93, s[8:9]
	;; [unrolled: 1-line block ×19, first 2 shown]
	ds_bpermute_b32 v56, v99, v36
	v_cndmask_b32_e64 v19, v57, v73, s[54:55]
	v_cndmask_b32_e64 v17, v63, v73, s[48:49]
	v_cndmask_b32_e32 v16, v70, v73, vcc
	v_cndmask_b32_e64 v44, v38, v93, s[50:51]
	s_waitcnt lgkmcnt(0)
	v_cndmask_b32_e64 v101, v102, v56, s[10:11]
	v_cndmask_b32_e64 v74, v74, v56, s[28:29]
	;; [unrolled: 1-line block ×36, first 2 shown]
	ds_bpermute_b32 v102, v99, v32
	v_cndmask_b32_e64 v36, v62, v93, s[60:61]
	v_cndmask_b32_e64 v33, v77, v93, s[48:49]
	v_readlane_b32 s18, v127, 10
	v_readlane_b32 s28, v127, 12
	s_waitcnt lgkmcnt(0)
	v_cndmask_b32_e64 v63, v57, v102, s[6:7]
	v_readlane_b32 s6, v127, 28
	v_cndmask_b32_e64 v62, v58, v102, s[8:9]
	v_cndmask_b32_e64 v58, v49, v102, s[58:59]
	;; [unrolled: 1-line block ×3, first 2 shown]
	v_readlane_b32 s7, v127, 29
	v_readlane_b32 s34, v127, 17
	v_readlane_b32 s46, v127, 25
	v_readlane_b32 s48, v127, 23
	v_subrev_u32_e32 v100, s4, v100
	s_mov_b32 s1, 0
	v_cndmask_b32_e64 v45, v37, v93, s[38:39]
	v_cndmask_b32_e64 v41, v41, v93, s[64:65]
	v_cndmask_b32_e64 v37, v61, v93, s[62:63]
	v_cndmask_b32_e64 v35, v71, v93, s[54:55]
	v_cndmask_b32_e64 v34, v75, v93, s[52:53]
	v_cndmask_b32_e32 v32, v92, v93, vcc
	v_cndmask_b32_e64 v61, v59, v102, s[38:39]
	v_cndmask_b32_e64 v60, v60, v102, s[50:51]
	;; [unrolled: 1-line block ×11, first 2 shown]
	v_cndmask_b32_e32 v48, v74, v102, vcc
	v_lshl_add_u64 v[70:71], s[6:7], 0, v[64:65]
	s_mov_b64 s[6:7], 0
	s_mov_b32 s5, 0
	v_readlane_b32 s19, v127, 11
	v_readlane_b32 s29, v127, 13
	;; [unrolled: 1-line block ×9, first 2 shown]
	s_mov_b64 s[40:41], 0x80
	s_mov_b64 s[42:43], 0xc0
	v_readlane_b32 s44, v127, 27
	v_readlane_b32 s47, v127, 26
	;; [unrolled: 1-line block ×3, first 2 shown]
                                        ; implicit-def: $sgpr8_sgpr9
	s_branch .LBB365_32
.LBB365_30:                             ;   in Loop: Header=BB365_32 Depth=2
	s_or_b64 exec, exec, s[12:13]
	s_andn2_b64 s[8:9], s[8:9], exec
	s_and_b64 s[12:13], s[14:15], exec
	s_or_b64 s[8:9], s[8:9], s[12:13]
.LBB365_31:                             ;   in Loop: Header=BB365_32 Depth=2
	s_or_b64 exec, exec, s[10:11]
	s_and_b64 s[10:11], exec, s[8:9]
	s_or_b64 s[6:7], s[10:11], s[6:7]
	s_andn2_b64 exec, exec, s[6:7]
	s_cbranch_execz .LBB365_35
.LBB365_32:                             ;   Parent Loop BB365_7 Depth=1
                                        ; =>  This Inner Loop Header: Depth=2
	s_and_b32 s12, s1, 24
	v_or_b32_e32 v73, s12, v97
	v_add_u32_e32 v74, s96, v73
	v_cmp_gt_u32_e32 vcc, 32, v74
	s_or_b64 s[8:9], s[8:9], exec
	s_and_saveexec_b64 s[10:11], vcc
	s_cbranch_execz .LBB365_31
; %bb.33:                               ;   in Loop: Header=BB365_32 Depth=2
	s_add_i32 s13, s5, 1
	s_set_gpr_idx_on s5, gpr_idx(SRC0)
	v_mov_b32_e32 v74, v0
	s_set_gpr_idx_off
	v_cvt_f16_f32_e32 v76, v74
	s_set_gpr_idx_on s13, gpr_idx(SRC0)
	v_mov_b32_e32 v74, v0
	s_set_gpr_idx_off
	v_cvt_f16_f32_sdwa v77, v74 dst_sel:WORD_1 dst_unused:UNUSED_PAD src0_sel:DWORD
	v_mul_lo_u32 v74, v73, s21
	v_ashrrev_i32_e32 v75, 31, v74
	v_lshl_add_u64 v[74:75], v[74:75], 1, v[70:71]
	v_or_b32_e32 v73, v77, v76
	;;#ASMSTART
	global_atomic_pk_add_f16 v[74:75], v73, off
	
	;;#ASMEND
	s_set_gpr_idx_on s5, gpr_idx(SRC0)
	v_mov_b32_e32 v73, v16
	s_set_gpr_idx_off
	v_cvt_f16_f32_e32 v73, v73
	s_set_gpr_idx_on s13, gpr_idx(SRC0)
	v_mov_b32_e32 v76, v16
	s_set_gpr_idx_off
	v_cvt_f16_f32_sdwa v91, v76 dst_sel:WORD_1 dst_unused:UNUSED_PAD src0_sel:DWORD
	v_lshl_add_u64 v[76:77], v[74:75], 0, 64
	s_mov_b64 s[14:15], -1
	v_or_b32_e32 v73, v91, v73
	;;#ASMSTART
	global_atomic_pk_add_f16 v[76:77], v73, off
	
	;;#ASMEND
	s_set_gpr_idx_on s5, gpr_idx(SRC0)
	v_mov_b32_e32 v73, v32
	s_set_gpr_idx_off
	v_cvt_f16_f32_e32 v73, v73
	s_set_gpr_idx_on s13, gpr_idx(SRC0)
	v_mov_b32_e32 v76, v32
	s_set_gpr_idx_off
	v_cvt_f16_f32_sdwa v91, v76 dst_sel:WORD_1 dst_unused:UNUSED_PAD src0_sel:DWORD
	v_lshl_add_u64 v[76:77], v[74:75], 0, s[40:41]
	v_lshl_add_u64 v[74:75], v[74:75], 0, s[42:43]
	v_or_b32_e32 v73, v91, v73
	;;#ASMSTART
	global_atomic_pk_add_f16 v[76:77], v73, off
	
	;;#ASMEND
	s_set_gpr_idx_on s5, gpr_idx(SRC0)
	v_mov_b32_e32 v73, v48
	s_set_gpr_idx_off
	v_cvt_f16_f32_e32 v73, v73
	s_set_gpr_idx_on s13, gpr_idx(SRC0)
	v_mov_b32_e32 v76, v48
	s_set_gpr_idx_off
	v_cvt_f16_f32_sdwa v76, v76 dst_sel:WORD_1 dst_unused:UNUSED_PAD src0_sel:DWORD
	s_nop 0
	v_or_b32_e32 v73, v76, v73
	;;#ASMSTART
	global_atomic_pk_add_f16 v[74:75], v73, off
	
	;;#ASMEND
	v_or_b32_e32 v73, s12, v98
	v_add_u32_e32 v74, s96, v73
	v_cmp_gt_u32_e32 vcc, 32, v74
	s_and_saveexec_b64 s[12:13], vcc
	s_cbranch_execz .LBB365_30
; %bb.34:                               ;   in Loop: Header=BB365_32 Depth=2
	s_add_i32 s14, s5, 2
	s_add_i32 s15, s5, 3
	s_set_gpr_idx_on s14, gpr_idx(SRC0)
	v_mov_b32_e32 v74, v0
	s_set_gpr_idx_off
	v_cvt_f16_f32_e32 v76, v74
	s_set_gpr_idx_on s15, gpr_idx(SRC0)
	v_mov_b32_e32 v74, v0
	s_set_gpr_idx_off
	v_cvt_f16_f32_sdwa v77, v74 dst_sel:WORD_1 dst_unused:UNUSED_PAD src0_sel:DWORD
	v_mul_lo_u32 v74, v73, s21
	v_ashrrev_i32_e32 v75, 31, v74
	v_lshl_add_u64 v[74:75], v[74:75], 1, v[70:71]
	v_or_b32_e32 v73, v77, v76
	;;#ASMSTART
	global_atomic_pk_add_f16 v[74:75], v73, off
	
	;;#ASMEND
	s_set_gpr_idx_on s14, gpr_idx(SRC0)
	v_mov_b32_e32 v73, v16
	s_set_gpr_idx_off
	v_cvt_f16_f32_e32 v73, v73
	s_set_gpr_idx_on s15, gpr_idx(SRC0)
	v_mov_b32_e32 v76, v16
	s_set_gpr_idx_off
	v_cvt_f16_f32_sdwa v91, v76 dst_sel:WORD_1 dst_unused:UNUSED_PAD src0_sel:DWORD
	v_lshl_add_u64 v[76:77], v[74:75], 0, 64
	s_add_i32 s5, s5, 4
	s_add_i32 s1, s1, 8
	v_or_b32_e32 v73, v91, v73
	;;#ASMSTART
	global_atomic_pk_add_f16 v[76:77], v73, off
	
	;;#ASMEND
	s_set_gpr_idx_on s14, gpr_idx(SRC0)
	v_mov_b32_e32 v73, v32
	s_set_gpr_idx_off
	v_cvt_f16_f32_e32 v73, v73
	s_set_gpr_idx_on s15, gpr_idx(SRC0)
	v_mov_b32_e32 v76, v32
	s_set_gpr_idx_off
	v_cvt_f16_f32_sdwa v91, v76 dst_sel:WORD_1 dst_unused:UNUSED_PAD src0_sel:DWORD
	v_lshl_add_u64 v[76:77], v[74:75], 0, s[40:41]
	s_cmp_eq_u32 s5, 16
	v_lshl_add_u64 v[74:75], v[74:75], 0, s[42:43]
	v_or_b32_e32 v73, v91, v73
	;;#ASMSTART
	global_atomic_pk_add_f16 v[76:77], v73, off
	
	;;#ASMEND
	s_set_gpr_idx_on s14, gpr_idx(SRC0)
	v_mov_b32_e32 v73, v48
	s_set_gpr_idx_off
	v_cvt_f16_f32_e32 v73, v73
	s_set_gpr_idx_on s15, gpr_idx(SRC0)
	v_mov_b32_e32 v76, v48
	s_set_gpr_idx_off
	v_cvt_f16_f32_sdwa v76, v76 dst_sel:WORD_1 dst_unused:UNUSED_PAD src0_sel:DWORD
	s_cselect_b64 s[14:15], -1, 0
	s_orn2_b64 s[14:15], s[14:15], exec
	v_or_b32_e32 v73, v76, v73
	;;#ASMSTART
	global_atomic_pk_add_f16 v[74:75], v73, off
	
	;;#ASMEND
	s_branch .LBB365_30
.LBB365_35:                             ;   in Loop: Header=BB365_7 Depth=1
	s_or_b64 exec, exec, s[6:7]
	v_readlane_b32 s72, v127, 2
	v_readlane_b32 s12, v127, 0
	v_readlane_b32 s14, v127, 1
	v_readlane_b32 s73, v127, 3
	v_readlane_b32 s74, v127, 4
	v_readlane_b32 s75, v127, 5
	v_readlane_b32 s76, v127, 6
	v_readlane_b32 s77, v127, 7
	v_readlane_b32 s78, v127, 8
	v_readlane_b32 s79, v127, 9
	v_readlane_b32 s15, v127, 14
.LBB365_36:                             ;   in Loop: Header=BB365_7 Depth=1
	s_or_b64 exec, exec, s[48:49]
.LBB365_37:                             ;   in Loop: Header=BB365_7 Depth=1
	s_andn2_saveexec_b64 s[2:3], s[2:3]
	s_cbranch_execz .LBB365_46
; %bb.38:                               ;   in Loop: Header=BB365_7 Depth=1
	s_lshl_b32 s5, s4, 2
	v_cmp_gt_i32_e32 vcc, s5, v100
	s_and_saveexec_b64 s[6:7], vcc
	s_cbranch_execz .LBB365_45
; %bb.39:                               ;   in Loop: Header=BB365_7 Depth=1
	s_mul_i32 s0, s0, s23
	s_ashr_i32 s1, s0, 31
	s_add_u32 s0, s74, s0
	s_addc_u32 s1, s75, s1
	s_ashr_i32 s8, s44, 31
	s_add_u32 s0, s0, s44
	s_addc_u32 s1, s1, s8
	v_lshl_add_u64 v[0:1], s[0:1], 0, v[68:69]
	v_lshl_add_u64 v[8:9], v[0:1], 0, v[66:67]
	s_mov_b64 s[0:1], 0
	s_branch .LBB365_41
.LBB365_40:                             ;   in Loop: Header=BB365_41 Depth=2
	s_or_b64 exec, exec, s[8:9]
	v_lshl_add_u32 v12, v10, 11, v94
	;;#ASMSTART
	s_waitcnt vmcnt(1)
	;;#ASMEND
	ds_write2_b32 v12, v4, v5 offset1:32
	ds_write2_b32 v12, v6, v7 offset0:64 offset1:96
	v_add_u32_e32 v4, 0x400, v12
	v_add_u32_e32 v100, s26, v100
	;;#ASMSTART
	s_waitcnt vmcnt(0)
	;;#ASMEND
	ds_write2_b32 v4, v0, v1 offset1:32
	ds_write2_b32 v4, v2, v3 offset0:64 offset1:96
	v_add_u32_e32 v0, 1, v79
	v_add_u32_e32 v72, s26, v10
	v_cmp_le_i32_e32 vcc, s5, v100
	ds_write_b32 v11, v0 offset:48
	v_add_u32_e32 v0, 2, v79
	s_or_b64 s[0:1], vcc, s[0:1]
	v_cmp_lt_i32_e32 vcc, 11, v72
	s_nop 1
	v_cndmask_b32_e32 v79, v79, v0, vcc
	s_andn2_b64 exec, exec, s[0:1]
	s_cbranch_execz .LBB365_44
.LBB365_41:                             ;   Parent Loop BB365_7 Depth=1
                                        ; =>  This Loop Header: Depth=2
                                        ;       Child Loop BB365_43 Depth 3
	v_cmp_gt_i32_e32 vcc, 12, v72
	s_nop 1
	v_cndmask_b32_e64 v0, -12, 0, vcc
	v_add_u32_e32 v10, v0, v72
	v_ashrrev_i32_e32 v0, 31, v100
	v_lshrrev_b32_e32 v0, 30, v0
	v_add_u32_e32 v0, v100, v0
	v_and_b32_e32 v1, -4, v0
	v_lshlrev_b32_e32 v0, 4, v0
	v_sub_u32_e32 v2, v100, v1
	v_and_b32_e32 v0, 0xffffffc0, v0
	v_ashrrev_i32_e32 v1, 31, v0
	v_mul_lo_u32 v2, s24, v2
	v_lshl_add_u64 v[0:1], v[8:9], 0, v[0:1]
	v_ashrrev_i32_e32 v3, 31, v2
	v_lshl_add_u64 v[0:1], v[0:1], 0, v[2:3]
	v_lshlrev_b32_e32 v11, 2, v10
	;;#ASMSTART
	global_load_dwordx4 v[4:7], v[0:1], off offset:0   sc0 sc1 nt  
	global_load_dwordx4 v[0:3], v[0:1], off offset:32  sc0 sc1 nt  
	
	;;#ASMEND
	ds_read_b32 v12, v11 offset:49200
	v_add_u32_e32 v11, 0xc000, v11
	s_waitcnt lgkmcnt(0)
	v_cmp_ne_u32_e32 vcc, v12, v79
	s_and_saveexec_b64 s[8:9], vcc
	s_cbranch_execz .LBB365_40
; %bb.42:                               ;   in Loop: Header=BB365_41 Depth=2
	s_mov_b64 s[10:11], 0
.LBB365_43:                             ;   Parent Loop BB365_7 Depth=1
                                        ;     Parent Loop BB365_41 Depth=2
                                        ; =>    This Inner Loop Header: Depth=3
	;;#ASMSTART
	s_sleep 0
	;;#ASMEND
	ds_read_b32 v12, v11 offset:48
	s_waitcnt lgkmcnt(0)
	v_cmp_eq_u32_e32 vcc, v12, v79
	s_or_b64 s[10:11], vcc, s[10:11]
	s_andn2_b64 exec, exec, s[10:11]
	s_cbranch_execnz .LBB365_43
	s_branch .LBB365_40
.LBB365_44:                             ;   in Loop: Header=BB365_7 Depth=1
	s_or_b64 exec, exec, s[0:1]
.LBB365_45:                             ;   in Loop: Header=BB365_7 Depth=1
	s_or_b64 exec, exec, s[6:7]
	v_subrev_u32_e32 v100, s5, v100
.LBB365_46:                             ;   in Loop: Header=BB365_7 Depth=1
	s_or_b64 exec, exec, s[2:3]
.LBB365_47:                             ;   in Loop: Header=BB365_7 Depth=1
	s_andn2_saveexec_b64 s[0:1], s[46:47]
	s_cbranch_execz .LBB365_6
; %bb.48:                               ;   in Loop: Header=BB365_7 Depth=1
	s_lshl_b32 s10, s4, 2
	v_cmp_gt_i32_e32 vcc, s10, v100
	s_and_saveexec_b64 s[2:3], vcc
	s_cbranch_execz .LBB365_5
; %bb.49:                               ;   in Loop: Header=BB365_7 Depth=1
	s_mul_i32 s99, s99, s22
	s_ashr_i32 s4, s99, 31
	s_add_u32 s5, s72, s99
	s_addc_u32 s6, s73, s4
	s_ashr_i32 s7, s44, 31
	s_add_u32 s4, s5, s44
	s_addc_u32 s5, s6, s7
	v_add_u32_e32 v2, s96, v80
	s_movk_i32 s6, 0x80
	v_cmp_gt_u32_e32 vcc, s6, v2
	v_sub_u32_e32 v10, 0x7f, v2
	s_nop 0
	v_cndmask_b32_e32 v0, 0, v95, vcc
	v_ashrrev_i32_e32 v1, 31, v0
	v_lshl_add_u64 v[0:1], s[4:5], 0, v[0:1]
	v_lshl_add_u64 v[8:9], v[0:1], 0, v[66:67]
	s_mov_b64 s[4:5], 0
	s_branch .LBB365_51
.LBB365_50:                             ;   in Loop: Header=BB365_51 Depth=2
	s_or_b64 exec, exec, s[6:7]
	v_lshl_or_b32 v13, v11, 11, v96
	;;#ASMSTART
	s_waitcnt vmcnt(1)
	;;#ASMEND
	ds_write2_b32 v13, v4, v5 offset1:32
	ds_write2_b32 v13, v6, v7 offset0:64 offset1:96
	v_add_u32_e32 v4, 0x400, v13
	v_add_u32_e32 v100, s25, v100
	;;#ASMSTART
	s_waitcnt vmcnt(0)
	;;#ASMEND
	ds_write2_b32 v4, v0, v1 offset1:32
	ds_write2_b32 v4, v2, v3 offset0:64 offset1:96
	v_add_u32_e32 v0, 1, v79
	v_add_u32_e32 v72, s25, v11
	v_cmp_le_i32_e32 vcc, s10, v100
	ds_write_b32 v12, v0
	v_add_u32_e32 v0, 2, v79
	s_or_b64 s[4:5], vcc, s[4:5]
	v_cmp_lt_i32_e32 vcc, 11, v72
	s_nop 1
	v_cndmask_b32_e32 v79, v79, v0, vcc
	s_andn2_b64 exec, exec, s[4:5]
	s_cbranch_execz .LBB365_4
.LBB365_51:                             ;   Parent Loop BB365_7 Depth=1
                                        ; =>  This Loop Header: Depth=2
                                        ;       Child Loop BB365_53 Depth 3
	v_cmp_gt_i32_e32 vcc, 12, v72
	s_nop 1
	v_cndmask_b32_e64 v0, -12, 0, vcc
	v_add_u32_e32 v11, v0, v72
	v_ashrrev_i32_e32 v0, 31, v100
	v_lshrrev_b32_e32 v0, 30, v0
	v_add_u32_e32 v0, v100, v0
	v_and_b32_e32 v1, 0x7fffffc, v0
	v_sub_u32_e32 v1, v100, v1
	v_lshlrev_b32_e32 v1, 5, v1
	v_cmp_le_i32_e32 vcc, v1, v10
	v_lshlrev_b32_e32 v0, 4, v0
	v_and_b32_e32 v0, 0xffffffc0, v0
	v_cndmask_b32_e32 v2, 0, v1, vcc
	v_ashrrev_i32_e32 v1, 31, v0
	v_mul_lo_u32 v2, v2, s22
	v_lshl_add_u64 v[0:1], v[8:9], 0, v[0:1]
	v_ashrrev_i32_e32 v3, 31, v2
	v_lshl_add_u64 v[0:1], v[0:1], 0, v[2:3]
	v_lshlrev_b32_e32 v12, 2, v11
	;;#ASMSTART
	global_load_dwordx4 v[4:7], v[0:1], off offset:0   
	global_load_dwordx4 v[0:3], v[0:1], off offset:32  
	
	;;#ASMEND
	ds_read_b32 v13, v12 offset:49152
	v_add_u32_e32 v12, 0xc000, v12
	s_waitcnt lgkmcnt(0)
	v_cmp_ne_u32_e32 vcc, v13, v79
	s_and_saveexec_b64 s[6:7], vcc
	s_cbranch_execz .LBB365_50
; %bb.52:                               ;   in Loop: Header=BB365_51 Depth=2
	s_mov_b64 s[8:9], 0
.LBB365_53:                             ;   Parent Loop BB365_7 Depth=1
                                        ;     Parent Loop BB365_51 Depth=2
                                        ; =>    This Inner Loop Header: Depth=3
	;;#ASMSTART
	s_sleep 0
	;;#ASMEND
	ds_read_b32 v13, v12
	s_waitcnt lgkmcnt(0)
	v_cmp_eq_u32_e32 vcc, v13, v79
	s_or_b64 s[8:9], vcc, s[8:9]
	s_andn2_b64 exec, exec, s[8:9]
	s_cbranch_execnz .LBB365_53
	s_branch .LBB365_50
.LBB365_54:
	s_endpgm
	.section	.rodata,"a",@progbits
	.p2align	6, 0x0
	.amdhsa_kernel _Z19_skinny_gemm_kernelILi4ELi4ELi3ELi32ELi4EEvPKhS1_P6__halfPKfiiiiiiii
		.amdhsa_group_segment_fixed_size 49248
		.amdhsa_private_segment_fixed_size 0
		.amdhsa_kernarg_size 64
		.amdhsa_user_sgpr_count 2
		.amdhsa_user_sgpr_dispatch_ptr 0
		.amdhsa_user_sgpr_queue_ptr 0
		.amdhsa_user_sgpr_kernarg_segment_ptr 1
		.amdhsa_user_sgpr_dispatch_id 0
		.amdhsa_user_sgpr_kernarg_preload_length 0
		.amdhsa_user_sgpr_kernarg_preload_offset 0
		.amdhsa_user_sgpr_private_segment_size 0
		.amdhsa_uses_dynamic_stack 0
		.amdhsa_enable_private_segment 0
		.amdhsa_system_sgpr_workgroup_id_x 1
		.amdhsa_system_sgpr_workgroup_id_y 0
		.amdhsa_system_sgpr_workgroup_id_z 0
		.amdhsa_system_sgpr_workgroup_info 0
		.amdhsa_system_vgpr_workitem_id 0
		.amdhsa_next_free_vgpr 128
		.amdhsa_next_free_sgpr 100
		.amdhsa_accum_offset 128
		.amdhsa_reserve_vcc 1
		.amdhsa_float_round_mode_32 0
		.amdhsa_float_round_mode_16_64 0
		.amdhsa_float_denorm_mode_32 3
		.amdhsa_float_denorm_mode_16_64 3
		.amdhsa_dx10_clamp 1
		.amdhsa_ieee_mode 1
		.amdhsa_fp16_overflow 0
		.amdhsa_tg_split 0
		.amdhsa_exception_fp_ieee_invalid_op 0
		.amdhsa_exception_fp_denorm_src 0
		.amdhsa_exception_fp_ieee_div_zero 0
		.amdhsa_exception_fp_ieee_overflow 0
		.amdhsa_exception_fp_ieee_underflow 0
		.amdhsa_exception_fp_ieee_inexact 0
		.amdhsa_exception_int_div_zero 0
	.end_amdhsa_kernel
	.section	.text._Z19_skinny_gemm_kernelILi4ELi4ELi3ELi32ELi4EEvPKhS1_P6__halfPKfiiiiiiii,"axG",@progbits,_Z19_skinny_gemm_kernelILi4ELi4ELi3ELi32ELi4EEvPKhS1_P6__halfPKfiiiiiiii,comdat
.Lfunc_end365:
	.size	_Z19_skinny_gemm_kernelILi4ELi4ELi3ELi32ELi4EEvPKhS1_P6__halfPKfiiiiiiii, .Lfunc_end365-_Z19_skinny_gemm_kernelILi4ELi4ELi3ELi32ELi4EEvPKhS1_P6__halfPKfiiiiiiii
                                        ; -- End function
	.set _Z19_skinny_gemm_kernelILi4ELi4ELi3ELi32ELi4EEvPKhS1_P6__halfPKfiiiiiiii.num_vgpr, 128
	.set _Z19_skinny_gemm_kernelILi4ELi4ELi3ELi32ELi4EEvPKhS1_P6__halfPKfiiiiiiii.num_agpr, 0
	.set _Z19_skinny_gemm_kernelILi4ELi4ELi3ELi32ELi4EEvPKhS1_P6__halfPKfiiiiiiii.numbered_sgpr, 100
	.set _Z19_skinny_gemm_kernelILi4ELi4ELi3ELi32ELi4EEvPKhS1_P6__halfPKfiiiiiiii.num_named_barrier, 0
	.set _Z19_skinny_gemm_kernelILi4ELi4ELi3ELi32ELi4EEvPKhS1_P6__halfPKfiiiiiiii.private_seg_size, 0
	.set _Z19_skinny_gemm_kernelILi4ELi4ELi3ELi32ELi4EEvPKhS1_P6__halfPKfiiiiiiii.uses_vcc, 1
	.set _Z19_skinny_gemm_kernelILi4ELi4ELi3ELi32ELi4EEvPKhS1_P6__halfPKfiiiiiiii.uses_flat_scratch, 0
	.set _Z19_skinny_gemm_kernelILi4ELi4ELi3ELi32ELi4EEvPKhS1_P6__halfPKfiiiiiiii.has_dyn_sized_stack, 0
	.set _Z19_skinny_gemm_kernelILi4ELi4ELi3ELi32ELi4EEvPKhS1_P6__halfPKfiiiiiiii.has_recursion, 0
	.set _Z19_skinny_gemm_kernelILi4ELi4ELi3ELi32ELi4EEvPKhS1_P6__halfPKfiiiiiiii.has_indirect_call, 0
	.section	.AMDGPU.csdata,"",@progbits
; Kernel info:
; codeLenInByte = 14164
; TotalNumSgprs: 106
; NumVgprs: 128
; NumAgprs: 0
; TotalNumVgprs: 128
; ScratchSize: 0
; MemoryBound: 0
; FloatMode: 240
; IeeeMode: 1
; LDSByteSize: 49248 bytes/workgroup (compile time only)
; SGPRBlocks: 13
; VGPRBlocks: 15
; NumSGPRsForWavesPerEU: 106
; NumVGPRsForWavesPerEU: 128
; AccumOffset: 128
; Occupancy: 4
; WaveLimiterHint : 0
; COMPUTE_PGM_RSRC2:SCRATCH_EN: 0
; COMPUTE_PGM_RSRC2:USER_SGPR: 2
; COMPUTE_PGM_RSRC2:TRAP_HANDLER: 0
; COMPUTE_PGM_RSRC2:TGID_X_EN: 1
; COMPUTE_PGM_RSRC2:TGID_Y_EN: 0
; COMPUTE_PGM_RSRC2:TGID_Z_EN: 0
; COMPUTE_PGM_RSRC2:TIDIG_COMP_CNT: 0
; COMPUTE_PGM_RSRC3_GFX90A:ACCUM_OFFSET: 31
; COMPUTE_PGM_RSRC3_GFX90A:TG_SPLIT: 0
	.section	.text._Z19_skinny_gemm_kernelILi4ELi5ELi1ELi16ELi4EEvPKhS1_P6__halfPKfiiiiiiii,"axG",@progbits,_Z19_skinny_gemm_kernelILi4ELi5ELi1ELi16ELi4EEvPKhS1_P6__halfPKfiiiiiiii,comdat
	.protected	_Z19_skinny_gemm_kernelILi4ELi5ELi1ELi16ELi4EEvPKhS1_P6__halfPKfiiiiiiii ; -- Begin function _Z19_skinny_gemm_kernelILi4ELi5ELi1ELi16ELi4EEvPKhS1_P6__halfPKfiiiiiiii
	.globl	_Z19_skinny_gemm_kernelILi4ELi5ELi1ELi16ELi4EEvPKhS1_P6__halfPKfiiiiiiii
	.p2align	8
	.type	_Z19_skinny_gemm_kernelILi4ELi5ELi1ELi16ELi4EEvPKhS1_P6__halfPKfiiiiiiii,@function
_Z19_skinny_gemm_kernelILi4ELi5ELi1ELi16ELi4EEvPKhS1_P6__halfPKfiiiiiiii: ; @_Z19_skinny_gemm_kernelILi4ELi5ELi1ELi16ELi4EEvPKhS1_P6__halfPKfiiiiiiii
; %bb.0:
	v_cmp_gt_u32_e32 vcc, 9, v0
	v_lshlrev_b32_e32 v1, 2, v0
	s_and_saveexec_b64 s[4:5], vcc
; %bb.1:
	v_mov_b32_e32 v2, 0
	ds_write_b32 v1, v2 offset:18432
; %bb.2:
	s_or_b64 exec, exec, s[4:5]
	s_load_dwordx8 s[20:27], s[0:1], 0x20
	s_mov_b32 s56, 0x66666667
	s_waitcnt lgkmcnt(0)
	s_barrier
	s_add_i32 s3, s20, 63
	s_ashr_i32 s5, s3, 31
	s_lshr_b32 s5, s5, 26
	s_add_i32 s4, s21, 0x4f
	s_add_i32 s3, s3, s5
	s_ashr_i32 s33, s3, 6
	s_mul_hi_i32 s3, s4, 0x66666667
	s_lshr_b32 s4, s3, 31
	s_ashr_i32 s54, s3, 5
	s_add_i32 s54, s54, s4
	s_mul_i32 s3, s54, s33
	s_mul_i32 s3, s3, s24
	s_add_i32 s4, s3, 0x12f
	s_mul_hi_i32 s4, s4, 0x6bca1af3
	s_lshr_b32 s5, s4, 31
	s_ashr_i32 s4, s4, 7
	s_add_i32 s4, s4, s5
	s_add_i32 s5, s2, 1
	s_mul_i32 s5, s4, s5
	v_cvt_f64_i32_e32 v[2:3], s3
	v_cvt_f64_u32_e32 v[4:5], s5
	v_min_f64 v[2:3], v[2:3], v[4:5]
	v_cvt_i32_f64_e32 v14, v[2:3]
	s_mul_i32 s55, s4, s2
	v_cmp_ge_i32_e32 vcc, s55, v14
	s_cbranch_vccnz .LBB366_69
; %bb.3:
	v_lshrrev_b32_e32 v2, 6, v0
	s_add_i32 s4, s26, s25
	s_load_dwordx8 s[36:43], s[0:1], 0x0
	v_cmp_le_i32_e64 s[0:1], s4, v2
	v_mov_b32_e32 v3, s25
	v_cmp_le_i32_e64 s[2:3], s25, v2
	v_mov_b32_e32 v4, s26
	v_cndmask_b32_e64 v4, 0, v4, s[0:1]
	v_cndmask_b32_e64 v3, 0, v3, s[2:3]
	s_abs_i32 s5, s24
	v_add_u32_e32 v3, v3, v4
	v_cvt_f32_u32_e32 v4, s5
	v_sub_u32_e32 v88, v2, v3
	s_ashr_i32 s6, s22, 31
	s_lshr_b32 s6, s6, 25
	v_rcp_iflag_f32_e32 v3, v4
	s_sub_i32 s9, 0, s5
	s_add_i32 s6, s22, s6
	s_ashr_i32 s6, s6, 7
	v_mul_f32_e32 v3, 0x4f7ffffe, v3
	v_cvt_u32_f32_e32 v3, v3
	s_abs_i32 s8, s6
	s_xor_b32 s7, s6, s24
	s_ashr_i32 s7, s7, 31
	v_readfirstlane_b32 s10, v3
	s_mul_i32 s9, s9, s10
	s_mul_hi_u32 s9, s10, s9
	s_add_i32 s10, s10, s9
	s_mul_hi_u32 s9, s8, s10
	s_mul_i32 s10, s9, s5
	s_sub_i32 s8, s8, s10
	s_add_i32 s10, s9, 1
	s_sub_i32 s11, s8, s5
	s_cmp_ge_u32 s8, s5
	s_cselect_b32 s9, s10, s9
	s_cselect_b32 s8, s11, s8
	s_add_i32 s10, s9, 1
	s_cmp_ge_u32 s8, s5
	s_cselect_b32 s5, s10, s9
	s_xor_b32 s5, s5, s7
	s_sub_i32 s57, s5, s7
	s_add_i32 s24, s24, -1
	s_mul_i32 s5, s57, s24
	s_add_i32 s4, s4, s27
	s_sub_i32 s58, s6, s5
	v_cmp_gt_i32_e64 s[4:5], s4, v2
	v_lshlrev_b32_e32 v2, 1, v0
	v_lshlrev_b32_e32 v3, 4, v0
	v_and_b32_e32 v1, 60, v1
	v_and_b32_e32 v2, 64, v2
	;; [unrolled: 1-line block ×3, first 2 shown]
	v_or3_b32 v85, v1, v2, v4
	v_and_b32_e32 v6, 14, v0
	v_and_b32_e32 v1, 1, v0
	v_lshrrev_b32_e32 v4, 2, v0
	v_lshlrev_b32_e32 v2, 1, v1
	v_bitop3_b32 v5, v0, 1, v0 bitop3:0xc
	v_and_or_b32 v1, v4, 12, v1
	v_mov_b32_e32 v4, v6
	scratch_store_dword off, v5, off offset:20 ; 4-byte Folded Spill
	scratch_store_dwordx2 off, v[4:5], off offset:32 ; 8-byte Folded Spill
	scratch_store_dword off, v1, off offset:24 ; 4-byte Folded Spill
	v_mad_u64_u32 v[4:5], s[6:7], s21, v1, v[6:7]
	v_ashrrev_i32_e32 v5, 31, v4
	s_lshl_b32 s6, s21, 4
	scratch_store_dwordx2 off, v[4:5], off offset:64 ; 8-byte Folded Spill
	v_add_u32_e32 v4, s6, v4
	v_ashrrev_i32_e32 v5, 31, v4
	scratch_store_dwordx2 off, v[4:5], off offset:72 ; 8-byte Folded Spill
	v_add_u32_e32 v4, s6, v4
	v_ashrrev_i32_e32 v5, 31, v4
	scratch_store_dwordx2 off, v[4:5], off offset:80 ; 8-byte Folded Spill
	v_add_u32_e32 v4, s6, v4
	s_abs_i32 s60, s33
	v_ashrrev_i32_e32 v5, 31, v4
	v_and_b32_e32 v16, 48, v3
	v_bfe_u32 v15, v0, 2, 4
	v_cvt_f32_u32_e32 v3, s60
	scratch_store_dwordx2 off, v[4:5], off offset:88 ; 8-byte Folded Spill
	v_mul_lo_u32 v4, s23, v15
	v_ashrrev_i32_e32 v5, 31, v4
	v_sub_u32_e32 v2, v0, v2
	v_bitop3_b32 v82, v0, 3, 1 bitop3:0x6c
	scratch_store_dwordx2 off, v[4:5], off offset:52 ; 8-byte Folded Spill
	v_and_b32_e32 v1, 60, v0
	v_lshlrev_b32_e32 v4, 8, v0
	v_lshlrev_b32_e32 v0, 6, v0
	v_and_b32_e32 v4, 0x200, v4
	v_rcp_iflag_f32_e32 v3, v3
	v_and_b32_e32 v0, 64, v0
	s_abs_i32 s62, s54
	v_or3_b32 v92, v1, v4, v0
	v_cvt_f32_u32_e32 v1, s62
	v_mul_f32_e32 v0, 0x4f7ffffe, v3
	v_cvt_u32_f32_e32 v0, v0
	s_sub_i32 s6, 0, s60
	v_rcp_iflag_f32_e32 v1, v1
	v_add_u32_e32 v2, 1, v2
	v_readfirstlane_b32 s7, v0
	s_mul_i32 s6, s6, s7
	v_mul_f32_e32 v0, 0x4f7ffffe, v1
	v_cvt_u32_f32_e32 v0, v0
	s_mul_hi_u32 s6, s7, s6
	s_add_i32 s64, s7, s6
	s_sub_i32 s6, 0, s62
	v_readfirstlane_b32 s7, v0
	v_mbcnt_lo_u32_b32 v0, -1, 0
	v_and_b32_e32 v2, 63, v2
	s_mul_i32 s6, s6, s7
	v_mbcnt_hi_u32_b32 v0, -1, v0
	s_mul_hi_u32 s6, s7, s6
	v_and_or_b32 v0, v0, 64, v2
	v_cndmask_b32_e64 v84, 0, 1, s[0:1]
	s_movk_i32 s59, 0x2800
	s_ashr_i32 s29, s21, 31
	s_mov_b32 s28, s21
	v_mov_b32_e32 v17, 0
	s_lshl_b32 s61, s23, 4
	s_ashr_i32 s63, s33, 31
	s_ashr_i32 s65, s54, 31
	s_add_i32 s66, s7, s6
	s_mov_b64 s[30:31], 0x60
	s_mov_b64 s[34:35], 0x80
	v_lshlrev_b32_e32 v93, 2, v0
	v_mov_b32_e32 v90, v88
	scratch_store_dword off, v14, off offset:28 ; 4-byte Folded Spill
	scratch_store_dword off, v82, off offset:60 ; 4-byte Folded Spill
	scratch_store_dwordx2 off, v[16:17], off offset:40 ; 8-byte Folded Spill
	scratch_store_dword off, v15, off offset:48 ; 4-byte Folded Spill
	s_branch .LBB366_7
.LBB366_4:                              ;   in Loop: Header=BB366_7 Depth=1
	s_or_b64 exec, exec, s[10:11]
.LBB366_5:                              ;   in Loop: Header=BB366_7 Depth=1
	s_or_b64 exec, exec, s[8:9]
	v_subrev_u32_e32 v90, s16, v90
.LBB366_6:                              ;   in Loop: Header=BB366_7 Depth=1
	s_or_b64 exec, exec, s[6:7]
	s_add_i32 s55, s55, 1
	s_waitcnt vmcnt(2)
	v_cmp_ge_i32_e32 vcc, s55, v14
	s_cbranch_vccnz .LBB366_69
.LBB366_7:                              ; =>This Loop Header: Depth=1
                                        ;     Child Loop BB366_13 Depth 2
                                        ;       Child Loop BB366_15 Depth 3
                                        ;       Child Loop BB366_18 Depth 3
	;; [unrolled: 1-line block ×9, first 2 shown]
                                        ;     Child Loop BB366_56 Depth 2
                                        ;       Child Loop BB366_58 Depth 3
                                        ;     Child Loop BB366_66 Depth 2
                                        ;       Child Loop BB366_68 Depth 3
	s_abs_i32 s7, s55
	s_mul_hi_u32 s8, s7, s64
	s_mul_i32 s9, s8, s60
	s_ashr_i32 s6, s55, 31
	s_sub_i32 s7, s7, s9
	s_xor_b32 s6, s6, s63
	s_add_i32 s9, s8, 1
	s_sub_i32 s10, s7, s60
	s_cmp_ge_u32 s7, s60
	s_cselect_b32 s8, s9, s8
	s_cselect_b32 s7, s10, s7
	s_add_i32 s9, s8, 1
	s_cmp_ge_u32 s7, s60
	s_cselect_b32 s7, s9, s8
	s_xor_b32 s7, s7, s6
	s_sub_i32 s6, s7, s6
	s_abs_i32 s8, s6
	s_mul_i32 s7, s6, s33
	s_mul_hi_u32 s9, s8, s66
	s_sub_i32 s7, s55, s7
	s_mul_i32 s10, s9, s62
	s_lshl_b32 s67, s7, 6
	s_ashr_i32 s7, s6, 31
	s_sub_i32 s8, s8, s10
	s_xor_b32 s7, s7, s65
	s_add_i32 s10, s9, 1
	s_sub_i32 s11, s8, s62
	s_cmp_ge_u32 s8, s62
	s_cselect_b32 s9, s10, s9
	s_cselect_b32 s8, s11, s8
	s_add_i32 s10, s9, 1
	s_cmp_ge_u32 s8, s62
	s_cselect_b32 s8, s10, s9
	s_xor_b32 s8, s8, s7
	s_sub_i32 s7, s8, s7
	s_mul_i32 s8, s7, s57
	s_lshl_b32 s68, s8, 7
	s_cmp_eq_u32 s7, s24
	s_cselect_b32 s70, s58, s57
	s_sub_i32 s8, s67, s20
	s_add_i32 s8, s8, 64
	s_max_i32 s69, s8, 0
	s_and_saveexec_b64 s[8:9], s[2:3]
	s_xor_b64 s[44:45], exec, s[8:9]
	s_cbranch_execz .LBB366_62
; %bb.8:                                ;   in Loop: Header=BB366_7 Depth=1
	s_mul_i32 s7, s7, s54
	s_sub_i32 s6, s6, s7
	s_mulk_i32 s6, 0x50
	s_sub_i32 s47, s6, s21
	s_addk_i32 s47, 0x50
	s_max_i32 s7, s47, 0
	s_sub_i32 s46, s6, s7
	s_and_saveexec_b64 s[6:7], s[0:1]
	s_xor_b64 s[48:49], exec, s[6:7]
	s_cbranch_execz .LBB366_52
; %bb.9:                                ;   in Loop: Header=BB366_7 Depth=1
	s_and_saveexec_b64 s[50:51], s[4:5]
	s_cbranch_execz .LBB366_51
; %bb.10:                               ;   in Loop: Header=BB366_7 Depth=1
	s_waitcnt vmcnt(1) lgkmcnt(0)
	global_load_dword v0, v17, s[42:43]
	v_mov_b32_e32 v71, 0
	v_cmp_gt_i32_e32 vcc, s70, v90
	v_mov_b32_e32 v70, v71
	v_mov_b32_e32 v69, v71
	;; [unrolled: 1-line block ×75, first 2 shown]
	s_waitcnt vmcnt(1)
	v_mov_b32_e32 v15, v71
	v_mov_b32_e32 v14, v71
	;; [unrolled: 1-line block ×4, first 2 shown]
	s_waitcnt vmcnt(0)
	scratch_store_dword off, v0, off offset:16 ; 4-byte Folded Spill
	s_and_saveexec_b64 s[6:7], vcc
	s_cbranch_execz .LBB366_41
; %bb.11:                               ;   in Loop: Header=BB366_7 Depth=1
	v_mov_b32_e32 v12, 0
	s_mov_b64 s[8:9], 0
	v_mov_b32_e32 v13, v12
	v_mov_b32_e32 v14, v12
	;; [unrolled: 1-line block ×79, first 2 shown]
	s_branch .LBB366_13
.LBB366_12:                             ;   in Loop: Header=BB366_13 Depth=2
	s_or_b64 exec, exec, s[10:11]
	scratch_load_dwordx4 v[20:23], off, off ; 16-byte Folded Reload
	v_add_u32_e32 v2, 0x2000, v81
	ds_read2_b32 v[0:1], v2 offset1:32
	ds_read2_b32 v[2:3], v2 offset0:128 offset1:160
	v_add_u32_e32 v81, 0x2400, v81
	v_add_u32_e32 v90, s27, v90
	s_waitcnt lgkmcnt(1)
	v_mfma_f32_16x16x32_fp8_fp8 v[60:63], v[100:101], v[0:1], v[60:63]
	v_mfma_f32_16x16x32_fp8_fp8 v[40:43], v[102:103], v[0:1], v[40:43]
	;; [unrolled: 1-line block ×3, first 2 shown]
	s_waitcnt lgkmcnt(0)
	v_mfma_f32_16x16x32_fp8_fp8 v[60:63], v[96:97], v[2:3], v[60:63]
	ds_read2_b32 v[96:97], v81 offset1:32
	v_mfma_f32_16x16x32_fp8_fp8 v[40:43], v[104:105], v[2:3], v[40:43]
	v_mfma_f32_16x16x32_fp8_fp8 v[12:15], v[88:89], v[2:3], v[12:15]
	v_add_u32_e32 v88, s27, v80
	v_cmp_lt_i32_e32 vcc, 0, v88
	s_waitcnt lgkmcnt(0)
	v_mfma_f32_16x16x32_fp8_fp8 v[60:63], v[98:99], v[96:97], v[60:63]
	ds_read2_b32 v[98:99], v81 offset0:128 offset1:160
	;;#ASMSTART
	s_waitcnt lgkmcnt(0)
	;;#ASMEND
	ds_write_b32 v82, v83 offset:18464
	v_mfma_f32_16x16x32_fp8_fp8 v[40:43], v[106:107], v[96:97], v[40:43]
	v_mfma_f32_16x16x32_fp8_fp8 v[12:15], v[86:87], v[96:97], v[12:15]
	s_waitcnt lgkmcnt(1)
	v_mfma_f32_16x16x32_fp8_fp8 v[60:63], v[94:95], v[98:99], v[60:63]
	v_mfma_f32_16x16x32_fp8_fp8 v[40:43], v[108:109], v[98:99], v[40:43]
	;; [unrolled: 1-line block ×3, first 2 shown]
	s_waitcnt vmcnt(0)
	v_mfma_f32_16x16x32_fp8_fp8 v[20:23], v[110:111], v[0:1], v[20:23]
	v_add_u32_e32 v0, 2, v84
	v_cndmask_b32_e32 v84, v84, v0, vcc
	v_cmp_le_i32_e32 vcc, s70, v90
	v_mfma_f32_16x16x32_fp8_fp8 v[20:23], v[112:113], v[2:3], v[20:23]
	s_or_b64 s[8:9], vcc, s[8:9]
	v_mfma_f32_16x16x32_fp8_fp8 v[20:23], v[114:115], v[96:97], v[20:23]
	v_mfma_f32_16x16x32_fp8_fp8 v[100:103], v[116:117], v[98:99], v[20:23]
	s_andn2_b64 exec, exec, s[8:9]
	s_cbranch_execz .LBB366_40
.LBB366_13:                             ;   Parent Loop BB366_7 Depth=1
                                        ; =>  This Loop Header: Depth=2
                                        ;       Child Loop BB366_15 Depth 3
                                        ;       Child Loop BB366_18 Depth 3
	;; [unrolled: 1-line block ×9, first 2 shown]
	v_cmp_lt_i32_e32 vcc, 0, v88
	s_nop 1
	v_subbrev_co_u32_e32 v80, vcc, 0, v88, vcc
	v_mul_lo_u32 v82, v80, 20
	ds_read_b32 v0, v82 offset:18448
	s_waitcnt lgkmcnt(0)
	v_cmp_ne_u32_e32 vcc, v0, v84
	s_and_saveexec_b64 s[10:11], vcc
	s_cbranch_execz .LBB366_16
; %bb.14:                               ;   in Loop: Header=BB366_13 Depth=2
	s_mov_b64 s[12:13], 0
.LBB366_15:                             ;   Parent Loop BB366_7 Depth=1
                                        ;     Parent Loop BB366_13 Depth=2
                                        ; =>    This Inner Loop Header: Depth=3
	;;#ASMSTART
	s_sleep 0
	;;#ASMEND
	ds_read_b32 v0, v82 offset:18448
	s_waitcnt lgkmcnt(0)
	v_cmp_eq_u32_e32 vcc, v0, v84
	s_or_b64 s[12:13], vcc, s[12:13]
	s_andn2_b64 exec, exec, s[12:13]
	s_cbranch_execnz .LBB366_15
.LBB366_16:                             ;   in Loop: Header=BB366_13 Depth=2
	s_or_b64 exec, exec, s[10:11]
	v_mul_lo_u32 v81, v80, s59
	v_mov_b64_e32 v[20:21], v[120:121]
	v_or_b32_e32 v0, v85, v81
	v_mov_b64_e32 v[22:23], v[122:123]
	ds_read2_b32 v[118:119], v0 offset1:32
	ds_read2_b32 v[120:121], v0 offset0:128 offset1:160
	v_add_u32_e32 v0, 0x400, v0
	v_add_u32_e32 v83, 1, v84
	ds_read2_b32 v[124:125], v0 offset1:32
	ds_read2_b32 v[122:123], v0 offset0:128 offset1:160
	;;#ASMSTART
	s_waitcnt lgkmcnt(0)
	;;#ASMEND
	ds_write_b32 v82, v83 offset:18448
	v_lshlrev_b32_e32 v91, 4, v80
	ds_read_b32 v0, v91 offset:18432
	s_waitcnt lgkmcnt(0)
	v_cmp_ne_u32_e32 vcc, v0, v84
	s_and_saveexec_b64 s[10:11], vcc
	s_cbranch_execz .LBB366_19
; %bb.17:                               ;   in Loop: Header=BB366_13 Depth=2
	s_mov_b64 s[12:13], 0
.LBB366_18:                             ;   Parent Loop BB366_7 Depth=1
                                        ;     Parent Loop BB366_13 Depth=2
                                        ; =>    This Inner Loop Header: Depth=3
	;;#ASMSTART
	s_sleep 0
	;;#ASMEND
	ds_read_b32 v0, v91 offset:18432
	s_waitcnt lgkmcnt(0)
	v_cmp_eq_u32_e32 vcc, v0, v84
	s_or_b64 s[12:13], vcc, s[12:13]
	s_andn2_b64 exec, exec, s[12:13]
	s_cbranch_execnz .LBB366_18
.LBB366_19:                             ;   in Loop: Header=BB366_13 Depth=2
	s_or_b64 exec, exec, s[10:11]
	v_lshlrev_b32_e32 v0, 13, v80
	v_or_b32_e32 v1, 0x2800, v85
	scratch_store_dwordx4 off, v[100:103], off ; 16-byte Folded Spill
	v_add_u32_e32 v86, v1, v0
	ds_read2_b32 v[100:101], v86 offset1:32
	ds_read2_b32 v[96:97], v86 offset0:128 offset1:160
	v_add_u32_e32 v0, 0x400, v86
	s_waitcnt lgkmcnt(1)
	v_mfma_f32_16x16x32_fp8_fp8 v[68:71], v[100:101], v[118:119], v[68:71]
	ds_read2_b32 v[98:99], v0 offset1:32
	ds_read2_b32 v[94:95], v0 offset0:128 offset1:160
	ds_read_b32 v0, v91 offset:18436
	ds_write_b32 v91, v83 offset:18432
	s_waitcnt lgkmcnt(4)
	v_mfma_f32_16x16x32_fp8_fp8 v[68:71], v[96:97], v[120:121], v[68:71]
	s_waitcnt lgkmcnt(1)
	v_cmp_ne_u32_e32 vcc, v0, v84
	v_mfma_f32_16x16x32_fp8_fp8 v[68:71], v[98:99], v[124:125], v[68:71]
	v_mfma_f32_16x16x32_fp8_fp8 v[68:71], v[94:95], v[122:123], v[68:71]
	s_and_saveexec_b64 s[10:11], vcc
	s_cbranch_execz .LBB366_22
; %bb.20:                               ;   in Loop: Header=BB366_13 Depth=2
	s_mov_b64 s[12:13], 0
.LBB366_21:                             ;   Parent Loop BB366_7 Depth=1
                                        ;     Parent Loop BB366_13 Depth=2
                                        ; =>    This Inner Loop Header: Depth=3
	;;#ASMSTART
	s_sleep 0
	;;#ASMEND
	ds_read_b32 v0, v91 offset:18436
	s_waitcnt lgkmcnt(0)
	v_cmp_eq_u32_e32 vcc, v0, v84
	s_or_b64 s[12:13], vcc, s[12:13]
	s_andn2_b64 exec, exec, s[12:13]
	s_cbranch_execnz .LBB366_21
.LBB366_22:                             ;   in Loop: Header=BB366_13 Depth=2
	s_or_b64 exec, exec, s[10:11]
	v_add_u32_e32 v0, 0x800, v86
	ds_read2_b32 v[102:103], v0 offset1:32
	ds_read2_b32 v[104:105], v0 offset0:128 offset1:160
	v_add_u32_e32 v0, 0xc00, v86
	ds_read2_b32 v[106:107], v0 offset1:32
	ds_read2_b32 v[108:109], v0 offset0:128 offset1:160
	ds_read_b32 v0, v91 offset:18440
	s_waitcnt lgkmcnt(4)
	v_mfma_f32_16x16x32_fp8_fp8 v[56:59], v[102:103], v[118:119], v[56:59]
	ds_write_b32 v91, v83 offset:18436
	s_waitcnt lgkmcnt(1)
	v_cmp_ne_u32_e32 vcc, v0, v84
	v_mfma_f32_16x16x32_fp8_fp8 v[56:59], v[104:105], v[120:121], v[56:59]
	v_mfma_f32_16x16x32_fp8_fp8 v[56:59], v[106:107], v[124:125], v[56:59]
	;; [unrolled: 1-line block ×3, first 2 shown]
	s_and_saveexec_b64 s[10:11], vcc
	s_cbranch_execz .LBB366_25
; %bb.23:                               ;   in Loop: Header=BB366_13 Depth=2
	s_mov_b64 s[12:13], 0
.LBB366_24:                             ;   Parent Loop BB366_7 Depth=1
                                        ;     Parent Loop BB366_13 Depth=2
                                        ; =>    This Inner Loop Header: Depth=3
	;;#ASMSTART
	s_sleep 0
	;;#ASMEND
	ds_read_b32 v0, v91 offset:18440
	s_waitcnt lgkmcnt(0)
	v_cmp_eq_u32_e32 vcc, v0, v84
	s_or_b64 s[12:13], vcc, s[12:13]
	s_andn2_b64 exec, exec, s[12:13]
	s_cbranch_execnz .LBB366_24
.LBB366_25:                             ;   in Loop: Header=BB366_13 Depth=2
	s_or_b64 exec, exec, s[10:11]
	v_add_u32_e32 v0, 0x1000, v86
	ds_read2_b32 v[110:111], v0 offset1:32
	ds_read2_b32 v[112:113], v0 offset0:128 offset1:160
	v_add_u32_e32 v0, 0x1400, v86
	ds_read2_b32 v[114:115], v0 offset1:32
	ds_read2_b32 v[116:117], v0 offset0:128 offset1:160
	ds_read_b32 v0, v91 offset:18444
	s_waitcnt lgkmcnt(4)
	v_mfma_f32_16x16x32_fp8_fp8 v[36:39], v[110:111], v[118:119], v[36:39]
	ds_write_b32 v91, v83 offset:18440
	s_waitcnt lgkmcnt(1)
	v_cmp_ne_u32_e32 vcc, v0, v84
	v_mfma_f32_16x16x32_fp8_fp8 v[36:39], v[112:113], v[120:121], v[36:39]
	v_mfma_f32_16x16x32_fp8_fp8 v[36:39], v[114:115], v[124:125], v[36:39]
	;; [unrolled: 1-line block ×3, first 2 shown]
	s_and_saveexec_b64 s[10:11], vcc
	s_cbranch_execz .LBB366_28
; %bb.26:                               ;   in Loop: Header=BB366_13 Depth=2
	s_mov_b64 s[12:13], 0
.LBB366_27:                             ;   Parent Loop BB366_7 Depth=1
                                        ;     Parent Loop BB366_13 Depth=2
                                        ; =>    This Inner Loop Header: Depth=3
	;;#ASMSTART
	s_sleep 0
	;;#ASMEND
	ds_read_b32 v0, v91 offset:18444
	s_waitcnt lgkmcnt(0)
	v_cmp_eq_u32_e32 vcc, v0, v84
	s_or_b64 s[12:13], vcc, s[12:13]
	s_andn2_b64 exec, exec, s[12:13]
	s_cbranch_execnz .LBB366_27
.LBB366_28:                             ;   in Loop: Header=BB366_13 Depth=2
	s_or_b64 exec, exec, s[10:11]
	v_add_u32_e32 v0, 0x1800, v86
	ds_read2_b32 v[126:127], v0 offset1:32
	ds_read2_b32 v[88:89], v0 offset0:128 offset1:160
	v_add_u32_e32 v0, 0x1c00, v86
	ds_read2_b32 v[86:87], v0 offset1:32
	ds_write_b32 v91, v83 offset:18444
	s_waitcnt lgkmcnt(3)
	v_mfma_f32_16x16x32_fp8_fp8 v[16:19], v[126:127], v[118:119], v[16:19]
	ds_read2_b32 v[118:119], v0 offset0:128 offset1:160
	ds_read_b32 v0, v82 offset:18452
	s_waitcnt lgkmcnt(0)
	v_cmp_ne_u32_e32 vcc, v0, v84
	v_mfma_f32_16x16x32_fp8_fp8 v[16:19], v[88:89], v[120:121], v[16:19]
	v_mfma_f32_16x16x32_fp8_fp8 v[16:19], v[86:87], v[124:125], v[16:19]
	;; [unrolled: 1-line block ×3, first 2 shown]
	s_and_saveexec_b64 s[10:11], vcc
	s_cbranch_execz .LBB366_31
; %bb.29:                               ;   in Loop: Header=BB366_13 Depth=2
	s_mov_b64 s[12:13], 0
.LBB366_30:                             ;   Parent Loop BB366_7 Depth=1
                                        ;     Parent Loop BB366_13 Depth=2
                                        ; =>    This Inner Loop Header: Depth=3
	;;#ASMSTART
	s_sleep 0
	;;#ASMEND
	ds_read_b32 v0, v82 offset:18452
	s_waitcnt lgkmcnt(0)
	v_cmp_eq_u32_e32 vcc, v0, v84
	s_or_b64 s[12:13], vcc, s[12:13]
	s_andn2_b64 exec, exec, s[12:13]
	s_cbranch_execnz .LBB366_30
.LBB366_31:                             ;   in Loop: Header=BB366_13 Depth=2
	s_or_b64 exec, exec, s[10:11]
	v_add_u32_e32 v81, v85, v81
	v_add_u32_e32 v0, 0x800, v81
	ds_read2_b32 v[120:121], v0 offset1:32
	ds_read2_b32 v[122:123], v0 offset0:128 offset1:160
	v_add_u32_e32 v0, 0xc00, v81
	ds_read2_b32 v[124:125], v0 offset1:32
	ds_read2_b32 v[0:1], v0 offset0:128 offset1:160
	s_waitcnt lgkmcnt(3)
	v_mfma_f32_16x16x32_fp8_fp8 v[76:79], v[100:101], v[120:121], v[76:79]
	;;#ASMSTART
	s_waitcnt lgkmcnt(0)
	;;#ASMEND
	ds_read_b32 v2, v82 offset:18456
	ds_write_b32 v82, v83 offset:18452
	v_mfma_f32_16x16x32_fp8_fp8 v[52:55], v[102:103], v[120:121], v[52:55]
	s_waitcnt lgkmcnt(1)
	v_cmp_ne_u32_e32 vcc, v2, v84
	v_mfma_f32_16x16x32_fp8_fp8 v[32:35], v[110:111], v[120:121], v[32:35]
	v_mfma_f32_16x16x32_fp8_fp8 v[8:11], v[126:127], v[120:121], v[8:11]
	;; [unrolled: 1-line block ×14, first 2 shown]
	s_and_saveexec_b64 s[10:11], vcc
	s_cbranch_execz .LBB366_34
; %bb.32:                               ;   in Loop: Header=BB366_13 Depth=2
	s_mov_b64 s[12:13], 0
.LBB366_33:                             ;   Parent Loop BB366_7 Depth=1
                                        ;     Parent Loop BB366_13 Depth=2
                                        ; =>    This Inner Loop Header: Depth=3
	;;#ASMSTART
	s_sleep 0
	;;#ASMEND
	ds_read_b32 v0, v82 offset:18456
	s_waitcnt lgkmcnt(0)
	v_cmp_eq_u32_e32 vcc, v0, v84
	s_or_b64 s[12:13], vcc, s[12:13]
	s_andn2_b64 exec, exec, s[12:13]
	s_cbranch_execnz .LBB366_33
.LBB366_34:                             ;   in Loop: Header=BB366_13 Depth=2
	s_or_b64 exec, exec, s[10:11]
	v_add_u32_e32 v2, 0x1000, v81
	ds_read2_b32 v[0:1], v2 offset1:32
	ds_read2_b32 v[2:3], v2 offset0:128 offset1:160
	v_add_u32_e32 v91, 0x1400, v81
	ds_read2_b32 v[120:121], v91 offset1:32
	ds_read2_b32 v[122:123], v91 offset0:128 offset1:160
	s_waitcnt lgkmcnt(3)
	v_mfma_f32_16x16x32_fp8_fp8 v[72:75], v[100:101], v[0:1], v[72:75]
	;;#ASMSTART
	s_waitcnt lgkmcnt(0)
	;;#ASMEND
	ds_write_b32 v82, v83 offset:18456
	v_mfma_f32_16x16x32_fp8_fp8 v[48:51], v[102:103], v[0:1], v[48:51]
	v_mfma_f32_16x16x32_fp8_fp8 v[28:31], v[110:111], v[0:1], v[28:31]
	;; [unrolled: 1-line block ×3, first 2 shown]
	ds_read_b32 v0, v82 offset:18460
	s_waitcnt lgkmcnt(0)
	v_cmp_ne_u32_e32 vcc, v0, v84
	v_mfma_f32_16x16x32_fp8_fp8 v[72:75], v[96:97], v[2:3], v[72:75]
	v_mfma_f32_16x16x32_fp8_fp8 v[48:51], v[104:105], v[2:3], v[48:51]
	;; [unrolled: 1-line block ×12, first 2 shown]
	s_and_saveexec_b64 s[10:11], vcc
	s_cbranch_execz .LBB366_37
; %bb.35:                               ;   in Loop: Header=BB366_13 Depth=2
	s_mov_b64 s[12:13], 0
.LBB366_36:                             ;   Parent Loop BB366_7 Depth=1
                                        ;     Parent Loop BB366_13 Depth=2
                                        ; =>    This Inner Loop Header: Depth=3
	;;#ASMSTART
	s_sleep 0
	;;#ASMEND
	ds_read_b32 v0, v82 offset:18460
	s_waitcnt lgkmcnt(0)
	v_cmp_eq_u32_e32 vcc, v0, v84
	s_or_b64 s[12:13], vcc, s[12:13]
	s_andn2_b64 exec, exec, s[12:13]
	s_cbranch_execnz .LBB366_36
.LBB366_37:                             ;   in Loop: Header=BB366_13 Depth=2
	s_or_b64 exec, exec, s[10:11]
	v_add_u32_e32 v2, 0x1800, v81
	ds_read2_b32 v[0:1], v2 offset1:32
	ds_read2_b32 v[120:121], v2 offset0:128 offset1:160
	v_add_u32_e32 v2, 0x1c00, v81
	ds_read2_b32 v[122:123], v2 offset1:32
	ds_read2_b32 v[124:125], v2 offset0:128 offset1:160
	s_waitcnt lgkmcnt(3)
	v_mfma_f32_16x16x32_fp8_fp8 v[64:67], v[100:101], v[0:1], v[64:67]
	;;#ASMSTART
	s_waitcnt lgkmcnt(0)
	;;#ASMEND
	ds_read_b32 v91, v82 offset:18464
	ds_write_b32 v82, v83 offset:18460
	v_mfma_f32_16x16x32_fp8_fp8 v[44:47], v[102:103], v[0:1], v[44:47]
	s_waitcnt lgkmcnt(1)
	v_cmp_ne_u32_e32 vcc, v91, v84
	v_mfma_f32_16x16x32_fp8_fp8 v[24:27], v[110:111], v[0:1], v[24:27]
	v_mfma_f32_16x16x32_fp8_fp8 v[0:3], v[126:127], v[0:1], v[20:23]
	;; [unrolled: 1-line block ×14, first 2 shown]
	s_and_saveexec_b64 s[10:11], vcc
	s_cbranch_execz .LBB366_12
; %bb.38:                               ;   in Loop: Header=BB366_13 Depth=2
	s_mov_b64 s[12:13], 0
.LBB366_39:                             ;   Parent Loop BB366_7 Depth=1
                                        ;     Parent Loop BB366_13 Depth=2
                                        ; =>    This Inner Loop Header: Depth=3
	;;#ASMSTART
	s_sleep 0
	;;#ASMEND
	s_nop 0
	ds_read_b32 v0, v82 offset:18464
	s_waitcnt lgkmcnt(0)
	v_cmp_eq_u32_e32 vcc, v0, v84
	s_or_b64 s[12:13], vcc, s[12:13]
	s_andn2_b64 exec, exec, s[12:13]
	s_cbranch_execnz .LBB366_39
	s_branch .LBB366_12
.LBB366_40:                             ;   in Loop: Header=BB366_7 Depth=1
	s_or_b64 exec, exec, s[8:9]
	scratch_load_dword v82, off, off offset:60 ; 4-byte Folded Reload
.LBB366_41:                             ;   in Loop: Header=BB366_7 Depth=1
	s_or_b64 exec, exec, s[6:7]
	scratch_load_dwordx2 v[0:1], off, off offset:32 ; 8-byte Folded Reload
	s_nop 0
	scratch_load_dword v20, off, off offset:16 ; 4-byte Folded Reload
	scratch_load_dword v89, off, off offset:20 ; 4-byte Folded Reload
	s_waitcnt vmcnt(3)
	v_cmp_eq_u32_e64 s[10:11], 1, v82
	v_cmp_eq_u32_e64 s[16:17], 3, v82
	v_mov_b32_e32 v97, v82
	s_waitcnt vmcnt(2)
	v_mov_b32_e32 v98, v0
	v_cmp_le_i32_e32 vcc, s47, v98
	s_waitcnt vmcnt(0)
	v_cmp_eq_u32_e64 s[12:13], 1, v89
	v_cmp_eq_u32_e64 s[6:7], 3, v89
	v_cndmask_b32_e32 v94, 0, v20, vcc
	v_pk_mul_f32 v[2:3], v[94:95], v[68:69] op_sel_hi:[0,1]
	v_pk_mul_f32 v[0:1], v[94:95], v[70:71] op_sel_hi:[0,1]
	v_cndmask_b32_e64 v68, v2, v3, s[12:13]
	v_cmp_eq_u32_e32 vcc, 2, v89
	v_cmp_eq_u32_e64 s[8:9], 0, v89
	s_nop 0
	v_cndmask_b32_e32 v68, v68, v0, vcc
	v_cndmask_b32_e64 v68, v68, v1, s[6:7]
	ds_bpermute_b32 v68, v93, v68
	s_waitcnt lgkmcnt(0)
	v_cndmask_b32_e32 v81, v0, v68, vcc
	v_or_b32_e32 v0, 16, v98
	v_cmp_le_i32_e64 s[14:15], s47, v0
	v_cndmask_b32_e64 v80, v1, v68, s[6:7]
	v_cndmask_b32_e64 v69, v3, v68, s[12:13]
	;; [unrolled: 1-line block ×4, first 2 shown]
	v_pk_mul_f32 v[2:3], v[68:69], v[76:77] op_sel_hi:[0,1]
	v_pk_mul_f32 v[0:1], v[68:69], v[78:79] op_sel_hi:[0,1]
	v_cndmask_b32_e64 v76, v2, v3, s[12:13]
	v_cndmask_b32_e32 v76, v76, v0, vcc
	v_cndmask_b32_e64 v76, v76, v1, s[6:7]
	ds_bpermute_b32 v79, v93, v76
	v_cndmask_b32_e64 v70, v71, v69, s[10:11]
	v_cmp_eq_u32_e64 s[14:15], 2, v82
	s_waitcnt lgkmcnt(0)
	v_cndmask_b32_e32 v78, v0, v79, vcc
	v_cndmask_b32_e64 v70, v70, v81, s[14:15]
	v_or_b32_e32 v0, 32, v98
	v_cndmask_b32_e64 v70, v70, v80, s[16:17]
	v_cmp_le_i32_e64 s[18:19], s47, v0
	ds_bpermute_b32 v76, v93, v70
	v_cndmask_b32_e64 v86, v3, v79, s[12:13]
	v_cndmask_b32_e64 v70, 0, v20, s[18:19]
	;; [unrolled: 1-line block ×3, first 2 shown]
	v_pk_mul_f32 v[2:3], v[70:71], v[72:73] op_sel_hi:[0,1]
	v_cndmask_b32_e64 v77, v1, v79, s[6:7]
	v_pk_mul_f32 v[0:1], v[70:71], v[74:75] op_sel_hi:[0,1]
	v_cndmask_b32_e64 v72, v2, v3, s[12:13]
	v_cndmask_b32_e32 v72, v72, v0, vcc
	v_cndmask_b32_e64 v72, v72, v1, s[6:7]
	ds_bpermute_b32 v72, v93, v72
	v_cndmask_b32_e64 v73, v87, v86, s[10:11]
	v_cndmask_b32_e64 v73, v73, v78, s[14:15]
	;; [unrolled: 1-line block ×3, first 2 shown]
	ds_bpermute_b32 v74, v93, v73
	s_waitcnt lgkmcnt(1)
	v_cndmask_b32_e32 v79, v0, v72, vcc
	v_or_b32_e32 v0, 48, v98
	v_cmp_le_i32_e64 s[18:19], s47, v0
	v_cndmask_b32_e64 v75, v1, v72, s[6:7]
	v_cndmask_b32_e64 v73, v3, v72, s[12:13]
	;; [unrolled: 1-line block ×4, first 2 shown]
	v_pk_mul_f32 v[2:3], v[72:73], v[64:65] op_sel_hi:[0,1]
	v_pk_mul_f32 v[0:1], v[72:73], v[66:67] op_sel_hi:[0,1]
	v_cndmask_b32_e64 v64, v2, v3, s[12:13]
	v_cndmask_b32_e32 v64, v64, v0, vcc
	v_cndmask_b32_e64 v64, v64, v1, s[6:7]
	ds_bpermute_b32 v64, v93, v64
	v_cndmask_b32_e64 v65, v91, v73, s[10:11]
	v_cndmask_b32_e64 v65, v65, v79, s[14:15]
	;; [unrolled: 1-line block ×3, first 2 shown]
	ds_bpermute_b32 v66, v93, v65
	s_waitcnt lgkmcnt(1)
	v_cndmask_b32_e32 v82, v0, v64, vcc
	v_or_b32_e32 v0, 64, v98
	v_cmp_le_i32_e64 s[18:19], s47, v0
	v_cndmask_b32_e64 v67, v1, v64, s[6:7]
	v_cndmask_b32_e64 v95, v3, v64, s[12:13]
	;; [unrolled: 1-line block ×4, first 2 shown]
	v_pk_mul_f32 v[2:3], v[64:65], v[60:61] op_sel_hi:[0,1]
	v_pk_mul_f32 v[0:1], v[64:65], v[62:63] op_sel_hi:[0,1]
	v_cndmask_b32_e64 v60, v2, v3, s[12:13]
	v_cndmask_b32_e32 v60, v60, v0, vcc
	v_cndmask_b32_e64 v60, v60, v1, s[6:7]
	ds_bpermute_b32 v61, v93, v60
	v_cndmask_b32_e64 v60, v96, v95, s[10:11]
	v_cndmask_b32_e64 v60, v60, v82, s[14:15]
	;; [unrolled: 1-line block ×3, first 2 shown]
	ds_bpermute_b32 v62, v93, v60
	s_waitcnt lgkmcnt(1)
	v_cndmask_b32_e32 v83, v0, v61, vcc
	v_cmp_ne_u32_e32 vcc, 0, v89
	v_cndmask_b32_e64 v63, v1, v61, s[6:7]
	s_nop 0
	v_cndmask_b32_e32 v60, v3, v61, vcc
	v_cndmask_b32_e64 v61, v2, v61, s[8:9]
	v_cndmask_b32_e64 v0, v61, v60, s[10:11]
	;; [unrolled: 1-line block ×4, first 2 shown]
	ds_bpermute_b32 v89, v93, v0
	scratch_load_dword v0, off, off offset:24 ; 4-byte Folded Reload
	s_waitcnt vmcnt(0)
	v_add_u32_e32 v65, s69, v0
	v_cmp_gt_u32_e32 vcc, 64, v65
	s_and_saveexec_b64 s[18:19], vcc
	s_cbranch_execz .LBB366_50
; %bb.42:                               ;   in Loop: Header=BB366_7 Depth=1
	v_cmp_eq_u32_e64 s[8:9], 1, v97
	v_cmp_eq_u32_e64 s[10:11], 0, v97
	v_cmp_eq_u32_e32 vcc, 3, v97
	v_cndmask_b32_e64 v0, v69, v76, s[8:9]
	v_cndmask_b32_e64 v1, v71, v76, s[10:11]
	;; [unrolled: 1-line block ×4, first 2 shown]
	s_waitcnt lgkmcnt(0)
	v_cndmask_b32_e64 v87, v60, v89, s[8:9]
	v_cndmask_b32_e64 v91, v61, v89, s[10:11]
	scratch_load_dwordx2 v[60:61], off, off offset:64 ; 8-byte Folded Reload
	v_cndmask_b32_e64 v2, v86, v74, s[8:9]
	v_cndmask_b32_e64 v69, v73, v66, s[8:9]
	;; [unrolled: 1-line block ×3, first 2 shown]
	s_mul_i32 s8, s67, s21
	s_ashr_i32 s9, s8, 31
	s_lshl_b64 s[8:9], s[8:9], 1
	v_cndmask_b32_e64 v86, v96, v62, s[10:11]
	s_add_u32 s10, s40, s8
	s_addc_u32 s11, s41, s9
	s_ashr_i32 s47, s46, 31
	v_cvt_f16_f32_e32 v1, v1
	v_cvt_f16_f32_sdwa v0, v0 dst_sel:WORD_1 dst_unused:UNUSED_PAD src0_sel:DWORD
	v_cvt_f16_f32_e32 v3, v3
	v_cvt_f16_f32_sdwa v2, v2 dst_sel:WORD_1 dst_unused:UNUSED_PAD src0_sel:DWORD
	s_lshl_b64 s[8:9], s[46:47], 1
	v_cvt_f16_f32_e32 v71, v71
	v_cvt_f16_f32_sdwa v69, v69 dst_sel:WORD_1 dst_unused:UNUSED_PAD src0_sel:DWORD
	s_add_u32 s52, s10, s8
	s_addc_u32 s53, s11, s9
	v_or_b32_e32 v0, v0, v1
	v_or_b32_e32 v2, v2, v3
	v_cvt_f16_f32_sdwa v3, v73 dst_sel:WORD_1 dst_unused:UNUSED_PAD src0_sel:DWORD
	v_cmp_eq_u32_e64 s[6:7], 2, v97
	v_cmp_gt_u32_e64 s[8:9], 62, v65
	s_waitcnt vmcnt(0)
	v_lshl_add_u64 v[60:61], v[60:61], 1, s[52:53]
	;;#ASMSTART
	global_atomic_pk_add_f16 v[60:61], v0, off
	
	;;#ASMEND
	v_lshl_add_u64 v[0:1], v[60:61], 0, 32
	;;#ASMSTART
	global_atomic_pk_add_f16 v[0:1], v2, off
	
	;;#ASMEND
	v_or_b32_e32 v2, v69, v71
	v_lshl_add_u64 v[0:1], v[60:61], 0, 64
	;;#ASMSTART
	global_atomic_pk_add_f16 v[0:1], v2, off
	
	;;#ASMEND
	v_cvt_f16_f32_e32 v2, v86
	v_cvt_f16_f32_e32 v69, v91
	v_cvt_f16_f32_sdwa v71, v87 dst_sel:WORD_1 dst_unused:UNUSED_PAD src0_sel:DWORD
	v_lshl_add_u64 v[0:1], v[60:61], 0, s[30:31]
	v_or_b32_e32 v2, v3, v2
	;;#ASMSTART
	global_atomic_pk_add_f16 v[0:1], v2, off
	
	;;#ASMEND
	v_lshl_add_u64 v[0:1], v[60:61], 0, s[34:35]
	v_or_b32_e32 v2, v71, v69
	;;#ASMSTART
	global_atomic_pk_add_f16 v[0:1], v2, off
	
	;;#ASMEND
	s_and_b64 exec, exec, s[8:9]
	s_cbranch_execz .LBB366_50
; %bb.43:                               ;   in Loop: Header=BB366_7 Depth=1
	v_cndmask_b32_e32 v0, v80, v76, vcc
	v_cndmask_b32_e64 v1, v81, v76, s[6:7]
	v_cndmask_b32_e32 v2, v77, v74, vcc
	v_cndmask_b32_e64 v3, v78, v74, s[6:7]
	v_cvt_f16_f32_e32 v76, v1
	v_cvt_f16_f32_sdwa v77, v0 dst_sel:WORD_1 dst_unused:UNUSED_PAD src0_sel:DWORD
	v_lshl_add_u64 v[0:1], s[28:29], 2, v[60:61]
	v_cvt_f16_f32_e32 v60, v3
	v_cvt_f16_f32_sdwa v61, v2 dst_sel:WORD_1 dst_unused:UNUSED_PAD src0_sel:DWORD
	v_cndmask_b32_e32 v74, v75, v66, vcc
	v_cndmask_b32_e64 v66, v79, v66, s[6:7]
	v_or_b32_e32 v2, v77, v76
	v_or_b32_e32 v60, v61, v60
	;;#ASMSTART
	global_atomic_pk_add_f16 v[0:1], v2, off
	
	;;#ASMEND
	v_lshl_add_u64 v[2:3], v[0:1], 0, 32
	;;#ASMSTART
	global_atomic_pk_add_f16 v[2:3], v60, off
	
	;;#ASMEND
	v_cvt_f16_f32_e32 v60, v66
	v_cvt_f16_f32_sdwa v61, v74 dst_sel:WORD_1 dst_unused:UNUSED_PAD src0_sel:DWORD
	v_lshl_add_u64 v[2:3], v[0:1], 0, 64
	v_mov_b32_e32 v95, v94
	v_cndmask_b32_e32 v67, v67, v62, vcc
	v_or_b32_e32 v60, v61, v60
	;;#ASMSTART
	global_atomic_pk_add_f16 v[2:3], v60, off
	
	;;#ASMEND
	scratch_load_dword v78, off, off offset:20 ; 4-byte Folded Reload
	v_cndmask_b32_e64 v62, v82, v62, s[6:7]
	v_mov_b32_e32 v60, v94
	v_mov_b32_e32 v61, v94
	v_cvt_f16_f32_e32 v62, v62
	v_cvt_f16_f32_sdwa v66, v67 dst_sel:WORD_1 dst_unused:UNUSED_PAD src0_sel:DWORD
	v_pk_mul_f32 v[58:59], v[60:61], v[58:59]
	v_pk_mul_f32 v[60:61], v[94:95], v[56:57]
	v_cndmask_b32_e32 v63, v63, v89, vcc
	v_cndmask_b32_e64 v75, v83, v89, s[6:7]
	v_or_b32_e32 v62, v66, v62
	v_mov_b32_e32 v69, v68
	v_lshl_add_u64 v[2:3], v[0:1], 0, s[30:31]
	;;#ASMSTART
	global_atomic_pk_add_f16 v[2:3], v62, off
	
	;;#ASMEND
	v_mov_b32_e32 v2, v68
	v_mov_b32_e32 v3, v68
	v_pk_mul_f32 v[2:3], v[2:3], v[54:55]
	v_cvt_f16_f32_sdwa v77, v63 dst_sel:WORD_1 dst_unused:UNUSED_PAD src0_sel:DWORD
	v_cmp_eq_u32_e64 s[12:13], 1, v97
	v_mov_b32_e32 v71, v70
	v_cmp_eq_u32_e64 s[14:15], 2, v97
	v_mov_b32_e32 v73, v72
	v_cvt_f16_f32_e32 v76, v75
	v_pk_mul_f32 v[74:75], v[72:73], v[44:45]
	v_mov_b32_e32 v65, v64
	v_cmp_eq_u32_e64 s[16:17], 3, v97
	v_lshl_add_u64 v[0:1], v[0:1], 0, s[34:35]
	s_waitcnt vmcnt(0)
	v_cmp_eq_u32_e64 s[8:9], 1, v78
	s_nop 1
	v_cndmask_b32_e64 v56, v60, v61, s[8:9]
	v_cmp_eq_u32_e32 vcc, 2, v78
	v_cmp_eq_u32_e64 s[6:7], 3, v78
	v_cmp_eq_u32_e64 s[10:11], 0, v78
	v_cndmask_b32_e32 v56, v56, v58, vcc
	v_cndmask_b32_e64 v56, v56, v59, s[6:7]
	ds_bpermute_b32 v66, v93, v56
	v_cndmask_b32_e64 v44, v74, v75, s[8:9]
	s_waitcnt lgkmcnt(0)
	v_cndmask_b32_e64 v56, v59, v66, s[6:7]
	v_cndmask_b32_e32 v57, v58, v66, vcc
	v_cndmask_b32_e64 v58, v61, v66, s[8:9]
	v_cndmask_b32_e64 v59, v60, v66, s[10:11]
	v_pk_mul_f32 v[60:61], v[68:69], v[52:53]
	v_cndmask_b32_e64 v62, v59, v58, s[12:13]
	v_cndmask_b32_e64 v52, v60, v61, s[8:9]
	v_cndmask_b32_e32 v52, v52, v2, vcc
	v_cndmask_b32_e64 v52, v52, v3, s[6:7]
	ds_bpermute_b32 v63, v93, v52
	v_cndmask_b32_e64 v52, v62, v57, s[14:15]
	v_cndmask_b32_e64 v52, v52, v56, s[16:17]
	ds_bpermute_b32 v52, v93, v52
	s_waitcnt lgkmcnt(1)
	v_cndmask_b32_e64 v53, v3, v63, s[6:7]
	v_cndmask_b32_e32 v54, v2, v63, vcc
	v_cndmask_b32_e64 v55, v61, v63, s[8:9]
	v_cndmask_b32_e64 v60, v60, v63, s[10:11]
	v_mov_b32_e32 v2, v70
	v_mov_b32_e32 v3, v70
	v_pk_mul_f32 v[62:63], v[70:71], v[48:49]
	v_pk_mul_f32 v[2:3], v[2:3], v[50:51]
	v_cndmask_b32_e64 v48, v62, v63, s[8:9]
	v_cndmask_b32_e32 v48, v48, v2, vcc
	v_cndmask_b32_e64 v48, v48, v3, s[6:7]
	ds_bpermute_b32 v51, v93, v48
	v_cndmask_b32_e64 v48, v60, v55, s[12:13]
	v_cndmask_b32_e64 v48, v48, v54, s[14:15]
	;; [unrolled: 1-line block ×3, first 2 shown]
	ds_bpermute_b32 v48, v93, v48
	s_waitcnt lgkmcnt(1)
	v_cndmask_b32_e64 v49, v3, v51, s[6:7]
	v_cndmask_b32_e32 v50, v2, v51, vcc
	v_mov_b32_e32 v2, v72
	v_mov_b32_e32 v3, v72
	v_pk_mul_f32 v[2:3], v[2:3], v[46:47]
	v_cndmask_b32_e64 v61, v63, v51, s[8:9]
	v_cndmask_b32_e32 v44, v44, v2, vcc
	v_cndmask_b32_e64 v44, v44, v3, s[6:7]
	ds_bpermute_b32 v47, v93, v44
	v_cndmask_b32_e64 v62, v62, v51, s[10:11]
	v_cndmask_b32_e64 v44, v62, v61, s[12:13]
	v_cndmask_b32_e64 v44, v44, v50, s[14:15]
	v_cndmask_b32_e64 v44, v44, v49, s[16:17]
	s_waitcnt lgkmcnt(0)
	v_cndmask_b32_e64 v45, v3, v47, s[6:7]
	v_cndmask_b32_e32 v46, v2, v47, vcc
	v_cndmask_b32_e64 v66, v75, v47, s[8:9]
	v_cndmask_b32_e64 v67, v74, v47, s[10:11]
	v_mov_b32_e32 v2, v64
	v_mov_b32_e32 v3, v64
	v_pk_mul_f32 v[74:75], v[64:65], v[40:41]
	v_pk_mul_f32 v[2:3], v[2:3], v[42:43]
	v_cndmask_b32_e64 v40, v74, v75, s[8:9]
	v_cndmask_b32_e32 v40, v40, v2, vcc
	v_cndmask_b32_e64 v40, v40, v3, s[6:7]
	ds_bpermute_b32 v41, v93, v40
	v_cndmask_b32_e64 v40, v67, v66, s[12:13]
	v_cndmask_b32_e64 v40, v40, v46, s[14:15]
	;; [unrolled: 1-line block ×3, first 2 shown]
	ds_bpermute_b32 v42, v93, v40
	s_waitcnt lgkmcnt(1)
	v_cndmask_b32_e32 v47, v2, v41, vcc
	v_cmp_ne_u32_e32 vcc, 0, v78
	v_cndmask_b32_e64 v43, v3, v41, s[6:7]
	ds_bpermute_b32 v44, v93, v44
	v_cndmask_b32_e32 v40, v75, v41, vcc
	v_cndmask_b32_e64 v41, v74, v41, s[10:11]
	v_cndmask_b32_e64 v2, v41, v40, s[12:13]
	;; [unrolled: 1-line block ×4, first 2 shown]
	ds_bpermute_b32 v51, v93, v2
	v_or_b32_e32 v2, v77, v76
	;;#ASMSTART
	global_atomic_pk_add_f16 v[0:1], v2, off
	
	;;#ASMEND
	scratch_load_dword v0, off, off offset:24 ; 4-byte Folded Reload
	s_waitcnt vmcnt(0)
	v_or_b32_e32 v0, 16, v0
	v_add_u32_e32 v63, s69, v0
	v_cmp_gt_u32_e32 vcc, 64, v63
	s_and_b64 exec, exec, vcc
	s_cbranch_execz .LBB366_50
; %bb.44:                               ;   in Loop: Header=BB366_7 Depth=1
	v_cmp_eq_u32_e64 s[8:9], 1, v97
	v_cmp_eq_u32_e64 s[10:11], 0, v97
	v_cmp_eq_u32_e32 vcc, 3, v97
	v_cndmask_b32_e64 v0, v58, v52, s[8:9]
	v_cndmask_b32_e64 v2, v55, v48, s[8:9]
	s_waitcnt lgkmcnt(1)
	v_cndmask_b32_e64 v55, v61, v44, s[8:9]
	v_cndmask_b32_e64 v58, v62, v44, s[10:11]
	s_waitcnt lgkmcnt(0)
	v_cndmask_b32_e64 v61, v40, v51, s[8:9]
	v_cndmask_b32_e64 v62, v41, v51, s[10:11]
	scratch_load_dwordx2 v[40:41], off, off offset:72 ; 8-byte Folded Reload
	v_cndmask_b32_e64 v1, v59, v52, s[10:11]
	v_cndmask_b32_e64 v3, v60, v48, s[10:11]
	v_cvt_f16_f32_e32 v1, v1
	v_cvt_f16_f32_sdwa v0, v0 dst_sel:WORD_1 dst_unused:UNUSED_PAD src0_sel:DWORD
	v_cvt_f16_f32_e32 v3, v3
	v_cvt_f16_f32_sdwa v2, v2 dst_sel:WORD_1 dst_unused:UNUSED_PAD src0_sel:DWORD
	;; [unrolled: 2-line block ×3, first 2 shown]
	v_or_b32_e32 v0, v0, v1
	v_or_b32_e32 v2, v2, v3
	v_cndmask_b32_e64 v59, v66, v42, s[8:9]
	v_cndmask_b32_e64 v60, v67, v42, s[10:11]
	v_cvt_f16_f32_sdwa v3, v59 dst_sel:WORD_1 dst_unused:UNUSED_PAD src0_sel:DWORD
	v_cmp_eq_u32_e64 s[6:7], 2, v97
	v_cmp_gt_u32_e64 s[8:9], 62, v63
	s_waitcnt vmcnt(0)
	v_lshl_add_u64 v[40:41], v[40:41], 1, s[52:53]
	;;#ASMSTART
	global_atomic_pk_add_f16 v[40:41], v0, off
	
	;;#ASMEND
	v_lshl_add_u64 v[0:1], v[40:41], 0, 32
	;;#ASMSTART
	global_atomic_pk_add_f16 v[0:1], v2, off
	
	;;#ASMEND
	v_or_b32_e32 v2, v55, v58
	v_lshl_add_u64 v[0:1], v[40:41], 0, 64
	;;#ASMSTART
	global_atomic_pk_add_f16 v[0:1], v2, off
	
	;;#ASMEND
	v_cvt_f16_f32_e32 v2, v60
	v_cvt_f16_f32_e32 v55, v62
	v_cvt_f16_f32_sdwa v58, v61 dst_sel:WORD_1 dst_unused:UNUSED_PAD src0_sel:DWORD
	v_lshl_add_u64 v[0:1], v[40:41], 0, s[30:31]
	v_or_b32_e32 v2, v3, v2
	;;#ASMSTART
	global_atomic_pk_add_f16 v[0:1], v2, off
	
	;;#ASMEND
	v_lshl_add_u64 v[0:1], v[40:41], 0, s[34:35]
	v_or_b32_e32 v2, v58, v55
	;;#ASMSTART
	global_atomic_pk_add_f16 v[0:1], v2, off
	
	;;#ASMEND
	s_and_b64 exec, exec, s[8:9]
	s_cbranch_execz .LBB366_50
; %bb.45:                               ;   in Loop: Header=BB366_7 Depth=1
	v_cndmask_b32_e32 v0, v56, v52, vcc
	v_cndmask_b32_e64 v1, v57, v52, s[6:7]
	v_cndmask_b32_e32 v2, v53, v48, vcc
	v_cndmask_b32_e64 v3, v54, v48, s[6:7]
	v_cndmask_b32_e32 v48, v49, v44, vcc
	v_cndmask_b32_e32 v45, v45, v42, vcc
	v_cndmask_b32_e64 v42, v46, v42, s[6:7]
	v_cndmask_b32_e64 v46, v47, v51, s[6:7]
	v_cvt_f16_f32_e32 v47, v1
	v_cvt_f16_f32_sdwa v49, v0 dst_sel:WORD_1 dst_unused:UNUSED_PAD src0_sel:DWORD
	v_lshl_add_u64 v[0:1], s[28:29], 2, v[40:41]
	v_cvt_f16_f32_e32 v40, v3
	v_cvt_f16_f32_sdwa v41, v2 dst_sel:WORD_1 dst_unused:UNUSED_PAD src0_sel:DWORD
	v_cndmask_b32_e64 v44, v50, v44, s[6:7]
	v_or_b32_e32 v2, v49, v47
	;;#ASMSTART
	global_atomic_pk_add_f16 v[0:1], v2, off
	
	;;#ASMEND
	v_or_b32_e32 v40, v41, v40
	v_lshl_add_u64 v[2:3], v[0:1], 0, 32
	;;#ASMSTART
	global_atomic_pk_add_f16 v[2:3], v40, off
	
	;;#ASMEND
	v_cvt_f16_f32_e32 v40, v44
	v_cvt_f16_f32_sdwa v41, v48 dst_sel:WORD_1 dst_unused:UNUSED_PAD src0_sel:DWORD
	v_lshl_add_u64 v[2:3], v[0:1], 0, 64
	v_cvt_f16_f32_e32 v42, v42
	v_cvt_f16_f32_sdwa v44, v45 dst_sel:WORD_1 dst_unused:UNUSED_PAD src0_sel:DWORD
	v_or_b32_e32 v40, v41, v40
	;;#ASMSTART
	global_atomic_pk_add_f16 v[2:3], v40, off
	
	;;#ASMEND
	scratch_load_dword v50, off, off offset:20 ; 4-byte Folded Reload
	v_mov_b32_e32 v40, v94
	v_mov_b32_e32 v41, v94
	v_pk_mul_f32 v[38:39], v[40:41], v[38:39]
	v_pk_mul_f32 v[40:41], v[94:95], v[36:37]
	v_cndmask_b32_e32 v43, v43, v51, vcc
	v_or_b32_e32 v42, v44, v42
	v_lshl_add_u64 v[2:3], v[0:1], 0, s[30:31]
	;;#ASMSTART
	global_atomic_pk_add_f16 v[2:3], v42, off
	
	;;#ASMEND
	v_mov_b32_e32 v2, v68
	v_mov_b32_e32 v3, v68
	v_pk_mul_f32 v[2:3], v[2:3], v[34:35]
	v_cvt_f16_f32_sdwa v49, v43 dst_sel:WORD_1 dst_unused:UNUSED_PAD src0_sel:DWORD
	v_cmp_eq_u32_e64 s[12:13], 1, v97
	v_cmp_eq_u32_e64 s[14:15], 2, v97
	v_cvt_f16_f32_e32 v48, v46
	v_pk_mul_f32 v[46:47], v[72:73], v[24:25]
	v_cmp_eq_u32_e64 s[16:17], 3, v97
	v_lshl_add_u64 v[0:1], v[0:1], 0, s[34:35]
	s_waitcnt vmcnt(0)
	v_cmp_eq_u32_e64 s[8:9], 1, v50
	s_nop 1
	v_cndmask_b32_e64 v36, v40, v41, s[8:9]
	v_cmp_eq_u32_e32 vcc, 2, v50
	v_cmp_eq_u32_e64 s[6:7], 3, v50
	v_cmp_eq_u32_e64 s[10:11], 0, v50
	v_cndmask_b32_e32 v36, v36, v38, vcc
	v_cndmask_b32_e64 v36, v36, v39, s[6:7]
	ds_bpermute_b32 v44, v93, v36
	v_cndmask_b32_e64 v24, v46, v47, s[8:9]
	s_waitcnt lgkmcnt(0)
	v_cndmask_b32_e64 v36, v39, v44, s[6:7]
	v_cndmask_b32_e32 v37, v38, v44, vcc
	v_cndmask_b32_e64 v38, v41, v44, s[8:9]
	v_cndmask_b32_e64 v39, v40, v44, s[10:11]
	v_pk_mul_f32 v[40:41], v[68:69], v[32:33]
	v_cndmask_b32_e64 v42, v39, v38, s[12:13]
	v_cndmask_b32_e64 v32, v40, v41, s[8:9]
	v_cndmask_b32_e32 v32, v32, v2, vcc
	v_cndmask_b32_e64 v32, v32, v3, s[6:7]
	ds_bpermute_b32 v43, v93, v32
	v_cndmask_b32_e64 v32, v42, v37, s[14:15]
	v_cndmask_b32_e64 v32, v32, v36, s[16:17]
	ds_bpermute_b32 v32, v93, v32
	s_waitcnt lgkmcnt(1)
	v_cndmask_b32_e64 v33, v3, v43, s[6:7]
	v_cndmask_b32_e32 v34, v2, v43, vcc
	v_cndmask_b32_e64 v35, v41, v43, s[8:9]
	v_cndmask_b32_e64 v40, v40, v43, s[10:11]
	v_mov_b32_e32 v2, v70
	v_mov_b32_e32 v3, v70
	v_pk_mul_f32 v[42:43], v[70:71], v[28:29]
	v_pk_mul_f32 v[2:3], v[2:3], v[30:31]
	v_cndmask_b32_e64 v28, v42, v43, s[8:9]
	v_cndmask_b32_e32 v28, v28, v2, vcc
	v_cndmask_b32_e64 v28, v28, v3, s[6:7]
	ds_bpermute_b32 v31, v93, v28
	v_cndmask_b32_e64 v28, v40, v35, s[12:13]
	v_cndmask_b32_e64 v28, v28, v34, s[14:15]
	;; [unrolled: 1-line block ×3, first 2 shown]
	ds_bpermute_b32 v28, v93, v28
	s_waitcnt lgkmcnt(1)
	v_cndmask_b32_e64 v29, v3, v31, s[6:7]
	v_cndmask_b32_e32 v30, v2, v31, vcc
	v_mov_b32_e32 v2, v72
	v_mov_b32_e32 v3, v72
	v_pk_mul_f32 v[2:3], v[2:3], v[26:27]
	v_cndmask_b32_e64 v41, v43, v31, s[8:9]
	v_cndmask_b32_e32 v24, v24, v2, vcc
	v_cndmask_b32_e64 v24, v24, v3, s[6:7]
	ds_bpermute_b32 v27, v93, v24
	v_cndmask_b32_e64 v42, v42, v31, s[10:11]
	v_cndmask_b32_e64 v24, v42, v41, s[12:13]
	;; [unrolled: 1-line block ×4, first 2 shown]
	s_waitcnt lgkmcnt(0)
	v_cndmask_b32_e64 v25, v3, v27, s[6:7]
	v_cndmask_b32_e32 v26, v2, v27, vcc
	v_cndmask_b32_e64 v44, v47, v27, s[8:9]
	v_cndmask_b32_e64 v45, v46, v27, s[10:11]
	v_mov_b32_e32 v2, v64
	v_mov_b32_e32 v3, v64
	v_pk_mul_f32 v[46:47], v[64:65], v[100:101]
	v_pk_mul_f32 v[2:3], v[2:3], v[102:103]
	v_cndmask_b32_e64 v20, v46, v47, s[8:9]
	v_cndmask_b32_e32 v20, v20, v2, vcc
	v_cndmask_b32_e64 v20, v20, v3, s[6:7]
	ds_bpermute_b32 v21, v93, v20
	v_cndmask_b32_e64 v20, v45, v44, s[12:13]
	v_cndmask_b32_e64 v20, v20, v26, s[14:15]
	;; [unrolled: 1-line block ×3, first 2 shown]
	ds_bpermute_b32 v22, v93, v20
	s_waitcnt lgkmcnt(1)
	v_cndmask_b32_e32 v27, v2, v21, vcc
	v_cmp_ne_u32_e32 vcc, 0, v50
	v_cndmask_b32_e64 v23, v3, v21, s[6:7]
	ds_bpermute_b32 v24, v93, v24
	v_cndmask_b32_e32 v20, v47, v21, vcc
	v_cndmask_b32_e64 v21, v46, v21, s[10:11]
	v_cndmask_b32_e64 v2, v21, v20, s[12:13]
	;; [unrolled: 1-line block ×4, first 2 shown]
	ds_bpermute_b32 v31, v93, v2
	v_or_b32_e32 v2, v49, v48
	;;#ASMSTART
	global_atomic_pk_add_f16 v[0:1], v2, off
	
	;;#ASMEND
	scratch_load_dword v0, off, off offset:24 ; 4-byte Folded Reload
	s_waitcnt vmcnt(0)
	v_or_b32_e32 v0, 32, v0
	v_add_u32_e32 v43, s69, v0
	v_cmp_gt_u32_e32 vcc, 64, v43
	s_and_b64 exec, exec, vcc
	s_cbranch_execz .LBB366_50
; %bb.46:                               ;   in Loop: Header=BB366_7 Depth=1
	v_cmp_eq_u32_e64 s[8:9], 1, v97
	v_cmp_eq_u32_e64 s[10:11], 0, v97
	v_cmp_eq_u32_e32 vcc, 3, v97
	v_cndmask_b32_e64 v0, v38, v32, s[8:9]
	v_cndmask_b32_e64 v2, v35, v28, s[8:9]
	s_waitcnt lgkmcnt(1)
	v_cndmask_b32_e64 v35, v41, v24, s[8:9]
	v_cndmask_b32_e64 v38, v42, v24, s[10:11]
	s_waitcnt lgkmcnt(0)
	v_cndmask_b32_e64 v41, v20, v31, s[8:9]
	v_cndmask_b32_e64 v42, v21, v31, s[10:11]
	scratch_load_dwordx2 v[20:21], off, off offset:80 ; 8-byte Folded Reload
	v_cndmask_b32_e64 v1, v39, v32, s[10:11]
	v_cndmask_b32_e64 v3, v40, v28, s[10:11]
	v_cvt_f16_f32_e32 v1, v1
	v_cvt_f16_f32_sdwa v0, v0 dst_sel:WORD_1 dst_unused:UNUSED_PAD src0_sel:DWORD
	v_cvt_f16_f32_e32 v3, v3
	v_cvt_f16_f32_sdwa v2, v2 dst_sel:WORD_1 dst_unused:UNUSED_PAD src0_sel:DWORD
	;; [unrolled: 2-line block ×3, first 2 shown]
	v_or_b32_e32 v0, v0, v1
	v_or_b32_e32 v2, v2, v3
	v_cndmask_b32_e64 v39, v44, v22, s[8:9]
	v_cndmask_b32_e64 v40, v45, v22, s[10:11]
	v_cvt_f16_f32_sdwa v3, v39 dst_sel:WORD_1 dst_unused:UNUSED_PAD src0_sel:DWORD
	v_cmp_eq_u32_e64 s[6:7], 2, v97
	v_cmp_gt_u32_e64 s[8:9], 62, v43
	s_waitcnt vmcnt(0)
	v_lshl_add_u64 v[20:21], v[20:21], 1, s[52:53]
	;;#ASMSTART
	global_atomic_pk_add_f16 v[20:21], v0, off
	
	;;#ASMEND
	v_lshl_add_u64 v[0:1], v[20:21], 0, 32
	;;#ASMSTART
	global_atomic_pk_add_f16 v[0:1], v2, off
	
	;;#ASMEND
	v_or_b32_e32 v2, v35, v38
	v_lshl_add_u64 v[0:1], v[20:21], 0, 64
	;;#ASMSTART
	global_atomic_pk_add_f16 v[0:1], v2, off
	
	;;#ASMEND
	v_cvt_f16_f32_e32 v2, v40
	v_cvt_f16_f32_e32 v35, v42
	v_cvt_f16_f32_sdwa v38, v41 dst_sel:WORD_1 dst_unused:UNUSED_PAD src0_sel:DWORD
	v_lshl_add_u64 v[0:1], v[20:21], 0, s[30:31]
	v_or_b32_e32 v2, v3, v2
	;;#ASMSTART
	global_atomic_pk_add_f16 v[0:1], v2, off
	
	;;#ASMEND
	v_lshl_add_u64 v[0:1], v[20:21], 0, s[34:35]
	v_or_b32_e32 v2, v38, v35
	;;#ASMSTART
	global_atomic_pk_add_f16 v[0:1], v2, off
	
	;;#ASMEND
	s_and_b64 exec, exec, s[8:9]
	s_cbranch_execz .LBB366_50
; %bb.47:                               ;   in Loop: Header=BB366_7 Depth=1
	v_cndmask_b32_e32 v0, v36, v32, vcc
	v_cndmask_b32_e64 v1, v37, v32, s[6:7]
	v_cndmask_b32_e32 v2, v33, v28, vcc
	v_cndmask_b32_e64 v3, v34, v28, s[6:7]
	v_cndmask_b32_e32 v28, v29, v24, vcc
	v_cndmask_b32_e32 v25, v25, v22, vcc
	v_cndmask_b32_e64 v22, v26, v22, s[6:7]
	v_cndmask_b32_e64 v26, v27, v31, s[6:7]
	v_cvt_f16_f32_e32 v27, v1
	v_cvt_f16_f32_sdwa v29, v0 dst_sel:WORD_1 dst_unused:UNUSED_PAD src0_sel:DWORD
	v_lshl_add_u64 v[0:1], s[28:29], 2, v[20:21]
	v_cvt_f16_f32_e32 v20, v3
	v_cvt_f16_f32_sdwa v21, v2 dst_sel:WORD_1 dst_unused:UNUSED_PAD src0_sel:DWORD
	v_cndmask_b32_e64 v24, v30, v24, s[6:7]
	v_or_b32_e32 v2, v29, v27
	;;#ASMSTART
	global_atomic_pk_add_f16 v[0:1], v2, off
	
	;;#ASMEND
	v_or_b32_e32 v20, v21, v20
	v_lshl_add_u64 v[2:3], v[0:1], 0, 32
	;;#ASMSTART
	global_atomic_pk_add_f16 v[2:3], v20, off
	
	;;#ASMEND
	v_cvt_f16_f32_e32 v20, v24
	v_cvt_f16_f32_sdwa v21, v28 dst_sel:WORD_1 dst_unused:UNUSED_PAD src0_sel:DWORD
	v_cndmask_b32_e32 v23, v23, v31, vcc
	v_lshl_add_u64 v[2:3], v[0:1], 0, 64
	v_cvt_f16_f32_e32 v30, v26
	v_or_b32_e32 v20, v21, v20
	;;#ASMSTART
	global_atomic_pk_add_f16 v[2:3], v20, off
	
	;;#ASMEND
	scratch_load_dword v31, off, off offset:20 ; 4-byte Folded Reload
	v_cvt_f16_f32_sdwa v23, v23 dst_sel:WORD_1 dst_unused:UNUSED_PAD src0_sel:DWORD
	v_cvt_f16_f32_e32 v22, v22
	v_cvt_f16_f32_sdwa v24, v25 dst_sel:WORD_1 dst_unused:UNUSED_PAD src0_sel:DWORD
	v_lshl_add_u64 v[2:3], v[0:1], 0, s[30:31]
	v_or_b32_e32 v23, v23, v30
	v_lshl_add_u64 v[26:27], v[0:1], 0, s[34:35]
	v_or_b32_e32 v22, v24, v22
	;;#ASMSTART
	global_atomic_pk_add_f16 v[2:3], v22, off
	
	;;#ASMEND
	;;#ASMSTART
	global_atomic_pk_add_f16 v[26:27], v23, off
	
	;;#ASMEND
	scratch_load_dword v23, off, off offset:24 ; 4-byte Folded Reload
	v_mov_b32_e32 v20, v94
	v_mov_b32_e32 v21, v94
	v_pk_mul_f32 v[18:19], v[20:21], v[18:19]
	v_pk_mul_f32 v[20:21], v[94:95], v[16:17]
	v_mov_b32_e32 v0, v68
	v_mov_b32_e32 v1, v68
	v_pk_mul_f32 v[2:3], v[68:69], v[8:9]
	v_pk_mul_f32 v[0:1], v[0:1], v[10:11]
	v_cmp_eq_u32_e64 s[12:13], 1, v97
	v_cmp_eq_u32_e64 s[14:15], 2, v97
	v_cmp_eq_u32_e64 s[16:17], 3, v97
	s_waitcnt vmcnt(1)
	v_cmp_eq_u32_e64 s[8:9], 1, v31
	s_nop 1
	v_cndmask_b32_e64 v16, v20, v21, s[8:9]
	v_cmp_eq_u32_e32 vcc, 2, v31
	v_cmp_eq_u32_e64 s[6:7], 3, v31
	v_cndmask_b32_e64 v8, v2, v3, s[8:9]
	v_cndmask_b32_e32 v16, v16, v18, vcc
	v_cndmask_b32_e64 v16, v16, v19, s[6:7]
	ds_bpermute_b32 v24, v93, v16
	v_cndmask_b32_e32 v8, v8, v0, vcc
	v_cndmask_b32_e64 v8, v8, v1, s[6:7]
	v_cmp_eq_u32_e64 s[10:11], 0, v31
	s_waitcnt vmcnt(0)
	v_or_b32_e32 v23, 48, v23
	s_waitcnt lgkmcnt(0)
	v_cndmask_b32_e32 v17, v18, v24, vcc
	v_cndmask_b32_e64 v18, v21, v24, s[8:9]
	ds_bpermute_b32 v21, v93, v8
	v_cndmask_b32_e64 v16, v19, v24, s[6:7]
	v_cndmask_b32_e64 v19, v20, v24, s[10:11]
	;; [unrolled: 1-line block ×4, first 2 shown]
	s_waitcnt lgkmcnt(0)
	v_cndmask_b32_e64 v9, v1, v21, s[6:7]
	v_cndmask_b32_e32 v10, v0, v21, vcc
	v_cndmask_b32_e64 v11, v3, v21, s[8:9]
	v_cndmask_b32_e64 v20, v2, v21, s[10:11]
	v_mov_b32_e32 v0, v70
	v_mov_b32_e32 v1, v70
	v_pk_mul_f32 v[2:3], v[70:71], v[4:5]
	v_pk_mul_f32 v[0:1], v[0:1], v[6:7]
	v_cndmask_b32_e64 v4, v2, v3, s[8:9]
	v_cndmask_b32_e32 v4, v4, v0, vcc
	v_cndmask_b32_e64 v4, v4, v1, s[6:7]
	ds_bpermute_b32 v7, v93, v4
	v_pk_mul_f32 v[24:25], v[72:73], v[120:121]
	v_cndmask_b32_e64 v4, v20, v11, s[12:13]
	v_cndmask_b32_e64 v4, v4, v10, s[14:15]
	;; [unrolled: 1-line block ×3, first 2 shown]
	s_waitcnt lgkmcnt(0)
	v_cndmask_b32_e64 v5, v1, v7, s[6:7]
	v_cndmask_b32_e32 v6, v0, v7, vcc
	v_mov_b32_e32 v0, v72
	v_mov_b32_e32 v1, v72
	v_cndmask_b32_e64 v22, v2, v7, s[10:11]
	v_pk_mul_f32 v[0:1], v[0:1], v[122:123]
	v_cndmask_b32_e64 v2, v24, v25, s[8:9]
	v_cndmask_b32_e32 v2, v2, v0, vcc
	v_cndmask_b32_e64 v2, v2, v1, s[6:7]
	ds_bpermute_b32 v28, v93, v2
	v_cndmask_b32_e64 v21, v3, v7, s[8:9]
	v_cndmask_b32_e64 v2, v22, v21, s[12:13]
	;; [unrolled: 1-line block ×4, first 2 shown]
	s_waitcnt lgkmcnt(0)
	v_cndmask_b32_e64 v3, v1, v28, s[6:7]
	v_cndmask_b32_e32 v7, v0, v28, vcc
	v_cndmask_b32_e64 v0, v25, v28, s[8:9]
	v_cndmask_b32_e64 v1, v24, v28, s[10:11]
	v_mov_b32_e32 v24, v64
	v_mov_b32_e32 v25, v64
	v_pk_mul_f32 v[28:29], v[64:65], v[12:13]
	v_pk_mul_f32 v[24:25], v[24:25], v[14:15]
	v_cndmask_b32_e64 v12, v28, v29, s[8:9]
	v_cndmask_b32_e32 v12, v12, v24, vcc
	v_cndmask_b32_e64 v12, v12, v25, s[6:7]
	ds_bpermute_b32 v15, v93, v12
	v_cndmask_b32_e64 v12, v1, v0, s[12:13]
	v_cndmask_b32_e64 v12, v12, v7, s[14:15]
	;; [unrolled: 1-line block ×3, first 2 shown]
	ds_bpermute_b32 v14, v93, v12
	s_waitcnt lgkmcnt(1)
	v_cndmask_b32_e32 v13, v24, v15, vcc
	v_cmp_ne_u32_e32 vcc, 0, v31
	v_cndmask_b32_e64 v12, v25, v15, s[6:7]
	v_cndmask_b32_e64 v25, v28, v15, s[10:11]
	v_cndmask_b32_e32 v24, v29, v15, vcc
	v_cndmask_b32_e64 v15, v25, v24, s[12:13]
	v_cndmask_b32_e64 v15, v15, v13, s[14:15]
	;; [unrolled: 1-line block ×4, first 2 shown]
	ds_bpermute_b32 v8, v93, v8
	ds_bpermute_b32 v4, v93, v4
	;; [unrolled: 1-line block ×4, first 2 shown]
	v_add_u32_e32 v23, s69, v23
	v_cmp_gt_u32_e32 vcc, 64, v23
	s_and_b64 exec, exec, vcc
	s_cbranch_execz .LBB366_50
; %bb.48:                               ;   in Loop: Header=BB366_7 Depth=1
	v_cmp_eq_u32_e64 s[8:9], 1, v97
	v_cmp_eq_u32_e64 s[10:11], 0, v97
	v_cmp_eq_u32_e32 vcc, 3, v97
	s_waitcnt lgkmcnt(4)
	v_cndmask_b32_e64 v26, v0, v14, s[8:9]
	v_cndmask_b32_e64 v27, v1, v14, s[10:11]
	scratch_load_dwordx2 v[0:1], off, off offset:88 ; 8-byte Folded Reload
	s_waitcnt lgkmcnt(3)
	v_cndmask_b32_e64 v18, v18, v8, s[8:9]
	v_cndmask_b32_e64 v19, v19, v8, s[10:11]
	s_waitcnt lgkmcnt(2)
	v_cndmask_b32_e64 v11, v11, v4, s[8:9]
	v_cndmask_b32_e64 v20, v20, v4, s[10:11]
	;; [unrolled: 3-line block ×3, first 2 shown]
	v_cvt_f16_f32_e32 v19, v19
	v_cvt_f16_f32_sdwa v18, v18 dst_sel:WORD_1 dst_unused:UNUSED_PAD src0_sel:DWORD
	v_cvt_f16_f32_e32 v20, v20
	v_cvt_f16_f32_sdwa v11, v11 dst_sel:WORD_1 dst_unused:UNUSED_PAD src0_sel:DWORD
	;; [unrolled: 2-line block ×3, first 2 shown]
	v_or_b32_e32 v18, v18, v19
	v_or_b32_e32 v11, v11, v20
	s_waitcnt lgkmcnt(0)
	v_cndmask_b32_e64 v24, v24, v15, s[8:9]
	v_cndmask_b32_e64 v25, v25, v15, s[10:11]
	v_cvt_f16_f32_sdwa v20, v26 dst_sel:WORD_1 dst_unused:UNUSED_PAD src0_sel:DWORD
	v_cmp_eq_u32_e64 s[6:7], 2, v97
	v_cmp_gt_u32_e64 s[8:9], 62, v23
	s_waitcnt vmcnt(0)
	v_lshl_add_u64 v[0:1], v[0:1], 1, s[52:53]
	;;#ASMSTART
	global_atomic_pk_add_f16 v[0:1], v18, off
	
	;;#ASMEND
	v_lshl_add_u64 v[18:19], v[0:1], 0, 32
	;;#ASMSTART
	global_atomic_pk_add_f16 v[18:19], v11, off
	
	;;#ASMEND
	v_or_b32_e32 v11, v21, v22
	v_lshl_add_u64 v[18:19], v[0:1], 0, 64
	;;#ASMSTART
	global_atomic_pk_add_f16 v[18:19], v11, off
	
	;;#ASMEND
	v_cvt_f16_f32_e32 v11, v27
	v_cvt_f16_f32_e32 v21, v25
	v_cvt_f16_f32_sdwa v22, v24 dst_sel:WORD_1 dst_unused:UNUSED_PAD src0_sel:DWORD
	v_lshl_add_u64 v[18:19], v[0:1], 0, s[30:31]
	v_or_b32_e32 v11, v20, v11
	;;#ASMSTART
	global_atomic_pk_add_f16 v[18:19], v11, off
	
	;;#ASMEND
	v_lshl_add_u64 v[18:19], v[0:1], 0, s[34:35]
	v_or_b32_e32 v11, v22, v21
	;;#ASMSTART
	global_atomic_pk_add_f16 v[18:19], v11, off
	
	;;#ASMEND
	s_and_b64 exec, exec, s[8:9]
	s_cbranch_execz .LBB366_50
; %bb.49:                               ;   in Loop: Header=BB366_7 Depth=1
	v_cndmask_b32_e32 v11, v16, v8, vcc
	v_cndmask_b32_e64 v8, v17, v8, s[6:7]
	v_cndmask_b32_e32 v9, v9, v4, vcc
	v_cndmask_b32_e64 v4, v10, v4, s[6:7]
	;; [unrolled: 2-line block ×3, first 2 shown]
	v_cndmask_b32_e32 v10, v3, v14, vcc
	v_cvt_f16_f32_e32 v2, v8
	v_cvt_f16_f32_sdwa v3, v11 dst_sel:WORD_1 dst_unused:UNUSED_PAD src0_sel:DWORD
	v_cvt_f16_f32_e32 v4, v4
	v_cvt_f16_f32_sdwa v9, v9 dst_sel:WORD_1 dst_unused:UNUSED_PAD src0_sel:DWORD
	;; [unrolled: 2-line block ×3, first 2 shown]
	v_lshl_add_u64 v[0:1], s[28:29], 2, v[0:1]
	v_or_b32_e32 v2, v3, v2
	v_or_b32_e32 v4, v9, v4
	v_cndmask_b32_e64 v7, v7, v14, s[6:7]
	v_cndmask_b32_e32 v8, v12, v15, vcc
	v_cndmask_b32_e64 v11, v13, v15, s[6:7]
	;;#ASMSTART
	global_atomic_pk_add_f16 v[0:1], v2, off
	
	;;#ASMEND
	v_lshl_add_u64 v[2:3], v[0:1], 0, 32
	;;#ASMSTART
	global_atomic_pk_add_f16 v[2:3], v4, off
	
	;;#ASMEND
	v_or_b32_e32 v4, v5, v6
	v_lshl_add_u64 v[2:3], v[0:1], 0, 64
	;;#ASMSTART
	global_atomic_pk_add_f16 v[2:3], v4, off
	
	;;#ASMEND
	v_cvt_f16_f32_e32 v4, v7
	v_cvt_f16_f32_sdwa v5, v10 dst_sel:WORD_1 dst_unused:UNUSED_PAD src0_sel:DWORD
	v_cvt_f16_f32_e32 v6, v11
	v_cvt_f16_f32_sdwa v7, v8 dst_sel:WORD_1 dst_unused:UNUSED_PAD src0_sel:DWORD
	v_lshl_add_u64 v[2:3], v[0:1], 0, s[30:31]
	v_or_b32_e32 v4, v5, v4
	;;#ASMSTART
	global_atomic_pk_add_f16 v[2:3], v4, off
	
	;;#ASMEND
	v_lshl_add_u64 v[0:1], v[0:1], 0, s[34:35]
	v_or_b32_e32 v2, v7, v6
	;;#ASMSTART
	global_atomic_pk_add_f16 v[0:1], v2, off
	
	;;#ASMEND
.LBB366_50:                             ;   in Loop: Header=BB366_7 Depth=1
	s_or_b64 exec, exec, s[18:19]
	s_waitcnt lgkmcnt(4)
	scratch_load_dword v14, off, off offset:28 ; 4-byte Folded Reload
	scratch_load_dwordx2 v[16:17], off, off offset:40 ; 8-byte Folded Reload
	s_waitcnt lgkmcnt(0)
	scratch_load_dword v15, off, off offset:48 ; 4-byte Folded Reload
	v_subrev_u32_e32 v90, s70, v90
	v_mov_b32_e32 v82, v97
.LBB366_51:                             ;   in Loop: Header=BB366_7 Depth=1
	s_or_b64 exec, exec, s[50:51]
.LBB366_52:                             ;   in Loop: Header=BB366_7 Depth=1
	s_andn2_saveexec_b64 s[6:7], s[48:49]
	s_cbranch_execz .LBB366_61
; %bb.53:                               ;   in Loop: Header=BB366_7 Depth=1
	s_mul_i32 s16, s70, 5
	v_cmp_gt_i32_e32 vcc, s16, v90
	s_and_saveexec_b64 s[8:9], vcc
	s_cbranch_execz .LBB366_60
; %bb.54:                               ;   in Loop: Header=BB366_7 Depth=1
	scratch_load_dwordx2 v[0:1], off, off offset:52 ; 8-byte Folded Reload
	s_mul_i32 s10, s46, s23
	s_ashr_i32 s11, s10, 31
	s_waitcnt lgkmcnt(0)
	s_add_u32 s10, s38, s10
	s_addc_u32 s11, s39, s11
	s_ashr_i32 s12, s68, 31
	s_add_u32 s10, s10, s68
	s_addc_u32 s11, s11, s12
	s_waitcnt vmcnt(0)
	v_lshl_add_u64 v[0:1], s[10:11], 0, v[0:1]
	v_lshl_add_u64 v[8:9], v[0:1], 0, v[16:17]
	s_mov_b64 s[10:11], 0
	s_branch .LBB366_56
.LBB366_55:                             ;   in Loop: Header=BB366_56 Depth=2
	s_or_b64 exec, exec, s[12:13]
	v_lshl_or_b32 v12, v10, 11, v92
	;;#ASMSTART
	s_waitcnt vmcnt(1)
	;;#ASMEND
	ds_write2_b32 v12, v4, v5 offset1:32
	ds_write2_b32 v12, v6, v7 offset0:64 offset1:96
	v_add_u32_e32 v4, 0x400, v12
	v_add_u32_e32 v90, s26, v90
	;;#ASMSTART
	s_waitcnt vmcnt(0)
	;;#ASMEND
	ds_write2_b32 v4, v0, v1 offset1:32
	ds_write2_b32 v4, v2, v3 offset0:64 offset1:96
	v_add_u32_e32 v0, 1, v84
	v_add_u32_e32 v88, s26, v10
	v_cmp_le_i32_e32 vcc, s16, v90
	ds_write_b32 v11, v0 offset:16
	v_add_u32_e32 v0, 2, v84
	s_or_b64 s[10:11], vcc, s[10:11]
	v_cmp_lt_i32_e32 vcc, 4, v88
	s_nop 1
	v_cndmask_b32_e32 v84, v84, v0, vcc
	s_andn2_b64 exec, exec, s[10:11]
	s_cbranch_execz .LBB366_59
.LBB366_56:                             ;   Parent Loop BB366_7 Depth=1
                                        ; =>  This Loop Header: Depth=2
                                        ;       Child Loop BB366_58 Depth 3
	v_cmp_gt_i32_e32 vcc, 5, v88
	s_nop 1
	v_cndmask_b32_e64 v0, -5, 0, vcc
	v_add_u32_e32 v10, v0, v88
	v_mul_hi_i32 v0, v90, s56
	v_lshrrev_b32_e32 v1, 31, v0
	v_ashrrev_i32_e32 v0, 1, v0
	v_add_u32_e32 v0, v0, v1
	v_lshl_add_u32 v1, v0, 2, v0
	v_sub_u32_e32 v2, v90, v1
	v_lshlrev_b32_e32 v0, 7, v0
	v_ashrrev_i32_e32 v1, 31, v0
	v_mul_lo_u32 v2, s61, v2
	v_lshl_add_u64 v[0:1], v[8:9], 0, v[0:1]
	v_ashrrev_i32_e32 v3, 31, v2
	v_lshl_add_u64 v[0:1], v[0:1], 0, v[2:3]
	v_lshlrev_b32_e32 v11, 2, v10
	;;#ASMSTART
	global_load_dwordx4 v[4:7], v[0:1], off offset:0   sc0 sc1 nt  
	global_load_dwordx4 v[0:3], v[0:1], off offset:64  sc0 sc1 nt  
	
	;;#ASMEND
	ds_read_b32 v12, v11 offset:18448
	v_add_u32_e32 v11, 0x4800, v11
	s_waitcnt lgkmcnt(0)
	v_cmp_ne_u32_e32 vcc, v12, v84
	s_and_saveexec_b64 s[12:13], vcc
	s_cbranch_execz .LBB366_55
; %bb.57:                               ;   in Loop: Header=BB366_56 Depth=2
	s_mov_b64 s[14:15], 0
.LBB366_58:                             ;   Parent Loop BB366_7 Depth=1
                                        ;     Parent Loop BB366_56 Depth=2
                                        ; =>    This Inner Loop Header: Depth=3
	;;#ASMSTART
	s_sleep 0
	;;#ASMEND
	ds_read_b32 v12, v11 offset:16
	s_waitcnt lgkmcnt(0)
	v_cmp_eq_u32_e32 vcc, v12, v84
	s_or_b64 s[14:15], vcc, s[14:15]
	s_andn2_b64 exec, exec, s[14:15]
	s_cbranch_execnz .LBB366_58
	s_branch .LBB366_55
.LBB366_59:                             ;   in Loop: Header=BB366_7 Depth=1
	s_or_b64 exec, exec, s[10:11]
.LBB366_60:                             ;   in Loop: Header=BB366_7 Depth=1
	s_or_b64 exec, exec, s[8:9]
	v_subrev_u32_e32 v90, s16, v90
.LBB366_61:                             ;   in Loop: Header=BB366_7 Depth=1
	s_or_b64 exec, exec, s[6:7]
.LBB366_62:                             ;   in Loop: Header=BB366_7 Depth=1
	s_andn2_saveexec_b64 s[6:7], s[44:45]
	s_cbranch_execz .LBB366_6
; %bb.63:                               ;   in Loop: Header=BB366_7 Depth=1
	s_lshl_b32 s16, s70, 2
	v_cmp_gt_i32_e32 vcc, s16, v90
	s_and_saveexec_b64 s[8:9], vcc
	s_cbranch_execz .LBB366_5
; %bb.64:                               ;   in Loop: Header=BB366_7 Depth=1
	s_mul_i32 s67, s67, s22
	s_ashr_i32 s10, s67, 31
	s_waitcnt lgkmcnt(0)
	s_add_u32 s11, s36, s67
	s_waitcnt vmcnt(0)
	v_add_u32_e32 v2, s69, v15
	s_addc_u32 s12, s37, s10
	s_ashr_i32 s13, s68, 31
	v_mul_lo_u32 v0, s22, v15
	v_cmp_gt_u32_e32 vcc, 64, v2
	s_add_u32 s10, s11, s68
	s_addc_u32 s11, s12, s13
	v_cndmask_b32_e32 v0, 0, v0, vcc
	v_ashrrev_i32_e32 v1, 31, v0
	v_lshl_add_u64 v[0:1], s[10:11], 0, v[0:1]
	v_lshl_add_u64 v[8:9], v[0:1], 0, v[16:17]
	v_sub_u32_e32 v10, 63, v2
	s_mov_b64 s[10:11], 0
	s_branch .LBB366_66
.LBB366_65:                             ;   in Loop: Header=BB366_66 Depth=2
	s_or_b64 exec, exec, s[12:13]
	v_or_b32_e32 v13, 0x2800, v92
	v_lshl_add_u32 v13, v11, 11, v13
	;;#ASMSTART
	s_waitcnt vmcnt(1)
	;;#ASMEND
	ds_write2_b32 v13, v4, v5 offset1:32
	ds_write2_b32 v13, v6, v7 offset0:64 offset1:96
	v_add_u32_e32 v4, 0x400, v13
	v_add_u32_e32 v90, s25, v90
	;;#ASMSTART
	s_waitcnt vmcnt(0)
	;;#ASMEND
	ds_write2_b32 v4, v0, v1 offset1:32
	ds_write2_b32 v4, v2, v3 offset0:64 offset1:96
	v_add_u32_e32 v0, 1, v84
	v_add_u32_e32 v88, s25, v11
	v_cmp_le_i32_e32 vcc, s16, v90
	ds_write_b32 v12, v0
	v_add_u32_e32 v0, 2, v84
	s_or_b64 s[10:11], vcc, s[10:11]
	v_cmp_lt_i32_e32 vcc, 3, v88
	s_nop 1
	v_cndmask_b32_e32 v84, v84, v0, vcc
	s_andn2_b64 exec, exec, s[10:11]
	s_cbranch_execz .LBB366_4
.LBB366_66:                             ;   Parent Loop BB366_7 Depth=1
                                        ; =>  This Loop Header: Depth=2
                                        ;       Child Loop BB366_68 Depth 3
	v_cmp_gt_i32_e32 vcc, 4, v88
	s_nop 1
	v_cndmask_b32_e64 v0, -4, 0, vcc
	v_add_u32_e32 v11, v0, v88
	v_ashrrev_i32_e32 v0, 31, v90
	v_lshrrev_b32_e32 v0, 30, v0
	v_add_u32_e32 v0, v90, v0
	v_and_b32_e32 v1, 0xffffffc, v0
	v_sub_u32_e32 v1, v90, v1
	v_lshlrev_b32_e32 v1, 4, v1
	v_cmp_le_i32_e32 vcc, v1, v10
	v_lshlrev_b32_e32 v0, 5, v0
	v_and_b32_e32 v0, 0xffffff80, v0
	v_cndmask_b32_e32 v2, 0, v1, vcc
	v_ashrrev_i32_e32 v1, 31, v0
	v_mul_lo_u32 v2, v2, s22
	v_lshl_add_u64 v[0:1], v[8:9], 0, v[0:1]
	v_ashrrev_i32_e32 v3, 31, v2
	v_lshl_add_u64 v[0:1], v[0:1], 0, v[2:3]
	v_lshlrev_b32_e32 v12, 2, v11
	;;#ASMSTART
	global_load_dwordx4 v[4:7], v[0:1], off offset:0   
	global_load_dwordx4 v[0:3], v[0:1], off offset:64  
	
	;;#ASMEND
	ds_read_b32 v13, v12 offset:18432
	v_add_u32_e32 v12, 0x4800, v12
	s_waitcnt lgkmcnt(0)
	v_cmp_ne_u32_e32 vcc, v13, v84
	s_and_saveexec_b64 s[12:13], vcc
	s_cbranch_execz .LBB366_65
; %bb.67:                               ;   in Loop: Header=BB366_66 Depth=2
	s_mov_b64 s[14:15], 0
.LBB366_68:                             ;   Parent Loop BB366_7 Depth=1
                                        ;     Parent Loop BB366_66 Depth=2
                                        ; =>    This Inner Loop Header: Depth=3
	;;#ASMSTART
	s_sleep 0
	;;#ASMEND
	ds_read_b32 v13, v12
	s_waitcnt lgkmcnt(0)
	v_cmp_eq_u32_e32 vcc, v13, v84
	s_or_b64 s[14:15], vcc, s[14:15]
	s_andn2_b64 exec, exec, s[14:15]
	s_cbranch_execnz .LBB366_68
	s_branch .LBB366_65
.LBB366_69:
	s_endpgm
	.section	.rodata,"a",@progbits
	.p2align	6, 0x0
	.amdhsa_kernel _Z19_skinny_gemm_kernelILi4ELi5ELi1ELi16ELi4EEvPKhS1_P6__halfPKfiiiiiiii
		.amdhsa_group_segment_fixed_size 18468
		.amdhsa_private_segment_fixed_size 100
		.amdhsa_kernarg_size 64
		.amdhsa_user_sgpr_count 2
		.amdhsa_user_sgpr_dispatch_ptr 0
		.amdhsa_user_sgpr_queue_ptr 0
		.amdhsa_user_sgpr_kernarg_segment_ptr 1
		.amdhsa_user_sgpr_dispatch_id 0
		.amdhsa_user_sgpr_kernarg_preload_length 0
		.amdhsa_user_sgpr_kernarg_preload_offset 0
		.amdhsa_user_sgpr_private_segment_size 0
		.amdhsa_uses_dynamic_stack 0
		.amdhsa_enable_private_segment 1
		.amdhsa_system_sgpr_workgroup_id_x 1
		.amdhsa_system_sgpr_workgroup_id_y 0
		.amdhsa_system_sgpr_workgroup_id_z 0
		.amdhsa_system_sgpr_workgroup_info 0
		.amdhsa_system_vgpr_workitem_id 0
		.amdhsa_next_free_vgpr 128
		.amdhsa_next_free_sgpr 71
		.amdhsa_accum_offset 128
		.amdhsa_reserve_vcc 1
		.amdhsa_float_round_mode_32 0
		.amdhsa_float_round_mode_16_64 0
		.amdhsa_float_denorm_mode_32 3
		.amdhsa_float_denorm_mode_16_64 3
		.amdhsa_dx10_clamp 1
		.amdhsa_ieee_mode 1
		.amdhsa_fp16_overflow 0
		.amdhsa_tg_split 0
		.amdhsa_exception_fp_ieee_invalid_op 0
		.amdhsa_exception_fp_denorm_src 0
		.amdhsa_exception_fp_ieee_div_zero 0
		.amdhsa_exception_fp_ieee_overflow 0
		.amdhsa_exception_fp_ieee_underflow 0
		.amdhsa_exception_fp_ieee_inexact 0
		.amdhsa_exception_int_div_zero 0
	.end_amdhsa_kernel
	.section	.text._Z19_skinny_gemm_kernelILi4ELi5ELi1ELi16ELi4EEvPKhS1_P6__halfPKfiiiiiiii,"axG",@progbits,_Z19_skinny_gemm_kernelILi4ELi5ELi1ELi16ELi4EEvPKhS1_P6__halfPKfiiiiiiii,comdat
.Lfunc_end366:
	.size	_Z19_skinny_gemm_kernelILi4ELi5ELi1ELi16ELi4EEvPKhS1_P6__halfPKfiiiiiiii, .Lfunc_end366-_Z19_skinny_gemm_kernelILi4ELi5ELi1ELi16ELi4EEvPKhS1_P6__halfPKfiiiiiiii
                                        ; -- End function
	.set _Z19_skinny_gemm_kernelILi4ELi5ELi1ELi16ELi4EEvPKhS1_P6__halfPKfiiiiiiii.num_vgpr, 128
	.set _Z19_skinny_gemm_kernelILi4ELi5ELi1ELi16ELi4EEvPKhS1_P6__halfPKfiiiiiiii.num_agpr, 0
	.set _Z19_skinny_gemm_kernelILi4ELi5ELi1ELi16ELi4EEvPKhS1_P6__halfPKfiiiiiiii.numbered_sgpr, 71
	.set _Z19_skinny_gemm_kernelILi4ELi5ELi1ELi16ELi4EEvPKhS1_P6__halfPKfiiiiiiii.num_named_barrier, 0
	.set _Z19_skinny_gemm_kernelILi4ELi5ELi1ELi16ELi4EEvPKhS1_P6__halfPKfiiiiiiii.private_seg_size, 100
	.set _Z19_skinny_gemm_kernelILi4ELi5ELi1ELi16ELi4EEvPKhS1_P6__halfPKfiiiiiiii.uses_vcc, 1
	.set _Z19_skinny_gemm_kernelILi4ELi5ELi1ELi16ELi4EEvPKhS1_P6__halfPKfiiiiiiii.uses_flat_scratch, 0
	.set _Z19_skinny_gemm_kernelILi4ELi5ELi1ELi16ELi4EEvPKhS1_P6__halfPKfiiiiiiii.has_dyn_sized_stack, 0
	.set _Z19_skinny_gemm_kernelILi4ELi5ELi1ELi16ELi4EEvPKhS1_P6__halfPKfiiiiiiii.has_recursion, 0
	.set _Z19_skinny_gemm_kernelILi4ELi5ELi1ELi16ELi4EEvPKhS1_P6__halfPKfiiiiiiii.has_indirect_call, 0
	.section	.AMDGPU.csdata,"",@progbits
; Kernel info:
; codeLenInByte = 10144
; TotalNumSgprs: 77
; NumVgprs: 128
; NumAgprs: 0
; TotalNumVgprs: 128
; ScratchSize: 100
; MemoryBound: 0
; FloatMode: 240
; IeeeMode: 1
; LDSByteSize: 18468 bytes/workgroup (compile time only)
; SGPRBlocks: 9
; VGPRBlocks: 15
; NumSGPRsForWavesPerEU: 77
; NumVGPRsForWavesPerEU: 128
; AccumOffset: 128
; Occupancy: 4
; WaveLimiterHint : 0
; COMPUTE_PGM_RSRC2:SCRATCH_EN: 1
; COMPUTE_PGM_RSRC2:USER_SGPR: 2
; COMPUTE_PGM_RSRC2:TRAP_HANDLER: 0
; COMPUTE_PGM_RSRC2:TGID_X_EN: 1
; COMPUTE_PGM_RSRC2:TGID_Y_EN: 0
; COMPUTE_PGM_RSRC2:TGID_Z_EN: 0
; COMPUTE_PGM_RSRC2:TIDIG_COMP_CNT: 0
; COMPUTE_PGM_RSRC3_GFX90A:ACCUM_OFFSET: 31
; COMPUTE_PGM_RSRC3_GFX90A:TG_SPLIT: 0
	.section	.text._Z19_skinny_gemm_kernelILi4ELi5ELi1ELi16ELi8EEvPKhS1_P6__halfPKfiiiiiiii,"axG",@progbits,_Z19_skinny_gemm_kernelILi4ELi5ELi1ELi16ELi8EEvPKhS1_P6__halfPKfiiiiiiii,comdat
	.protected	_Z19_skinny_gemm_kernelILi4ELi5ELi1ELi16ELi8EEvPKhS1_P6__halfPKfiiiiiiii ; -- Begin function _Z19_skinny_gemm_kernelILi4ELi5ELi1ELi16ELi8EEvPKhS1_P6__halfPKfiiiiiiii
	.globl	_Z19_skinny_gemm_kernelILi4ELi5ELi1ELi16ELi8EEvPKhS1_P6__halfPKfiiiiiiii
	.p2align	8
	.type	_Z19_skinny_gemm_kernelILi4ELi5ELi1ELi16ELi8EEvPKhS1_P6__halfPKfiiiiiiii,@function
_Z19_skinny_gemm_kernelILi4ELi5ELi1ELi16ELi8EEvPKhS1_P6__halfPKfiiiiiiii: ; @_Z19_skinny_gemm_kernelILi4ELi5ELi1ELi16ELi8EEvPKhS1_P6__halfPKfiiiiiiii
; %bb.0:
	v_cmp_gt_u32_e32 vcc, 9, v0
	v_lshlrev_b32_e32 v1, 2, v0
	s_and_saveexec_b64 s[4:5], vcc
; %bb.1:
	v_mov_b32_e32 v2, 0
	ds_write_b32 v1, v2 offset:36864
; %bb.2:
	s_or_b64 exec, exec, s[4:5]
	s_load_dwordx8 s[20:27], s[0:1], 0x20
	s_mov_b32 s56, 0x66666667
	s_waitcnt lgkmcnt(0)
	s_barrier
	s_add_i32 s3, s20, 63
	s_ashr_i32 s5, s3, 31
	s_lshr_b32 s5, s5, 26
	s_add_i32 s4, s21, 0x4f
	s_add_i32 s3, s3, s5
	s_ashr_i32 s33, s3, 6
	s_mul_hi_i32 s3, s4, 0x66666667
	s_lshr_b32 s4, s3, 31
	s_ashr_i32 s54, s3, 5
	s_add_i32 s54, s54, s4
	s_mul_i32 s3, s54, s33
	s_mul_i32 s3, s3, s24
	s_add_i32 s4, s3, 0x12f
	s_mul_hi_i32 s4, s4, 0x6bca1af3
	s_lshr_b32 s5, s4, 31
	s_ashr_i32 s4, s4, 7
	s_add_i32 s4, s4, s5
	s_add_i32 s5, s2, 1
	s_mul_i32 s5, s4, s5
	v_cvt_f64_i32_e32 v[2:3], s3
	v_cvt_f64_u32_e32 v[4:5], s5
	v_min_f64 v[2:3], v[2:3], v[4:5]
	v_cvt_i32_f64_e32 v22, v[2:3]
	s_mul_i32 s55, s4, s2
	v_cmp_ge_i32_e32 vcc, s55, v22
	s_cbranch_vccnz .LBB367_69
; %bb.3:
	s_abs_i32 s5, s24
	v_lshrrev_b32_e32 v2, 6, v0
	s_add_i32 s4, s26, s25
	v_cvt_f32_u32_e32 v5, s5
	s_load_dwordx8 s[36:43], s[0:1], 0x0
	v_cmp_le_i32_e64 s[0:1], s4, v2
	v_mov_b32_e32 v3, s25
	v_cmp_le_i32_e64 s[2:3], s25, v2
	v_mov_b32_e32 v4, s26
	v_cndmask_b32_e64 v4, 0, v4, s[0:1]
	v_cndmask_b32_e64 v3, 0, v3, s[2:3]
	v_add_u32_e32 v3, v3, v4
	v_sub_u32_e32 v4, v2, v3
	v_rcp_iflag_f32_e32 v3, v5
	s_ashr_i32 s6, s22, 31
	s_lshr_b32 s6, s6, 24
	s_sub_i32 s9, 0, s5
	v_mul_f32_e32 v3, 0x4f7ffffe, v3
	v_cvt_u32_f32_e32 v3, v3
	s_add_i32 s6, s22, s6
	s_ashr_i32 s6, s6, 8
	s_abs_i32 s8, s6
	v_readfirstlane_b32 s10, v3
	s_mul_i32 s9, s9, s10
	s_mul_hi_u32 s9, s10, s9
	s_add_i32 s10, s10, s9
	s_mul_hi_u32 s9, s8, s10
	s_mul_i32 s10, s9, s5
	s_xor_b32 s7, s6, s24
	s_sub_i32 s8, s8, s10
	s_ashr_i32 s7, s7, 31
	s_add_i32 s10, s9, 1
	s_sub_i32 s11, s8, s5
	s_cmp_ge_u32 s8, s5
	s_cselect_b32 s9, s10, s9
	s_cselect_b32 s8, s11, s8
	s_add_i32 s10, s9, 1
	s_cmp_ge_u32 s8, s5
	s_cselect_b32 s5, s10, s9
	s_xor_b32 s5, s5, s7
	s_sub_i32 s57, s5, s7
	s_add_i32 s24, s24, -1
	s_mul_i32 s5, s57, s24
	s_add_i32 s4, s4, s27
	s_sub_i32 s58, s6, s5
	v_cmp_gt_i32_e64 s[4:5], s4, v2
	v_lshlrev_b32_e32 v2, 1, v0
	v_lshlrev_b32_e32 v3, 4, v0
	s_abs_i32 s60, s33
	v_and_b32_e32 v1, 60, v1
	v_and_b32_e32 v2, 64, v2
	;; [unrolled: 1-line block ×4, first 2 shown]
	v_cvt_f32_u32_e32 v3, s60
	v_or3_b32 v56, v1, v2, v5
	v_and_b32_e32 v1, 1, v0
	v_lshrrev_b32_e32 v5, 2, v0
	v_and_b32_e32 v58, 14, v0
	v_lshlrev_b32_e32 v2, 1, v1
	v_bitop3_b32 v59, v0, 3, 1 bitop3:0x6c
	v_and_or_b32 v1, v5, 12, v1
	v_sub_u32_e32 v2, v0, v2
	v_bitop3_b32 v57, v0, 1, v0 bitop3:0xc
	scratch_store_dword off, v1, off offset:192 ; 4-byte Folded Spill
	v_mad_u64_u32 v[6:7], s[6:7], s21, v1, v[58:59]
	v_bfe_u32 v23, v0, 2, 4
	v_and_b32_e32 v1, 60, v0
	v_lshlrev_b32_e32 v5, 8, v0
	v_lshlrev_b32_e32 v0, 6, v0
	v_and_b32_e32 v5, 0x200, v5
	v_rcp_iflag_f32_e32 v3, v3
	v_and_b32_e32 v0, 64, v0
	s_abs_i32 s62, s54
	v_or3_b32 v34, v1, v5, v0
	v_cvt_f32_u32_e32 v1, s62
	v_mul_f32_e32 v0, 0x4f7ffffe, v3
	v_cvt_u32_f32_e32 v0, v0
	v_ashrrev_i32_e32 v7, 31, v6
	v_rcp_iflag_f32_e32 v1, v1
	s_lshl_b32 s6, s21, 4
	scratch_store_dwordx2 off, v[6:7], off offset:228 ; 8-byte Folded Spill
	v_add_u32_e32 v6, s6, v6
	v_ashrrev_i32_e32 v7, 31, v6
	scratch_store_dwordx2 off, v[6:7], off offset:236 ; 8-byte Folded Spill
	v_add_u32_e32 v6, s6, v6
	v_readfirstlane_b32 s7, v0
	v_mul_f32_e32 v0, 0x4f7ffffe, v1
	v_ashrrev_i32_e32 v7, 31, v6
	v_cvt_u32_f32_e32 v0, v0
	scratch_store_dwordx2 off, v[6:7], off offset:244 ; 8-byte Folded Spill
	v_add_u32_e32 v6, s6, v6
	s_sub_i32 s6, 0, s60
	s_mul_i32 s6, s6, s7
	s_mul_hi_u32 s6, s7, s6
	v_add_u32_e32 v2, 1, v2
	s_add_i32 s64, s7, s6
	s_sub_i32 s6, 0, s62
	v_readfirstlane_b32 s7, v0
	v_mbcnt_lo_u32_b32 v0, -1, 0
	v_and_b32_e32 v2, 63, v2
	v_ashrrev_i32_e32 v7, 31, v6
	s_mul_i32 s6, s6, s7
	v_mbcnt_hi_u32_b32 v0, -1, v0
	scratch_store_dwordx2 off, v[6:7], off offset:252 ; 8-byte Folded Spill
	v_mul_lo_u32 v6, s23, v23
	s_mul_hi_u32 s6, s7, s6
	v_and_or_b32 v0, v0, 64, v2
	v_cndmask_b32_e64 v32, 0, 1, s[0:1]
	s_movk_i32 s59, 0x5000
	s_ashr_i32 s29, s21, 31
	s_mov_b32 s28, s21
	v_ashrrev_i32_e32 v7, 31, v6
	v_mov_b32_e32 v25, 0
	s_lshl_b32 s61, s23, 4
	s_ashr_i32 s63, s33, 31
	s_ashr_i32 s65, s54, 31
	s_add_i32 s66, s7, s6
	s_mov_b64 s[30:31], 0x60
	s_mov_b64 s[34:35], 0x80
	v_lshlrev_b32_e32 v0, 2, v0
	v_mov_b32_e32 v35, v4
	scratch_store_dwordx2 off, v[6:7], off offset:216 ; 8-byte Folded Spill
	scratch_store_dword off, v0, off offset:196 ; 4-byte Folded Spill
	scratch_store_dword off, v22, off offset:200 ; 4-byte Folded Spill
	scratch_store_dwordx2 off, v[24:25], off offset:204 ; 8-byte Folded Spill
	scratch_store_dword off, v23, off offset:212 ; 4-byte Folded Spill
	s_branch .LBB367_7
.LBB367_4:                              ;   in Loop: Header=BB367_7 Depth=1
	s_or_b64 exec, exec, s[10:11]
.LBB367_5:                              ;   in Loop: Header=BB367_7 Depth=1
	s_or_b64 exec, exec, s[8:9]
	v_subrev_u32_e32 v35, s16, v35
.LBB367_6:                              ;   in Loop: Header=BB367_7 Depth=1
	s_or_b64 exec, exec, s[6:7]
	s_add_i32 s55, s55, 1
	s_waitcnt vmcnt(2)
	v_cmp_ge_i32_e32 vcc, s55, v22
	s_cbranch_vccnz .LBB367_69
.LBB367_7:                              ; =>This Loop Header: Depth=1
                                        ;     Child Loop BB367_13 Depth 2
                                        ;       Child Loop BB367_15 Depth 3
                                        ;       Child Loop BB367_18 Depth 3
	;; [unrolled: 1-line block ×9, first 2 shown]
                                        ;     Child Loop BB367_56 Depth 2
                                        ;       Child Loop BB367_58 Depth 3
                                        ;     Child Loop BB367_66 Depth 2
                                        ;       Child Loop BB367_68 Depth 3
	s_abs_i32 s7, s55
	s_mul_hi_u32 s8, s7, s64
	s_mul_i32 s9, s8, s60
	s_ashr_i32 s6, s55, 31
	s_sub_i32 s7, s7, s9
	s_xor_b32 s6, s6, s63
	s_add_i32 s9, s8, 1
	s_sub_i32 s10, s7, s60
	s_cmp_ge_u32 s7, s60
	s_cselect_b32 s8, s9, s8
	s_cselect_b32 s7, s10, s7
	s_add_i32 s9, s8, 1
	s_cmp_ge_u32 s7, s60
	s_cselect_b32 s7, s9, s8
	s_xor_b32 s7, s7, s6
	s_sub_i32 s6, s7, s6
	s_abs_i32 s8, s6
	s_mul_i32 s7, s6, s33
	s_mul_hi_u32 s9, s8, s66
	s_sub_i32 s7, s55, s7
	s_mul_i32 s10, s9, s62
	s_lshl_b32 s67, s7, 6
	s_ashr_i32 s7, s6, 31
	s_sub_i32 s8, s8, s10
	s_xor_b32 s7, s7, s65
	s_add_i32 s10, s9, 1
	s_sub_i32 s11, s8, s62
	s_cmp_ge_u32 s8, s62
	s_cselect_b32 s9, s10, s9
	s_cselect_b32 s8, s11, s8
	s_add_i32 s10, s9, 1
	s_cmp_ge_u32 s8, s62
	s_cselect_b32 s8, s10, s9
	s_xor_b32 s8, s8, s7
	s_sub_i32 s7, s8, s7
	s_mul_i32 s8, s7, s57
	s_lshl_b32 s68, s8, 8
	s_cmp_eq_u32 s7, s24
	s_cselect_b32 s70, s58, s57
	s_sub_i32 s8, s67, s20
	s_add_i32 s8, s8, 64
	s_max_i32 s69, s8, 0
	s_and_saveexec_b64 s[8:9], s[2:3]
	s_xor_b64 s[44:45], exec, s[8:9]
	s_cbranch_execz .LBB367_62
; %bb.8:                                ;   in Loop: Header=BB367_7 Depth=1
	s_mul_i32 s7, s7, s54
	s_sub_i32 s6, s6, s7
	s_mulk_i32 s6, 0x50
	s_sub_i32 s47, s6, s21
	s_addk_i32 s47, 0x50
	s_max_i32 s7, s47, 0
	s_sub_i32 s46, s6, s7
	s_and_saveexec_b64 s[6:7], s[0:1]
	s_xor_b64 s[48:49], exec, s[6:7]
	s_cbranch_execz .LBB367_52
; %bb.9:                                ;   in Loop: Header=BB367_7 Depth=1
	s_and_saveexec_b64 s[50:51], s[4:5]
	s_cbranch_execz .LBB367_51
; %bb.10:                               ;   in Loop: Header=BB367_7 Depth=1
	s_waitcnt vmcnt(1) lgkmcnt(0)
	global_load_dword v27, v25, s[42:43]
	v_mov_b32_e32 v75, 0
	v_cmp_gt_i32_e32 vcc, s70, v35
	v_mov_b32_e32 v74, v75
	v_mov_b32_e32 v73, v75
	;; [unrolled: 1-line block ×27, first 2 shown]
	s_waitcnt vmcnt(1)
	v_mov_b32_e32 v23, v75
	v_mov_b32_e32 v22, v75
	;; [unrolled: 1-line block ×12, first 2 shown]
	scratch_store_dwordx4 off, v[0:3], off offset:16 ; 16-byte Folded Spill
	scratch_store_dwordx4 off, v[0:3], off  ; 16-byte Folded Spill
	scratch_store_dwordx4 off, v[0:3], off offset:64 ; 16-byte Folded Spill
	scratch_store_dwordx4 off, v[0:3], off offset:48 ; 16-byte Folded Spill
	;; [unrolled: 1-line block ×9, first 2 shown]
	s_and_saveexec_b64 s[6:7], vcc
	s_cbranch_execz .LBB367_41
; %bb.11:                               ;   in Loop: Header=BB367_7 Depth=1
	v_mov_b32_e32 v12, 0
	s_mov_b64 s[8:9], 0
	v_mov_b32_e32 v13, v12
	v_mov_b32_e32 v14, v12
	v_mov_b32_e32 v15, v12
	v_mov_b32_e32 v0, v12
	v_mov_b32_e32 v1, v12
	v_mov_b32_e32 v2, v12
	v_mov_b32_e32 v3, v12
	v_mov_b32_e32 v48, v12
	v_mov_b32_e32 v49, v12
	v_mov_b32_e32 v50, v12
	v_mov_b32_e32 v51, v12
	v_mov_b32_e32 v20, v12
	v_mov_b32_e32 v21, v12
	v_mov_b32_e32 v22, v12
	v_mov_b32_e32 v23, v12
	v_mov_b32_e32 v52, v12
	v_mov_b32_e32 v53, v12
	v_mov_b32_e32 v54, v12
	v_mov_b32_e32 v55, v12
	v_mov_b32_e32 v40, v12
	v_mov_b32_e32 v41, v12
	v_mov_b32_e32 v42, v12
	v_mov_b32_e32 v43, v12
	v_mov_b32_e32 v76, v12
	v_mov_b32_e32 v77, v12
	v_mov_b32_e32 v78, v12
	v_mov_b32_e32 v79, v12
	v_mov_b32_e32 v60, v12
	v_mov_b32_e32 v61, v12
	v_mov_b32_e32 v62, v12
	v_mov_b32_e32 v63, v12
	v_mov_b32_e32 v72, v12
	v_mov_b32_e32 v73, v12
	v_mov_b32_e32 v74, v12
	v_mov_b32_e32 v75, v12
	s_waitcnt vmcnt(11)
	scratch_store_dword off, v27, off offset:224 ; 4-byte Folded Spill
	scratch_store_dwordx4 off, v[0:3], off offset:128 ; 16-byte Folded Spill
	scratch_store_dwordx4 off, v[0:3], off offset:144 ; 16-byte Folded Spill
	;; [unrolled: 1-line block ×10, first 2 shown]
	scratch_store_dwordx4 off, v[0:3], off  ; 16-byte Folded Spill
	scratch_store_dwordx4 off, v[0:3], off offset:16 ; 16-byte Folded Spill
	s_branch .LBB367_13
.LBB367_12:                             ;   in Loop: Header=BB367_13 Depth=2
	s_or_b64 exec, exec, s[10:11]
	v_add_u32_e32 v18, 0x4000, v38
	ds_read2_b32 v[16:17], v18 offset1:32
	ds_read2_b32 v[18:19], v18 offset0:128 offset1:160
	v_add_u32_e32 v39, 0x4400, v38
	ds_read2_b32 v[44:45], v39 offset1:32
	ds_read2_b32 v[46:47], v39 offset0:128 offset1:160
	s_waitcnt lgkmcnt(3)
	v_mfma_f32_16x16x32_fp8_fp8 v[8:11], v[108:109], v[16:17], v[60:63]
	v_add_u32_e32 v39, 0x4800, v38
	ds_read2_b32 v[48:49], v39 offset1:32
	ds_read2_b32 v[50:51], v39 offset0:128 offset1:160
	s_waitcnt lgkmcnt(4)
	v_mfma_f32_16x16x32_fp8_fp8 v[8:11], v[104:105], v[18:19], v[8:11]
	;; [unrolled: 5-line block ×3, first 2 shown]
	v_add_u32_e32 v35, s27, v35
	;;#ASMSTART
	s_waitcnt lgkmcnt(0)
	;;#ASMEND
	ds_write_b32 v36, v37 offset:36896
	s_waitcnt lgkmcnt(5)
	v_mfma_f32_16x16x32_fp8_fp8 v[8:11], v[100:101], v[46:47], v[8:11]
	s_waitcnt lgkmcnt(4)
	v_mfma_f32_16x16x32_fp8_fp8 v[8:11], v[102:103], v[48:49], v[8:11]
	s_waitcnt lgkmcnt(3)
	v_mfma_f32_16x16x32_fp8_fp8 v[8:11], v[96:97], v[50:51], v[8:11]
	s_waitcnt lgkmcnt(2)
	v_mfma_f32_16x16x32_fp8_fp8 v[8:11], v[98:99], v[38:39], v[8:11]
	s_waitcnt lgkmcnt(1)
	v_mfma_f32_16x16x32_fp8_fp8 v[60:63], v[94:95], v[52:53], v[8:11]
	v_mfma_f32_16x16x32_fp8_fp8 v[8:11], v[110:111], v[16:17], v[40:43]
	v_mfma_f32_16x16x32_fp8_fp8 v[8:11], v[112:113], v[18:19], v[8:11]
	v_mfma_f32_16x16x32_fp8_fp8 v[8:11], v[114:115], v[44:45], v[8:11]
	v_mfma_f32_16x16x32_fp8_fp8 v[8:11], v[116:117], v[46:47], v[8:11]
	v_mfma_f32_16x16x32_fp8_fp8 v[8:11], v[118:119], v[48:49], v[8:11]
	v_mfma_f32_16x16x32_fp8_fp8 v[8:11], v[120:121], v[50:51], v[8:11]
	v_mfma_f32_16x16x32_fp8_fp8 v[8:11], v[122:123], v[38:39], v[8:11]
	v_mfma_f32_16x16x32_fp8_fp8 v[40:43], v[124:125], v[52:53], v[8:11]
	v_mfma_f32_16x16x32_fp8_fp8 v[8:11], v[126:127], v[16:17], v[20:23]
	v_mfma_f32_16x16x32_fp8_fp8 v[8:11], v[88:89], v[18:19], v[8:11]
	v_mfma_f32_16x16x32_fp8_fp8 v[8:11], v[86:87], v[44:45], v[8:11]
	v_mfma_f32_16x16x32_fp8_fp8 v[8:11], v[84:85], v[46:47], v[8:11]
	v_mfma_f32_16x16x32_fp8_fp8 v[8:11], v[82:83], v[48:49], v[8:11]
	v_mfma_f32_16x16x32_fp8_fp8 v[8:11], v[92:93], v[50:51], v[8:11]
	v_mfma_f32_16x16x32_fp8_fp8 v[8:11], v[90:91], v[38:39], v[8:11]
	v_mfma_f32_16x16x32_fp8_fp8 v[20:23], v[80:81], v[52:53], v[8:11]
	v_mfma_f32_16x16x32_fp8_fp8 v[8:11], v[24:25], v[16:17], v[12:15]
	v_mfma_f32_16x16x32_fp8_fp8 v[8:11], v[26:27], v[18:19], v[8:11]
	v_mfma_f32_16x16x32_fp8_fp8 v[8:11], v[28:29], v[44:45], v[8:11]
	v_mfma_f32_16x16x32_fp8_fp8 v[8:11], v[30:31], v[46:47], v[8:11]
	v_mfma_f32_16x16x32_fp8_fp8 v[8:11], v[4:5], v[48:49], v[8:11]
	v_add_u32_e32 v4, s27, v33
	v_add_u32_e32 v5, 2, v32
	v_cmp_lt_i32_e32 vcc, 0, v4
	v_mfma_f32_16x16x32_fp8_fp8 v[6:9], v[6:7], v[50:51], v[8:11]
	v_mov_b64_e32 v[48:49], v[64:65]
	v_cndmask_b32_e32 v32, v32, v5, vcc
	v_cmp_le_i32_e32 vcc, s70, v35
	v_mfma_f32_16x16x32_fp8_fp8 v[6:9], v[2:3], v[38:39], v[6:9]
	s_or_b64 s[8:9], vcc, s[8:9]
	v_mov_b64_e32 v[50:51], v[66:67]
	v_mfma_f32_16x16x32_fp8_fp8 v[12:15], v[0:1], v[52:53], v[6:9]
	v_mov_b64_e32 v[52:53], v[68:69]
	v_mov_b64_e32 v[54:55], v[70:71]
	s_andn2_b64 exec, exec, s[8:9]
	s_cbranch_execz .LBB367_40
.LBB367_13:                             ;   Parent Loop BB367_7 Depth=1
                                        ; =>  This Loop Header: Depth=2
                                        ;       Child Loop BB367_15 Depth 3
                                        ;       Child Loop BB367_18 Depth 3
	;; [unrolled: 1-line block ×9, first 2 shown]
	v_cmp_lt_i32_e32 vcc, 0, v4
	s_nop 1
	v_subbrev_co_u32_e32 v33, vcc, 0, v4, vcc
	v_mul_lo_u32 v36, v33, 20
	ds_read_b32 v0, v36 offset:36880
	s_waitcnt lgkmcnt(0)
	v_cmp_ne_u32_e32 vcc, v0, v32
	s_and_saveexec_b64 s[10:11], vcc
	s_cbranch_execz .LBB367_16
; %bb.14:                               ;   in Loop: Header=BB367_13 Depth=2
	s_mov_b64 s[12:13], 0
.LBB367_15:                             ;   Parent Loop BB367_7 Depth=1
                                        ;     Parent Loop BB367_13 Depth=2
                                        ; =>    This Inner Loop Header: Depth=3
	;;#ASMSTART
	s_sleep 0
	;;#ASMEND
	ds_read_b32 v0, v36 offset:36880
	s_waitcnt lgkmcnt(0)
	v_cmp_eq_u32_e32 vcc, v0, v32
	s_or_b64 s[12:13], vcc, s[12:13]
	s_andn2_b64 exec, exec, s[12:13]
	s_cbranch_execnz .LBB367_15
.LBB367_16:                             ;   in Loop: Header=BB367_13 Depth=2
	s_or_b64 exec, exec, s[10:11]
	v_mul_lo_u32 v0, v33, s59
	v_or_b32_e32 v38, v56, v0
	v_add_u32_e32 v6, 0x400, v38
	v_add_u32_e32 v10, 0x800, v38
	;; [unrolled: 1-line block ×4, first 2 shown]
	ds_read2_b32 v[0:1], v38 offset1:32
	ds_read2_b32 v[2:3], v38 offset0:128 offset1:160
	ds_read2_b32 v[4:5], v6 offset1:32
	ds_read2_b32 v[6:7], v6 offset0:128 offset1:160
	;; [unrolled: 2-line block ×4, first 2 shown]
	;;#ASMSTART
	s_waitcnt lgkmcnt(0)
	;;#ASMEND
	ds_write_b32 v36, v37 offset:36880
	v_lshlrev_b32_e32 v39, 4, v33
	ds_read_b32 v24, v39 offset:36864
	s_waitcnt lgkmcnt(0)
	v_cmp_ne_u32_e32 vcc, v24, v32
	s_and_saveexec_b64 s[10:11], vcc
	s_cbranch_execz .LBB367_19
; %bb.17:                               ;   in Loop: Header=BB367_13 Depth=2
	s_mov_b64 s[12:13], 0
.LBB367_18:                             ;   Parent Loop BB367_7 Depth=1
                                        ;     Parent Loop BB367_13 Depth=2
                                        ; =>    This Inner Loop Header: Depth=3
	;;#ASMSTART
	s_sleep 0
	;;#ASMEND
	ds_read_b32 v24, v39 offset:36864
	s_waitcnt lgkmcnt(0)
	v_cmp_eq_u32_e32 vcc, v24, v32
	s_or_b64 s[12:13], vcc, s[12:13]
	s_andn2_b64 exec, exec, s[12:13]
	s_cbranch_execnz .LBB367_18
.LBB367_19:                             ;   in Loop: Header=BB367_13 Depth=2
	s_or_b64 exec, exec, s[10:11]
	v_or_b32_e32 v24, 0x5000, v56
	v_lshl_add_u32 v44, v33, 14, v24
	ds_read2_b32 v[108:109], v44 offset1:32
	ds_read2_b32 v[104:105], v44 offset0:128 offset1:160
	v_add_u32_e32 v24, 0x400, v44
	ds_read2_b32 v[106:107], v24 offset1:32
	ds_read2_b32 v[100:101], v24 offset0:128 offset1:160
	v_add_u32_e32 v24, 0x800, v44
	ds_read2_b32 v[102:103], v24 offset1:32
	ds_read2_b32 v[96:97], v24 offset0:128 offset1:160
	v_add_u32_e32 v24, 0xc00, v44
	ds_read2_b32 v[98:99], v24 offset1:32
	ds_read2_b32 v[94:95], v24 offset0:128 offset1:160
	s_waitcnt lgkmcnt(7)
	v_mfma_f32_16x16x32_fp8_fp8 v[24:27], v[108:109], v[0:1], v[72:75]
	ds_write_b32 v39, v37 offset:36864
	s_waitcnt lgkmcnt(7)
	v_mfma_f32_16x16x32_fp8_fp8 v[24:27], v[104:105], v[2:3], v[24:27]
	s_waitcnt lgkmcnt(6)
	v_mfma_f32_16x16x32_fp8_fp8 v[24:27], v[106:107], v[4:5], v[24:27]
	s_waitcnt lgkmcnt(5)
	v_mfma_f32_16x16x32_fp8_fp8 v[24:27], v[100:101], v[6:7], v[24:27]
	s_waitcnt lgkmcnt(4)
	v_mfma_f32_16x16x32_fp8_fp8 v[24:27], v[102:103], v[8:9], v[24:27]
	s_waitcnt lgkmcnt(3)
	v_mfma_f32_16x16x32_fp8_fp8 v[24:27], v[96:97], v[10:11], v[24:27]
	s_waitcnt lgkmcnt(2)
	v_mfma_f32_16x16x32_fp8_fp8 v[24:27], v[98:99], v[18:19], v[24:27]
	s_waitcnt lgkmcnt(1)
	v_mfma_f32_16x16x32_fp8_fp8 v[72:75], v[94:95], v[16:17], v[24:27]
	s_nop 5
	ds_read_b32 v24, v39 offset:36868
	s_waitcnt lgkmcnt(0)
	v_cmp_ne_u32_e32 vcc, v24, v32
	s_and_saveexec_b64 s[10:11], vcc
	s_cbranch_execz .LBB367_22
; %bb.20:                               ;   in Loop: Header=BB367_13 Depth=2
	s_mov_b64 s[12:13], 0
.LBB367_21:                             ;   Parent Loop BB367_7 Depth=1
                                        ;     Parent Loop BB367_13 Depth=2
                                        ; =>    This Inner Loop Header: Depth=3
	;;#ASMSTART
	s_sleep 0
	;;#ASMEND
	ds_read_b32 v24, v39 offset:36868
	s_waitcnt lgkmcnt(0)
	v_cmp_eq_u32_e32 vcc, v24, v32
	s_or_b64 s[12:13], vcc, s[12:13]
	s_andn2_b64 exec, exec, s[12:13]
	s_cbranch_execnz .LBB367_21
.LBB367_22:                             ;   in Loop: Header=BB367_13 Depth=2
	s_or_b64 exec, exec, s[10:11]
	v_add_u32_e32 v24, 0x1000, v44
	ds_read2_b32 v[110:111], v24 offset1:32
	ds_read2_b32 v[112:113], v24 offset0:128 offset1:160
	v_add_u32_e32 v24, 0x1400, v44
	ds_read2_b32 v[114:115], v24 offset1:32
	ds_read2_b32 v[116:117], v24 offset0:128 offset1:160
	v_add_u32_e32 v24, 0x1800, v44
	ds_read2_b32 v[118:119], v24 offset1:32
	ds_read2_b32 v[120:121], v24 offset0:128 offset1:160
	v_add_u32_e32 v24, 0x1c00, v44
	ds_read2_b32 v[122:123], v24 offset1:32
	ds_read2_b32 v[124:125], v24 offset0:128 offset1:160
	s_waitcnt lgkmcnt(7)
	v_mfma_f32_16x16x32_fp8_fp8 v[24:27], v[110:111], v[0:1], v[76:79]
	ds_write_b32 v39, v37 offset:36868
	s_waitcnt lgkmcnt(7)
	v_mfma_f32_16x16x32_fp8_fp8 v[24:27], v[112:113], v[2:3], v[24:27]
	s_waitcnt lgkmcnt(6)
	v_mfma_f32_16x16x32_fp8_fp8 v[24:27], v[114:115], v[4:5], v[24:27]
	s_waitcnt lgkmcnt(5)
	v_mfma_f32_16x16x32_fp8_fp8 v[24:27], v[116:117], v[6:7], v[24:27]
	s_waitcnt lgkmcnt(4)
	v_mfma_f32_16x16x32_fp8_fp8 v[24:27], v[118:119], v[8:9], v[24:27]
	s_waitcnt lgkmcnt(3)
	v_mfma_f32_16x16x32_fp8_fp8 v[24:27], v[120:121], v[10:11], v[24:27]
	s_waitcnt lgkmcnt(2)
	v_mfma_f32_16x16x32_fp8_fp8 v[24:27], v[122:123], v[18:19], v[24:27]
	s_waitcnt lgkmcnt(1)
	v_mfma_f32_16x16x32_fp8_fp8 v[76:79], v[124:125], v[16:17], v[24:27]
	s_nop 5
	ds_read_b32 v24, v39 offset:36872
	s_waitcnt lgkmcnt(0)
	v_cmp_ne_u32_e32 vcc, v24, v32
	s_and_saveexec_b64 s[10:11], vcc
	s_cbranch_execz .LBB367_25
; %bb.23:                               ;   in Loop: Header=BB367_13 Depth=2
	s_mov_b64 s[12:13], 0
.LBB367_24:                             ;   Parent Loop BB367_7 Depth=1
                                        ;     Parent Loop BB367_13 Depth=2
                                        ; =>    This Inner Loop Header: Depth=3
	;;#ASMSTART
	s_sleep 0
	;;#ASMEND
	ds_read_b32 v24, v39 offset:36872
	s_waitcnt lgkmcnt(0)
	v_cmp_eq_u32_e32 vcc, v24, v32
	s_or_b64 s[12:13], vcc, s[12:13]
	s_andn2_b64 exec, exec, s[12:13]
	s_cbranch_execnz .LBB367_24
.LBB367_25:                             ;   in Loop: Header=BB367_13 Depth=2
	s_or_b64 exec, exec, s[10:11]
	v_add_u32_e32 v24, 0x2000, v44
	;; [unrolled: 51-line block ×3, first 2 shown]
	ds_read2_b32 v[24:25], v26 offset1:32
	ds_read2_b32 v[26:27], v26 offset0:128 offset1:160
	v_add_u32_e32 v30, 0x3400, v44
	ds_read2_b32 v[28:29], v30 offset1:32
	ds_read2_b32 v[30:31], v30 offset0:128 offset1:160
	s_waitcnt lgkmcnt(3)
	v_mfma_f32_16x16x32_fp8_fp8 v[46:49], v[24:25], v[0:1], v[48:51]
	v_add_u32_e32 v45, 0x3800, v44
	ds_write_b32 v39, v37 offset:36876
	s_waitcnt lgkmcnt(3)
	v_mfma_f32_16x16x32_fp8_fp8 v[0:3], v[26:27], v[2:3], v[46:49]
	s_waitcnt lgkmcnt(2)
	v_mfma_f32_16x16x32_fp8_fp8 v[0:3], v[28:29], v[4:5], v[0:3]
	ds_read2_b32 v[4:5], v45 offset1:32
	s_nop 0
	v_add_u32_e32 v48, 0x3c00, v44
	s_waitcnt lgkmcnt(2)
	v_mfma_f32_16x16x32_fp8_fp8 v[0:3], v[30:31], v[6:7], v[0:3]
	ds_read2_b32 v[6:7], v45 offset0:128 offset1:160
	s_waitcnt lgkmcnt(1)
	v_mfma_f32_16x16x32_fp8_fp8 v[44:47], v[4:5], v[8:9], v[0:3]
	s_nop 4
	ds_read2_b32 v[2:3], v48 offset1:32
	ds_read2_b32 v[0:1], v48 offset0:128 offset1:160
	s_waitcnt lgkmcnt(2)
	v_mfma_f32_16x16x32_fp8_fp8 v[8:11], v[6:7], v[10:11], v[44:47]
	s_waitcnt lgkmcnt(1)
	v_mfma_f32_16x16x32_fp8_fp8 v[8:11], v[2:3], v[18:19], v[8:11]
	ds_read_b32 v18, v36 offset:36884
	s_waitcnt lgkmcnt(0)
	v_cmp_ne_u32_e32 vcc, v18, v32
	v_mfma_f32_16x16x32_fp8_fp8 v[64:67], v[0:1], v[16:17], v[8:11]
	s_and_saveexec_b64 s[10:11], vcc
	s_cbranch_execz .LBB367_31
; %bb.29:                               ;   in Loop: Header=BB367_13 Depth=2
	s_mov_b64 s[12:13], 0
.LBB367_30:                             ;   Parent Loop BB367_7 Depth=1
                                        ;     Parent Loop BB367_13 Depth=2
                                        ; =>    This Inner Loop Header: Depth=3
	;;#ASMSTART
	s_sleep 0
	;;#ASMEND
	s_nop 0
	ds_read_b32 v8, v36 offset:36884
	s_waitcnt lgkmcnt(0)
	v_cmp_eq_u32_e32 vcc, v8, v32
	s_or_b64 s[12:13], vcc, s[12:13]
	s_andn2_b64 exec, exec, s[12:13]
	s_cbranch_execnz .LBB367_30
.LBB367_31:                             ;   in Loop: Header=BB367_13 Depth=2
	s_or_b64 exec, exec, s[10:11]
	scratch_load_dwordx4 v[8:11], off, off offset:16 ; 16-byte Folded Reload
	v_add_u32_e32 v18, 0x1000, v38
	ds_read2_b32 v[16:17], v18 offset1:32
	ds_read2_b32 v[18:19], v18 offset0:128 offset1:160
	v_add_u32_e32 v39, 0x1400, v38
	ds_read2_b32 v[44:45], v39 offset1:32
	ds_read2_b32 v[46:47], v39 offset0:128 offset1:160
	;; [unrolled: 3-line block ×4, first 2 shown]
	s_waitcnt vmcnt(0) lgkmcnt(7)
	v_mfma_f32_16x16x32_fp8_fp8 v[8:11], v[108:109], v[16:17], v[8:11]
	s_waitcnt lgkmcnt(6)
	v_mfma_f32_16x16x32_fp8_fp8 v[8:11], v[104:105], v[18:19], v[8:11]
	s_waitcnt lgkmcnt(5)
	;; [unrolled: 2-line block ×7, first 2 shown]
	v_mfma_f32_16x16x32_fp8_fp8 v[8:11], v[94:95], v[54:55], v[8:11]
	s_nop 7
	scratch_store_dwordx4 off, v[8:11], off offset:16 ; 16-byte Folded Spill
	scratch_load_dwordx4 v[8:11], off, off offset:64 ; 16-byte Folded Reload
	s_waitcnt vmcnt(0)
	v_mfma_f32_16x16x32_fp8_fp8 v[8:11], v[110:111], v[16:17], v[8:11]
	v_mfma_f32_16x16x32_fp8_fp8 v[8:11], v[112:113], v[18:19], v[8:11]
	;; [unrolled: 1-line block ×8, first 2 shown]
	s_nop 7
	scratch_store_dwordx4 off, v[8:11], off offset:64 ; 16-byte Folded Spill
	scratch_load_dwordx4 v[8:11], off, off offset:112 ; 16-byte Folded Reload
	s_waitcnt vmcnt(0)
	v_mfma_f32_16x16x32_fp8_fp8 v[8:11], v[126:127], v[16:17], v[8:11]
	v_mfma_f32_16x16x32_fp8_fp8 v[8:11], v[88:89], v[18:19], v[8:11]
	;; [unrolled: 1-line block ×8, first 2 shown]
	s_nop 7
	scratch_store_dwordx4 off, v[8:11], off offset:112 ; 16-byte Folded Spill
	scratch_load_dwordx4 v[8:11], off, off offset:160 ; 16-byte Folded Reload
	;;#ASMSTART
	s_waitcnt lgkmcnt(0)
	;;#ASMEND
	ds_write_b32 v36, v37 offset:36884
	s_waitcnt vmcnt(0)
	v_mfma_f32_16x16x32_fp8_fp8 v[8:11], v[24:25], v[16:17], v[8:11]
	ds_read_b32 v16, v36 offset:36888
	s_waitcnt lgkmcnt(0)
	v_cmp_ne_u32_e32 vcc, v16, v32
	v_mfma_f32_16x16x32_fp8_fp8 v[8:11], v[26:27], v[18:19], v[8:11]
	v_mfma_f32_16x16x32_fp8_fp8 v[8:11], v[28:29], v[44:45], v[8:11]
	;; [unrolled: 1-line block ×7, first 2 shown]
	s_nop 7
	scratch_store_dwordx4 off, v[8:11], off offset:160 ; 16-byte Folded Spill
	s_and_saveexec_b64 s[10:11], vcc
	s_cbranch_execz .LBB367_34
; %bb.32:                               ;   in Loop: Header=BB367_13 Depth=2
	s_mov_b64 s[12:13], 0
.LBB367_33:                             ;   Parent Loop BB367_7 Depth=1
                                        ;     Parent Loop BB367_13 Depth=2
                                        ; =>    This Inner Loop Header: Depth=3
	;;#ASMSTART
	s_sleep 0
	;;#ASMEND
	ds_read_b32 v8, v36 offset:36888
	s_waitcnt lgkmcnt(0)
	v_cmp_eq_u32_e32 vcc, v8, v32
	s_or_b64 s[12:13], vcc, s[12:13]
	s_andn2_b64 exec, exec, s[12:13]
	s_cbranch_execnz .LBB367_33
.LBB367_34:                             ;   in Loop: Header=BB367_13 Depth=2
	s_or_b64 exec, exec, s[10:11]
	scratch_load_dwordx4 v[8:11], off, off  ; 16-byte Folded Reload
	v_add_u32_e32 v18, 0x2000, v38
	ds_read2_b32 v[16:17], v18 offset1:32
	ds_read2_b32 v[18:19], v18 offset0:128 offset1:160
	v_add_u32_e32 v39, 0x2400, v38
	ds_read2_b32 v[44:45], v39 offset1:32
	ds_read2_b32 v[46:47], v39 offset0:128 offset1:160
	;; [unrolled: 3-line block ×4, first 2 shown]
	s_waitcnt vmcnt(0) lgkmcnt(7)
	v_mfma_f32_16x16x32_fp8_fp8 v[8:11], v[108:109], v[16:17], v[8:11]
	s_waitcnt lgkmcnt(6)
	v_mfma_f32_16x16x32_fp8_fp8 v[8:11], v[104:105], v[18:19], v[8:11]
	s_waitcnt lgkmcnt(5)
	;; [unrolled: 2-line block ×7, first 2 shown]
	v_mfma_f32_16x16x32_fp8_fp8 v[8:11], v[94:95], v[54:55], v[8:11]
	s_nop 7
	scratch_store_dwordx4 off, v[8:11], off ; 16-byte Folded Spill
	scratch_load_dwordx4 v[8:11], off, off offset:48 ; 16-byte Folded Reload
	s_waitcnt vmcnt(0)
	v_mfma_f32_16x16x32_fp8_fp8 v[8:11], v[110:111], v[16:17], v[8:11]
	v_mfma_f32_16x16x32_fp8_fp8 v[8:11], v[112:113], v[18:19], v[8:11]
	;; [unrolled: 1-line block ×8, first 2 shown]
	s_nop 7
	scratch_store_dwordx4 off, v[8:11], off offset:48 ; 16-byte Folded Spill
	scratch_load_dwordx4 v[8:11], off, off offset:96 ; 16-byte Folded Reload
	s_waitcnt vmcnt(0)
	v_mfma_f32_16x16x32_fp8_fp8 v[8:11], v[126:127], v[16:17], v[8:11]
	v_mfma_f32_16x16x32_fp8_fp8 v[8:11], v[88:89], v[18:19], v[8:11]
	;; [unrolled: 1-line block ×8, first 2 shown]
	s_nop 7
	scratch_store_dwordx4 off, v[8:11], off offset:96 ; 16-byte Folded Spill
	scratch_load_dwordx4 v[8:11], off, off offset:144 ; 16-byte Folded Reload
	;;#ASMSTART
	s_waitcnt lgkmcnt(0)
	;;#ASMEND
	ds_write_b32 v36, v37 offset:36888
	s_waitcnt vmcnt(0)
	v_mfma_f32_16x16x32_fp8_fp8 v[8:11], v[24:25], v[16:17], v[8:11]
	ds_read_b32 v16, v36 offset:36892
	s_waitcnt lgkmcnt(0)
	v_cmp_ne_u32_e32 vcc, v16, v32
	v_mfma_f32_16x16x32_fp8_fp8 v[8:11], v[26:27], v[18:19], v[8:11]
	v_mfma_f32_16x16x32_fp8_fp8 v[8:11], v[28:29], v[44:45], v[8:11]
	;; [unrolled: 1-line block ×7, first 2 shown]
	s_nop 7
	scratch_store_dwordx4 off, v[8:11], off offset:144 ; 16-byte Folded Spill
	s_and_saveexec_b64 s[10:11], vcc
	s_cbranch_execz .LBB367_37
; %bb.35:                               ;   in Loop: Header=BB367_13 Depth=2
	s_mov_b64 s[12:13], 0
.LBB367_36:                             ;   Parent Loop BB367_7 Depth=1
                                        ;     Parent Loop BB367_13 Depth=2
                                        ; =>    This Inner Loop Header: Depth=3
	;;#ASMSTART
	s_sleep 0
	;;#ASMEND
	ds_read_b32 v8, v36 offset:36892
	s_waitcnt lgkmcnt(0)
	v_cmp_eq_u32_e32 vcc, v8, v32
	s_or_b64 s[12:13], vcc, s[12:13]
	s_andn2_b64 exec, exec, s[12:13]
	s_cbranch_execnz .LBB367_36
.LBB367_37:                             ;   in Loop: Header=BB367_13 Depth=2
	s_or_b64 exec, exec, s[10:11]
	scratch_load_dwordx4 v[8:11], off, off offset:176 ; 16-byte Folded Reload
	v_add_u32_e32 v18, 0x3000, v38
	ds_read2_b32 v[16:17], v18 offset1:32
	ds_read2_b32 v[18:19], v18 offset0:128 offset1:160
	v_add_u32_e32 v39, 0x3400, v38
	ds_read2_b32 v[44:45], v39 offset1:32
	ds_read2_b32 v[46:47], v39 offset0:128 offset1:160
	v_add_u32_e32 v39, 0x3800, v38
	ds_read2_b32 v[48:49], v39 offset1:32
	ds_read2_b32 v[50:51], v39 offset0:128 offset1:160
	v_add_u32_e32 v39, 0x3c00, v38
	ds_read2_b32 v[52:53], v39 offset1:32
	ds_read2_b32 v[54:55], v39 offset0:128 offset1:160
	s_waitcnt vmcnt(0) lgkmcnt(7)
	v_mfma_f32_16x16x32_fp8_fp8 v[8:11], v[108:109], v[16:17], v[8:11]
	s_waitcnt lgkmcnt(6)
	v_mfma_f32_16x16x32_fp8_fp8 v[8:11], v[104:105], v[18:19], v[8:11]
	s_waitcnt lgkmcnt(5)
	;; [unrolled: 2-line block ×7, first 2 shown]
	v_mfma_f32_16x16x32_fp8_fp8 v[8:11], v[94:95], v[54:55], v[8:11]
	s_nop 7
	scratch_store_dwordx4 off, v[8:11], off offset:176 ; 16-byte Folded Spill
	scratch_load_dwordx4 v[8:11], off, off offset:32 ; 16-byte Folded Reload
	s_waitcnt vmcnt(0)
	v_mfma_f32_16x16x32_fp8_fp8 v[8:11], v[110:111], v[16:17], v[8:11]
	v_mfma_f32_16x16x32_fp8_fp8 v[8:11], v[112:113], v[18:19], v[8:11]
	;; [unrolled: 1-line block ×8, first 2 shown]
	s_nop 7
	scratch_store_dwordx4 off, v[8:11], off offset:32 ; 16-byte Folded Spill
	scratch_load_dwordx4 v[8:11], off, off offset:80 ; 16-byte Folded Reload
	s_waitcnt vmcnt(0)
	v_mfma_f32_16x16x32_fp8_fp8 v[8:11], v[126:127], v[16:17], v[8:11]
	v_mfma_f32_16x16x32_fp8_fp8 v[8:11], v[88:89], v[18:19], v[8:11]
	;; [unrolled: 1-line block ×8, first 2 shown]
	s_nop 7
	scratch_store_dwordx4 off, v[8:11], off offset:80 ; 16-byte Folded Spill
	scratch_load_dwordx4 v[8:11], off, off offset:128 ; 16-byte Folded Reload
	;;#ASMSTART
	s_waitcnt lgkmcnt(0)
	;;#ASMEND
	ds_write_b32 v36, v37 offset:36892
	s_waitcnt vmcnt(0)
	v_mfma_f32_16x16x32_fp8_fp8 v[8:11], v[24:25], v[16:17], v[8:11]
	ds_read_b32 v16, v36 offset:36896
	s_waitcnt lgkmcnt(0)
	v_cmp_ne_u32_e32 vcc, v16, v32
	v_mfma_f32_16x16x32_fp8_fp8 v[8:11], v[26:27], v[18:19], v[8:11]
	v_mfma_f32_16x16x32_fp8_fp8 v[8:11], v[28:29], v[44:45], v[8:11]
	;; [unrolled: 1-line block ×7, first 2 shown]
	s_nop 7
	scratch_store_dwordx4 off, v[8:11], off offset:128 ; 16-byte Folded Spill
	s_and_saveexec_b64 s[10:11], vcc
	s_cbranch_execz .LBB367_12
; %bb.38:                               ;   in Loop: Header=BB367_13 Depth=2
	s_mov_b64 s[12:13], 0
.LBB367_39:                             ;   Parent Loop BB367_7 Depth=1
                                        ;     Parent Loop BB367_13 Depth=2
                                        ; =>    This Inner Loop Header: Depth=3
	;;#ASMSTART
	s_sleep 0
	;;#ASMEND
	ds_read_b32 v8, v36 offset:36896
	s_waitcnt lgkmcnt(0)
	v_cmp_eq_u32_e32 vcc, v8, v32
	s_or_b64 s[12:13], vcc, s[12:13]
	s_andn2_b64 exec, exec, s[12:13]
	s_cbranch_execnz .LBB367_39
	s_branch .LBB367_12
.LBB367_40:                             ;   in Loop: Header=BB367_7 Depth=1
	s_or_b64 exec, exec, s[8:9]
	scratch_load_dword v27, off, off offset:224 ; 4-byte Folded Reload
	scratch_load_dwordx4 v[36:39], off, off offset:176 ; 16-byte Folded Reload
.LBB367_41:                             ;   in Loop: Header=BB367_7 Depth=1
	s_or_b64 exec, exec, s[6:7]
	scratch_load_dword v44, off, off offset:196 ; 4-byte Folded Reload
	v_cmp_le_i32_e32 vcc, s47, v58
	v_cmp_eq_u32_e64 s[12:13], 1, v57
	v_cmp_eq_u32_e64 s[6:7], 3, v57
	s_waitcnt vmcnt(2)
	v_cndmask_b32_e32 v80, 0, v27, vcc
	v_pk_mul_f32 v[6:7], v[80:81], v[72:73] op_sel_hi:[0,1]
	v_pk_mul_f32 v[0:1], v[80:81], v[74:75] op_sel_hi:[0,1]
	v_cndmask_b32_e64 v2, v6, v7, s[12:13]
	v_cmp_eq_u32_e32 vcc, 2, v57
	v_cmp_eq_u32_e64 s[8:9], 0, v57
	v_cmp_eq_u32_e64 s[10:11], 1, v59
	v_cndmask_b32_e32 v2, v2, v0, vcc
	v_cndmask_b32_e64 v2, v2, v1, s[6:7]
	v_cmp_eq_u32_e64 s[16:17], 3, v59
	s_waitcnt vmcnt(0)
	ds_bpermute_b32 v5, v44, v2
	s_waitcnt lgkmcnt(0)
	v_cndmask_b32_e64 v2, v1, v5, s[6:7]
	v_cndmask_b32_e64 v1, v6, v5, s[8:9]
	v_or_b32_e32 v6, 16, v58
	v_cndmask_b32_e32 v3, v0, v5, vcc
	v_cndmask_b32_e64 v0, v7, v5, s[12:13]
	v_cmp_le_i32_e64 s[14:15], s47, v6
	scratch_load_dwordx4 v[6:9], off, off offset:16 ; 16-byte Folded Reload
	v_cndmask_b32_e64 v5, v1, v0, s[10:11]
	v_cndmask_b32_e64 v72, 0, v27, s[14:15]
	v_cmp_eq_u32_e64 s[14:15], 2, v59
	s_waitcnt vmcnt(0)
	v_pk_mul_f32 v[10:11], v[72:73], v[6:7] op_sel_hi:[0,1]
	v_pk_mul_f32 v[8:9], v[72:73], v[8:9] op_sel_hi:[0,1]
	v_cndmask_b32_e64 v6, v10, v11, s[12:13]
	v_cndmask_b32_e32 v6, v6, v8, vcc
	v_cndmask_b32_e64 v6, v6, v9, s[6:7]
	ds_bpermute_b32 v16, v44, v6
	v_cndmask_b32_e64 v5, v5, v3, s[14:15]
	v_cndmask_b32_e64 v5, v5, v2, s[16:17]
	ds_bpermute_b32 v5, v44, v5
	s_waitcnt lgkmcnt(1)
	v_cndmask_b32_e32 v7, v8, v16, vcc
	v_or_b32_e32 v8, 32, v58
	v_cndmask_b32_e64 v6, v9, v16, s[6:7]
	v_cndmask_b32_e64 v25, v11, v16, s[12:13]
	;; [unrolled: 1-line block ×3, first 2 shown]
	v_cmp_le_i32_e64 s[18:19], s47, v8
	scratch_load_dwordx4 v[8:11], off, off  ; 16-byte Folded Reload
	s_nop 0
	v_cndmask_b32_e64 v74, 0, v27, s[18:19]
	s_waitcnt vmcnt(0)
	v_pk_mul_f32 v[16:17], v[74:75], v[8:9] op_sel_hi:[0,1]
	v_pk_mul_f32 v[10:11], v[74:75], v[10:11] op_sel_hi:[0,1]
	v_cndmask_b32_e64 v8, v16, v17, s[12:13]
	v_cndmask_b32_e32 v8, v8, v10, vcc
	v_cndmask_b32_e64 v8, v8, v11, s[6:7]
	ds_bpermute_b32 v18, v44, v8
	v_cndmask_b32_e64 v8, v26, v25, s[10:11]
	v_cndmask_b32_e64 v8, v8, v7, s[14:15]
	;; [unrolled: 1-line block ×3, first 2 shown]
	ds_bpermute_b32 v8, v44, v8
	s_waitcnt lgkmcnt(1)
	v_cndmask_b32_e64 v9, v11, v18, s[6:7]
	v_or_b32_e32 v11, 48, v58
	v_cmp_le_i32_e64 s[18:19], s47, v11
	v_cndmask_b32_e32 v10, v10, v18, vcc
	v_cndmask_b32_e64 v28, v17, v18, s[12:13]
	v_cndmask_b32_e64 v68, 0, v27, s[18:19]
	v_pk_mul_f32 v[30:31], v[68:69], v[36:37] op_sel_hi:[0,1]
	v_cndmask_b32_e64 v29, v16, v18, s[8:9]
	v_pk_mul_f32 v[18:19], v[68:69], v[38:39] op_sel_hi:[0,1]
	v_cndmask_b32_e64 v11, v30, v31, s[12:13]
	v_cndmask_b32_e32 v11, v11, v18, vcc
	v_cndmask_b32_e64 v11, v11, v19, s[6:7]
	ds_bpermute_b32 v24, v44, v11
	v_cndmask_b32_e64 v11, v29, v28, s[10:11]
	v_cndmask_b32_e64 v11, v11, v10, s[14:15]
	;; [unrolled: 1-line block ×3, first 2 shown]
	ds_bpermute_b32 v11, v44, v11
	s_waitcnt lgkmcnt(1)
	v_cndmask_b32_e64 v33, v30, v24, s[8:9]
	scratch_load_dword v30, off, off offset:192 ; 4-byte Folded Reload
	v_cndmask_b32_e32 v17, v18, v24, vcc
	v_or_b32_e32 v18, 64, v58
	v_cmp_le_i32_e64 s[18:19], s47, v18
	v_cndmask_b32_e64 v16, v19, v24, s[6:7]
	v_cndmask_b32_e64 v31, v31, v24, s[12:13]
	;; [unrolled: 1-line block ×3, first 2 shown]
	v_pk_mul_f32 v[38:39], v[64:65], v[60:61] op_sel_hi:[0,1]
	v_pk_mul_f32 v[36:37], v[64:65], v[62:63] op_sel_hi:[0,1]
	v_cndmask_b32_e64 v18, v38, v39, s[12:13]
	v_cndmask_b32_e32 v18, v18, v36, vcc
	v_cndmask_b32_e64 v18, v18, v37, s[6:7]
	ds_bpermute_b32 v27, v44, v18
	v_cndmask_b32_e64 v18, v33, v31, s[10:11]
	v_cndmask_b32_e64 v18, v18, v17, s[14:15]
	;; [unrolled: 1-line block ×3, first 2 shown]
	ds_bpermute_b32 v18, v44, v18
	s_waitcnt lgkmcnt(1)
	v_cndmask_b32_e32 v24, v36, v27, vcc
	v_cmp_ne_u32_e32 vcc, 0, v57
	v_cndmask_b32_e64 v19, v37, v27, s[6:7]
	v_cndmask_b32_e64 v37, v38, v27, s[8:9]
	v_cndmask_b32_e32 v36, v39, v27, vcc
	v_cndmask_b32_e64 v27, v37, v36, s[10:11]
	v_cndmask_b32_e64 v27, v27, v24, s[14:15]
	;; [unrolled: 1-line block ×3, first 2 shown]
	ds_bpermute_b32 v27, v44, v27
	s_waitcnt vmcnt(0)
	v_add_u32_e32 v30, s69, v30
	v_cmp_gt_u32_e32 vcc, 64, v30
	s_and_saveexec_b64 s[18:19], vcc
	s_cbranch_execz .LBB367_50
; %bb.42:                               ;   in Loop: Header=BB367_7 Depth=1
	v_cmp_eq_u32_e64 s[8:9], 1, v59
	v_cmp_eq_u32_e64 s[10:11], 0, v59
	v_cmp_eq_u32_e32 vcc, 3, v59
	v_cndmask_b32_e64 v0, v0, v5, s[8:9]
	v_cndmask_b32_e64 v1, v1, v5, s[10:11]
	;; [unrolled: 1-line block ×4, first 2 shown]
	v_cvt_f16_f32_e32 v28, v1
	v_cvt_f16_f32_sdwa v29, v0 dst_sel:WORD_1 dst_unused:UNUSED_PAD src0_sel:DWORD
	scratch_load_dwordx2 v[0:1], off, off offset:228 ; 8-byte Folded Reload
	v_cndmask_b32_e64 v25, v25, v8, s[8:9]
	s_waitcnt lgkmcnt(1)
	v_cndmask_b32_e64 v31, v31, v18, s[8:9]
	s_waitcnt lgkmcnt(0)
	v_cndmask_b32_e64 v36, v36, v27, s[8:9]
	s_mul_i32 s8, s67, s21
	s_ashr_i32 s9, s8, 31
	s_lshl_b64 s[8:9], s[8:9], 1
	v_cndmask_b32_e64 v26, v26, v8, s[10:11]
	v_cndmask_b32_e64 v33, v33, v18, s[10:11]
	;; [unrolled: 1-line block ×3, first 2 shown]
	s_add_u32 s10, s40, s8
	s_addc_u32 s11, s41, s9
	s_ashr_i32 s47, s46, 31
	v_cvt_f16_f32_e32 v26, v26
	v_cvt_f16_f32_sdwa v25, v25 dst_sel:WORD_1 dst_unused:UNUSED_PAD src0_sel:DWORD
	s_lshl_b64 s[8:9], s[46:47], 1
	v_cvt_f16_f32_e32 v39, v39
	v_cvt_f16_f32_sdwa v38, v38 dst_sel:WORD_1 dst_unused:UNUSED_PAD src0_sel:DWORD
	s_add_u32 s52, s10, s8
	s_addc_u32 s53, s11, s9
	v_or_b32_e32 v28, v29, v28
	v_or_b32_e32 v25, v25, v26
	v_cvt_f16_f32_sdwa v26, v31 dst_sel:WORD_1 dst_unused:UNUSED_PAD src0_sel:DWORD
	v_cvt_f16_f32_e32 v31, v37
	v_cmp_eq_u32_e64 s[6:7], 2, v59
	v_cmp_gt_u32_e64 s[8:9], 62, v30
	s_waitcnt vmcnt(0)
	v_lshl_add_u64 v[0:1], v[0:1], 1, s[52:53]
	;;#ASMSTART
	global_atomic_pk_add_f16 v[0:1], v28, off
	
	;;#ASMEND
	v_lshl_add_u64 v[28:29], v[0:1], 0, 32
	;;#ASMSTART
	global_atomic_pk_add_f16 v[28:29], v25, off
	
	;;#ASMEND
	v_or_b32_e32 v25, v38, v39
	v_lshl_add_u64 v[28:29], v[0:1], 0, 64
	;;#ASMSTART
	global_atomic_pk_add_f16 v[28:29], v25, off
	
	;;#ASMEND
	v_cvt_f16_f32_e32 v25, v33
	v_cvt_f16_f32_sdwa v33, v36 dst_sel:WORD_1 dst_unused:UNUSED_PAD src0_sel:DWORD
	v_lshl_add_u64 v[28:29], v[0:1], 0, s[30:31]
	v_or_b32_e32 v25, v26, v25
	;;#ASMSTART
	global_atomic_pk_add_f16 v[28:29], v25, off
	
	;;#ASMEND
	v_lshl_add_u64 v[28:29], v[0:1], 0, s[34:35]
	v_or_b32_e32 v25, v33, v31
	;;#ASMSTART
	global_atomic_pk_add_f16 v[28:29], v25, off
	
	;;#ASMEND
	s_and_b64 exec, exec, s[8:9]
	s_cbranch_execz .LBB367_50
; %bb.43:                               ;   in Loop: Header=BB367_7 Depth=1
	v_cndmask_b32_e32 v2, v2, v5, vcc
	v_cndmask_b32_e64 v3, v3, v5, s[6:7]
	v_cndmask_b32_e32 v5, v6, v8, vcc
	v_cndmask_b32_e64 v6, v7, v8, s[6:7]
	v_cvt_f16_f32_e32 v3, v3
	v_cvt_f16_f32_sdwa v2, v2 dst_sel:WORD_1 dst_unused:UNUSED_PAD src0_sel:DWORD
	v_cvt_f16_f32_e32 v6, v6
	v_cvt_f16_f32_sdwa v5, v5 dst_sel:WORD_1 dst_unused:UNUSED_PAD src0_sel:DWORD
	v_cndmask_b32_e32 v7, v9, v11, vcc
	v_cndmask_b32_e64 v8, v10, v11, s[6:7]
	v_lshl_add_u64 v[0:1], s[28:29], 2, v[0:1]
	v_or_b32_e32 v2, v2, v3
	v_or_b32_e32 v5, v5, v6
	;;#ASMSTART
	global_atomic_pk_add_f16 v[0:1], v2, off
	
	;;#ASMEND
	v_lshl_add_u64 v[2:3], v[0:1], 0, 32
	;;#ASMSTART
	global_atomic_pk_add_f16 v[2:3], v5, off
	
	;;#ASMEND
	v_cvt_f16_f32_e32 v5, v8
	v_cvt_f16_f32_sdwa v6, v7 dst_sel:WORD_1 dst_unused:UNUSED_PAD src0_sel:DWORD
	v_cndmask_b32_e32 v9, v16, v18, vcc
	v_cndmask_b32_e64 v10, v17, v18, s[6:7]
	v_lshl_add_u64 v[2:3], v[0:1], 0, 64
	v_or_b32_e32 v5, v6, v5
	;;#ASMSTART
	global_atomic_pk_add_f16 v[2:3], v5, off
	
	;;#ASMEND
	scratch_load_dword v46, off, off offset:196 ; 4-byte Folded Reload
	v_cvt_f16_f32_e32 v7, v10
	v_cvt_f16_f32_sdwa v8, v9 dst_sel:WORD_1 dst_unused:UNUSED_PAD src0_sel:DWORD
	v_cndmask_b32_e64 v16, v24, v27, s[6:7]
	v_cndmask_b32_e32 v11, v19, v27, vcc
	v_lshl_add_u64 v[2:3], v[0:1], 0, s[30:31]
	v_or_b32_e32 v5, v8, v7
	;;#ASMSTART
	global_atomic_pk_add_f16 v[2:3], v5, off
	
	;;#ASMEND
	v_cvt_f16_f32_e32 v30, v16
	scratch_load_dwordx4 v[16:19], off, off offset:64 ; 16-byte Folded Reload
	scratch_load_dwordx4 v[24:27], off, off offset:48 ; 16-byte Folded Reload
	;; [unrolled: 1-line block ×3, first 2 shown]
	v_cvt_f16_f32_sdwa v44, v11 dst_sel:WORD_1 dst_unused:UNUSED_PAD src0_sel:DWORD
	v_lshl_add_u64 v[38:39], v[0:1], 0, s[34:35]
	v_mov_b32_e32 v81, v80
	v_mov_b32_e32 v6, v80
	v_or_b32_e32 v30, v44, v30
	;;#ASMSTART
	global_atomic_pk_add_f16 v[38:39], v30, off
	
	;;#ASMEND
	scratch_load_dword v30, off, off offset:192 ; 4-byte Folded Reload
	v_mov_b32_e32 v7, v80
	v_pk_mul_f32 v[8:9], v[80:81], v[76:77]
	v_cmp_eq_u32_e64 s[8:9], 1, v57
	v_pk_mul_f32 v[6:7], v[6:7], v[78:79]
	v_cmp_eq_u32_e32 vcc, 2, v57
	v_cndmask_b32_e64 v10, v8, v9, s[8:9]
	v_cmp_eq_u32_e64 s[6:7], 3, v57
	v_cndmask_b32_e32 v10, v10, v6, vcc
	v_mov_b32_e32 v73, v72
	v_cndmask_b32_e64 v10, v10, v7, s[6:7]
	v_cmp_eq_u32_e64 s[10:11], 0, v57
	v_mov_b32_e32 v75, v74
	v_mov_b32_e32 v69, v68
	;; [unrolled: 1-line block ×3, first 2 shown]
	v_pk_mul_f32 v[40:41], v[64:65], v[40:41]
	v_cmp_eq_u32_e64 s[12:13], 1, v59
	v_cmp_eq_u32_e64 s[14:15], 2, v59
	;; [unrolled: 1-line block ×3, first 2 shown]
	s_waitcnt vmcnt(4)
	ds_bpermute_b32 v10, v46, v10
	s_waitcnt lgkmcnt(0)
	v_cndmask_b32_e64 v2, v7, v10, s[6:7]
	v_cndmask_b32_e32 v3, v6, v10, vcc
	v_cndmask_b32_e64 v0, v9, v10, s[8:9]
	v_cndmask_b32_e64 v1, v8, v10, s[10:11]
	v_mov_b32_e32 v6, v72
	v_mov_b32_e32 v7, v72
	s_waitcnt vmcnt(3)
	v_pk_mul_f32 v[10:11], v[72:73], v[16:17]
	v_pk_mul_f32 v[8:9], v[6:7], v[18:19]
	v_cndmask_b32_e64 v6, v10, v11, s[8:9]
	v_cndmask_b32_e32 v6, v6, v8, vcc
	v_cndmask_b32_e64 v6, v6, v9, s[6:7]
	ds_bpermute_b32 v16, v46, v6
	v_cndmask_b32_e64 v5, v1, v0, s[12:13]
	v_cndmask_b32_e64 v5, v5, v3, s[14:15]
	;; [unrolled: 1-line block ×3, first 2 shown]
	ds_bpermute_b32 v5, v46, v5
	s_waitcnt lgkmcnt(1)
	v_cndmask_b32_e64 v6, v9, v16, s[6:7]
	v_cndmask_b32_e32 v7, v8, v16, vcc
	v_cndmask_b32_e64 v18, v11, v16, s[8:9]
	v_cndmask_b32_e64 v19, v10, v16, s[10:11]
	v_mov_b32_e32 v8, v74
	v_mov_b32_e32 v9, v74
	s_waitcnt vmcnt(2)
	v_pk_mul_f32 v[16:17], v[74:75], v[24:25]
	v_pk_mul_f32 v[10:11], v[8:9], v[26:27]
	v_cndmask_b32_e64 v8, v16, v17, s[8:9]
	v_cndmask_b32_e32 v8, v8, v10, vcc
	v_cndmask_b32_e64 v8, v8, v11, s[6:7]
	ds_bpermute_b32 v24, v46, v8
	s_waitcnt vmcnt(1)
	v_pk_mul_f32 v[26:27], v[68:69], v[60:61]
	v_cndmask_b32_e64 v8, v19, v18, s[12:13]
	v_cndmask_b32_e64 v8, v8, v7, s[14:15]
	;; [unrolled: 1-line block ×3, first 2 shown]
	s_waitcnt lgkmcnt(0)
	v_cndmask_b32_e64 v28, v17, v24, s[8:9]
	v_cndmask_b32_e64 v29, v16, v24, s[10:11]
	v_mov_b32_e32 v16, v68
	v_mov_b32_e32 v17, v68
	v_cndmask_b32_e64 v9, v11, v24, s[6:7]
	v_cndmask_b32_e32 v10, v10, v24, vcc
	v_pk_mul_f32 v[24:25], v[16:17], v[62:63]
	v_cndmask_b32_e64 v11, v26, v27, s[8:9]
	v_cndmask_b32_e32 v11, v11, v24, vcc
	v_cndmask_b32_e64 v11, v11, v25, s[6:7]
	ds_bpermute_b32 v33, v46, v11
	v_cndmask_b32_e64 v11, v29, v28, s[12:13]
	v_cndmask_b32_e64 v11, v11, v10, s[14:15]
	;; [unrolled: 1-line block ×3, first 2 shown]
	ds_bpermute_b32 v8, v46, v8
	s_waitcnt lgkmcnt(1)
	v_cndmask_b32_e64 v16, v25, v33, s[6:7]
	v_cndmask_b32_e32 v17, v24, v33, vcc
	v_mov_b32_e32 v24, v64
	v_mov_b32_e32 v25, v64
	v_cndmask_b32_e64 v31, v27, v33, s[8:9]
	v_cndmask_b32_e64 v33, v26, v33, s[10:11]
	v_pk_mul_f32 v[26:27], v[24:25], v[42:43]
	v_cndmask_b32_e64 v24, v40, v41, s[8:9]
	v_cndmask_b32_e32 v24, v24, v26, vcc
	v_cndmask_b32_e64 v24, v24, v27, s[6:7]
	ds_bpermute_b32 v37, v46, v24
	v_cndmask_b32_e64 v24, v33, v31, s[12:13]
	v_cndmask_b32_e64 v24, v24, v17, s[14:15]
	;; [unrolled: 1-line block ×3, first 2 shown]
	ds_bpermute_b32 v11, v46, v11
	s_waitcnt lgkmcnt(1)
	v_cndmask_b32_e32 v26, v26, v37, vcc
	v_cmp_ne_u32_e32 vcc, 0, v57
	v_cndmask_b32_e64 v25, v27, v37, s[6:7]
	ds_bpermute_b32 v24, v46, v24
	v_cndmask_b32_e32 v36, v41, v37, vcc
	v_cndmask_b32_e64 v37, v40, v37, s[10:11]
	v_cndmask_b32_e64 v27, v37, v36, s[12:13]
	;; [unrolled: 1-line block ×4, first 2 shown]
	ds_bpermute_b32 v27, v46, v27
	s_waitcnt vmcnt(0)
	v_or_b32_e32 v30, 16, v30
	v_add_u32_e32 v30, s69, v30
	v_cmp_gt_u32_e32 vcc, 64, v30
	s_and_b64 exec, exec, vcc
	s_cbranch_execz .LBB367_50
; %bb.44:                               ;   in Loop: Header=BB367_7 Depth=1
	v_cmp_eq_u32_e64 s[8:9], 1, v59
	v_cmp_eq_u32_e64 s[10:11], 0, v59
	v_cmp_eq_u32_e32 vcc, 3, v59
	v_cndmask_b32_e64 v0, v0, v5, s[8:9]
	v_cndmask_b32_e64 v1, v1, v5, s[10:11]
	v_cvt_f16_f32_e32 v38, v1
	v_cvt_f16_f32_sdwa v39, v0 dst_sel:WORD_1 dst_unused:UNUSED_PAD src0_sel:DWORD
	scratch_load_dwordx2 v[0:1], off, off offset:236 ; 8-byte Folded Reload
	s_waitcnt lgkmcnt(2)
	v_cndmask_b32_e64 v28, v28, v11, s[8:9]
	v_cndmask_b32_e64 v29, v29, v11, s[10:11]
	;; [unrolled: 1-line block ×4, first 2 shown]
	v_or_b32_e32 v38, v39, v38
	v_cvt_f16_f32_e32 v29, v29
	v_cvt_f16_f32_sdwa v28, v28 dst_sel:WORD_1 dst_unused:UNUSED_PAD src0_sel:DWORD
	v_cvt_f16_f32_sdwa v39, v18 dst_sel:WORD_1 dst_unused:UNUSED_PAD src0_sel:DWORD
	s_waitcnt lgkmcnt(1)
	v_cndmask_b32_e64 v31, v31, v24, s[8:9]
	v_cndmask_b32_e64 v33, v33, v24, s[10:11]
	v_or_b32_e32 v28, v28, v29
	s_waitcnt lgkmcnt(0)
	v_cndmask_b32_e64 v36, v36, v27, s[8:9]
	v_cndmask_b32_e64 v37, v37, v27, s[10:11]
	v_cvt_f16_f32_sdwa v29, v31 dst_sel:WORD_1 dst_unused:UNUSED_PAD src0_sel:DWORD
	v_cvt_f16_f32_e32 v31, v37
	v_cmp_eq_u32_e64 s[6:7], 2, v59
	v_cmp_gt_u32_e64 s[8:9], 62, v30
	s_waitcnt vmcnt(0)
	v_lshl_add_u64 v[0:1], v[0:1], 1, s[52:53]
	;;#ASMSTART
	global_atomic_pk_add_f16 v[0:1], v38, off
	
	;;#ASMEND
	v_cvt_f16_f32_e32 v38, v19
	v_lshl_add_u64 v[18:19], v[0:1], 0, 32
	v_or_b32_e32 v38, v39, v38
	;;#ASMSTART
	global_atomic_pk_add_f16 v[18:19], v38, off
	
	;;#ASMEND
	v_lshl_add_u64 v[18:19], v[0:1], 0, 64
	;;#ASMSTART
	global_atomic_pk_add_f16 v[18:19], v28, off
	
	;;#ASMEND
	v_cvt_f16_f32_e32 v28, v33
	v_cvt_f16_f32_sdwa v33, v36 dst_sel:WORD_1 dst_unused:UNUSED_PAD src0_sel:DWORD
	v_lshl_add_u64 v[18:19], v[0:1], 0, s[30:31]
	v_or_b32_e32 v28, v29, v28
	;;#ASMSTART
	global_atomic_pk_add_f16 v[18:19], v28, off
	
	;;#ASMEND
	v_lshl_add_u64 v[18:19], v[0:1], 0, s[34:35]
	v_or_b32_e32 v28, v33, v31
	;;#ASMSTART
	global_atomic_pk_add_f16 v[18:19], v28, off
	
	;;#ASMEND
	s_and_b64 exec, exec, s[8:9]
	s_cbranch_execz .LBB367_50
; %bb.45:                               ;   in Loop: Header=BB367_7 Depth=1
	v_cndmask_b32_e32 v2, v2, v5, vcc
	v_cndmask_b32_e64 v3, v3, v5, s[6:7]
	v_cndmask_b32_e32 v5, v6, v8, vcc
	v_cndmask_b32_e64 v6, v7, v8, s[6:7]
	v_cvt_f16_f32_e32 v3, v3
	v_cvt_f16_f32_sdwa v2, v2 dst_sel:WORD_1 dst_unused:UNUSED_PAD src0_sel:DWORD
	v_cvt_f16_f32_e32 v6, v6
	v_cvt_f16_f32_sdwa v5, v5 dst_sel:WORD_1 dst_unused:UNUSED_PAD src0_sel:DWORD
	v_cndmask_b32_e32 v7, v9, v11, vcc
	v_cndmask_b32_e64 v8, v10, v11, s[6:7]
	v_lshl_add_u64 v[0:1], s[28:29], 2, v[0:1]
	v_or_b32_e32 v2, v2, v3
	v_or_b32_e32 v5, v5, v6
	;;#ASMSTART
	global_atomic_pk_add_f16 v[0:1], v2, off
	
	;;#ASMEND
	v_lshl_add_u64 v[2:3], v[0:1], 0, 32
	;;#ASMSTART
	global_atomic_pk_add_f16 v[2:3], v5, off
	
	;;#ASMEND
	v_cvt_f16_f32_e32 v5, v8
	v_cvt_f16_f32_sdwa v6, v7 dst_sel:WORD_1 dst_unused:UNUSED_PAD src0_sel:DWORD
	v_cndmask_b32_e32 v9, v16, v24, vcc
	v_cndmask_b32_e64 v10, v17, v24, s[6:7]
	v_lshl_add_u64 v[2:3], v[0:1], 0, 64
	v_or_b32_e32 v5, v6, v5
	;;#ASMSTART
	global_atomic_pk_add_f16 v[2:3], v5, off
	
	;;#ASMEND
	scratch_load_dword v39, off, off offset:196 ; 4-byte Folded Reload
	v_cvt_f16_f32_e32 v7, v10
	v_cvt_f16_f32_sdwa v8, v9 dst_sel:WORD_1 dst_unused:UNUSED_PAD src0_sel:DWORD
	v_cndmask_b32_e64 v16, v26, v27, s[6:7]
	v_lshl_add_u64 v[2:3], v[0:1], 0, s[30:31]
	v_cvt_f16_f32_e32 v33, v16
	v_or_b32_e32 v5, v8, v7
	;;#ASMSTART
	global_atomic_pk_add_f16 v[2:3], v5, off
	
	;;#ASMEND
	scratch_load_dwordx4 v[16:19], off, off offset:112 ; 16-byte Folded Reload
	v_cndmask_b32_e32 v11, v25, v27, vcc
	scratch_load_dwordx4 v[24:27], off, off offset:96 ; 16-byte Folded Reload
	scratch_load_dwordx4 v[28:31], off, off offset:80 ; 16-byte Folded Reload
	v_mov_b32_e32 v6, v80
	v_mov_b32_e32 v7, v80
	v_pk_mul_f32 v[8:9], v[80:81], v[52:53]
	v_cmp_eq_u32_e64 s[8:9], 1, v57
	v_pk_mul_f32 v[6:7], v[6:7], v[54:55]
	v_cmp_eq_u32_e32 vcc, 2, v57
	v_cndmask_b32_e64 v10, v8, v9, s[8:9]
	v_cmp_eq_u32_e64 s[6:7], 3, v57
	v_cndmask_b32_e32 v10, v10, v6, vcc
	v_cmp_eq_u32_e64 s[10:11], 0, v57
	v_cndmask_b32_e64 v10, v10, v7, s[6:7]
	v_cvt_f16_f32_sdwa v38, v11 dst_sel:WORD_1 dst_unused:UNUSED_PAD src0_sel:DWORD
	v_lshl_add_u64 v[36:37], v[0:1], 0, s[34:35]
	v_cmp_eq_u32_e64 s[12:13], 1, v59
	v_cmp_eq_u32_e64 s[14:15], 2, v59
	;; [unrolled: 1-line block ×3, first 2 shown]
	s_waitcnt vmcnt(3)
	ds_bpermute_b32 v10, v39, v10
	s_waitcnt lgkmcnt(0)
	v_cndmask_b32_e64 v2, v7, v10, s[6:7]
	v_cndmask_b32_e32 v3, v6, v10, vcc
	v_cndmask_b32_e64 v0, v9, v10, s[8:9]
	v_cndmask_b32_e64 v1, v8, v10, s[10:11]
	v_mov_b32_e32 v6, v72
	v_mov_b32_e32 v7, v72
	s_waitcnt vmcnt(2)
	v_pk_mul_f32 v[10:11], v[72:73], v[16:17]
	v_pk_mul_f32 v[8:9], v[6:7], v[18:19]
	v_cndmask_b32_e64 v6, v10, v11, s[8:9]
	v_cndmask_b32_e32 v6, v6, v8, vcc
	v_cndmask_b32_e64 v6, v6, v9, s[6:7]
	ds_bpermute_b32 v16, v39, v6
	s_waitcnt vmcnt(0)
	v_pk_mul_f32 v[28:29], v[68:69], v[28:29]
	v_cndmask_b32_e64 v5, v1, v0, s[12:13]
	v_cndmask_b32_e64 v5, v5, v3, s[14:15]
	;; [unrolled: 1-line block ×3, first 2 shown]
	s_waitcnt lgkmcnt(0)
	v_cndmask_b32_e64 v6, v9, v16, s[6:7]
	v_cndmask_b32_e32 v7, v8, v16, vcc
	v_cndmask_b32_e64 v18, v11, v16, s[8:9]
	v_cndmask_b32_e64 v19, v10, v16, s[10:11]
	v_mov_b32_e32 v8, v74
	v_mov_b32_e32 v9, v74
	v_pk_mul_f32 v[16:17], v[74:75], v[24:25]
	v_pk_mul_f32 v[10:11], v[8:9], v[26:27]
	v_cndmask_b32_e64 v8, v16, v17, s[8:9]
	v_cndmask_b32_e32 v8, v8, v10, vcc
	v_cndmask_b32_e64 v8, v8, v11, s[6:7]
	ds_bpermute_b32 v25, v39, v8
	v_cndmask_b32_e64 v8, v19, v18, s[12:13]
	v_cndmask_b32_e64 v8, v8, v7, s[14:15]
	;; [unrolled: 1-line block ×3, first 2 shown]
	ds_bpermute_b32 v5, v39, v5
	s_waitcnt lgkmcnt(1)
	v_cndmask_b32_e64 v9, v11, v25, s[6:7]
	v_cndmask_b32_e32 v10, v10, v25, vcc
	v_cndmask_b32_e64 v24, v17, v25, s[8:9]
	v_cndmask_b32_e64 v25, v16, v25, s[10:11]
	v_mov_b32_e32 v16, v68
	v_mov_b32_e32 v17, v68
	v_pk_mul_f32 v[26:27], v[16:17], v[30:31]
	v_cndmask_b32_e64 v11, v28, v29, s[8:9]
	v_cndmask_b32_e32 v11, v11, v26, vcc
	v_cndmask_b32_e64 v11, v11, v27, s[6:7]
	ds_bpermute_b32 v30, v39, v11
	v_mov_b32_e32 v31, v64
	v_cndmask_b32_e64 v11, v25, v24, s[12:13]
	v_cndmask_b32_e64 v11, v11, v10, s[14:15]
	;; [unrolled: 1-line block ×3, first 2 shown]
	s_waitcnt lgkmcnt(0)
	v_cndmask_b32_e64 v16, v27, v30, s[6:7]
	v_cndmask_b32_e32 v17, v26, v30, vcc
	v_cndmask_b32_e64 v27, v29, v30, s[8:9]
	v_cndmask_b32_e64 v28, v28, v30, s[10:11]
	v_mov_b32_e32 v30, v64
	v_pk_mul_f32 v[22:23], v[30:31], v[22:23]
	v_pk_mul_f32 v[30:31], v[64:65], v[20:21]
	ds_bpermute_b32 v8, v39, v8
	v_cndmask_b32_e64 v20, v30, v31, s[8:9]
	v_cndmask_b32_e32 v20, v20, v22, vcc
	v_cndmask_b32_e64 v20, v20, v23, s[6:7]
	ds_bpermute_b32 v26, v39, v20
	v_cndmask_b32_e64 v20, v28, v27, s[12:13]
	v_cndmask_b32_e64 v20, v20, v17, s[14:15]
	;; [unrolled: 1-line block ×3, first 2 shown]
	ds_bpermute_b32 v11, v39, v11
	s_waitcnt lgkmcnt(1)
	v_cndmask_b32_e32 v22, v22, v26, vcc
	v_cmp_ne_u32_e32 vcc, 0, v57
	v_cndmask_b32_e64 v21, v23, v26, s[6:7]
	v_cndmask_b32_e64 v30, v30, v26, s[10:11]
	v_cndmask_b32_e32 v29, v31, v26, vcc
	v_or_b32_e32 v26, v38, v33
	;;#ASMSTART
	global_atomic_pk_add_f16 v[36:37], v26, off
	
	;;#ASMEND
	scratch_load_dword v26, off, off offset:192 ; 4-byte Folded Reload
	v_cndmask_b32_e64 v23, v30, v29, s[12:13]
	v_cndmask_b32_e64 v23, v23, v22, s[14:15]
	;; [unrolled: 1-line block ×3, first 2 shown]
	ds_bpermute_b32 v20, v39, v20
	ds_bpermute_b32 v23, v39, v23
	s_waitcnt vmcnt(0)
	v_or_b32_e32 v26, 32, v26
	v_add_u32_e32 v26, s69, v26
	v_cmp_gt_u32_e32 vcc, 64, v26
	s_and_b64 exec, exec, vcc
	s_cbranch_execz .LBB367_50
; %bb.46:                               ;   in Loop: Header=BB367_7 Depth=1
	v_cmp_eq_u32_e64 s[8:9], 1, v59
	v_cmp_eq_u32_e64 s[10:11], 0, v59
	v_cmp_eq_u32_e32 vcc, 3, v59
	v_cndmask_b32_e64 v0, v0, v5, s[8:9]
	v_cndmask_b32_e64 v1, v1, v5, s[10:11]
	v_cvt_f16_f32_e32 v31, v1
	v_cvt_f16_f32_sdwa v33, v0 dst_sel:WORD_1 dst_unused:UNUSED_PAD src0_sel:DWORD
	scratch_load_dwordx2 v[0:1], off, off offset:244 ; 8-byte Folded Reload
	s_waitcnt lgkmcnt(2)
	v_cndmask_b32_e64 v24, v24, v11, s[8:9]
	v_cndmask_b32_e64 v25, v25, v11, s[10:11]
	;; [unrolled: 1-line block ×4, first 2 shown]
	v_or_b32_e32 v31, v33, v31
	v_cvt_f16_f32_e32 v25, v25
	v_cvt_f16_f32_sdwa v24, v24 dst_sel:WORD_1 dst_unused:UNUSED_PAD src0_sel:DWORD
	v_cvt_f16_f32_sdwa v33, v18 dst_sel:WORD_1 dst_unused:UNUSED_PAD src0_sel:DWORD
	s_waitcnt lgkmcnt(1)
	v_cndmask_b32_e64 v27, v27, v20, s[8:9]
	v_cndmask_b32_e64 v28, v28, v20, s[10:11]
	v_or_b32_e32 v24, v24, v25
	s_waitcnt lgkmcnt(0)
	v_cndmask_b32_e64 v29, v29, v23, s[8:9]
	v_cndmask_b32_e64 v30, v30, v23, s[10:11]
	v_cvt_f16_f32_sdwa v25, v27 dst_sel:WORD_1 dst_unused:UNUSED_PAD src0_sel:DWORD
	v_cvt_f16_f32_e32 v27, v30
	v_cmp_eq_u32_e64 s[6:7], 2, v59
	v_cmp_gt_u32_e64 s[8:9], 62, v26
	s_waitcnt vmcnt(0)
	v_lshl_add_u64 v[0:1], v[0:1], 1, s[52:53]
	;;#ASMSTART
	global_atomic_pk_add_f16 v[0:1], v31, off
	
	;;#ASMEND
	v_cvt_f16_f32_e32 v31, v19
	v_lshl_add_u64 v[18:19], v[0:1], 0, 32
	v_or_b32_e32 v31, v33, v31
	;;#ASMSTART
	global_atomic_pk_add_f16 v[18:19], v31, off
	
	;;#ASMEND
	v_lshl_add_u64 v[18:19], v[0:1], 0, 64
	;;#ASMSTART
	global_atomic_pk_add_f16 v[18:19], v24, off
	
	;;#ASMEND
	v_cvt_f16_f32_e32 v24, v28
	v_cvt_f16_f32_sdwa v28, v29 dst_sel:WORD_1 dst_unused:UNUSED_PAD src0_sel:DWORD
	v_lshl_add_u64 v[18:19], v[0:1], 0, s[30:31]
	v_or_b32_e32 v24, v25, v24
	;;#ASMSTART
	global_atomic_pk_add_f16 v[18:19], v24, off
	
	;;#ASMEND
	v_lshl_add_u64 v[18:19], v[0:1], 0, s[34:35]
	v_or_b32_e32 v24, v28, v27
	;;#ASMSTART
	global_atomic_pk_add_f16 v[18:19], v24, off
	
	;;#ASMEND
	s_and_b64 exec, exec, s[8:9]
	s_cbranch_execz .LBB367_50
; %bb.47:                               ;   in Loop: Header=BB367_7 Depth=1
	v_cndmask_b32_e32 v2, v2, v5, vcc
	v_cndmask_b32_e64 v3, v3, v5, s[6:7]
	v_cndmask_b32_e32 v5, v6, v8, vcc
	v_cndmask_b32_e64 v6, v7, v8, s[6:7]
	v_cvt_f16_f32_e32 v3, v3
	v_cvt_f16_f32_sdwa v2, v2 dst_sel:WORD_1 dst_unused:UNUSED_PAD src0_sel:DWORD
	v_cvt_f16_f32_e32 v6, v6
	v_cvt_f16_f32_sdwa v5, v5 dst_sel:WORD_1 dst_unused:UNUSED_PAD src0_sel:DWORD
	v_cndmask_b32_e32 v7, v9, v11, vcc
	v_cndmask_b32_e64 v8, v10, v11, s[6:7]
	v_lshl_add_u64 v[0:1], s[28:29], 2, v[0:1]
	v_or_b32_e32 v2, v2, v3
	v_or_b32_e32 v5, v5, v6
	;;#ASMSTART
	global_atomic_pk_add_f16 v[0:1], v2, off
	
	;;#ASMEND
	v_lshl_add_u64 v[2:3], v[0:1], 0, 32
	;;#ASMSTART
	global_atomic_pk_add_f16 v[2:3], v5, off
	
	;;#ASMEND
	v_cvt_f16_f32_e32 v5, v8
	v_cvt_f16_f32_sdwa v6, v7 dst_sel:WORD_1 dst_unused:UNUSED_PAD src0_sel:DWORD
	v_cndmask_b32_e32 v9, v16, v20, vcc
	v_cndmask_b32_e64 v10, v17, v20, s[6:7]
	v_lshl_add_u64 v[2:3], v[0:1], 0, 64
	v_or_b32_e32 v5, v6, v5
	;;#ASMSTART
	global_atomic_pk_add_f16 v[2:3], v5, off
	
	;;#ASMEND
	scratch_load_dword v37, off, off offset:196 ; 4-byte Folded Reload
	v_cvt_f16_f32_e32 v7, v10
	v_cvt_f16_f32_sdwa v8, v9 dst_sel:WORD_1 dst_unused:UNUSED_PAD src0_sel:DWORD
	v_cndmask_b32_e64 v16, v22, v23, s[6:7]
	v_lshl_add_u64 v[2:3], v[0:1], 0, s[30:31]
	v_cvt_f16_f32_e32 v33, v16
	v_or_b32_e32 v5, v8, v7
	;;#ASMSTART
	global_atomic_pk_add_f16 v[2:3], v5, off
	
	;;#ASMEND
	scratch_load_dwordx4 v[16:19], off, off offset:160 ; 16-byte Folded Reload
	v_cndmask_b32_e32 v11, v21, v23, vcc
	scratch_load_dwordx4 v[20:23], off, off offset:144 ; 16-byte Folded Reload
	scratch_load_dwordx4 v[24:27], off, off offset:128 ; 16-byte Folded Reload
	v_mov_b32_e32 v6, v80
	v_mov_b32_e32 v7, v80
	v_pk_mul_f32 v[8:9], v[80:81], v[48:49]
	v_cmp_eq_u32_e64 s[8:9], 1, v57
	v_pk_mul_f32 v[6:7], v[6:7], v[50:51]
	v_cmp_eq_u32_e32 vcc, 2, v57
	v_cndmask_b32_e64 v10, v8, v9, s[8:9]
	v_cmp_eq_u32_e64 s[6:7], 3, v57
	v_cndmask_b32_e32 v10, v10, v6, vcc
	v_cmp_eq_u32_e64 s[10:11], 0, v57
	v_cndmask_b32_e64 v10, v10, v7, s[6:7]
	v_cvt_f16_f32_sdwa v36, v11 dst_sel:WORD_1 dst_unused:UNUSED_PAD src0_sel:DWORD
	v_lshl_add_u64 v[28:29], v[0:1], 0, s[34:35]
	v_pk_mul_f32 v[30:31], v[64:65], v[12:13]
	v_cmp_eq_u32_e64 s[12:13], 1, v59
	v_cndmask_b32_e64 v12, v30, v31, s[8:9]
	v_cmp_eq_u32_e64 s[14:15], 2, v59
	v_cmp_eq_u32_e64 s[16:17], 3, v59
	s_waitcnt vmcnt(3)
	ds_bpermute_b32 v10, v37, v10
	s_waitcnt lgkmcnt(0)
	v_cndmask_b32_e64 v2, v7, v10, s[6:7]
	v_cndmask_b32_e32 v3, v6, v10, vcc
	v_cndmask_b32_e64 v0, v9, v10, s[8:9]
	v_cndmask_b32_e64 v1, v8, v10, s[10:11]
	v_mov_b32_e32 v6, v72
	v_mov_b32_e32 v7, v72
	s_waitcnt vmcnt(2)
	v_pk_mul_f32 v[10:11], v[72:73], v[16:17]
	v_pk_mul_f32 v[8:9], v[6:7], v[18:19]
	v_cndmask_b32_e64 v6, v10, v11, s[8:9]
	v_cndmask_b32_e32 v6, v6, v8, vcc
	v_cndmask_b32_e64 v6, v6, v9, s[6:7]
	ds_bpermute_b32 v16, v37, v6
	s_waitcnt vmcnt(0)
	v_pk_mul_f32 v[24:25], v[68:69], v[24:25]
	v_cndmask_b32_e64 v5, v1, v0, s[12:13]
	v_cndmask_b32_e64 v5, v5, v3, s[14:15]
	;; [unrolled: 1-line block ×3, first 2 shown]
	s_waitcnt lgkmcnt(0)
	v_cndmask_b32_e64 v6, v9, v16, s[6:7]
	v_cndmask_b32_e32 v7, v8, v16, vcc
	v_cndmask_b32_e64 v18, v11, v16, s[8:9]
	v_cndmask_b32_e64 v19, v10, v16, s[10:11]
	v_mov_b32_e32 v8, v74
	v_mov_b32_e32 v9, v74
	v_pk_mul_f32 v[16:17], v[74:75], v[20:21]
	v_pk_mul_f32 v[10:11], v[8:9], v[22:23]
	v_cndmask_b32_e64 v8, v16, v17, s[8:9]
	v_cndmask_b32_e32 v8, v8, v10, vcc
	v_cndmask_b32_e64 v8, v8, v11, s[6:7]
	ds_bpermute_b32 v21, v37, v8
	v_cndmask_b32_e64 v8, v19, v18, s[12:13]
	v_cndmask_b32_e64 v8, v8, v7, s[14:15]
	;; [unrolled: 1-line block ×3, first 2 shown]
	ds_bpermute_b32 v5, v37, v5
	s_waitcnt lgkmcnt(1)
	v_cndmask_b32_e64 v9, v11, v21, s[6:7]
	v_cndmask_b32_e32 v10, v10, v21, vcc
	v_cndmask_b32_e64 v20, v17, v21, s[8:9]
	v_cndmask_b32_e64 v21, v16, v21, s[10:11]
	v_mov_b32_e32 v16, v68
	v_mov_b32_e32 v17, v68
	v_pk_mul_f32 v[22:23], v[16:17], v[26:27]
	v_cndmask_b32_e64 v11, v24, v25, s[8:9]
	v_cndmask_b32_e32 v11, v11, v22, vcc
	v_cndmask_b32_e64 v11, v11, v23, s[6:7]
	ds_bpermute_b32 v26, v37, v11
	v_mov_b32_e32 v27, v64
	v_cndmask_b32_e64 v11, v21, v20, s[12:13]
	v_cndmask_b32_e64 v11, v11, v10, s[14:15]
	;; [unrolled: 1-line block ×3, first 2 shown]
	s_waitcnt lgkmcnt(0)
	v_cndmask_b32_e32 v17, v22, v26, vcc
	v_or_b32_e32 v22, v36, v33
	;;#ASMSTART
	global_atomic_pk_add_f16 v[28:29], v22, off
	
	;;#ASMEND
	scratch_load_dword v22, off, off offset:192 ; 4-byte Folded Reload
	v_cndmask_b32_e64 v16, v23, v26, s[6:7]
	v_cndmask_b32_e64 v23, v25, v26, s[8:9]
	;; [unrolled: 1-line block ×3, first 2 shown]
	v_mov_b32_e32 v26, v64
	v_pk_mul_f32 v[26:27], v[26:27], v[14:15]
	ds_bpermute_b32 v8, v37, v8
	v_cndmask_b32_e32 v12, v12, v26, vcc
	v_cndmask_b32_e64 v12, v12, v27, s[6:7]
	ds_bpermute_b32 v15, v37, v12
	v_cndmask_b32_e64 v12, v24, v23, s[12:13]
	v_cndmask_b32_e64 v12, v12, v17, s[14:15]
	;; [unrolled: 1-line block ×3, first 2 shown]
	ds_bpermute_b32 v14, v37, v12
	s_waitcnt lgkmcnt(1)
	v_cndmask_b32_e32 v13, v26, v15, vcc
	v_cmp_ne_u32_e32 vcc, 0, v57
	v_cndmask_b32_e64 v26, v30, v15, s[10:11]
	v_cndmask_b32_e64 v12, v27, v15, s[6:7]
	v_cndmask_b32_e32 v25, v31, v15, vcc
	v_cndmask_b32_e64 v15, v26, v25, s[12:13]
	v_cndmask_b32_e64 v15, v15, v13, s[14:15]
	;; [unrolled: 1-line block ×3, first 2 shown]
	ds_bpermute_b32 v11, v37, v11
	ds_bpermute_b32 v15, v37, v15
	s_waitcnt vmcnt(0)
	v_or_b32_e32 v22, 48, v22
	v_add_u32_e32 v22, s69, v22
	v_cmp_gt_u32_e32 vcc, 64, v22
	s_and_b64 exec, exec, vcc
	s_cbranch_execz .LBB367_50
; %bb.48:                               ;   in Loop: Header=BB367_7 Depth=1
	v_cmp_eq_u32_e64 s[8:9], 1, v59
	v_cmp_eq_u32_e64 s[10:11], 0, v59
	v_cmp_eq_u32_e32 vcc, 3, v59
	v_cndmask_b32_e64 v0, v0, v5, s[8:9]
	v_cndmask_b32_e64 v1, v1, v5, s[10:11]
	v_cvt_f16_f32_e32 v27, v1
	v_cvt_f16_f32_sdwa v28, v0 dst_sel:WORD_1 dst_unused:UNUSED_PAD src0_sel:DWORD
	scratch_load_dwordx2 v[0:1], off, off offset:252 ; 8-byte Folded Reload
	s_waitcnt lgkmcnt(1)
	v_cndmask_b32_e64 v20, v20, v11, s[8:9]
	v_cndmask_b32_e64 v21, v21, v11, s[10:11]
	;; [unrolled: 1-line block ×4, first 2 shown]
	v_or_b32_e32 v27, v28, v27
	v_cvt_f16_f32_e32 v21, v21
	v_cvt_f16_f32_sdwa v20, v20 dst_sel:WORD_1 dst_unused:UNUSED_PAD src0_sel:DWORD
	v_cvt_f16_f32_sdwa v28, v18 dst_sel:WORD_1 dst_unused:UNUSED_PAD src0_sel:DWORD
	v_cndmask_b32_e64 v23, v23, v14, s[8:9]
	v_cndmask_b32_e64 v24, v24, v14, s[10:11]
	v_or_b32_e32 v20, v20, v21
	s_waitcnt lgkmcnt(0)
	v_cndmask_b32_e64 v25, v25, v15, s[8:9]
	v_cndmask_b32_e64 v26, v26, v15, s[10:11]
	v_cvt_f16_f32_sdwa v21, v23 dst_sel:WORD_1 dst_unused:UNUSED_PAD src0_sel:DWORD
	v_cvt_f16_f32_e32 v23, v26
	v_cmp_eq_u32_e64 s[6:7], 2, v59
	v_cmp_gt_u32_e64 s[8:9], 62, v22
	s_waitcnt vmcnt(0)
	v_lshl_add_u64 v[0:1], v[0:1], 1, s[52:53]
	;;#ASMSTART
	global_atomic_pk_add_f16 v[0:1], v27, off
	
	;;#ASMEND
	v_cvt_f16_f32_e32 v27, v19
	v_lshl_add_u64 v[18:19], v[0:1], 0, 32
	v_or_b32_e32 v27, v28, v27
	;;#ASMSTART
	global_atomic_pk_add_f16 v[18:19], v27, off
	
	;;#ASMEND
	v_lshl_add_u64 v[18:19], v[0:1], 0, 64
	;;#ASMSTART
	global_atomic_pk_add_f16 v[18:19], v20, off
	
	;;#ASMEND
	v_cvt_f16_f32_e32 v20, v24
	v_cvt_f16_f32_sdwa v24, v25 dst_sel:WORD_1 dst_unused:UNUSED_PAD src0_sel:DWORD
	v_lshl_add_u64 v[18:19], v[0:1], 0, s[30:31]
	v_or_b32_e32 v20, v21, v20
	;;#ASMSTART
	global_atomic_pk_add_f16 v[18:19], v20, off
	
	;;#ASMEND
	v_lshl_add_u64 v[18:19], v[0:1], 0, s[34:35]
	v_or_b32_e32 v20, v24, v23
	;;#ASMSTART
	global_atomic_pk_add_f16 v[18:19], v20, off
	
	;;#ASMEND
	s_and_b64 exec, exec, s[8:9]
	s_cbranch_execz .LBB367_50
; %bb.49:                               ;   in Loop: Header=BB367_7 Depth=1
	v_cndmask_b32_e32 v2, v2, v5, vcc
	v_cndmask_b32_e64 v3, v3, v5, s[6:7]
	v_cndmask_b32_e32 v5, v6, v8, vcc
	v_cndmask_b32_e64 v6, v7, v8, s[6:7]
	;; [unrolled: 2-line block ×3, first 2 shown]
	v_cvt_f16_f32_e32 v3, v3
	v_cvt_f16_f32_sdwa v2, v2 dst_sel:WORD_1 dst_unused:UNUSED_PAD src0_sel:DWORD
	v_cvt_f16_f32_e32 v6, v6
	v_cvt_f16_f32_sdwa v5, v5 dst_sel:WORD_1 dst_unused:UNUSED_PAD src0_sel:DWORD
	;; [unrolled: 2-line block ×3, first 2 shown]
	v_lshl_add_u64 v[0:1], s[28:29], 2, v[0:1]
	v_or_b32_e32 v2, v2, v3
	v_or_b32_e32 v5, v5, v6
	v_cndmask_b32_e32 v9, v16, v14, vcc
	v_cndmask_b32_e64 v10, v17, v14, s[6:7]
	v_cndmask_b32_e32 v11, v12, v15, vcc
	v_cndmask_b32_e64 v12, v13, v15, s[6:7]
	;;#ASMSTART
	global_atomic_pk_add_f16 v[0:1], v2, off
	
	;;#ASMEND
	v_lshl_add_u64 v[2:3], v[0:1], 0, 32
	;;#ASMSTART
	global_atomic_pk_add_f16 v[2:3], v5, off
	
	;;#ASMEND
	v_or_b32_e32 v5, v7, v8
	v_lshl_add_u64 v[2:3], v[0:1], 0, 64
	;;#ASMSTART
	global_atomic_pk_add_f16 v[2:3], v5, off
	
	;;#ASMEND
	v_cvt_f16_f32_e32 v5, v10
	v_cvt_f16_f32_sdwa v6, v9 dst_sel:WORD_1 dst_unused:UNUSED_PAD src0_sel:DWORD
	v_cvt_f16_f32_e32 v7, v12
	v_cvt_f16_f32_sdwa v8, v11 dst_sel:WORD_1 dst_unused:UNUSED_PAD src0_sel:DWORD
	v_lshl_add_u64 v[2:3], v[0:1], 0, s[30:31]
	v_or_b32_e32 v5, v6, v5
	;;#ASMSTART
	global_atomic_pk_add_f16 v[2:3], v5, off
	
	;;#ASMEND
	v_lshl_add_u64 v[0:1], v[0:1], 0, s[34:35]
	v_or_b32_e32 v2, v8, v7
	;;#ASMSTART
	global_atomic_pk_add_f16 v[0:1], v2, off
	
	;;#ASMEND
.LBB367_50:                             ;   in Loop: Header=BB367_7 Depth=1
	s_or_b64 exec, exec, s[18:19]
	scratch_load_dword v22, off, off offset:200 ; 4-byte Folded Reload
	s_waitcnt lgkmcnt(1)
	scratch_load_dwordx2 v[24:25], off, off offset:204 ; 8-byte Folded Reload
	s_waitcnt lgkmcnt(0)
	scratch_load_dword v23, off, off offset:212 ; 4-byte Folded Reload
	v_subrev_u32_e32 v35, s70, v35
.LBB367_51:                             ;   in Loop: Header=BB367_7 Depth=1
	s_or_b64 exec, exec, s[50:51]
.LBB367_52:                             ;   in Loop: Header=BB367_7 Depth=1
	s_andn2_saveexec_b64 s[6:7], s[48:49]
	s_cbranch_execz .LBB367_61
; %bb.53:                               ;   in Loop: Header=BB367_7 Depth=1
	s_mul_i32 s16, s70, 5
	v_cmp_gt_i32_e32 vcc, s16, v35
	s_and_saveexec_b64 s[8:9], vcc
	s_cbranch_execz .LBB367_60
; %bb.54:                               ;   in Loop: Header=BB367_7 Depth=1
	scratch_load_dwordx2 v[0:1], off, off offset:216 ; 8-byte Folded Reload
	s_mul_i32 s10, s46, s23
	s_ashr_i32 s11, s10, 31
	s_waitcnt lgkmcnt(0)
	s_add_u32 s10, s38, s10
	s_addc_u32 s11, s39, s11
	s_ashr_i32 s12, s68, 31
	s_add_u32 s10, s10, s68
	s_addc_u32 s11, s11, s12
	s_waitcnt vmcnt(0)
	v_lshl_add_u64 v[0:1], s[10:11], 0, v[0:1]
	v_lshl_add_u64 v[16:17], v[0:1], 0, v[24:25]
	s_mov_b64 s[10:11], 0
	s_branch .LBB367_56
.LBB367_55:                             ;   in Loop: Header=BB367_56 Depth=2
	s_or_b64 exec, exec, s[12:13]
	v_lshl_or_b32 v20, v18, 12, v34
	;;#ASMSTART
	s_waitcnt vmcnt(3)
	;;#ASMEND
	ds_write2_b32 v20, v12, v13 offset1:32
	ds_write2_b32 v20, v14, v15 offset0:64 offset1:96
	v_add_u32_e32 v12, 0x400, v20
	;;#ASMSTART
	s_waitcnt vmcnt(2)
	;;#ASMEND
	ds_write2_b32 v12, v8, v9 offset1:32
	ds_write2_b32 v12, v10, v11 offset0:64 offset1:96
	v_add_u32_e32 v8, 0x800, v20
	;;#ASMSTART
	s_waitcnt vmcnt(1)
	;;#ASMEND
	ds_write2_b32 v8, v4, v5 offset1:32
	ds_write2_b32 v8, v6, v7 offset0:64 offset1:96
	v_add_u32_e32 v4, 0xc00, v20
	v_add_u32_e32 v35, s26, v35
	;;#ASMSTART
	s_waitcnt vmcnt(0)
	;;#ASMEND
	ds_write2_b32 v4, v0, v1 offset1:32
	ds_write2_b32 v4, v2, v3 offset0:64 offset1:96
	v_add_u32_e32 v0, 1, v32
	v_add_u32_e32 v4, s26, v18
	v_cmp_le_i32_e32 vcc, s16, v35
	ds_write_b32 v19, v0 offset:16
	v_add_u32_e32 v0, 2, v32
	s_or_b64 s[10:11], vcc, s[10:11]
	v_cmp_lt_i32_e32 vcc, 4, v4
	s_nop 1
	v_cndmask_b32_e32 v32, v32, v0, vcc
	s_andn2_b64 exec, exec, s[10:11]
	s_cbranch_execz .LBB367_59
.LBB367_56:                             ;   Parent Loop BB367_7 Depth=1
                                        ; =>  This Loop Header: Depth=2
                                        ;       Child Loop BB367_58 Depth 3
	v_cmp_gt_i32_e32 vcc, 5, v4
	s_nop 1
	v_cndmask_b32_e64 v0, -5, 0, vcc
	v_add_u32_e32 v18, v0, v4
	v_mul_hi_i32 v0, v35, s56
	v_lshrrev_b32_e32 v1, 31, v0
	v_ashrrev_i32_e32 v0, 1, v0
	v_add_u32_e32 v0, v0, v1
	v_lshl_add_u32 v1, v0, 2, v0
	v_sub_u32_e32 v2, v35, v1
	v_lshlrev_b32_e32 v0, 8, v0
	v_ashrrev_i32_e32 v1, 31, v0
	v_mul_lo_u32 v2, s61, v2
	v_lshl_add_u64 v[0:1], v[16:17], 0, v[0:1]
	v_ashrrev_i32_e32 v3, 31, v2
	v_lshl_add_u64 v[0:1], v[0:1], 0, v[2:3]
	v_lshlrev_b32_e32 v19, 2, v18
	;;#ASMSTART
	global_load_dwordx4 v[12:15], v[0:1], off offset:0    sc0 sc1 nt  
	global_load_dwordx4 v[8:11], v[0:1], off offset:64   sc0 sc1 nt  
	global_load_dwordx4 v[4:7], v[0:1], off offset:128  sc0 sc1 nt  
	global_load_dwordx4 v[0:3], v[0:1], off offset:192  sc0 sc1 nt  
	
	;;#ASMEND
	ds_read_b32 v20, v19 offset:36880
	v_add_u32_e32 v19, 0x9000, v19
	s_waitcnt lgkmcnt(0)
	v_cmp_ne_u32_e32 vcc, v20, v32
	s_and_saveexec_b64 s[12:13], vcc
	s_cbranch_execz .LBB367_55
; %bb.57:                               ;   in Loop: Header=BB367_56 Depth=2
	s_mov_b64 s[14:15], 0
.LBB367_58:                             ;   Parent Loop BB367_7 Depth=1
                                        ;     Parent Loop BB367_56 Depth=2
                                        ; =>    This Inner Loop Header: Depth=3
	;;#ASMSTART
	s_sleep 0
	;;#ASMEND
	ds_read_b32 v20, v19 offset:16
	s_waitcnt lgkmcnt(0)
	v_cmp_eq_u32_e32 vcc, v20, v32
	s_or_b64 s[14:15], vcc, s[14:15]
	s_andn2_b64 exec, exec, s[14:15]
	s_cbranch_execnz .LBB367_58
	s_branch .LBB367_55
.LBB367_59:                             ;   in Loop: Header=BB367_7 Depth=1
	s_or_b64 exec, exec, s[10:11]
.LBB367_60:                             ;   in Loop: Header=BB367_7 Depth=1
	s_or_b64 exec, exec, s[8:9]
	v_subrev_u32_e32 v35, s16, v35
.LBB367_61:                             ;   in Loop: Header=BB367_7 Depth=1
	s_or_b64 exec, exec, s[6:7]
.LBB367_62:                             ;   in Loop: Header=BB367_7 Depth=1
	s_andn2_saveexec_b64 s[6:7], s[44:45]
	s_cbranch_execz .LBB367_6
; %bb.63:                               ;   in Loop: Header=BB367_7 Depth=1
	s_lshl_b32 s16, s70, 2
	v_cmp_gt_i32_e32 vcc, s16, v35
	s_and_saveexec_b64 s[8:9], vcc
	s_cbranch_execz .LBB367_5
; %bb.64:                               ;   in Loop: Header=BB367_7 Depth=1
	s_mul_i32 s67, s67, s22
	s_ashr_i32 s10, s67, 31
	s_waitcnt lgkmcnt(0)
	s_add_u32 s11, s36, s67
	s_waitcnt vmcnt(0)
	v_add_u32_e32 v2, s69, v23
	s_addc_u32 s12, s37, s10
	s_ashr_i32 s13, s68, 31
	v_mul_lo_u32 v0, s22, v23
	v_cmp_gt_u32_e32 vcc, 64, v2
	s_add_u32 s10, s11, s68
	s_addc_u32 s11, s12, s13
	v_cndmask_b32_e32 v0, 0, v0, vcc
	v_ashrrev_i32_e32 v1, 31, v0
	v_lshl_add_u64 v[0:1], s[10:11], 0, v[0:1]
	v_lshl_add_u64 v[16:17], v[0:1], 0, v[24:25]
	v_sub_u32_e32 v18, 63, v2
	s_mov_b64 s[10:11], 0
	s_branch .LBB367_66
.LBB367_65:                             ;   in Loop: Header=BB367_66 Depth=2
	s_or_b64 exec, exec, s[12:13]
	v_or_b32_e32 v21, 0x5000, v34
	v_lshl_add_u32 v21, v19, 12, v21
	;;#ASMSTART
	s_waitcnt vmcnt(3)
	;;#ASMEND
	ds_write2_b32 v21, v12, v13 offset1:32
	ds_write2_b32 v21, v14, v15 offset0:64 offset1:96
	v_add_u32_e32 v12, 0x400, v21
	;;#ASMSTART
	s_waitcnt vmcnt(2)
	;;#ASMEND
	ds_write2_b32 v12, v8, v9 offset1:32
	ds_write2_b32 v12, v10, v11 offset0:64 offset1:96
	v_add_u32_e32 v8, 0x800, v21
	;; [unrolled: 6-line block ×3, first 2 shown]
	v_add_u32_e32 v35, s25, v35
	;;#ASMSTART
	s_waitcnt vmcnt(0)
	;;#ASMEND
	ds_write2_b32 v4, v0, v1 offset1:32
	ds_write2_b32 v4, v2, v3 offset0:64 offset1:96
	v_add_u32_e32 v0, 1, v32
	v_add_u32_e32 v4, s25, v19
	v_cmp_le_i32_e32 vcc, s16, v35
	ds_write_b32 v20, v0
	v_add_u32_e32 v0, 2, v32
	s_or_b64 s[10:11], vcc, s[10:11]
	v_cmp_lt_i32_e32 vcc, 3, v4
	s_nop 1
	v_cndmask_b32_e32 v32, v32, v0, vcc
	s_andn2_b64 exec, exec, s[10:11]
	s_cbranch_execz .LBB367_4
.LBB367_66:                             ;   Parent Loop BB367_7 Depth=1
                                        ; =>  This Loop Header: Depth=2
                                        ;       Child Loop BB367_68 Depth 3
	v_cmp_gt_i32_e32 vcc, 4, v4
	s_nop 1
	v_cndmask_b32_e64 v0, -4, 0, vcc
	v_add_u32_e32 v19, v0, v4
	v_ashrrev_i32_e32 v0, 31, v35
	v_lshrrev_b32_e32 v0, 30, v0
	v_add_u32_e32 v0, v35, v0
	v_and_b32_e32 v1, 0xffffffc, v0
	v_sub_u32_e32 v1, v35, v1
	v_lshlrev_b32_e32 v1, 4, v1
	v_cmp_le_i32_e32 vcc, v1, v18
	v_lshlrev_b32_e32 v0, 6, v0
	v_and_b32_e32 v0, 0xffffff00, v0
	v_cndmask_b32_e32 v2, 0, v1, vcc
	v_ashrrev_i32_e32 v1, 31, v0
	v_mul_lo_u32 v2, v2, s22
	v_lshl_add_u64 v[0:1], v[16:17], 0, v[0:1]
	v_ashrrev_i32_e32 v3, 31, v2
	v_lshl_add_u64 v[0:1], v[0:1], 0, v[2:3]
	v_lshlrev_b32_e32 v20, 2, v19
	;;#ASMSTART
	global_load_dwordx4 v[12:15], v[0:1], off offset:0    
	global_load_dwordx4 v[8:11], v[0:1], off offset:64   
	;; [unrolled: 1-line block ×4, first 2 shown]
	
	;;#ASMEND
	ds_read_b32 v21, v20 offset:36864
	v_add_u32_e32 v20, 0x9000, v20
	s_waitcnt lgkmcnt(0)
	v_cmp_ne_u32_e32 vcc, v21, v32
	s_and_saveexec_b64 s[12:13], vcc
	s_cbranch_execz .LBB367_65
; %bb.67:                               ;   in Loop: Header=BB367_66 Depth=2
	s_mov_b64 s[14:15], 0
.LBB367_68:                             ;   Parent Loop BB367_7 Depth=1
                                        ;     Parent Loop BB367_66 Depth=2
                                        ; =>    This Inner Loop Header: Depth=3
	;;#ASMSTART
	s_sleep 0
	;;#ASMEND
	ds_read_b32 v21, v20
	s_waitcnt lgkmcnt(0)
	v_cmp_eq_u32_e32 vcc, v21, v32
	s_or_b64 s[14:15], vcc, s[14:15]
	s_andn2_b64 exec, exec, s[14:15]
	s_cbranch_execnz .LBB367_68
	s_branch .LBB367_65
.LBB367_69:
	s_endpgm
	.section	.rodata,"a",@progbits
	.p2align	6, 0x0
	.amdhsa_kernel _Z19_skinny_gemm_kernelILi4ELi5ELi1ELi16ELi8EEvPKhS1_P6__halfPKfiiiiiiii
		.amdhsa_group_segment_fixed_size 36900
		.amdhsa_private_segment_fixed_size 264
		.amdhsa_kernarg_size 64
		.amdhsa_user_sgpr_count 2
		.amdhsa_user_sgpr_dispatch_ptr 0
		.amdhsa_user_sgpr_queue_ptr 0
		.amdhsa_user_sgpr_kernarg_segment_ptr 1
		.amdhsa_user_sgpr_dispatch_id 0
		.amdhsa_user_sgpr_kernarg_preload_length 0
		.amdhsa_user_sgpr_kernarg_preload_offset 0
		.amdhsa_user_sgpr_private_segment_size 0
		.amdhsa_uses_dynamic_stack 0
		.amdhsa_enable_private_segment 1
		.amdhsa_system_sgpr_workgroup_id_x 1
		.amdhsa_system_sgpr_workgroup_id_y 0
		.amdhsa_system_sgpr_workgroup_id_z 0
		.amdhsa_system_sgpr_workgroup_info 0
		.amdhsa_system_vgpr_workitem_id 0
		.amdhsa_next_free_vgpr 128
		.amdhsa_next_free_sgpr 71
		.amdhsa_accum_offset 128
		.amdhsa_reserve_vcc 1
		.amdhsa_float_round_mode_32 0
		.amdhsa_float_round_mode_16_64 0
		.amdhsa_float_denorm_mode_32 3
		.amdhsa_float_denorm_mode_16_64 3
		.amdhsa_dx10_clamp 1
		.amdhsa_ieee_mode 1
		.amdhsa_fp16_overflow 0
		.amdhsa_tg_split 0
		.amdhsa_exception_fp_ieee_invalid_op 0
		.amdhsa_exception_fp_denorm_src 0
		.amdhsa_exception_fp_ieee_div_zero 0
		.amdhsa_exception_fp_ieee_overflow 0
		.amdhsa_exception_fp_ieee_underflow 0
		.amdhsa_exception_fp_ieee_inexact 0
		.amdhsa_exception_int_div_zero 0
	.end_amdhsa_kernel
	.section	.text._Z19_skinny_gemm_kernelILi4ELi5ELi1ELi16ELi8EEvPKhS1_P6__halfPKfiiiiiiii,"axG",@progbits,_Z19_skinny_gemm_kernelILi4ELi5ELi1ELi16ELi8EEvPKhS1_P6__halfPKfiiiiiiii,comdat
.Lfunc_end367:
	.size	_Z19_skinny_gemm_kernelILi4ELi5ELi1ELi16ELi8EEvPKhS1_P6__halfPKfiiiiiiii, .Lfunc_end367-_Z19_skinny_gemm_kernelILi4ELi5ELi1ELi16ELi8EEvPKhS1_P6__halfPKfiiiiiiii
                                        ; -- End function
	.set _Z19_skinny_gemm_kernelILi4ELi5ELi1ELi16ELi8EEvPKhS1_P6__halfPKfiiiiiiii.num_vgpr, 128
	.set _Z19_skinny_gemm_kernelILi4ELi5ELi1ELi16ELi8EEvPKhS1_P6__halfPKfiiiiiiii.num_agpr, 0
	.set _Z19_skinny_gemm_kernelILi4ELi5ELi1ELi16ELi8EEvPKhS1_P6__halfPKfiiiiiiii.numbered_sgpr, 71
	.set _Z19_skinny_gemm_kernelILi4ELi5ELi1ELi16ELi8EEvPKhS1_P6__halfPKfiiiiiiii.num_named_barrier, 0
	.set _Z19_skinny_gemm_kernelILi4ELi5ELi1ELi16ELi8EEvPKhS1_P6__halfPKfiiiiiiii.private_seg_size, 264
	.set _Z19_skinny_gemm_kernelILi4ELi5ELi1ELi16ELi8EEvPKhS1_P6__halfPKfiiiiiiii.uses_vcc, 1
	.set _Z19_skinny_gemm_kernelILi4ELi5ELi1ELi16ELi8EEvPKhS1_P6__halfPKfiiiiiiii.uses_flat_scratch, 0
	.set _Z19_skinny_gemm_kernelILi4ELi5ELi1ELi16ELi8EEvPKhS1_P6__halfPKfiiiiiiii.has_dyn_sized_stack, 0
	.set _Z19_skinny_gemm_kernelILi4ELi5ELi1ELi16ELi8EEvPKhS1_P6__halfPKfiiiiiiii.has_recursion, 0
	.set _Z19_skinny_gemm_kernelILi4ELi5ELi1ELi16ELi8EEvPKhS1_P6__halfPKfiiiiiiii.has_indirect_call, 0
	.section	.AMDGPU.csdata,"",@progbits
; Kernel info:
; codeLenInByte = 11832
; TotalNumSgprs: 77
; NumVgprs: 128
; NumAgprs: 0
; TotalNumVgprs: 128
; ScratchSize: 264
; MemoryBound: 0
; FloatMode: 240
; IeeeMode: 1
; LDSByteSize: 36900 bytes/workgroup (compile time only)
; SGPRBlocks: 9
; VGPRBlocks: 15
; NumSGPRsForWavesPerEU: 77
; NumVGPRsForWavesPerEU: 128
; AccumOffset: 128
; Occupancy: 4
; WaveLimiterHint : 0
; COMPUTE_PGM_RSRC2:SCRATCH_EN: 1
; COMPUTE_PGM_RSRC2:USER_SGPR: 2
; COMPUTE_PGM_RSRC2:TRAP_HANDLER: 0
; COMPUTE_PGM_RSRC2:TGID_X_EN: 1
; COMPUTE_PGM_RSRC2:TGID_Y_EN: 0
; COMPUTE_PGM_RSRC2:TGID_Z_EN: 0
; COMPUTE_PGM_RSRC2:TIDIG_COMP_CNT: 0
; COMPUTE_PGM_RSRC3_GFX90A:ACCUM_OFFSET: 31
; COMPUTE_PGM_RSRC3_GFX90A:TG_SPLIT: 0
	.section	.text._Z19_skinny_gemm_kernelILi4ELi5ELi1ELi32ELi4EEvPKhS1_P6__halfPKfiiiiiiii,"axG",@progbits,_Z19_skinny_gemm_kernelILi4ELi5ELi1ELi32ELi4EEvPKhS1_P6__halfPKfiiiiiiii,comdat
	.protected	_Z19_skinny_gemm_kernelILi4ELi5ELi1ELi32ELi4EEvPKhS1_P6__halfPKfiiiiiiii ; -- Begin function _Z19_skinny_gemm_kernelILi4ELi5ELi1ELi32ELi4EEvPKhS1_P6__halfPKfiiiiiiii
	.globl	_Z19_skinny_gemm_kernelILi4ELi5ELi1ELi32ELi4EEvPKhS1_P6__halfPKfiiiiiiii
	.p2align	8
	.type	_Z19_skinny_gemm_kernelILi4ELi5ELi1ELi32ELi4EEvPKhS1_P6__halfPKfiiiiiiii,@function
_Z19_skinny_gemm_kernelILi4ELi5ELi1ELi32ELi4EEvPKhS1_P6__halfPKfiiiiiiii: ; @_Z19_skinny_gemm_kernelILi4ELi5ELi1ELi32ELi4EEvPKhS1_P6__halfPKfiiiiiiii
; %bb.0:
	v_cmp_gt_u32_e32 vcc, 9, v0
	s_and_saveexec_b64 s[4:5], vcc
; %bb.1:
	v_lshlrev_b32_e32 v1, 2, v0
	v_mov_b32_e32 v2, 0
	ds_write_b32 v1, v2 offset:18432
; %bb.2:
	s_or_b64 exec, exec, s[4:5]
	s_load_dwordx8 s[24:31], s[0:1], 0x20
	s_waitcnt lgkmcnt(0)
	s_barrier
	s_add_i32 s3, s24, 0x7f
	s_ashr_i32 s5, s3, 31
	s_add_i32 s4, s25, 0x9f
	s_lshr_b32 s5, s5, 25
	s_mul_hi_i32 s4, s4, 0x66666667
	s_add_i32 s3, s3, s5
	s_ashr_i32 s14, s3, 7
	s_lshr_b32 s3, s4, 31
	s_ashr_i32 s4, s4, 6
	s_add_i32 s15, s4, s3
	s_mul_i32 s3, s15, s14
	s_mul_i32 s3, s3, s28
	s_add_i32 s4, s3, 0x12f
	s_mul_hi_i32 s4, s4, 0x6bca1af3
	s_lshr_b32 s5, s4, 31
	s_ashr_i32 s4, s4, 7
	s_add_i32 s4, s4, s5
	s_add_i32 s5, s2, 1
	s_mul_i32 s5, s4, s5
	v_cvt_f64_i32_e32 v[2:3], s3
	v_cvt_f64_u32_e32 v[4:5], s5
	v_min_f64 v[2:3], v[2:3], v[4:5]
	v_cvt_i32_f64_e32 v1, v[2:3]
	s_mul_i32 s2, s4, s2
	v_cmp_ge_i32_e32 vcc, s2, v1
	scratch_store_dword off, v1, off offset:4 ; 4-byte Folded Spill
	s_cbranch_vccnz .LBB368_55
; %bb.3:
	s_load_dwordx8 s[16:23], s[0:1], 0x0
	v_lshrrev_b32_e32 v1, 6, v0
	s_add_i32 s0, s30, s29
	v_cmp_le_i32_e64 s[34:35], s0, v1
	v_mov_b32_e32 v2, s29
	v_cmp_le_i32_e64 s[36:37], s29, v1
	v_mov_b32_e32 v3, s30
	v_cndmask_b32_e64 v3, 0, v3, s[34:35]
	v_cndmask_b32_e64 v2, 0, v2, s[36:37]
	s_abs_i32 s1, s28
	v_add_u32_e32 v2, v2, v3
	v_cvt_f32_u32_e32 v3, s1
	v_sub_u32_e32 v88, v1, v2
	s_ashr_i32 s3, s26, 31
	s_lshr_b32 s3, s3, 26
	v_rcp_iflag_f32_e32 v2, v3
	s_sub_i32 s6, 0, s1
	s_add_i32 s3, s26, s3
	s_ashr_i32 s3, s3, 6
	v_mul_f32_e32 v2, 0x4f7ffffe, v2
	v_cvt_u32_f32_e32 v2, v2
	s_abs_i32 s5, s3
	s_xor_b32 s4, s3, s28
	s_ashr_i32 s4, s4, 31
	v_readfirstlane_b32 s7, v2
	s_mul_i32 s6, s6, s7
	s_mul_hi_u32 s6, s7, s6
	s_add_i32 s7, s7, s6
	s_mul_hi_u32 s6, s5, s7
	s_mul_i32 s7, s6, s1
	s_sub_i32 s5, s5, s7
	s_add_i32 s7, s6, 1
	s_sub_i32 s8, s5, s1
	s_cmp_ge_u32 s5, s1
	s_cselect_b32 s6, s7, s6
	s_cselect_b32 s5, s8, s5
	s_add_i32 s7, s6, 1
	s_cmp_ge_u32 s5, s1
	s_cselect_b32 s1, s7, s6
	s_add_i32 s0, s0, s31
	v_and_b32_e32 v85, 31, v0
	v_lshrrev_b32_e32 v2, 3, v0
	v_cmp_gt_i32_e64 s[42:43], s0, v1
	v_lshlrev_b32_e32 v1, 2, v85
	v_and_b32_e32 v3, 4, v2
	v_lshlrev_b32_e32 v2, 6, v3
	v_or_b32_e32 v4, 0x2800, v1
	v_or_b32_e32 v5, v4, v2
	scratch_store_dword off, v5, off        ; 4-byte Folded Spill
	v_and_b32_e32 v5, 1, v0
	v_or_b32_e32 v98, v1, v2
	v_lshlrev_b32_e32 v2, 1, v5
	v_sub_u32_e32 v2, v0, v2
	v_add_u32_e32 v2, 1, v2
	v_and_b32_e32 v6, 63, v2
	v_bitop3_b32 v2, v0, 1, v0 bitop3:0xc
	scratch_store_dword off, v2, off offset:32 ; 4-byte Folded Spill
	v_bitop3_b32 v2, v0, 3, 1 bitop3:0x6c
	scratch_store_dword off, v2, off offset:36 ; 4-byte Folded Spill
	;; [unrolled: 2-line block ×8, first 2 shown]
	v_or_b32_e32 v2, 32, v85
	s_add_i32 s39, s28, -1
	scratch_store_dword off, v2, off offset:64 ; 4-byte Folded Spill
	v_or_b32_e32 v2, 64, v85
	v_lshrrev_b32_e32 v7, 1, v0
	s_abs_i32 s28, s14
	scratch_store_dword off, v2, off offset:68 ; 4-byte Folded Spill
	v_or_b32_e32 v2, 0x60, v85
	v_and_b32_e32 v8, 16, v7
	v_cvt_f32_u32_e32 v7, s28
	scratch_store_dword off, v2, off offset:72 ; 4-byte Folded Spill
	v_or_b32_e32 v2, 0x80, v85
	scratch_store_dword off, v2, off offset:76 ; 4-byte Folded Spill
	v_and_b32_e32 v2, 30, v0
	v_lshlrev_b32_e32 v0, 4, v0
                                        ; implicit-def: $vgpr127 : SGPR spill to VGPR lane
	v_and_b32_e32 v0, 0x200, v0
	v_writelane_b32 v127, s14, 0
	s_xor_b32 s1, s1, s4
	v_or_b32_e32 v111, v1, v0
	v_rcp_iflag_f32_e32 v1, v7
	v_writelane_b32 v127, s15, 1
	s_sub_i32 s38, s1, s4
	s_waitcnt lgkmcnt(0)
	v_writelane_b32 v127, s16, 2
	s_mul_i32 s1, s38, s39
	s_sub_i32 s40, s3, s1
	v_writelane_b32 v127, s17, 3
	s_abs_i32 s3, s15
	v_writelane_b32 v127, s18, 4
	v_or_b32_e32 v113, v4, v0
	v_mul_f32_e32 v0, 0x4f7ffffe, v1
	v_cvt_f32_u32_e32 v1, s3
	v_writelane_b32 v127, s19, 5
	v_writelane_b32 v127, s20, 6
	;; [unrolled: 1-line block ×4, first 2 shown]
	v_cvt_u32_f32_e32 v0, v0
	v_rcp_iflag_f32_e32 v1, v1
	v_writelane_b32 v127, s23, 9
	v_cndmask_b32_e64 v95, 0, 1, s[34:35]
	v_writelane_b32 v127, s34, 10
	v_readfirstlane_b32 s1, v0
	v_mul_f32_e32 v0, 0x4f7ffffe, v1
	v_writelane_b32 v127, s35, 11
	v_writelane_b32 v127, s36, 12
	v_cvt_u32_f32_e32 v0, v0
	s_sub_i32 s0, 0, s28
	v_writelane_b32 v127, s37, 13
	v_writelane_b32 v127, s38, 14
	;; [unrolled: 1-line block ×3, first 2 shown]
	s_mul_i32 s0, s0, s1
	v_writelane_b32 v127, s40, 16
	s_mul_hi_u32 s0, s1, s0
	v_writelane_b32 v127, s42, 17
	s_ashr_i32 s41, s14, 31
	s_add_i32 s44, s1, s0
	s_sub_i32 s0, 0, s3
	v_readfirstlane_b32 s1, v0
	v_writelane_b32 v127, s43, 18
	s_mul_i32 s0, s0, s1
	v_mbcnt_lo_u32_b32 v0, -1, 0
	v_writelane_b32 v127, s41, 19
	s_ashr_i32 s45, s15, 31
	s_mul_hi_u32 s0, s1, s0
	v_mbcnt_hi_u32_b32 v0, -1, v0
	v_writelane_b32 v127, s44, 20
	v_mov_b32_e32 v97, 0
	v_mul_lo_u32 v10, s27, v85
	s_add_i32 s46, s1, s0
	v_and_or_b32 v0, v0, 64, v6
	v_writelane_b32 v127, s45, 21
	v_ashrrev_i32_e32 v11, 31, v10
	v_mov_b32_e32 v9, v97
	s_lshl_b32 s33, s27, 5
	v_mul_lo_u32 v7, s26, v85
	v_or_b32_e32 v114, v5, v3
	v_lshlrev_b32_e32 v96, 1, v2
	v_lshlrev_b32_e32 v115, 2, v0
	v_mov_b32_e32 v116, v88
	v_writelane_b32 v127, s46, 22
	scratch_store_dwordx2 off, v[10:11], off offset:80 ; 8-byte Folded Spill
	scratch_store_dwordx2 off, v[8:9], off offset:8 ; 8-byte Folded Spill
	scratch_store_dword off, v7, off offset:16 ; 4-byte Folded Spill
	scratch_store_dword off, v85, off offset:28 ; 4-byte Folded Spill
	s_branch .LBB368_7
.LBB368_4:                              ;   in Loop: Header=BB368_7 Depth=1
	s_or_b64 exec, exec, s[6:7]
.LBB368_5:                              ;   in Loop: Header=BB368_7 Depth=1
	s_or_b64 exec, exec, s[4:5]
	v_subrev_u32_e32 v116, s12, v116
.LBB368_6:                              ;   in Loop: Header=BB368_7 Depth=1
	s_or_b64 exec, exec, s[0:1]
	scratch_load_dword v0, off, off offset:4 ; 4-byte Folded Reload
	s_add_i32 s2, s2, 1
	s_waitcnt vmcnt(0)
	v_cmp_ge_i32_e32 vcc, s2, v0
	s_cbranch_vccnz .LBB368_55
.LBB368_7:                              ; =>This Loop Header: Depth=1
                                        ;     Child Loop BB368_13 Depth 2
                                        ;       Child Loop BB368_15 Depth 3
                                        ;       Child Loop BB368_18 Depth 3
	;; [unrolled: 1-line block ×6, first 2 shown]
                                        ;     Child Loop BB368_34 Depth 2
                                        ;     Child Loop BB368_42 Depth 2
                                        ;       Child Loop BB368_44 Depth 3
                                        ;     Child Loop BB368_52 Depth 2
                                        ;       Child Loop BB368_54 Depth 3
	s_abs_i32 s1, s2
	s_mul_hi_u32 s4, s1, s44
	s_mul_i32 s5, s4, s28
	s_ashr_i32 s0, s2, 31
	s_sub_i32 s1, s1, s5
	s_xor_b32 s0, s0, s41
	s_add_i32 s5, s4, 1
	s_sub_i32 s6, s1, s28
	s_cmp_ge_u32 s1, s28
	s_cselect_b32 s4, s5, s4
	s_cselect_b32 s1, s6, s1
	s_add_i32 s5, s4, 1
	s_cmp_ge_u32 s1, s28
	s_cselect_b32 s1, s5, s4
	s_xor_b32 s1, s1, s0
	s_sub_i32 s0, s1, s0
	s_abs_i32 s4, s0
	s_mul_i32 s1, s0, s14
	s_mul_hi_u32 s5, s4, s46
	s_sub_i32 s1, s2, s1
	s_mul_i32 s6, s5, s3
	s_lshl_b32 s47, s1, 7
	s_ashr_i32 s1, s0, 31
	s_sub_i32 s4, s4, s6
	s_xor_b32 s1, s1, s45
	s_add_i32 s6, s5, 1
	s_sub_i32 s7, s4, s3
	s_cmp_ge_u32 s4, s3
	s_cselect_b32 s5, s6, s5
	s_cselect_b32 s4, s7, s4
	s_add_i32 s6, s5, 1
	s_cmp_ge_u32 s4, s3
	s_cselect_b32 s4, s6, s5
	s_xor_b32 s4, s4, s1
	s_sub_i32 s1, s4, s1
	s_mul_i32 s4, s1, s38
	s_lshl_b32 s13, s4, 6
	s_cmp_eq_u32 s1, s39
	s_cselect_b32 s98, s40, s38
	s_sub_i32 s4, s47, s24
	s_addk_i32 s4, 0x80
	s_max_i32 s99, s4, 0
	s_and_saveexec_b64 s[4:5], s[36:37]
	s_xor_b64 s[48:49], exec, s[4:5]
	s_cbranch_execz .LBB368_48
; %bb.8:                                ;   in Loop: Header=BB368_7 Depth=1
	s_mul_i32 s1, s1, s15
	s_sub_i32 s0, s0, s1
	s_mulk_i32 s0, 0xa0
	s_sub_i32 s70, s0, s25
	s_addk_i32 s70, 0xa0
	v_writelane_b32 v127, s48, 23
	s_max_i32 s1, s70, 0
	s_mov_b32 s4, s13
	v_writelane_b32 v127, s49, 24
	s_sub_i32 s68, s0, s1
	s_and_saveexec_b64 s[0:1], s[34:35]
	s_xor_b64 s[0:1], exec, s[0:1]
	s_cbranch_execz .LBB368_38
; %bb.9:                                ;   in Loop: Header=BB368_7 Depth=1
	s_mov_b64 s[6:7], exec
	v_writelane_b32 v127, s6, 25
	s_nop 1
	v_writelane_b32 v127, s7, 26
	s_and_b64 s[6:7], s[6:7], s[42:43]
	s_mov_b64 exec, s[6:7]
	s_cbranch_execz .LBB368_37
; %bb.10:                               ;   in Loop: Header=BB368_7 Depth=1
	global_load_dword v117, v97, s[22:23]
	v_mov_b32_e32 v79, 0
	v_cmp_gt_i32_e32 vcc, s98, v116
	v_mov_b32_e32 v78, v79
	v_mov_b32_e32 v77, v79
	;; [unrolled: 1-line block ×79, first 2 shown]
	s_and_saveexec_b64 s[6:7], vcc
	s_cbranch_execz .LBB368_32
; %bb.11:                               ;   in Loop: Header=BB368_7 Depth=1
	v_mov_b32_e32 v0, 0
	s_mov_b64 s[8:9], 0
	v_mov_b32_e32 v1, v0
	v_mov_b32_e32 v2, v0
	;; [unrolled: 1-line block ×79, first 2 shown]
	s_branch .LBB368_13
.LBB368_12:                             ;   in Loop: Header=BB368_13 Depth=2
	s_or_b64 exec, exec, s[10:11]
	v_add_u32_e32 v81, 0x2000, v80
	ds_read2_b32 v[82:83], v81 offset1:32
	v_add_u32_e32 v116, s31, v116
	s_waitcnt lgkmcnt(0)
	v_mfma_f32_32x32x16_fp8_fp8 v[0:15], v[92:93], v[82:83], v[0:15]
	ds_read2_b32 v[82:83], v81 offset0:128 offset1:160
	s_waitcnt lgkmcnt(0)
	v_mfma_f32_32x32x16_fp8_fp8 v[0:15], v[90:91], v[82:83], v[0:15]
	v_add_u32_e32 v82, 0x2400, v80
	ds_read2_b32 v[80:81], v82 offset1:32
	ds_read2_b32 v[82:83], v82 offset0:128 offset1:160
	ds_write_b32 v119, v120 offset:18468
	s_waitcnt lgkmcnt(2)
	v_mfma_f32_32x32x16_fp8_fp8 v[0:15], v[88:89], v[80:81], v[0:15]
	v_add_u32_e32 v88, s31, v118
	v_add_u32_e32 v80, 2, v95
	v_cmp_lt_i32_e32 vcc, 0, v88
	s_nop 1
	v_cndmask_b32_e32 v95, v95, v80, vcc
	v_cmp_le_i32_e32 vcc, s98, v116
	s_waitcnt lgkmcnt(1)
	v_mfma_f32_32x32x16_fp8_fp8 v[0:15], v[86:87], v[82:83], v[0:15]
	s_or_b64 s[8:9], vcc, s[8:9]
	s_andn2_b64 exec, exec, s[8:9]
	s_cbranch_execz .LBB368_31
.LBB368_13:                             ;   Parent Loop BB368_7 Depth=1
                                        ; =>  This Loop Header: Depth=2
                                        ;       Child Loop BB368_15 Depth 3
                                        ;       Child Loop BB368_18 Depth 3
	;; [unrolled: 1-line block ×6, first 2 shown]
	v_cmp_lt_i32_e32 vcc, 0, v88
	s_nop 1
	v_subbrev_co_u32_e32 v118, vcc, 0, v88, vcc
	v_mul_lo_u32 v119, v118, 40
	ds_read_b32 v80, v119 offset:18432
	s_waitcnt lgkmcnt(0)
	v_cmp_ne_u32_e32 vcc, v80, v95
	s_and_saveexec_b64 s[10:11], vcc
	s_cbranch_execz .LBB368_16
; %bb.14:                               ;   in Loop: Header=BB368_13 Depth=2
	s_mov_b64 s[12:13], 0
.LBB368_15:                             ;   Parent Loop BB368_7 Depth=1
                                        ;     Parent Loop BB368_13 Depth=2
                                        ; =>    This Inner Loop Header: Depth=3
	;;#ASMSTART
	s_sleep 0
	;;#ASMEND
	ds_read_b32 v80, v119 offset:18432
	s_waitcnt lgkmcnt(0)
	v_cmp_eq_u32_e32 vcc, v80, v95
	s_or_b64 s[12:13], vcc, s[12:13]
	s_andn2_b64 exec, exec, s[12:13]
	s_cbranch_execnz .LBB368_15
.LBB368_16:                             ;   in Loop: Header=BB368_13 Depth=2
	s_or_b64 exec, exec, s[10:11]
	scratch_load_dword v80, off, off        ; 4-byte Folded Reload
	v_add_u32_e32 v120, 1, v95
	s_waitcnt vmcnt(0)
	v_lshl_add_u32 v80, v118, 11, v80
	ds_read2_b32 v[92:93], v80 offset1:32
	ds_read2_b32 v[90:91], v80 offset0:128 offset1:160
	v_add_u32_e32 v80, 0x400, v80
	ds_read2_b32 v[88:89], v80 offset1:32
	ds_read_b32 v81, v119 offset:18436
	ds_read2_b32 v[86:87], v80 offset0:128 offset1:160
	ds_write_b32 v119, v120 offset:18432
	s_waitcnt lgkmcnt(2)
	v_cmp_ne_u32_e32 vcc, v81, v95
	s_and_saveexec_b64 s[10:11], vcc
	s_cbranch_execz .LBB368_19
; %bb.17:                               ;   in Loop: Header=BB368_13 Depth=2
	s_mov_b64 s[12:13], 0
.LBB368_18:                             ;   Parent Loop BB368_7 Depth=1
                                        ;     Parent Loop BB368_13 Depth=2
                                        ; =>    This Inner Loop Header: Depth=3
	;;#ASMSTART
	s_sleep 0
	;;#ASMEND
	ds_read_b32 v80, v119 offset:18436
	s_waitcnt lgkmcnt(0)
	v_cmp_eq_u32_e32 vcc, v80, v95
	s_or_b64 s[12:13], vcc, s[12:13]
	s_andn2_b64 exec, exec, s[12:13]
	s_cbranch_execnz .LBB368_18
.LBB368_19:                             ;   in Loop: Header=BB368_13 Depth=2
	s_or_b64 exec, exec, s[10:11]
	s_movk_i32 s5, 0x2800
	v_mul_lo_u32 v80, v118, s5
	v_or_b32_e32 v81, v98, v80
	ds_read2_b32 v[82:83], v81 offset1:32
	ds_write_b32 v119, v120 offset:18436
	s_waitcnt lgkmcnt(1)
	v_mfma_f32_32x32x16_fp8_fp8 v[64:79], v[92:93], v[82:83], v[64:79]
	ds_read2_b32 v[82:83], v81 offset0:128 offset1:160
	v_add_u32_e32 v81, 0x400, v81
	s_waitcnt lgkmcnt(0)
	v_mfma_f32_32x32x16_fp8_fp8 v[64:79], v[90:91], v[82:83], v[64:79]
	ds_read2_b32 v[82:83], v81 offset1:32
	s_waitcnt lgkmcnt(0)
	v_mfma_f32_32x32x16_fp8_fp8 v[64:79], v[88:89], v[82:83], v[64:79]
	ds_read2_b32 v[82:83], v81 offset0:128 offset1:160
	ds_read_b32 v81, v119 offset:18444
	s_waitcnt lgkmcnt(0)
	v_cmp_ne_u32_e32 vcc, v81, v95
	v_mfma_f32_32x32x16_fp8_fp8 v[64:79], v[86:87], v[82:83], v[64:79]
	s_and_saveexec_b64 s[10:11], vcc
	s_cbranch_execz .LBB368_22
; %bb.20:                               ;   in Loop: Header=BB368_13 Depth=2
	s_mov_b64 s[12:13], 0
.LBB368_21:                             ;   Parent Loop BB368_7 Depth=1
                                        ;     Parent Loop BB368_13 Depth=2
                                        ; =>    This Inner Loop Header: Depth=3
	;;#ASMSTART
	s_sleep 0
	;;#ASMEND
	ds_read_b32 v81, v119 offset:18444
	s_waitcnt lgkmcnt(0)
	v_cmp_eq_u32_e32 vcc, v81, v95
	s_or_b64 s[12:13], vcc, s[12:13]
	s_andn2_b64 exec, exec, s[12:13]
	s_cbranch_execnz .LBB368_21
.LBB368_22:                             ;   in Loop: Header=BB368_13 Depth=2
	s_or_b64 exec, exec, s[10:11]
	v_add_u32_e32 v80, v98, v80
	v_add_u32_e32 v81, 0x800, v80
	ds_read2_b32 v[82:83], v81 offset1:32
	ds_write_b32 v119, v120 offset:18444
	s_waitcnt lgkmcnt(1)
	v_mfma_f32_32x32x16_fp8_fp8 v[48:63], v[92:93], v[82:83], v[48:63]
	ds_read2_b32 v[82:83], v81 offset0:128 offset1:160
	v_add_u32_e32 v81, 0xc00, v80
	s_waitcnt lgkmcnt(0)
	v_mfma_f32_32x32x16_fp8_fp8 v[48:63], v[90:91], v[82:83], v[48:63]
	ds_read2_b32 v[82:83], v81 offset1:32
	s_waitcnt lgkmcnt(0)
	v_mfma_f32_32x32x16_fp8_fp8 v[48:63], v[88:89], v[82:83], v[48:63]
	ds_read2_b32 v[82:83], v81 offset0:128 offset1:160
	ds_read_b32 v81, v119 offset:18452
	s_waitcnt lgkmcnt(0)
	v_cmp_ne_u32_e32 vcc, v81, v95
	v_mfma_f32_32x32x16_fp8_fp8 v[48:63], v[86:87], v[82:83], v[48:63]
	s_and_saveexec_b64 s[10:11], vcc
	s_cbranch_execz .LBB368_25
; %bb.23:                               ;   in Loop: Header=BB368_13 Depth=2
	s_mov_b64 s[12:13], 0
.LBB368_24:                             ;   Parent Loop BB368_7 Depth=1
                                        ;     Parent Loop BB368_13 Depth=2
                                        ; =>    This Inner Loop Header: Depth=3
	;;#ASMSTART
	s_sleep 0
	;;#ASMEND
	ds_read_b32 v81, v119 offset:18452
	s_waitcnt lgkmcnt(0)
	v_cmp_eq_u32_e32 vcc, v81, v95
	s_or_b64 s[12:13], vcc, s[12:13]
	s_andn2_b64 exec, exec, s[12:13]
	s_cbranch_execnz .LBB368_24
.LBB368_25:                             ;   in Loop: Header=BB368_13 Depth=2
	s_or_b64 exec, exec, s[10:11]
	v_add_u32_e32 v81, 0x1000, v80
	ds_read2_b32 v[82:83], v81 offset1:32
	s_waitcnt lgkmcnt(0)
	v_mfma_f32_32x32x16_fp8_fp8 v[32:47], v[92:93], v[82:83], v[32:47]
	ds_read2_b32 v[82:83], v81 offset0:128 offset1:160
	v_add_u32_e32 v81, 0x1400, v80
	s_waitcnt lgkmcnt(0)
	v_mfma_f32_32x32x16_fp8_fp8 v[32:47], v[90:91], v[82:83], v[32:47]
	ds_read2_b32 v[82:83], v81 offset1:32
	s_waitcnt lgkmcnt(0)
	v_mfma_f32_32x32x16_fp8_fp8 v[32:47], v[88:89], v[82:83], v[32:47]
	ds_read_b32 v84, v119 offset:18460
	ds_read2_b32 v[82:83], v81 offset0:128 offset1:160
	ds_write_b32 v119, v120 offset:18452
	s_waitcnt lgkmcnt(2)
	v_cmp_ne_u32_e32 vcc, v84, v95
	s_waitcnt lgkmcnt(1)
	v_mfma_f32_32x32x16_fp8_fp8 v[32:47], v[86:87], v[82:83], v[32:47]
	s_and_saveexec_b64 s[10:11], vcc
	s_cbranch_execz .LBB368_28
; %bb.26:                               ;   in Loop: Header=BB368_13 Depth=2
	s_mov_b64 s[12:13], 0
.LBB368_27:                             ;   Parent Loop BB368_7 Depth=1
                                        ;     Parent Loop BB368_13 Depth=2
                                        ; =>    This Inner Loop Header: Depth=3
	;;#ASMSTART
	s_sleep 0
	;;#ASMEND
	ds_read_b32 v81, v119 offset:18460
	s_waitcnt lgkmcnt(0)
	v_cmp_eq_u32_e32 vcc, v81, v95
	s_or_b64 s[12:13], vcc, s[12:13]
	s_andn2_b64 exec, exec, s[12:13]
	s_cbranch_execnz .LBB368_27
.LBB368_28:                             ;   in Loop: Header=BB368_13 Depth=2
	s_or_b64 exec, exec, s[10:11]
	v_add_u32_e32 v81, 0x1800, v80
	ds_read2_b32 v[82:83], v81 offset1:32
	s_waitcnt lgkmcnt(0)
	v_mfma_f32_32x32x16_fp8_fp8 v[16:31], v[92:93], v[82:83], v[16:31]
	ds_read2_b32 v[82:83], v81 offset0:128 offset1:160
	v_add_u32_e32 v81, 0x1c00, v80
	s_waitcnt lgkmcnt(0)
	v_mfma_f32_32x32x16_fp8_fp8 v[16:31], v[90:91], v[82:83], v[16:31]
	ds_read2_b32 v[82:83], v81 offset1:32
	s_waitcnt lgkmcnt(0)
	v_mfma_f32_32x32x16_fp8_fp8 v[16:31], v[88:89], v[82:83], v[16:31]
	ds_read_b32 v84, v119 offset:18468
	ds_read2_b32 v[82:83], v81 offset0:128 offset1:160
	ds_write_b32 v119, v120 offset:18460
	s_waitcnt lgkmcnt(2)
	v_cmp_ne_u32_e32 vcc, v84, v95
	s_waitcnt lgkmcnt(1)
	v_mfma_f32_32x32x16_fp8_fp8 v[16:31], v[86:87], v[82:83], v[16:31]
	s_and_saveexec_b64 s[10:11], vcc
	s_cbranch_execz .LBB368_12
; %bb.29:                               ;   in Loop: Header=BB368_13 Depth=2
	s_mov_b64 s[12:13], 0
.LBB368_30:                             ;   Parent Loop BB368_7 Depth=1
                                        ;     Parent Loop BB368_13 Depth=2
                                        ; =>    This Inner Loop Header: Depth=3
	;;#ASMSTART
	s_sleep 0
	;;#ASMEND
	ds_read_b32 v81, v119 offset:18468
	s_waitcnt lgkmcnt(0)
	v_cmp_eq_u32_e32 vcc, v81, v95
	s_or_b64 s[12:13], vcc, s[12:13]
	s_andn2_b64 exec, exec, s[12:13]
	s_cbranch_execnz .LBB368_30
	s_branch .LBB368_12
.LBB368_31:                             ;   in Loop: Header=BB368_7 Depth=1
	s_or_b64 exec, exec, s[8:9]
.LBB368_32:                             ;   in Loop: Header=BB368_7 Depth=1
	s_or_b64 exec, exec, s[6:7]
	scratch_load_dword v99, off, off offset:32 ; 4-byte Folded Reload
	scratch_load_dword v106, off, off offset:40 ; 4-byte Folded Reload
	v_cmp_le_i32_e32 vcc, s70, v85
	v_writelane_b32 v127, s47, 27
	s_mul_i32 s6, s47, s25
	s_waitcnt vmcnt(2)
	v_cndmask_b32_e32 v80, 0, v117, vcc
	v_pk_mul_f32 v[64:65], v[80:81], v[64:65] op_sel_hi:[0,1]
	v_pk_mul_f32 v[78:79], v[80:81], v[78:79] op_sel_hi:[0,1]
	;; [unrolled: 1-line block ×8, first 2 shown]
	s_ashr_i32 s7, s6, 31
	s_lshl_b64 s[6:7], s[6:7], 1
	s_add_u32 s71, s20, s6
	s_addc_u32 s72, s21, s7
	s_ashr_i32 s69, s68, 31
	s_mov_b32 s82, s68
	s_lshl_b64 s[68:69], s[68:69], 1
	v_writelane_b32 v127, s82, 28
	s_add_u32 s68, s71, s68
	s_addc_u32 s69, s72, s69
	v_writelane_b32 v127, s83, 29
	v_writelane_b32 v127, s68, 30
	scratch_store_dwordx2 off, v[96:97], off offset:20 ; 8-byte Folded Spill
	v_subrev_u32_e32 v116, s98, v116
	v_writelane_b32 v127, s69, 31
	s_mov_b32 s5, 0
	s_waitcnt vmcnt(2)
	v_cmp_eq_u32_e64 s[64:65], 1, v99
	s_nop 1
	v_cndmask_b32_e64 v80, v64, v65, s[64:65]
	v_cmp_eq_u32_e64 s[38:39], 2, v99
	v_cmp_eq_u32_e64 s[40:41], 3, v99
	v_cmp_eq_u32_e64 s[42:43], 4, v99
	v_cndmask_b32_e64 v80, v80, v66, s[38:39]
	v_cndmask_b32_e64 v80, v80, v67, s[40:41]
	v_cndmask_b32_e64 v80, v80, v68, s[42:43]
	v_cmp_eq_u32_e64 s[44:45], 5, v99
	v_cmp_eq_u32_e64 s[46:47], 6, v99
	v_cmp_eq_u32_e64 s[48:49], 7, v99
	v_cndmask_b32_e64 v80, v80, v69, s[44:45]
	v_cndmask_b32_e64 v80, v80, v70, s[46:47]
	;; [unrolled: 6-line block ×5, first 2 shown]
	ds_bpermute_b32 v80, v115, v80
	s_waitcnt vmcnt(1)
	v_cmp_eq_u32_e64 s[72:73], 8, v106
	s_waitcnt lgkmcnt(0)
	v_cndmask_b32_e64 v79, v79, v80, s[66:67]
	v_cndmask_b32_e64 v78, v78, v80, s[62:63]
	v_cndmask_b32_e64 v77, v77, v80, s[60:61]
	v_cndmask_b32_e64 v76, v76, v80, s[58:59]
	v_cndmask_b32_e64 v75, v75, v80, s[56:57]
	v_cndmask_b32_e64 v74, v74, v80, s[54:55]
	v_cndmask_b32_e64 v73, v73, v80, s[52:53]
	v_cndmask_b32_e64 v81, v72, v80, s[50:51]
	v_cndmask_b32_e64 v82, v71, v80, s[48:49]
	v_cndmask_b32_e64 v83, v70, v80, s[46:47]
	v_cndmask_b32_e64 v84, v69, v80, s[44:45]
	v_cndmask_b32_e64 v85, v68, v80, s[42:43]
	v_cndmask_b32_e64 v86, v67, v80, s[40:41]
	v_cndmask_b32_e64 v66, v66, v80, s[38:39]
	v_cndmask_b32_e64 v90, v65, v80, s[64:65]
	v_cndmask_b32_e64 v87, v64, v80, s[36:37]
	scratch_load_dword v80, off, off offset:36 ; 4-byte Folded Reload
	s_waitcnt vmcnt(0)
	v_cmp_eq_u32_e32 vcc, 1, v80
	s_nop 1
	v_cndmask_b32_e32 v64, v87, v90, vcc
	v_cmp_eq_u32_e64 s[6:7], 2, v80
	v_cmp_eq_u32_e64 s[8:9], 3, v80
	v_cmp_eq_u32_e64 s[10:11], 4, v80
	v_cndmask_b32_e64 v64, v64, v66, s[6:7]
	v_cndmask_b32_e64 v64, v64, v86, s[8:9]
	v_cndmask_b32_e64 v64, v64, v85, s[10:11]
	v_cmp_eq_u32_e64 s[12:13], 5, v80
	v_cmp_eq_u32_e64 s[14:15], 6, v80
	v_cmp_eq_u32_e64 s[16:17], 7, v80
	v_cndmask_b32_e64 v64, v64, v84, s[12:13]
	v_cndmask_b32_e64 v64, v64, v83, s[14:15]
	v_cndmask_b32_e64 v64, v64, v82, s[16:17]
	v_cmp_eq_u32_e64 s[18:19], 8, v80
	v_cmp_eq_u32_e64 s[20:21], 9, v80
	v_cmp_eq_u32_e64 s[22:23], 10, v80
	v_cndmask_b32_e64 v64, v64, v81, s[18:19]
	v_cndmask_b32_e64 v64, v64, v73, s[20:21]
	v_cndmask_b32_e64 v64, v64, v74, s[22:23]
	v_cmp_eq_u32_e64 s[74:75], 11, v80
	v_cmp_eq_u32_e64 s[76:77], 12, v80
	v_cmp_eq_u32_e64 s[78:79], 13, v80
	v_cndmask_b32_e64 v64, v64, v75, s[74:75]
	v_cndmask_b32_e64 v64, v64, v76, s[76:77]
	v_cndmask_b32_e64 v64, v64, v77, s[78:79]
	v_cmp_eq_u32_e64 s[80:81], 14, v80
	v_cmp_eq_u32_e64 s[34:35], 15, v80
	s_nop 0
	v_cndmask_b32_e64 v64, v64, v78, s[80:81]
	v_cndmask_b32_e64 v64, v64, v79, s[34:35]
	ds_bpermute_b32 v89, v115, v64
	scratch_load_dword v64, off, off offset:64 ; 4-byte Folded Reload
	s_waitcnt lgkmcnt(0)
	v_cndmask_b32_e64 v65, v79, v89, s[34:35]
	v_cndmask_b32_e64 v79, v66, v89, s[6:7]
	scratch_load_dword v66, off, off offset:72 ; 4-byte Folded Reload
	v_cndmask_b32_e64 v67, v78, v89, s[80:81]
	v_cndmask_b32_e64 v70, v75, v89, s[74:75]
	;; [unrolled: 1-line block ×8, first 2 shown]
	v_cndmask_b32_e32 v86, v90, v89, vcc
	v_cndmask_b32_e64 v68, v77, v89, s[78:79]
	v_cndmask_b32_e64 v77, v85, v89, s[10:11]
	;; [unrolled: 1-line block ×4, first 2 shown]
	s_waitcnt vmcnt(1)
	v_cmp_le_i32_e64 s[68:69], s70, v64
	s_nop 1
	v_cndmask_b32_e64 v64, 0, v117, s[68:69]
	v_pk_mul_f32 v[62:63], v[64:65], v[62:63] op_sel_hi:[0,1]
	v_pk_mul_f32 v[60:61], v[64:65], v[60:61] op_sel_hi:[0,1]
	v_pk_mul_f32 v[58:59], v[64:65], v[58:59] op_sel_hi:[0,1]
	v_pk_mul_f32 v[56:57], v[64:65], v[56:57] op_sel_hi:[0,1]
	v_pk_mul_f32 v[54:55], v[64:65], v[54:55] op_sel_hi:[0,1]
	v_pk_mul_f32 v[52:53], v[64:65], v[52:53] op_sel_hi:[0,1]
	v_pk_mul_f32 v[50:51], v[64:65], v[50:51] op_sel_hi:[0,1]
	v_pk_mul_f32 v[48:49], v[64:65], v[48:49] op_sel_hi:[0,1]
	scratch_load_dword v64, off, off offset:68 ; 4-byte Folded Reload
	v_cndmask_b32_e64 v81, v48, v49, s[64:65]
	v_cndmask_b32_e64 v81, v81, v50, s[38:39]
	;; [unrolled: 1-line block ×15, first 2 shown]
	ds_bpermute_b32 v122, v115, v81
	s_waitcnt vmcnt(0)
	v_cmp_le_i32_e64 s[68:69], s70, v64
	s_nop 1
	v_cndmask_b32_e64 v64, 0, v117, s[68:69]
	v_cmp_le_i32_e64 s[68:69], s70, v66
	v_pk_mul_f32 v[32:33], v[64:65], v[32:33] op_sel_hi:[0,1]
	v_pk_mul_f32 v[34:35], v[64:65], v[34:35] op_sel_hi:[0,1]
	v_cndmask_b32_e64 v66, 0, v117, s[68:69]
	v_cmp_eq_u32_e64 s[68:69], 0, v80
	scratch_load_dword v80, off, off offset:76 ; 4-byte Folded Reload
	v_pk_mul_f32 v[82:83], v[66:67], v[28:29] op_sel_hi:[0,1]
	v_cndmask_b32_e64 v28, v32, v33, s[64:65]
	v_cndmask_b32_e64 v28, v28, v34, s[38:39]
	v_pk_mul_f32 v[36:37], v[64:65], v[36:37] op_sel_hi:[0,1]
	v_cndmask_b32_e64 v28, v28, v35, s[40:41]
	v_cndmask_b32_e64 v28, v28, v36, s[42:43]
	v_pk_mul_f32 v[38:39], v[64:65], v[38:39] op_sel_hi:[0,1]
	v_cndmask_b32_e64 v28, v28, v37, s[44:45]
	v_cndmask_b32_e64 v28, v28, v38, s[46:47]
	v_pk_mul_f32 v[40:41], v[64:65], v[40:41] op_sel_hi:[0,1]
	v_cndmask_b32_e64 v28, v28, v39, s[48:49]
	v_cndmask_b32_e64 v28, v28, v40, s[50:51]
	v_pk_mul_f32 v[42:43], v[64:65], v[42:43] op_sel_hi:[0,1]
	v_cndmask_b32_e64 v28, v28, v41, s[52:53]
	v_cndmask_b32_e64 v28, v28, v42, s[54:55]
	v_pk_mul_f32 v[44:45], v[64:65], v[44:45] op_sel_hi:[0,1]
	v_cndmask_b32_e64 v28, v28, v43, s[56:57]
	v_cndmask_b32_e64 v28, v28, v44, s[58:59]
	v_pk_mul_f32 v[46:47], v[64:65], v[46:47] op_sel_hi:[0,1]
	v_cndmask_b32_e64 v28, v28, v45, s[60:61]
	v_cndmask_b32_e64 v28, v28, v46, s[62:63]
	v_pk_mul_f32 v[16:17], v[66:67], v[16:17] op_sel_hi:[0,1]
	v_cndmask_b32_e64 v28, v28, v47, s[66:67]
	v_pk_mul_f32 v[18:19], v[66:67], v[18:19] op_sel_hi:[0,1]
	ds_bpermute_b32 v123, v115, v28
	v_cndmask_b32_e64 v28, v16, v17, s[64:65]
	v_cndmask_b32_e64 v28, v28, v18, s[38:39]
	v_pk_mul_f32 v[20:21], v[66:67], v[20:21] op_sel_hi:[0,1]
	v_cndmask_b32_e64 v28, v28, v19, s[40:41]
	v_cndmask_b32_e64 v28, v28, v20, s[42:43]
	v_pk_mul_f32 v[22:23], v[66:67], v[22:23] op_sel_hi:[0,1]
	;; [unrolled: 3-line block ×4, first 2 shown]
	v_cndmask_b32_e64 v28, v28, v25, s[52:53]
	v_cndmask_b32_e64 v28, v28, v26, s[54:55]
	;; [unrolled: 1-line block ×4, first 2 shown]
	v_pk_mul_f32 v[30:31], v[66:67], v[30:31] op_sel_hi:[0,1]
	v_cndmask_b32_e64 v28, v28, v83, s[60:61]
	v_cndmask_b32_e64 v28, v28, v30, s[62:63]
	;; [unrolled: 1-line block ×3, first 2 shown]
	ds_bpermute_b32 v124, v115, v28
	v_cndmask_b32_e64 v87, v87, v89, s[68:69]
	s_waitcnt lgkmcnt(2)
	v_cndmask_b32_e64 v28, v63, v122, s[66:67]
	s_waitcnt lgkmcnt(1)
	v_cndmask_b32_e64 v63, v47, v123, s[66:67]
	v_cndmask_b32_e64 v29, v62, v122, s[62:63]
	s_waitcnt lgkmcnt(0)
	v_cndmask_b32_e64 v85, v31, v124, s[66:67]
	v_cndmask_b32_e64 v62, v46, v123, s[62:63]
	;; [unrolled: 1-line block ×27, first 2 shown]
	s_waitcnt vmcnt(0)
	v_cmp_le_i32_e64 s[70:71], s70, v80
	s_nop 1
	v_cndmask_b32_e64 v80, 0, v117, s[70:71]
	v_pk_mul_f32 v[0:1], v[80:81], v[0:1] op_sel_hi:[0,1]
	v_pk_mul_f32 v[96:97], v[80:81], v[8:9] op_sel_hi:[0,1]
	;; [unrolled: 1-line block ×3, first 2 shown]
	v_cndmask_b32_e64 v9, v0, v1, s[64:65]
	v_cndmask_b32_e64 v9, v9, v2, s[38:39]
	v_pk_mul_f32 v[4:5], v[80:81], v[4:5] op_sel_hi:[0,1]
	v_cndmask_b32_e64 v9, v9, v3, s[40:41]
	v_cndmask_b32_e64 v9, v9, v4, s[42:43]
	v_pk_mul_f32 v[118:119], v[80:81], v[6:7] op_sel_hi:[0,1]
	v_cndmask_b32_e64 v9, v9, v5, s[44:45]
	v_cndmask_b32_e64 v9, v9, v118, s[46:47]
	;; [unrolled: 1-line block ×4, first 2 shown]
	v_pk_mul_f32 v[10:11], v[80:81], v[10:11] op_sel_hi:[0,1]
	v_cndmask_b32_e64 v9, v9, v97, s[52:53]
	v_cndmask_b32_e64 v9, v9, v10, s[54:55]
	v_pk_mul_f32 v[12:13], v[80:81], v[12:13] op_sel_hi:[0,1]
	v_cndmask_b32_e64 v9, v9, v11, s[56:57]
	v_cndmask_b32_e64 v9, v9, v12, s[58:59]
	v_pk_mul_f32 v[14:15], v[80:81], v[14:15] op_sel_hi:[0,1]
	v_cndmask_b32_e64 v9, v9, v13, s[60:61]
	v_cndmask_b32_e64 v9, v9, v14, s[62:63]
	v_cndmask_b32_e64 v9, v9, v15, s[66:67]
	ds_bpermute_b32 v125, v115, v9
	v_cmp_eq_u32_e64 s[70:71], 1, v106
	v_cndmask_b32_e64 v6, v49, v122, s[64:65]
	v_cndmask_b32_e64 v7, v33, v123, s[64:65]
	;; [unrolled: 1-line block ×4, first 2 shown]
	v_cmp_eq_u32_e64 s[64:65], 2, v106
	s_waitcnt lgkmcnt(0)
	v_cndmask_b32_e64 v101, v15, v125, s[66:67]
	v_cmp_eq_u32_e64 s[66:67], 3, v106
	v_cndmask_b32_e64 v9, v64, v79, s[64:65]
	v_cndmask_b32_e64 v102, v14, v125, s[62:63]
	;; [unrolled: 1-line block ×3, first 2 shown]
	v_cmp_eq_u32_e64 s[62:63], 4, v106
	v_cndmask_b32_e64 v103, v13, v125, s[60:61]
	v_cmp_eq_u32_e64 s[60:61], 5, v106
	v_cndmask_b32_e64 v9, v9, v77, s[62:63]
	v_cndmask_b32_e64 v104, v12, v125, s[58:59]
	v_cndmask_b32_e64 v9, v9, v76, s[60:61]
	v_cmp_eq_u32_e64 s[58:59], 6, v106
	v_cndmask_b32_e64 v33, v59, v122, s[56:57]
	v_cndmask_b32_e64 v59, v27, v124, s[56:57]
	v_cndmask_b32_e64 v9, v9, v75, s[58:59]
	v_cndmask_b32_e64 v105, v11, v125, s[56:57]
	v_cmp_eq_u32_e64 s[56:57], 7, v106
	v_cndmask_b32_e64 v80, v41, v123, s[52:53]
	;; [unrolled: 5-line block ×3, first 2 shown]
	v_cndmask_b32_e64 v109, v96, v125, s[50:51]
	v_cndmask_b32_e64 v9, v9, v72, s[52:53]
	v_cmp_eq_u32_e64 s[50:51], 10, v106
	v_cndmask_b32_e64 v64, v42, v123, s[54:55]
	v_cndmask_b32_e64 v107, v10, v125, s[54:55]
	v_cndmask_b32_e64 v9, v9, v71, s[50:51]
	v_cmp_eq_u32_e64 s[54:55], 11, v106
	v_cndmask_b32_e64 v96, v23, v124, s[48:49]
	;; [unrolled: 4-line block ×3, first 2 shown]
	v_cndmask_b32_e64 v118, v53, v122, s[44:45]
	v_cndmask_b32_e64 v9, v9, v69, s[48:49]
	;; [unrolled: 1-line block ×4, first 2 shown]
	v_cmp_eq_u32_e64 s[44:45], 13, v106
	v_cndmask_b32_e64 v117, v4, v125, s[42:43]
	v_cmp_eq_u32_e64 s[42:43], 14, v106
	v_cndmask_b32_e64 v5, v9, v68, s[44:45]
	v_cndmask_b32_e64 v37, v35, v123, s[40:41]
	;; [unrolled: 1-line block ×4, first 2 shown]
	v_cmp_eq_u32_e64 s[40:41], 15, v106
	v_cndmask_b32_e64 v2, v2, v125, s[38:39]
	v_cndmask_b32_e64 v97, v22, v124, s[46:47]
	;; [unrolled: 1-line block ×3, first 2 shown]
	ds_bpermute_b32 v23, v115, v3
	v_cndmask_b32_e64 v49, v54, v122, s[46:47]
	v_cndmask_b32_e64 v54, v16, v124, s[36:37]
	s_waitcnt lgkmcnt(0)
	v_cndmask_b32_e64 v5, v68, v23, s[44:45]
	v_cndmask_b32_e64 v9, v69, v23, s[48:49]
	v_cndmask_b32_e64 v68, v50, v122, s[38:39]
	v_cndmask_b32_e64 v69, v34, v123, s[38:39]
	v_cmp_ne_u32_e64 s[38:39], 0, v99
	scratch_load_dword v99, off, off offset:44 ; 4-byte Folded Reload
	v_cndmask_b32_e64 v10, v70, v23, s[54:55]
	v_cndmask_b32_e64 v70, v1, v125, s[38:39]
	v_cmp_eq_u32_e64 s[38:39], 0, v106
	v_cndmask_b32_e64 v3, v65, v23, s[40:41]
	v_cndmask_b32_e64 v4, v67, v23, s[42:43]
	;; [unrolled: 1-line block ×15, first 2 shown]
	v_cndmask_b32_e32 v0, v23, v6, vcc
	v_cndmask_b32_e64 v0, v0, v68, s[6:7]
	v_cndmask_b32_e64 v0, v0, v36, s[8:9]
	v_cndmask_b32_e64 v0, v0, v66, s[10:11]
	v_cndmask_b32_e64 v0, v0, v118, s[12:13]
	v_cndmask_b32_e64 v0, v0, v49, s[14:15]
	v_cndmask_b32_e64 v0, v0, v47, s[16:17]
	v_cndmask_b32_e64 v0, v0, v46, s[18:19]
	v_cndmask_b32_e64 v0, v0, v45, s[20:21]
	v_cndmask_b32_e64 v0, v0, v44, s[22:23]
	v_cndmask_b32_e64 v0, v0, v33, s[74:75]
	v_cndmask_b32_e64 v0, v0, v31, s[76:77]
	v_cndmask_b32_e64 v0, v0, v30, s[78:79]
	v_cndmask_b32_e64 v0, v0, v29, s[80:81]
	v_cndmask_b32_e64 v0, v0, v28, s[34:35]
	ds_bpermute_b32 v122, v115, v0
	v_cndmask_b32_e32 v0, v38, v7, vcc
	v_cndmask_b32_e64 v0, v0, v69, s[6:7]
	v_cndmask_b32_e64 v0, v0, v37, s[8:9]
	v_cndmask_b32_e64 v0, v0, v84, s[10:11]
	v_cndmask_b32_e64 v0, v0, v119, s[12:13]
	v_cndmask_b32_e64 v0, v0, v83, s[14:15]
	v_cndmask_b32_e64 v0, v0, v82, s[16:17]
	v_cndmask_b32_e64 v0, v0, v81, s[18:19]
	v_cndmask_b32_e64 v0, v0, v80, s[20:21]
	v_cndmask_b32_e64 v0, v0, v64, s[22:23]
	v_cndmask_b32_e64 v0, v0, v43, s[74:75]
	v_cndmask_b32_e64 v0, v0, v60, s[76:77]
	v_cndmask_b32_e64 v0, v0, v61, s[78:79]
	v_cndmask_b32_e64 v0, v0, v62, s[80:81]
	v_cndmask_b32_e64 v0, v0, v63, s[34:35]
	ds_bpermute_b32 v123, v115, v0
	;; [unrolled: 16-line block ×4, first 2 shown]
	s_waitcnt lgkmcnt(2)
	v_cndmask_b32_e64 v48, v83, v123, s[14:15]
	scratch_load_dword v83, off, off offset:48 ; 4-byte Folded Reload
	s_waitcnt vmcnt(1)
	v_cmp_eq_u32_e64 s[36:37], 1, v99
	v_cndmask_b32_e64 v24, v28, v122, s[34:35]
	v_cndmask_b32_e64 v39, v63, v123, s[34:35]
	;; [unrolled: 1-line block ×3, first 2 shown]
	s_waitcnt lgkmcnt(1)
	v_cndmask_b32_e64 v55, v85, v124, s[34:35]
	s_waitcnt lgkmcnt(0)
	v_cndmask_b32_e64 v72, v101, v125, s[34:35]
	v_cmp_eq_u32_e64 s[34:35], 2, v99
	v_cmp_eq_u32_e64 s[88:89], 3, v99
	;; [unrolled: 1-line block ×3, first 2 shown]
	v_cndmask_b32_e64 v0, v0, v21, s[34:35]
	v_cndmask_b32_e64 v0, v0, v20, s[88:89]
	;; [unrolled: 1-line block ×3, first 2 shown]
	v_cmp_eq_u32_e64 s[94:95], 5, v99
	v_cmp_eq_u32_e64 s[96:97], 6, v99
	v_cndmask_b32_e64 v25, v29, v122, s[80:81]
	v_cndmask_b32_e64 v0, v0, v17, s[94:95]
	;; [unrolled: 1-line block ×8, first 2 shown]
	v_cmp_eq_u32_e64 s[22:23], 7, v99
	v_cndmask_b32_e64 v28, v33, v122, s[74:75]
	v_cndmask_b32_e64 v43, v43, v123, s[74:75]
	;; [unrolled: 1-line block ×5, first 2 shown]
	v_cmp_eq_u32_e64 s[74:75], 8, v99
	v_cndmask_b32_e64 v40, v62, v123, s[80:81]
	v_cndmask_b32_e64 v27, v31, v122, s[76:77]
	;; [unrolled: 1-line block ×7, first 2 shown]
	v_cmp_eq_u32_e64 s[18:19], 9, v99
	v_cndmask_b32_e64 v32, v47, v122, s[16:17]
	v_cndmask_b32_e64 v47, v82, v123, s[16:17]
	;; [unrolled: 1-line block ×5, first 2 shown]
	v_cmp_eq_u32_e64 s[16:17], 10, v99
	v_cndmask_b32_e64 v33, v49, v122, s[14:15]
	v_cndmask_b32_e64 v64, v97, v124, s[14:15]
	;; [unrolled: 1-line block ×4, first 2 shown]
	v_cmp_eq_u32_e64 s[14:15], 11, v99
	v_cndmask_b32_e64 v56, v89, v124, s[80:81]
	v_cndmask_b32_e64 v34, v118, v122, s[12:13]
	;; [unrolled: 1-line block ×6, first 2 shown]
	v_cmp_eq_u32_e64 s[12:13], 12, v99
	v_cmp_eq_u32_e64 s[84:85], 13, v99
	v_cndmask_b32_e64 v57, v90, v124, s[78:79]
	v_cndmask_b32_e64 v0, v0, v9, s[12:13]
	;; [unrolled: 1-line block ×7, first 2 shown]
	v_cmp_eq_u32_e64 s[10:11], 14, v99
	v_cndmask_b32_e64 v58, v91, v124, s[76:77]
	v_cndmask_b32_e64 v36, v36, v122, s[8:9]
	;; [unrolled: 1-line block ×6, first 2 shown]
	v_cmp_eq_u32_e64 s[8:9], 15, v99
	v_cndmask_b32_e64 v26, v30, v122, s[78:79]
	v_cndmask_b32_e64 v30, v45, v122, s[20:21]
	;; [unrolled: 1-line block ×4, first 2 shown]
	ds_bpermute_b32 v80, v115, v0
	v_cndmask_b32_e64 v92, v2, v125, s[6:7]
	v_cndmask_b32_e64 v37, v68, v122, s[6:7]
	v_cndmask_b32_e32 v53, v7, v123, vcc
	v_cndmask_b32_e64 v38, v38, v123, s[68:69]
	s_waitcnt lgkmcnt(0)
	v_cndmask_b32_e64 v2, v4, v80, s[10:11]
	v_cndmask_b32_e64 v4, v9, v80, s[12:13]
	;; [unrolled: 1-line block ×7, first 2 shown]
	v_cndmask_b32_e32 v19, v6, v122, vcc
	v_cndmask_b32_e64 v20, v23, v122, s[68:69]
	v_cndmask_b32_e64 v6, v20, v19, s[70:71]
	;; [unrolled: 1-line block ×19, first 2 shown]
	v_cndmask_b32_e32 v93, v70, v125, vcc
	v_cndmask_b32_e64 v70, v54, v124, s[68:69]
	ds_bpermute_b32 v54, v115, v6
	v_cndmask_b32_e64 v6, v38, v53, s[70:71]
	v_cndmask_b32_e64 v6, v6, v52, s[64:65]
	;; [unrolled: 1-line block ×15, first 2 shown]
	v_cndmask_b32_e32 v69, v8, v124, vcc
	v_cmp_eq_u32_e64 s[6:7], 0, v99
	v_cndmask_b32_e64 v6, v6, v39, s[40:41]
	v_cndmask_b32_e64 v0, v3, v80, s[8:9]
	;; [unrolled: 1-line block ×10, first 2 shown]
	ds_bpermute_b32 v80, v115, v6
	v_cndmask_b32_e64 v6, v70, v69, s[70:71]
	v_cndmask_b32_e64 v6, v6, v68, s[64:65]
	v_cndmask_b32_e64 v6, v6, v67, s[66:67]
	v_cndmask_b32_e64 v6, v6, v66, s[62:63]
	v_cndmask_b32_e64 v6, v6, v65, s[60:61]
	v_cndmask_b32_e64 v6, v6, v64, s[58:59]
	v_cndmask_b32_e64 v6, v6, v63, s[56:57]
	v_cndmask_b32_e64 v6, v6, v62, s[72:73]
	v_cndmask_b32_e64 v6, v6, v61, s[52:53]
	v_cndmask_b32_e64 v6, v6, v60, s[50:51]
	v_cndmask_b32_e64 v6, v6, v59, s[54:55]
	v_cndmask_b32_e64 v6, v6, v58, s[48:49]
	v_cndmask_b32_e64 v6, v6, v57, s[44:45]
	v_cndmask_b32_e64 v6, v6, v56, s[42:43]
	v_cndmask_b32_e64 v107, v71, v125, s[68:69]
	v_cndmask_b32_e64 v6, v6, v55, s[40:41]
	ds_bpermute_b32 v81, v115, v6
	v_cndmask_b32_e64 v6, v107, v93, s[70:71]
	v_cndmask_b32_e64 v6, v6, v92, s[64:65]
	;; [unrolled: 1-line block ×19, first 2 shown]
	ds_bpermute_b32 v82, v115, v6
	s_waitcnt vmcnt(0)
	v_cmp_eq_u32_e64 s[20:21], 1, v83
	v_cmp_eq_u32_e64 s[46:47], 2, v83
	s_waitcnt lgkmcnt(3)
	v_cndmask_b32_e64 v22, v25, v54, s[42:43]
	v_cndmask_b32_e64 v6, v1, v18, s[20:21]
	s_waitcnt lgkmcnt(0)
	v_cndmask_b32_e64 v108, v72, v82, s[40:41]
	v_cndmask_b32_e64 v6, v6, v17, s[46:47]
	;; [unrolled: 1-line block ×5, first 2 shown]
	v_cmp_eq_u32_e64 s[42:43], 3, v83
	v_cndmask_b32_e64 v21, v24, v54, s[40:41]
	v_cndmask_b32_e64 v39, v39, v80, s[40:41]
	;; [unrolled: 1-line block ×4, first 2 shown]
	v_cmp_eq_u32_e64 s[40:41], 4, v83
	v_cndmask_b32_e64 v117, v74, v82, s[44:45]
	v_cndmask_b32_e64 v24, v27, v54, s[48:49]
	;; [unrolled: 1-line block ×6, first 2 shown]
	v_cmp_eq_u32_e64 s[48:49], 5, v83
	v_cndmask_b32_e64 v25, v28, v54, s[54:55]
	v_cndmask_b32_e64 v43, v43, v80, s[54:55]
	;; [unrolled: 1-line block ×5, first 2 shown]
	v_cmp_eq_u32_e64 s[54:55], 6, v83
	scratch_load_dword v99, off, off offset:52 ; 4-byte Folded Reload
	v_cmp_eq_u32_e64 s[68:69], 7, v83
	v_cndmask_b32_e64 v6, v6, v13, s[54:55]
	v_cmp_eq_u32_e64 s[76:77], 8, v83
	v_cndmask_b32_e64 v6, v6, v12, s[68:69]
	v_cndmask_b32_e64 v121, v78, v82, s[52:53]
	;; [unrolled: 1-line block ×7, first 2 shown]
	v_cmp_eq_u32_e64 s[72:73], 9, v83
	v_cmp_eq_u32_e64 s[78:79], 10, v83
	;; [unrolled: 1-line block ×3, first 2 shown]
	v_cndmask_b32_e64 v6, v6, v10, s[72:73]
	v_cndmask_b32_e64 v6, v6, v9, s[78:79]
	;; [unrolled: 1-line block ×3, first 2 shown]
	v_cmp_eq_u32_e64 s[82:83], 12, v83
	v_cndmask_b32_e64 v23, v26, v54, s[44:45]
	v_cndmask_b32_e64 v26, v29, v54, s[50:51]
	;; [unrolled: 1-line block ×8, first 2 shown]
	v_cmp_eq_u32_e64 s[62:63], 13, v83
	v_cmp_eq_u32_e64 s[86:87], 14, v83
	v_cmp_eq_u32_e64 s[90:91], 15, v83
	v_cndmask_b32_e64 v6, v6, v3, s[62:63]
	v_cndmask_b32_e64 v6, v6, v2, s[86:87]
	;; [unrolled: 1-line block ×6, first 2 shown]
	ds_bpermute_b32 v36, v115, v6
	v_cndmask_b32_e64 v35, v19, v54, s[70:71]
	v_cndmask_b32_e64 v20, v20, v54, s[38:39]
	;; [unrolled: 1-line block ×4, first 2 shown]
	s_waitcnt lgkmcnt(0)
	v_cndmask_b32_e64 v7, v10, v36, s[72:73]
	v_cndmask_b32_e64 v10, v13, v36, s[54:55]
	;; [unrolled: 1-line block ×21, first 2 shown]
	ds_bpermute_b32 v102, v115, v16
	v_cndmask_b32_e64 v16, v54, v53, s[36:37]
	v_cndmask_b32_e64 v51, v51, v80, s[66:67]
	v_cndmask_b32_e64 v16, v16, v52, s[34:35]
	v_cndmask_b32_e64 v16, v16, v51, s[88:89]
	v_cndmask_b32_e64 v49, v49, v80, s[60:61]
	v_cndmask_b32_e64 v16, v16, v50, s[92:93]
	v_cndmask_b32_e64 v48, v48, v80, s[58:59]
	v_cndmask_b32_e64 v16, v16, v49, s[94:95]
	v_cndmask_b32_e64 v47, v47, v80, s[56:57]
	v_cndmask_b32_e64 v16, v16, v48, s[96:97]
	v_cndmask_b32_e64 v16, v16, v47, s[22:23]
	v_cndmask_b32_e64 v45, v45, v80, s[52:53]
	v_cndmask_b32_e64 v16, v16, v46, s[74:75]
	v_cndmask_b32_e64 v44, v44, v80, s[50:51]
	v_cndmask_b32_e64 v16, v16, v45, s[18:19]
	v_cndmask_b32_e64 v16, v16, v44, s[16:17]
	v_cndmask_b32_e64 v16, v16, v43, s[14:15]
	v_cndmask_b32_e64 v41, v41, v80, s[44:45]
	v_cndmask_b32_e64 v16, v16, v42, s[12:13]
	v_cndmask_b32_e64 v16, v16, v41, s[84:85]
	v_cndmask_b32_e64 v16, v16, v40, s[10:11]
	v_cndmask_b32_e64 v69, v69, v81, s[70:71]
	v_cndmask_b32_e64 v70, v70, v81, s[38:39]
	v_cndmask_b32_e64 v16, v16, v39, s[8:9]
	v_cndmask_b32_e64 v68, v68, v81, s[64:65]
	ds_bpermute_b32 v103, v115, v16
	v_cndmask_b32_e64 v16, v70, v69, s[36:37]
	v_cndmask_b32_e64 v67, v67, v81, s[66:67]
	;; [unrolled: 1-line block ×26, first 2 shown]
	ds_bpermute_b32 v104, v115, v16
	v_cndmask_b32_e64 v16, v107, v110, s[36:37]
	v_cndmask_b32_e64 v125, v91, v82, s[66:67]
	;; [unrolled: 1-line block ×19, first 2 shown]
	ds_bpermute_b32 v105, v115, v16
	v_cmp_eq_u32_e64 s[50:51], 0, v83
	v_cndmask_b32_e64 v6, v9, v36, s[78:79]
	v_cndmask_b32_e64 v9, v12, v36, s[68:69]
	;; [unrolled: 1-line block ×5, first 2 shown]
	s_waitcnt vmcnt(0)
	v_cmp_eq_u32_e32 vcc, 1, v99
	v_cndmask_b32_e64 v8, v11, v36, s[76:77]
	v_cndmask_b32_e64 v11, v14, v36, s[48:49]
	;; [unrolled: 1-line block ×3, first 2 shown]
	v_cndmask_b32_e32 v16, v1, v15, vcc
	s_waitcnt lgkmcnt(3)
	v_cndmask_b32_e64 v21, v21, v102, s[8:9]
	s_waitcnt lgkmcnt(2)
	v_cndmask_b32_e64 v55, v39, v103, s[8:9]
	s_waitcnt lgkmcnt(1)
	v_cndmask_b32_e64 v71, v71, v104, s[8:9]
	s_waitcnt lgkmcnt(0)
	v_cndmask_b32_e64 v108, v108, v105, s[8:9]
	v_cmp_eq_u32_e64 s[8:9], 2, v99
	v_cndmask_b32_e64 v0, v0, v36, s[90:91]
	v_cndmask_b32_e64 v2, v2, v36, s[86:87]
	;; [unrolled: 1-line block ×10, first 2 shown]
	v_cmp_eq_u32_e64 s[10:11], 3, v99
	v_cmp_eq_u32_e64 s[44:45], 4, v99
	;; [unrolled: 1-line block ×3, first 2 shown]
	v_cndmask_b32_e64 v16, v16, v13, s[10:11]
	v_cndmask_b32_e64 v16, v16, v12, s[44:45]
	;; [unrolled: 1-line block ×3, first 2 shown]
	v_cmp_eq_u32_e64 s[56:57], 6, v99
	v_cmp_eq_u32_e64 s[58:59], 7, v99
	;; [unrolled: 1-line block ×3, first 2 shown]
	v_cndmask_b32_e64 v16, v16, v10, s[56:57]
	v_cndmask_b32_e64 v16, v16, v9, s[58:59]
	;; [unrolled: 1-line block ×3, first 2 shown]
	v_cmp_eq_u32_e64 s[64:65], 9, v99
	v_cmp_eq_u32_e64 s[70:71], 10, v99
	v_cndmask_b32_e64 v28, v28, v102, s[74:75]
	v_cndmask_b32_e64 v16, v16, v7, s[64:65]
	;; [unrolled: 1-line block ×6, first 2 shown]
	v_cmp_eq_u32_e64 s[74:75], 11, v99
	v_cmp_eq_u32_e64 s[66:67], 12, v99
	v_cndmask_b32_e64 v37, v23, v102, s[84:85]
	v_cndmask_b32_e64 v16, v16, v5, s[74:75]
	;; [unrolled: 1-line block ×6, first 2 shown]
	v_cmp_eq_u32_e64 s[84:85], 13, v99
	v_cndmask_b32_e64 v33, v33, v102, s[88:89]
	v_cndmask_b32_e64 v51, v51, v103, s[88:89]
	;; [unrolled: 1-line block ×5, first 2 shown]
	v_cmp_eq_u32_e64 s[88:89], 14, v99
	v_cndmask_b32_e64 v32, v32, v102, s[92:93]
	v_cndmask_b32_e64 v50, v50, v103, s[92:93]
	;; [unrolled: 1-line block ×5, first 2 shown]
	v_cmp_eq_u32_e64 s[92:93], 15, v99
	v_cndmask_b32_e64 v41, v27, v102, s[18:19]
	v_cndmask_b32_e64 v58, v42, v103, s[12:13]
	v_cndmask_b32_e64 v16, v16, v0, s[92:93]
	ds_bpermute_b32 v27, v115, v16
	v_cndmask_b32_e64 v31, v31, v102, s[94:95]
	v_cndmask_b32_e64 v49, v49, v103, s[94:95]
	;; [unrolled: 1-line block ×4, first 2 shown]
	s_waitcnt lgkmcnt(0)
	v_cndmask_b32_e64 v18, v5, v27, s[74:75]
	scratch_load_dword v5, off, off offset:56 ; 4-byte Folded Reload
	v_cndmask_b32_e64 v35, v35, v102, s[36:37]
	v_cmp_eq_u32_e64 s[94:95], 0, v99
	v_cndmask_b32_e64 v42, v20, v102, s[6:7]
	v_cndmask_b32_e64 v38, v24, v102, s[12:13]
	;; [unrolled: 1-line block ×18, first 2 shown]
	v_cndmask_b32_e32 v15, v15, v27, vcc
	v_cndmask_b32_e64 v27, v1, v27, s[94:95]
	v_cndmask_b32_e64 v1, v42, v35, s[20:21]
	;; [unrolled: 1-line block ×22, first 2 shown]
	ds_bpermute_b32 v106, v115, v1
	v_cndmask_b32_e64 v1, v65, v64, s[20:21]
	v_cndmask_b32_e64 v1, v1, v52, s[46:47]
	;; [unrolled: 1-line block ×28, first 2 shown]
	ds_bpermute_b32 v99, v115, v1
	v_cndmask_b32_e64 v1, v119, v118, s[20:21]
	v_cndmask_b32_e64 v3, v102, v110, s[20:21]
	;; [unrolled: 1-line block ×37, first 2 shown]
	s_waitcnt vmcnt(0)
	v_cmp_eq_u32_e64 s[6:7], 1, v5
	v_cndmask_b32_e64 v1, v1, v71, s[90:91]
	v_cndmask_b32_e64 v3, v3, v108, s[90:91]
	ds_bpermute_b32 v1, v115, v1
	ds_bpermute_b32 v3, v115, v3
	v_cndmask_b32_e64 v4, v27, v15, s[6:7]
	v_cmp_eq_u32_e64 s[12:13], 2, v5
	v_cmp_eq_u32_e64 s[14:15], 3, v5
	v_cmp_eq_u32_e64 s[16:17], 4, v5
	v_cndmask_b32_e64 v4, v4, v14, s[12:13]
	v_cndmask_b32_e64 v4, v4, v13, s[14:15]
	;; [unrolled: 1-line block ×3, first 2 shown]
	v_cmp_eq_u32_e64 s[18:19], 5, v5
	v_cmp_eq_u32_e64 s[22:23], 6, v5
	s_waitcnt lgkmcnt(3)
	v_cndmask_b32_e64 v53, v40, v106, s[78:79]
	v_cndmask_b32_e64 v4, v4, v26, s[18:19]
	;; [unrolled: 1-line block ×3, first 2 shown]
	s_waitcnt lgkmcnt(2)
	v_cndmask_b32_e64 v78, v60, v99, s[78:79]
	s_waitcnt lgkmcnt(1)
	v_cndmask_b32_e64 v125, v76, v1, s[78:79]
	;; [unrolled: 2-line block ×3, first 2 shown]
	v_cmp_eq_u32_e64 s[78:79], 7, v5
	v_cndmask_b32_e64 v54, v41, v106, s[72:73]
	v_cndmask_b32_e64 v61, v61, v99, s[72:73]
	;; [unrolled: 1-line block ×5, first 2 shown]
	v_cmp_eq_u32_e64 s[72:73], 8, v5
	v_cndmask_b32_e64 v66, v55, v99, s[90:91]
	v_cndmask_b32_e64 v55, v28, v106, s[76:77]
	v_cndmask_b32_e64 v4, v4, v23, s[72:73]
	v_cndmask_b32_e64 v86, v62, v99, s[76:77]
	v_cndmask_b32_e64 v107, v87, v1, s[76:77]
	v_cndmask_b32_e64 v82, v82, v3, s[76:77]
	v_cmp_eq_u32_e64 s[76:77], 9, v5
	v_cmp_eq_u32_e64 s[34:35], 10, v5
	;; [unrolled: 1-line block ×3, first 2 shown]
	v_cndmask_b32_e64 v4, v4, v22, s[76:77]
	v_cndmask_b32_e64 v4, v4, v19, s[34:35]
	v_cndmask_b32_e64 v4, v4, v18, s[36:37]
	v_cmp_eq_u32_e64 s[38:39], 12, v5
	v_cndmask_b32_e64 v120, v71, v1, s[90:91]
	v_cndmask_b32_e64 v121, v72, v1, s[86:87]
	v_cndmask_b32_e64 v87, v63, v99, s[68:69]
	v_cndmask_b32_e64 v4, v4, v17, s[38:39]
	v_cndmask_b32_e64 v105, v32, v106, s[40:41]
	v_cndmask_b32_e64 v63, v50, v99, s[40:41]
	v_cndmask_b32_e64 v71, v92, v1, s[40:41]
	v_cndmask_b32_e64 v72, v97, v3, s[40:41]
	v_cmp_eq_u32_e64 s[40:41], 13, v5
	v_cndmask_b32_e64 v68, v57, v99, s[62:63]
	v_cndmask_b32_e64 v123, v74, v1, s[82:83]
	v_cndmask_b32_e64 v57, v30, v106, s[54:55]
	v_cndmask_b32_e64 v4, v4, v16, s[40:41]
	v_cndmask_b32_e64 v74, v33, v106, s[42:43]
	;; [unrolled: 9-line block ×3, first 2 shown]
	v_cmp_eq_u32_e64 s[46:47], 15, v5
	v_cndmask_b32_e64 v67, v56, v99, s[86:87]
	v_cndmask_b32_e64 v104, v109, v3, s[86:87]
	;; [unrolled: 1-line block ×3, first 2 shown]
	ds_bpermute_b32 v28, v115, v8
	v_cndmask_b32_e64 v69, v58, v99, s[82:83]
	v_cndmask_b32_e64 v70, v59, v99, s[80:81]
	;; [unrolled: 1-line block ×5, first 2 shown]
	s_waitcnt lgkmcnt(0)
	v_cndmask_b32_e64 v9, v2, v28, s[42:43]
	v_cndmask_b32_e64 v10, v16, v28, s[40:41]
	;; [unrolled: 1-line block ×5, first 2 shown]
	scratch_load_dword v99, off, off offset:60 ; 4-byte Folded Reload
	v_cndmask_b32_e64 v11, v17, v28, s[38:39]
	v_cndmask_b32_e64 v20, v18, v28, s[36:37]
	;; [unrolled: 1-line block ×8, first 2 shown]
	v_cmp_eq_u32_e64 s[20:21], 0, v5
	v_cndmask_b32_e64 v43, v21, v106, s[90:91]
	v_cndmask_b32_e64 v8, v0, v28, s[46:47]
	;; [unrolled: 1-line block ×16, first 2 shown]
	v_cndmask_b32_e32 v1, v28, v12, vcc
	v_cndmask_b32_e64 v1, v1, v93, s[8:9]
	v_cndmask_b32_e64 v1, v1, v74, s[10:11]
	;; [unrolled: 1-line block ×20, first 2 shown]
	ds_bpermute_b32 v42, v115, v1
	v_cndmask_b32_e32 v1, v16, v13, vcc
	v_cndmask_b32_e64 v1, v1, v4, s[8:9]
	v_cndmask_b32_e64 v1, v1, v60, s[10:11]
	;; [unrolled: 1-line block ×14, first 2 shown]
	ds_bpermute_b32 v29, v115, v1
	v_cndmask_b32_e32 v1, v19, v14, vcc
	v_cndmask_b32_e64 v1, v1, v97, s[8:9]
	v_cndmask_b32_e64 v1, v1, v30, s[10:11]
	;; [unrolled: 1-line block ×15, first 2 shown]
	ds_bpermute_b32 v31, v115, v1
	v_cndmask_b32_e32 v1, v27, v15, vcc
	v_cndmask_b32_e64 v1, v1, v7, s[8:9]
	v_cndmask_b32_e64 v1, v1, v6, s[10:11]
	;; [unrolled: 1-line block ×20, first 2 shown]
	ds_bpermute_b32 v40, v115, v1
	s_waitcnt vmcnt(0)
	v_cmp_eq_u32_e64 s[48:49], 1, v99
	v_cmp_eq_u32_e64 s[50:51], 2, v99
	;; [unrolled: 1-line block ×3, first 2 shown]
	v_cndmask_b32_e64 v1, v0, v18, s[48:49]
	v_cndmask_b32_e64 v1, v1, v17, s[50:51]
	v_cndmask_b32_e64 v1, v1, v2, s[54:55]
	v_cmp_eq_u32_e64 s[62:63], 4, v99
	s_waitcnt lgkmcnt(3)
	v_cndmask_b32_e64 v75, v46, v42, s[66:67]
	s_waitcnt lgkmcnt(2)
	v_cndmask_b32_e64 v39, v69, v29, s[66:67]
	v_cndmask_b32_e64 v1, v1, v92, s[62:63]
	s_waitcnt lgkmcnt(1)
	v_cndmask_b32_e64 v35, v123, v31, s[66:67]
	s_waitcnt lgkmcnt(0)
	v_cndmask_b32_e64 v51, v85, v40, s[66:67]
	v_cmp_eq_u32_e64 s[66:67], 5, v99
	v_cmp_eq_u32_e64 s[68:69], 6, v99
	v_cndmask_b32_e64 v59, v43, v42, s[92:93]
	v_cndmask_b32_e64 v1, v1, v26, s[66:67]
	v_cndmask_b32_e64 v1, v1, v25, s[68:69]
	v_cndmask_b32_e64 v77, v53, v42, s[70:71]
	v_cndmask_b32_e64 v43, v78, v29, s[70:71]
	v_cndmask_b32_e64 v53, v125, v31, s[70:71]
	v_cndmask_b32_e64 v65, v80, v40, s[70:71]
	v_cmp_eq_u32_e64 s[70:71], 7, v99
	v_cndmask_b32_e64 v36, v66, v29, s[92:93]
	v_cndmask_b32_e64 v62, v44, v42, s[88:89]
	v_cndmask_b32_e64 v1, v1, v24, s[70:71]
	v_cndmask_b32_e64 v78, v54, v42, s[64:65]
	v_cndmask_b32_e64 v44, v61, v29, s[64:65]
	v_cndmask_b32_e64 v54, v126, v31, s[64:65]
	v_cndmask_b32_e64 v66, v81, v40, s[64:65]
	;; [unrolled: 8-line block ×3, first 2 shown]
	v_cmp_eq_u32_e64 s[60:61], 9, v99
	v_cndmask_b32_e64 v38, v68, v29, s[84:85]
	v_cndmask_b32_e64 v86, v56, v42, s[58:59]
	v_cndmask_b32_e64 v1, v1, v22, s[60:61]
	v_cndmask_b32_e64 v46, v87, v29, s[58:59]
	v_cndmask_b32_e64 v56, v108, v31, s[58:59]
	v_cndmask_b32_e64 v68, v83, v40, s[58:59]
	v_cmp_eq_u32_e64 s[58:59], 10, v99
	v_cndmask_b32_e64 v76, v47, v42, s[74:75]
	v_cndmask_b32_e64 v87, v57, v42, s[56:57]
	v_cndmask_b32_e64 v1, v1, v21, s[58:59]
	v_cndmask_b32_e64 v47, v89, v29, s[56:57]
	v_cndmask_b32_e64 v57, v109, v31, s[56:57]
	v_cndmask_b32_e64 v69, v96, v40, s[56:57]
	;; [unrolled: 7-line block ×3, first 2 shown]
	v_cmp_eq_u32_e64 s[52:53], 12, v99
	v_cndmask_b32_e64 v82, v105, v42, s[44:45]
	v_cndmask_b32_e64 v81, v63, v29, s[44:45]
	v_cndmask_b32_e64 v1, v1, v11, s[52:53]
	v_cndmask_b32_e64 v63, v71, v31, s[44:45]
	v_cndmask_b32_e64 v71, v72, v40, s[44:45]
	v_cmp_eq_u32_e64 s[44:45], 13, v99
	v_cndmask_b32_e64 v74, v74, v42, s[10:11]
	v_cndmask_b32_e64 v60, v60, v29, s[10:11]
	v_cndmask_b32_e64 v1, v1, v10, s[44:45]
	v_cndmask_b32_e64 v72, v30, v31, s[10:11]
	v_cndmask_b32_e64 v83, v6, v40, s[10:11]
	;; [unrolled: 6-line block ×3, first 2 shown]
	v_cndmask_b32_e64 v89, v7, v40, s[8:9]
	v_cmp_eq_u32_e64 s[8:9], 15, v99
	v_cndmask_b32_e32 v91, v12, v42, vcc
	v_cndmask_b32_e32 v93, v13, v29, vcc
	v_cndmask_b32_e64 v1, v1, v8, s[8:9]
	ds_bpermute_b32 v90, v115, v1
	v_cndmask_b32_e32 v96, v15, v40, vcc
	v_cndmask_b32_e32 v94, v14, v31, vcc
	v_cndmask_b32_e64 v16, v16, v29, s[94:95]
	v_cndmask_b32_e64 v32, v120, v31, s[92:93]
	s_waitcnt lgkmcnt(0)
	v_cndmask_b32_e64 v12, v11, v90, s[52:53]
	v_cndmask_b32_e64 v11, v20, v90, s[56:57]
	;; [unrolled: 1-line block ×20, first 2 shown]
	ds_bpermute_b32 v21, v115, v1
	v_cndmask_b32_e64 v3, v2, v90, s[54:55]
	v_cndmask_b32_e64 v2, v17, v90, s[50:51]
	;; [unrolled: 1-line block ×4, first 2 shown]
	s_waitcnt lgkmcnt(0)
	v_cndmask_b32_e64 v17, v59, v21, s[46:47]
	v_cndmask_b32_e64 v42, v78, v21, s[76:77]
	;; [unrolled: 1-line block ×36, first 2 shown]
	ds_bpermute_b32 v80, v115, v20
	v_cndmask_b32_e64 v33, v121, v31, s[88:89]
	v_cndmask_b32_e64 v34, v122, v31, s[84:85]
	;; [unrolled: 1-line block ×4, first 2 shown]
	s_waitcnt lgkmcnt(0)
	v_cndmask_b32_e64 v31, v17, v80, s[8:9]
	v_cndmask_b32_e64 v17, v16, v93, s[6:7]
	;; [unrolled: 1-line block ×16, first 2 shown]
	ds_bpermute_b32 v17, v115, v17
	v_cndmask_b32_e64 v20, v76, v80, s[62:63]
	v_cndmask_b32_e64 v21, v75, v80, s[66:67]
	;; [unrolled: 1-line block ×4, first 2 shown]
	s_waitcnt lgkmcnt(0)
	v_cndmask_b32_e64 v76, v81, v17, s[16:17]
	v_cndmask_b32_e64 v81, v84, v17, s[12:13]
	;; [unrolled: 1-line block ×38, first 2 shown]
	v_cmp_eq_u32_e32 vcc, 0, v99
	v_cndmask_b32_e64 v16, v16, v36, s[8:9]
	v_cndmask_b32_e64 v5, v26, v90, s[66:67]
	;; [unrolled: 1-line block ×3, first 2 shown]
	v_cndmask_b32_e32 v0, v0, v90, vcc
	ds_bpermute_b32 v90, v115, v16
	v_cndmask_b32_e64 v26, v25, v80, s[58:59]
	v_cndmask_b32_e64 v25, v42, v80, s[60:61]
	;; [unrolled: 1-line block ×4, first 2 shown]
	s_waitcnt lgkmcnt(0)
	v_cndmask_b32_e64 v47, v36, v90, s[8:9]
	v_cndmask_b32_e64 v36, v82, v94, s[6:7]
	;; [unrolled: 1-line block ×18, first 2 shown]
	ds_bpermute_b32 v59, v115, v36
	v_cndmask_b32_e64 v18, v77, v80, s[50:51]
	v_cndmask_b32_e64 v17, v78, v80, s[48:49]
	v_cndmask_b32_e32 v16, v79, v80, vcc
	v_cndmask_b32_e64 v46, v37, v90, s[10:11]
	s_waitcnt lgkmcnt(0)
	v_cndmask_b32_e64 v80, v94, v59, s[6:7]
	v_cndmask_b32_e64 v82, v82, v59, s[20:21]
	;; [unrolled: 1-line block ×39, first 2 shown]
	ds_bpermute_b32 v85, v115, v32
	v_cndmask_b32_e64 v35, v60, v90, s[54:55]
	v_cndmask_b32_e64 v34, v81, v90, s[50:51]
	;; [unrolled: 1-line block ×3, first 2 shown]
	v_cndmask_b32_e32 v32, v87, v90, vcc
	s_waitcnt lgkmcnt(0)
	v_cndmask_b32_e64 v59, v52, v85, s[56:57]
	v_cndmask_b32_e64 v52, v86, v96, s[6:7]
	;; [unrolled: 1-line block ×18, first 2 shown]
	ds_bpermute_b32 v73, v115, v52
	v_cndmask_b32_e64 v60, v74, v85, s[52:53]
	v_cndmask_b32_e64 v57, v54, v85, s[60:61]
	;; [unrolled: 1-line block ×4, first 2 shown]
	s_waitcnt lgkmcnt(0)
	v_cndmask_b32_e64 v90, v96, v73, s[6:7]
	scratch_load_dwordx2 v[96:97], off, off offset:20 ; 8-byte Folded Reload
	v_cndmask_b32_e64 v86, v86, v73, s[20:21]
	v_cndmask_b32_e64 v74, v48, v73, s[46:47]
	;; [unrolled: 1-line block ×31, first 2 shown]
	ds_bpermute_b32 v91, v115, v48
	v_readlane_b32 s6, v127, 30
	v_readlane_b32 s7, v127, 31
	;; [unrolled: 1-line block ×5, first 2 shown]
	v_cndmask_b32_e64 v62, v62, v85, s[10:11]
	v_cndmask_b32_e64 v58, v53, v85, s[58:59]
	;; [unrolled: 1-line block ×7, first 2 shown]
	v_cndmask_b32_e32 v48, v82, v85, vcc
	s_waitcnt lgkmcnt(0)
	v_cndmask_b32_e64 v79, v74, v91, s[8:9]
	v_cndmask_b32_e64 v78, v75, v91, s[10:11]
	;; [unrolled: 1-line block ×15, first 2 shown]
	v_cndmask_b32_e32 v64, v86, v91, vcc
	s_mov_b32 s12, 0
	v_readlane_b32 s35, v127, 11
	v_readlane_b32 s37, v127, 13
	;; [unrolled: 1-line block ×10, first 2 shown]
                                        ; implicit-def: $sgpr8_sgpr9
	s_waitcnt vmcnt(0)
	v_lshl_add_u64 v[86:87], s[6:7], 0, v[96:97]
	s_mov_b64 s[6:7], 0
	s_branch .LBB368_34
.LBB368_33:                             ;   in Loop: Header=BB368_34 Depth=2
	s_or_b64 exec, exec, s[10:11]
	s_and_b64 s[10:11], exec, s[8:9]
	s_or_b64 s[6:7], s[10:11], s[6:7]
	s_andn2_b64 exec, exec, s[6:7]
	s_cbranch_execz .LBB368_36
.LBB368_34:                             ;   Parent Loop BB368_7 Depth=1
                                        ; =>  This Inner Loop Header: Depth=2
	s_and_b32 s10, s12, 2
	s_and_b32 s11, s5, 24
	s_or_b32 s10, s11, s10
	v_or_b32_e32 v80, s10, v114
	v_add_u32_e32 v81, s99, v80
	v_cmp_gt_u32_e32 vcc, 32, v81
	s_or_b64 s[8:9], s[8:9], exec
	s_and_saveexec_b64 s[10:11], vcc
	s_cbranch_execz .LBB368_33
; %bb.35:                               ;   in Loop: Header=BB368_34 Depth=2
	s_add_i32 s13, s12, 1
	s_set_gpr_idx_on s12, gpr_idx(SRC0)
	v_mov_b32_e32 v81, v0
	s_set_gpr_idx_off
	v_cvt_f16_f32_e32 v82, v81
	s_set_gpr_idx_on s13, gpr_idx(SRC0)
	v_mov_b32_e32 v81, v0
	s_set_gpr_idx_off
	v_cvt_f16_f32_sdwa v83, v81 dst_sel:WORD_1 dst_unused:UNUSED_PAD src0_sel:DWORD
	v_mul_lo_u32 v80, v80, s25
	v_ashrrev_i32_e32 v81, 31, v80
	v_lshl_add_u64 v[80:81], v[80:81], 1, v[86:87]
	v_or_b32_e32 v82, v83, v82
	;;#ASMSTART
	global_atomic_pk_add_f16 v[80:81], v82, off
	
	;;#ASMEND
	s_set_gpr_idx_on s12, gpr_idx(SRC0)
	v_mov_b32_e32 v82, v16
	s_set_gpr_idx_off
	v_cvt_f16_f32_e32 v84, v82
	s_set_gpr_idx_on s13, gpr_idx(SRC0)
	v_mov_b32_e32 v82, v16
	s_set_gpr_idx_off
	v_cvt_f16_f32_sdwa v85, v82 dst_sel:WORD_1 dst_unused:UNUSED_PAD src0_sel:DWORD
	v_lshl_add_u64 v[82:83], v[80:81], 0, 64
	s_mov_b64 s[14:15], 0x80
	s_add_i32 s5, s5, 4
	v_or_b32_e32 v84, v85, v84
	;;#ASMSTART
	global_atomic_pk_add_f16 v[82:83], v84, off
	
	;;#ASMEND
	s_set_gpr_idx_on s12, gpr_idx(SRC0)
	v_mov_b32_e32 v82, v32
	s_set_gpr_idx_off
	v_cvt_f16_f32_e32 v84, v82
	s_set_gpr_idx_on s13, gpr_idx(SRC0)
	v_mov_b32_e32 v82, v32
	s_set_gpr_idx_off
	v_cvt_f16_f32_sdwa v85, v82 dst_sel:WORD_1 dst_unused:UNUSED_PAD src0_sel:DWORD
	v_lshl_add_u64 v[82:83], v[80:81], 0, s[14:15]
	s_mov_b64 s[14:15], 0xc0
	v_or_b32_e32 v84, v85, v84
	;;#ASMSTART
	global_atomic_pk_add_f16 v[82:83], v84, off
	
	;;#ASMEND
	s_set_gpr_idx_on s12, gpr_idx(SRC0)
	v_mov_b32_e32 v82, v48
	s_set_gpr_idx_off
	v_cvt_f16_f32_e32 v84, v82
	s_set_gpr_idx_on s13, gpr_idx(SRC0)
	v_mov_b32_e32 v82, v48
	s_set_gpr_idx_off
	v_cvt_f16_f32_sdwa v85, v82 dst_sel:WORD_1 dst_unused:UNUSED_PAD src0_sel:DWORD
	v_lshl_add_u64 v[82:83], v[80:81], 0, s[14:15]
	s_mov_b64 s[14:15], 0x100
	v_lshl_add_u64 v[80:81], v[80:81], 0, s[14:15]
	v_or_b32_e32 v84, v85, v84
	;;#ASMSTART
	global_atomic_pk_add_f16 v[82:83], v84, off
	
	;;#ASMEND
	s_set_gpr_idx_on s12, gpr_idx(SRC0)
	v_mov_b32_e32 v82, v64
	s_set_gpr_idx_off
	v_cvt_f16_f32_e32 v82, v82
	s_set_gpr_idx_on s13, gpr_idx(SRC0)
	v_mov_b32_e32 v83, v64
	s_set_gpr_idx_off
	s_add_i32 s12, s12, 2
	v_cvt_f16_f32_sdwa v83, v83 dst_sel:WORD_1 dst_unused:UNUSED_PAD src0_sel:DWORD
	s_cmp_eq_u32 s12, 16
	s_cselect_b64 s[14:15], -1, 0
	s_andn2_b64 s[8:9], s[8:9], exec
	s_and_b64 s[14:15], s[14:15], exec
	s_or_b64 s[8:9], s[8:9], s[14:15]
	v_or_b32_e32 v82, v83, v82
	;;#ASMSTART
	global_atomic_pk_add_f16 v[80:81], v82, off
	
	;;#ASMEND
	s_branch .LBB368_33
.LBB368_36:                             ;   in Loop: Header=BB368_7 Depth=1
	s_or_b64 exec, exec, s[6:7]
	scratch_load_dword v85, off, off offset:28 ; 4-byte Folded Reload
	v_readlane_b32 s16, v127, 2
	v_readlane_b32 s14, v127, 0
	;; [unrolled: 1-line block ×13, first 2 shown]
.LBB368_37:                             ;   in Loop: Header=BB368_7 Depth=1
	v_readlane_b32 s6, v127, 25
	v_readlane_b32 s7, v127, 26
	s_or_b64 exec, exec, s[6:7]
.LBB368_38:                             ;   in Loop: Header=BB368_7 Depth=1
	s_or_saveexec_b64 s[0:1], s[0:1]
	v_readlane_b32 s48, v127, 23
	s_mov_b32 s13, s4
	v_readlane_b32 s49, v127, 24
	s_xor_b64 exec, exec, s[0:1]
	s_cbranch_execz .LBB368_47
; %bb.39:                               ;   in Loop: Header=BB368_7 Depth=1
	s_mul_i32 s12, s98, 5
	v_cmp_gt_i32_e32 vcc, s12, v116
	s_and_saveexec_b64 s[6:7], vcc
	s_cbranch_execz .LBB368_46
; %bb.40:                               ;   in Loop: Header=BB368_7 Depth=1
	scratch_load_dwordx2 v[0:1], off, off offset:80 ; 8-byte Folded Reload
	scratch_load_dwordx2 v[2:3], off, off offset:8 ; 8-byte Folded Reload
	s_mul_i32 s4, s68, s27
	s_ashr_i32 s5, s4, 31
	s_add_u32 s4, s18, s4
	s_addc_u32 s5, s19, s5
	s_ashr_i32 s8, s13, 31
	s_add_u32 s4, s4, s13
	s_addc_u32 s5, s5, s8
	s_waitcnt vmcnt(1)
	v_lshl_add_u64 v[0:1], s[4:5], 0, v[0:1]
	s_waitcnt vmcnt(0)
	v_lshl_add_u64 v[8:9], v[0:1], 0, v[2:3]
	s_mov_b64 s[4:5], 0
	s_branch .LBB368_42
.LBB368_41:                             ;   in Loop: Header=BB368_42 Depth=2
	s_or_b64 exec, exec, s[8:9]
	v_lshl_or_b32 v12, v10, 11, v111
	;;#ASMSTART
	s_waitcnt vmcnt(1)
	;;#ASMEND
	ds_write2_b32 v12, v4, v5 offset1:32
	ds_write2_b32 v12, v6, v7 offset0:64 offset1:96
	v_add_u32_e32 v4, 0x400, v12
	v_add_u32_e32 v116, s30, v116
	;;#ASMSTART
	s_waitcnt vmcnt(0)
	;;#ASMEND
	ds_write2_b32 v4, v0, v1 offset1:32
	ds_write2_b32 v4, v2, v3 offset0:64 offset1:96
	v_add_u32_e32 v0, 1, v95
	v_add_u32_e32 v88, s30, v10
	v_cmp_le_i32_e32 vcc, s12, v116
	ds_write_b32 v11, v0 offset:16
	v_add_u32_e32 v0, 2, v95
	s_or_b64 s[4:5], vcc, s[4:5]
	v_cmp_lt_i32_e32 vcc, 4, v88
	s_nop 1
	v_cndmask_b32_e32 v95, v95, v0, vcc
	s_andn2_b64 exec, exec, s[4:5]
	s_cbranch_execz .LBB368_45
.LBB368_42:                             ;   Parent Loop BB368_7 Depth=1
                                        ; =>  This Loop Header: Depth=2
                                        ;       Child Loop BB368_44 Depth 3
	v_cmp_gt_i32_e32 vcc, 5, v88
	s_mov_b32 s8, 0x66666667
	s_nop 0
	v_cndmask_b32_e64 v0, -5, 0, vcc
	v_add_u32_e32 v10, v0, v88
	v_mul_hi_i32 v0, v116, s8
	v_lshrrev_b32_e32 v1, 31, v0
	v_ashrrev_i32_e32 v0, 1, v0
	v_add_u32_e32 v0, v0, v1
	v_lshl_add_u32 v1, v0, 2, v0
	v_sub_u32_e32 v2, v116, v1
	v_lshlrev_b32_e32 v0, 6, v0
	v_ashrrev_i32_e32 v1, 31, v0
	v_mul_lo_u32 v2, s33, v2
	v_lshl_add_u64 v[0:1], v[8:9], 0, v[0:1]
	v_ashrrev_i32_e32 v3, 31, v2
	v_lshl_add_u64 v[0:1], v[0:1], 0, v[2:3]
	v_lshlrev_b32_e32 v11, 2, v10
	;;#ASMSTART
	global_load_dwordx4 v[4:7], v[0:1], off offset:0   sc0 sc1 nt  
	global_load_dwordx4 v[0:3], v[0:1], off offset:32  sc0 sc1 nt  
	
	;;#ASMEND
	ds_read_b32 v12, v11 offset:18448
	v_add_u32_e32 v11, 0x4800, v11
	s_waitcnt lgkmcnt(0)
	v_cmp_ne_u32_e32 vcc, v12, v95
	s_and_saveexec_b64 s[8:9], vcc
	s_cbranch_execz .LBB368_41
; %bb.43:                               ;   in Loop: Header=BB368_42 Depth=2
	s_mov_b64 s[10:11], 0
.LBB368_44:                             ;   Parent Loop BB368_7 Depth=1
                                        ;     Parent Loop BB368_42 Depth=2
                                        ; =>    This Inner Loop Header: Depth=3
	;;#ASMSTART
	s_sleep 0
	;;#ASMEND
	ds_read_b32 v12, v11 offset:16
	s_waitcnt lgkmcnt(0)
	v_cmp_eq_u32_e32 vcc, v12, v95
	s_or_b64 s[10:11], vcc, s[10:11]
	s_andn2_b64 exec, exec, s[10:11]
	s_cbranch_execnz .LBB368_44
	s_branch .LBB368_41
.LBB368_45:                             ;   in Loop: Header=BB368_7 Depth=1
	s_or_b64 exec, exec, s[4:5]
.LBB368_46:                             ;   in Loop: Header=BB368_7 Depth=1
	s_or_b64 exec, exec, s[6:7]
	v_subrev_u32_e32 v116, s12, v116
.LBB368_47:                             ;   in Loop: Header=BB368_7 Depth=1
	s_or_b64 exec, exec, s[0:1]
.LBB368_48:                             ;   in Loop: Header=BB368_7 Depth=1
	s_andn2_saveexec_b64 s[0:1], s[48:49]
	s_cbranch_execz .LBB368_6
; %bb.49:                               ;   in Loop: Header=BB368_7 Depth=1
	s_lshl_b32 s12, s98, 2
	v_cmp_gt_i32_e32 vcc, s12, v116
	s_and_saveexec_b64 s[4:5], vcc
	s_cbranch_execz .LBB368_5
; %bb.50:                               ;   in Loop: Header=BB368_7 Depth=1
	scratch_load_dword v0, off, off offset:16 ; 4-byte Folded Reload
	scratch_load_dwordx2 v[4:5], off, off offset:8 ; 8-byte Folded Reload
	s_mul_i32 s6, s47, s26
	s_ashr_i32 s7, s6, 31
	s_add_u32 s6, s16, s6
	s_addc_u32 s7, s17, s7
	s_ashr_i32 s8, s13, 31
	s_add_u32 s6, s6, s13
	s_addc_u32 s7, s7, s8
	s_waitcnt vmcnt(2)
	v_add_u32_e32 v2, s99, v85
	s_movk_i32 s8, 0x80
	v_cmp_gt_u32_e32 vcc, s8, v2
	v_sub_u32_e32 v10, 0x7f, v2
	s_waitcnt vmcnt(1)
	v_cndmask_b32_e32 v0, 0, v0, vcc
	v_ashrrev_i32_e32 v1, 31, v0
	v_lshl_add_u64 v[0:1], s[6:7], 0, v[0:1]
	s_waitcnt vmcnt(0)
	v_lshl_add_u64 v[8:9], v[0:1], 0, v[4:5]
	s_mov_b64 s[6:7], 0
	s_branch .LBB368_52
.LBB368_51:                             ;   in Loop: Header=BB368_52 Depth=2
	s_or_b64 exec, exec, s[8:9]
	v_lshl_add_u32 v13, v11, 11, v113
	;;#ASMSTART
	s_waitcnt vmcnt(1)
	;;#ASMEND
	ds_write2_b32 v13, v4, v5 offset1:32
	ds_write2_b32 v13, v6, v7 offset0:64 offset1:96
	v_add_u32_e32 v4, 0x400, v13
	v_add_u32_e32 v116, s29, v116
	;;#ASMSTART
	s_waitcnt vmcnt(0)
	;;#ASMEND
	ds_write2_b32 v4, v0, v1 offset1:32
	ds_write2_b32 v4, v2, v3 offset0:64 offset1:96
	v_add_u32_e32 v0, 1, v95
	v_add_u32_e32 v88, s29, v11
	v_cmp_le_i32_e32 vcc, s12, v116
	ds_write_b32 v12, v0
	v_add_u32_e32 v0, 2, v95
	s_or_b64 s[6:7], vcc, s[6:7]
	v_cmp_lt_i32_e32 vcc, 3, v88
	s_nop 1
	v_cndmask_b32_e32 v95, v95, v0, vcc
	s_andn2_b64 exec, exec, s[6:7]
	s_cbranch_execz .LBB368_4
.LBB368_52:                             ;   Parent Loop BB368_7 Depth=1
                                        ; =>  This Loop Header: Depth=2
                                        ;       Child Loop BB368_54 Depth 3
	v_cmp_gt_i32_e32 vcc, 4, v88
	s_nop 1
	v_cndmask_b32_e64 v0, -4, 0, vcc
	v_add_u32_e32 v11, v0, v88
	v_ashrrev_i32_e32 v0, 31, v116
	v_lshrrev_b32_e32 v0, 30, v0
	v_add_u32_e32 v0, v116, v0
	v_and_b32_e32 v1, 0x7fffffc, v0
	v_sub_u32_e32 v1, v116, v1
	v_lshlrev_b32_e32 v1, 5, v1
	v_cmp_le_i32_e32 vcc, v1, v10
	v_lshlrev_b32_e32 v0, 4, v0
	v_and_b32_e32 v0, 0xffffffc0, v0
	v_cndmask_b32_e32 v2, 0, v1, vcc
	v_ashrrev_i32_e32 v1, 31, v0
	v_mul_lo_u32 v2, v2, s26
	v_lshl_add_u64 v[0:1], v[8:9], 0, v[0:1]
	v_ashrrev_i32_e32 v3, 31, v2
	v_lshl_add_u64 v[0:1], v[0:1], 0, v[2:3]
	v_lshlrev_b32_e32 v12, 2, v11
	;;#ASMSTART
	global_load_dwordx4 v[4:7], v[0:1], off offset:0   
	global_load_dwordx4 v[0:3], v[0:1], off offset:32  
	
	;;#ASMEND
	ds_read_b32 v13, v12 offset:18432
	v_add_u32_e32 v12, 0x4800, v12
	s_waitcnt lgkmcnt(0)
	v_cmp_ne_u32_e32 vcc, v13, v95
	s_and_saveexec_b64 s[8:9], vcc
	s_cbranch_execz .LBB368_51
; %bb.53:                               ;   in Loop: Header=BB368_52 Depth=2
	s_mov_b64 s[10:11], 0
.LBB368_54:                             ;   Parent Loop BB368_7 Depth=1
                                        ;     Parent Loop BB368_52 Depth=2
                                        ; =>    This Inner Loop Header: Depth=3
	;;#ASMSTART
	s_sleep 0
	;;#ASMEND
	ds_read_b32 v13, v12
	s_waitcnt lgkmcnt(0)
	v_cmp_eq_u32_e32 vcc, v13, v95
	s_or_b64 s[10:11], vcc, s[10:11]
	s_andn2_b64 exec, exec, s[10:11]
	s_cbranch_execnz .LBB368_54
	s_branch .LBB368_51
.LBB368_55:
	s_endpgm
	.section	.rodata,"a",@progbits
	.p2align	6, 0x0
	.amdhsa_kernel _Z19_skinny_gemm_kernelILi4ELi5ELi1ELi32ELi4EEvPKhS1_P6__halfPKfiiiiiiii
		.amdhsa_group_segment_fixed_size 18468
		.amdhsa_private_segment_fixed_size 92
		.amdhsa_kernarg_size 64
		.amdhsa_user_sgpr_count 2
		.amdhsa_user_sgpr_dispatch_ptr 0
		.amdhsa_user_sgpr_queue_ptr 0
		.amdhsa_user_sgpr_kernarg_segment_ptr 1
		.amdhsa_user_sgpr_dispatch_id 0
		.amdhsa_user_sgpr_kernarg_preload_length 0
		.amdhsa_user_sgpr_kernarg_preload_offset 0
		.amdhsa_user_sgpr_private_segment_size 0
		.amdhsa_uses_dynamic_stack 0
		.amdhsa_enable_private_segment 1
		.amdhsa_system_sgpr_workgroup_id_x 1
		.amdhsa_system_sgpr_workgroup_id_y 0
		.amdhsa_system_sgpr_workgroup_id_z 0
		.amdhsa_system_sgpr_workgroup_info 0
		.amdhsa_system_vgpr_workitem_id 0
		.amdhsa_next_free_vgpr 128
		.amdhsa_next_free_sgpr 100
		.amdhsa_accum_offset 128
		.amdhsa_reserve_vcc 1
		.amdhsa_float_round_mode_32 0
		.amdhsa_float_round_mode_16_64 0
		.amdhsa_float_denorm_mode_32 3
		.amdhsa_float_denorm_mode_16_64 3
		.amdhsa_dx10_clamp 1
		.amdhsa_ieee_mode 1
		.amdhsa_fp16_overflow 0
		.amdhsa_tg_split 0
		.amdhsa_exception_fp_ieee_invalid_op 0
		.amdhsa_exception_fp_denorm_src 0
		.amdhsa_exception_fp_ieee_div_zero 0
		.amdhsa_exception_fp_ieee_overflow 0
		.amdhsa_exception_fp_ieee_underflow 0
		.amdhsa_exception_fp_ieee_inexact 0
		.amdhsa_exception_int_div_zero 0
	.end_amdhsa_kernel
	.section	.text._Z19_skinny_gemm_kernelILi4ELi5ELi1ELi32ELi4EEvPKhS1_P6__halfPKfiiiiiiii,"axG",@progbits,_Z19_skinny_gemm_kernelILi4ELi5ELi1ELi32ELi4EEvPKhS1_P6__halfPKfiiiiiiii,comdat
.Lfunc_end368:
	.size	_Z19_skinny_gemm_kernelILi4ELi5ELi1ELi32ELi4EEvPKhS1_P6__halfPKfiiiiiiii, .Lfunc_end368-_Z19_skinny_gemm_kernelILi4ELi5ELi1ELi32ELi4EEvPKhS1_P6__halfPKfiiiiiiii
                                        ; -- End function
	.set _Z19_skinny_gemm_kernelILi4ELi5ELi1ELi32ELi4EEvPKhS1_P6__halfPKfiiiiiiii.num_vgpr, 128
	.set _Z19_skinny_gemm_kernelILi4ELi5ELi1ELi32ELi4EEvPKhS1_P6__halfPKfiiiiiiii.num_agpr, 0
	.set _Z19_skinny_gemm_kernelILi4ELi5ELi1ELi32ELi4EEvPKhS1_P6__halfPKfiiiiiiii.numbered_sgpr, 100
	.set _Z19_skinny_gemm_kernelILi4ELi5ELi1ELi32ELi4EEvPKhS1_P6__halfPKfiiiiiiii.num_named_barrier, 0
	.set _Z19_skinny_gemm_kernelILi4ELi5ELi1ELi32ELi4EEvPKhS1_P6__halfPKfiiiiiiii.private_seg_size, 92
	.set _Z19_skinny_gemm_kernelILi4ELi5ELi1ELi32ELi4EEvPKhS1_P6__halfPKfiiiiiiii.uses_vcc, 1
	.set _Z19_skinny_gemm_kernelILi4ELi5ELi1ELi32ELi4EEvPKhS1_P6__halfPKfiiiiiiii.uses_flat_scratch, 0
	.set _Z19_skinny_gemm_kernelILi4ELi5ELi1ELi32ELi4EEvPKhS1_P6__halfPKfiiiiiiii.has_dyn_sized_stack, 0
	.set _Z19_skinny_gemm_kernelILi4ELi5ELi1ELi32ELi4EEvPKhS1_P6__halfPKfiiiiiiii.has_recursion, 0
	.set _Z19_skinny_gemm_kernelILi4ELi5ELi1ELi32ELi4EEvPKhS1_P6__halfPKfiiiiiiii.has_indirect_call, 0
	.section	.AMDGPU.csdata,"",@progbits
; Kernel info:
; codeLenInByte = 16864
; TotalNumSgprs: 106
; NumVgprs: 128
; NumAgprs: 0
; TotalNumVgprs: 128
; ScratchSize: 92
; MemoryBound: 0
; FloatMode: 240
; IeeeMode: 1
; LDSByteSize: 18468 bytes/workgroup (compile time only)
; SGPRBlocks: 13
; VGPRBlocks: 15
; NumSGPRsForWavesPerEU: 106
; NumVGPRsForWavesPerEU: 128
; AccumOffset: 128
; Occupancy: 4
; WaveLimiterHint : 0
; COMPUTE_PGM_RSRC2:SCRATCH_EN: 1
; COMPUTE_PGM_RSRC2:USER_SGPR: 2
; COMPUTE_PGM_RSRC2:TRAP_HANDLER: 0
; COMPUTE_PGM_RSRC2:TGID_X_EN: 1
; COMPUTE_PGM_RSRC2:TGID_Y_EN: 0
; COMPUTE_PGM_RSRC2:TGID_Z_EN: 0
; COMPUTE_PGM_RSRC2:TIDIG_COMP_CNT: 0
; COMPUTE_PGM_RSRC3_GFX90A:ACCUM_OFFSET: 31
; COMPUTE_PGM_RSRC3_GFX90A:TG_SPLIT: 0
	.section	.text._Z19_skinny_gemm_kernelILi4ELi5ELi1ELi32ELi8EEvPKhS1_P6__halfPKfiiiiiiii,"axG",@progbits,_Z19_skinny_gemm_kernelILi4ELi5ELi1ELi32ELi8EEvPKhS1_P6__halfPKfiiiiiiii,comdat
	.protected	_Z19_skinny_gemm_kernelILi4ELi5ELi1ELi32ELi8EEvPKhS1_P6__halfPKfiiiiiiii ; -- Begin function _Z19_skinny_gemm_kernelILi4ELi5ELi1ELi32ELi8EEvPKhS1_P6__halfPKfiiiiiiii
	.globl	_Z19_skinny_gemm_kernelILi4ELi5ELi1ELi32ELi8EEvPKhS1_P6__halfPKfiiiiiiii
	.p2align	8
	.type	_Z19_skinny_gemm_kernelILi4ELi5ELi1ELi32ELi8EEvPKhS1_P6__halfPKfiiiiiiii,@function
_Z19_skinny_gemm_kernelILi4ELi5ELi1ELi32ELi8EEvPKhS1_P6__halfPKfiiiiiiii: ; @_Z19_skinny_gemm_kernelILi4ELi5ELi1ELi32ELi8EEvPKhS1_P6__halfPKfiiiiiiii
; %bb.0:
	v_cmp_gt_u32_e32 vcc, 9, v0
	s_and_saveexec_b64 s[4:5], vcc
; %bb.1:
	v_lshlrev_b32_e32 v1, 2, v0
	v_mov_b32_e32 v2, 0
	ds_write_b32 v1, v2 offset:36864
; %bb.2:
	s_or_b64 exec, exec, s[4:5]
	s_load_dwordx8 s[24:31], s[0:1], 0x20
	s_waitcnt lgkmcnt(0)
	s_barrier
	s_add_i32 s3, s24, 0x7f
	s_ashr_i32 s5, s3, 31
	s_add_i32 s4, s25, 0x9f
	s_lshr_b32 s5, s5, 25
	s_mul_hi_i32 s4, s4, 0x66666667
	s_add_i32 s3, s3, s5
	s_ashr_i32 s14, s3, 7
	s_lshr_b32 s3, s4, 31
	s_ashr_i32 s4, s4, 6
	s_add_i32 s15, s4, s3
	s_mul_i32 s3, s15, s14
	s_mul_i32 s3, s3, s28
	s_add_i32 s4, s3, 0x12f
	s_mul_hi_i32 s4, s4, 0x6bca1af3
	s_lshr_b32 s5, s4, 31
	s_ashr_i32 s4, s4, 7
	s_add_i32 s4, s4, s5
	s_add_i32 s5, s2, 1
	s_mul_i32 s5, s4, s5
	v_cvt_f64_i32_e32 v[2:3], s3
	v_cvt_f64_u32_e32 v[4:5], s5
	v_min_f64 v[2:3], v[2:3], v[4:5]
	v_cvt_i32_f64_e32 v1, v[2:3]
	s_mul_i32 s2, s4, s2
	v_cmp_ge_i32_e32 vcc, s2, v1
	scratch_store_dword off, v1, off offset:16 ; 4-byte Folded Spill
	s_cbranch_vccnz .LBB369_55
; %bb.3:
	s_load_dwordx8 s[16:23], s[0:1], 0x0
	v_lshrrev_b32_e32 v1, 6, v0
	s_add_i32 s0, s30, s29
	v_cmp_le_i32_e64 s[34:35], s0, v1
	v_mov_b32_e32 v2, s29
	v_cmp_le_i32_e64 s[36:37], s29, v1
	v_mov_b32_e32 v3, s30
	v_cndmask_b32_e64 v3, 0, v3, s[34:35]
	v_cndmask_b32_e64 v2, 0, v2, s[36:37]
	s_abs_i32 s1, s28
	v_add_u32_e32 v2, v2, v3
	v_cvt_f32_u32_e32 v3, s1
	v_sub_u32_e32 v88, v1, v2
	s_ashr_i32 s3, s26, 31
	s_lshr_b32 s3, s3, 25
	v_rcp_iflag_f32_e32 v2, v3
	s_sub_i32 s6, 0, s1
	s_add_i32 s3, s26, s3
	s_ashr_i32 s3, s3, 7
	v_mul_f32_e32 v2, 0x4f7ffffe, v2
	v_cvt_u32_f32_e32 v2, v2
	s_abs_i32 s5, s3
	s_xor_b32 s4, s3, s28
	s_ashr_i32 s4, s4, 31
	v_readfirstlane_b32 s7, v2
	s_mul_i32 s6, s6, s7
	s_mul_hi_u32 s6, s7, s6
	s_add_i32 s7, s7, s6
	s_mul_hi_u32 s6, s5, s7
	s_mul_i32 s7, s6, s1
	s_sub_i32 s5, s5, s7
	s_add_i32 s7, s6, 1
	s_sub_i32 s8, s5, s1
	s_cmp_ge_u32 s5, s1
	s_cselect_b32 s6, s7, s6
	s_cselect_b32 s5, s8, s5
	s_add_i32 s7, s6, 1
	s_cmp_ge_u32 s5, s1
	s_cselect_b32 s1, s7, s6
	s_add_i32 s0, s0, s31
	v_and_b32_e32 v102, 31, v0
	v_lshrrev_b32_e32 v2, 3, v0
	v_cmp_gt_i32_e64 s[42:43], s0, v1
	v_lshlrev_b32_e32 v1, 2, v102
	v_and_b32_e32 v3, 4, v2
	v_lshlrev_b32_e32 v2, 6, v3
	v_or_b32_e32 v4, 0x5000, v1
	v_or_b32_e32 v5, v4, v2
	scratch_store_dword off, v5, off offset:8 ; 4-byte Folded Spill
	v_or_b32_e32 v2, v1, v2
	v_and_b32_e32 v5, 1, v0
	scratch_store_dword off, v2, off offset:12 ; 4-byte Folded Spill
	v_lshlrev_b32_e32 v2, 1, v5
	v_sub_u32_e32 v2, v0, v2
	v_add_u32_e32 v2, 1, v2
	v_and_b32_e32 v6, 63, v2
	v_bitop3_b32 v2, v0, 1, v0 bitop3:0xc
	scratch_store_dword off, v2, off offset:40 ; 4-byte Folded Spill
	v_bitop3_b32 v2, v0, 3, 1 bitop3:0x6c
	scratch_store_dword off, v2, off offset:44 ; 4-byte Folded Spill
	;; [unrolled: 2-line block ×5, first 2 shown]
	v_bitop3_b32 v2, v0, 11, 1 bitop3:0x6c
	s_add_i32 s39, s28, -1
	scratch_store_dword off, v2, off offset:60 ; 4-byte Folded Spill
	v_bitop3_b32 v2, v0, 13, 1 bitop3:0x6c
	v_lshrrev_b32_e32 v7, 1, v0
	s_abs_i32 s28, s14
	scratch_store_dword off, v2, off offset:64 ; 4-byte Folded Spill
	v_bitop3_b32 v2, v0, 15, 1 bitop3:0x6c
	v_and_b32_e32 v8, 16, v7
	v_cvt_f32_u32_e32 v7, s28
	scratch_store_dword off, v2, off offset:68 ; 4-byte Folded Spill
	v_and_b32_e32 v2, 30, v0
	v_lshlrev_b32_e32 v0, 4, v0
	v_and_b32_e32 v0, 0x200, v0
                                        ; implicit-def: $vgpr127 : SGPR spill to VGPR lane
	v_or_b32_e32 v1, v1, v0
	v_writelane_b32 v127, s14, 0
	s_xor_b32 s1, s1, s4
	scratch_store_dword off, v1, off        ; 4-byte Folded Spill
	v_rcp_iflag_f32_e32 v1, v7
	v_writelane_b32 v127, s15, 1
	s_sub_i32 s38, s1, s4
	s_waitcnt lgkmcnt(0)
	v_writelane_b32 v127, s16, 2
	s_mul_i32 s1, s38, s39
	s_sub_i32 s40, s3, s1
	v_writelane_b32 v127, s17, 3
	v_or_b32_e32 v116, v4, v0
	v_or_b32_e32 v0, v5, v3
	s_abs_i32 s3, s15
	v_writelane_b32 v127, s18, 4
	scratch_store_dword off, v0, off offset:4 ; 4-byte Folded Spill
	v_mul_f32_e32 v0, 0x4f7ffffe, v1
	v_cvt_f32_u32_e32 v1, s3
	v_writelane_b32 v127, s19, 5
	v_writelane_b32 v127, s20, 6
	;; [unrolled: 1-line block ×4, first 2 shown]
	v_cvt_u32_f32_e32 v0, v0
	v_rcp_iflag_f32_e32 v1, v1
	v_writelane_b32 v127, s23, 9
	v_cndmask_b32_e64 v103, 0, 1, s[34:35]
	v_writelane_b32 v127, s34, 10
	v_readfirstlane_b32 s1, v0
	v_mul_f32_e32 v0, 0x4f7ffffe, v1
	v_writelane_b32 v127, s35, 11
	v_writelane_b32 v127, s36, 12
	v_cvt_u32_f32_e32 v0, v0
	s_sub_i32 s0, 0, s28
	v_writelane_b32 v127, s37, 13
	v_writelane_b32 v127, s38, 14
	;; [unrolled: 1-line block ×3, first 2 shown]
	s_mul_i32 s0, s0, s1
	v_writelane_b32 v127, s40, 16
	s_mul_hi_u32 s0, s1, s0
	v_writelane_b32 v127, s42, 17
	s_ashr_i32 s41, s14, 31
	s_add_i32 s44, s1, s0
	s_sub_i32 s0, 0, s3
	v_readfirstlane_b32 s1, v0
	v_writelane_b32 v127, s43, 18
	s_mul_i32 s0, s0, s1
	v_mbcnt_lo_u32_b32 v0, -1, 0
	v_writelane_b32 v127, s41, 19
	s_ashr_i32 s45, s15, 31
	s_mul_hi_u32 s0, s1, s0
	v_mbcnt_hi_u32_b32 v0, -1, v0
	v_writelane_b32 v127, s44, 20
	v_mov_b32_e32 v105, 0
	v_mul_lo_u32 v10, s27, v102
	s_add_i32 s46, s1, s0
	v_and_or_b32 v0, v0, 64, v6
	v_writelane_b32 v127, s45, 21
	v_ashrrev_i32_e32 v11, 31, v10
	v_mov_b32_e32 v9, v105
	s_lshl_b32 s33, s27, 5
	v_lshlrev_b32_e32 v104, 1, v2
	v_lshlrev_b32_e32 v118, 2, v0
	v_mov_b32_e32 v119, v88
	v_writelane_b32 v127, s46, 22
	scratch_store_dwordx2 off, v[10:11], off offset:72 ; 8-byte Folded Spill
	scratch_store_dwordx2 off, v[8:9], off offset:20 ; 8-byte Folded Spill
	scratch_store_dword off, v102, off offset:36 ; 4-byte Folded Spill
	s_branch .LBB369_7
.LBB369_4:                              ;   in Loop: Header=BB369_7 Depth=1
	s_or_b64 exec, exec, s[6:7]
.LBB369_5:                              ;   in Loop: Header=BB369_7 Depth=1
	s_or_b64 exec, exec, s[4:5]
	v_subrev_u32_e32 v119, s12, v119
.LBB369_6:                              ;   in Loop: Header=BB369_7 Depth=1
	s_or_b64 exec, exec, s[0:1]
	scratch_load_dword v0, off, off offset:16 ; 4-byte Folded Reload
	s_add_i32 s2, s2, 1
	s_waitcnt vmcnt(0)
	v_cmp_ge_i32_e32 vcc, s2, v0
	s_cbranch_vccnz .LBB369_55
.LBB369_7:                              ; =>This Loop Header: Depth=1
                                        ;     Child Loop BB369_13 Depth 2
                                        ;       Child Loop BB369_15 Depth 3
                                        ;       Child Loop BB369_18 Depth 3
	;; [unrolled: 1-line block ×6, first 2 shown]
                                        ;     Child Loop BB369_34 Depth 2
                                        ;     Child Loop BB369_42 Depth 2
                                        ;       Child Loop BB369_44 Depth 3
                                        ;     Child Loop BB369_52 Depth 2
                                        ;       Child Loop BB369_54 Depth 3
	s_abs_i32 s1, s2
	s_mul_hi_u32 s4, s1, s44
	s_mul_i32 s5, s4, s28
	s_ashr_i32 s0, s2, 31
	s_sub_i32 s1, s1, s5
	s_xor_b32 s0, s0, s41
	s_add_i32 s5, s4, 1
	s_sub_i32 s6, s1, s28
	s_cmp_ge_u32 s1, s28
	s_cselect_b32 s4, s5, s4
	s_cselect_b32 s1, s6, s1
	s_add_i32 s5, s4, 1
	s_cmp_ge_u32 s1, s28
	s_cselect_b32 s1, s5, s4
	s_xor_b32 s1, s1, s0
	s_sub_i32 s0, s1, s0
	s_abs_i32 s4, s0
	s_mul_i32 s1, s0, s14
	s_mul_hi_u32 s5, s4, s46
	s_sub_i32 s1, s2, s1
	s_mul_i32 s6, s5, s3
	s_lshl_b32 s47, s1, 7
	s_ashr_i32 s1, s0, 31
	s_sub_i32 s4, s4, s6
	s_xor_b32 s1, s1, s45
	s_add_i32 s6, s5, 1
	s_sub_i32 s7, s4, s3
	s_cmp_ge_u32 s4, s3
	s_cselect_b32 s5, s6, s5
	s_cselect_b32 s4, s7, s4
	s_add_i32 s6, s5, 1
	s_cmp_ge_u32 s4, s3
	s_cselect_b32 s4, s6, s5
	s_xor_b32 s4, s4, s1
	s_sub_i32 s1, s4, s1
	s_mul_i32 s4, s1, s38
	s_lshl_b32 s13, s4, 7
	s_cmp_eq_u32 s1, s39
	s_cselect_b32 s98, s40, s38
	s_sub_i32 s4, s47, s24
	s_addk_i32 s4, 0x80
	s_max_i32 s99, s4, 0
	s_and_saveexec_b64 s[4:5], s[36:37]
	s_xor_b64 s[48:49], exec, s[4:5]
	s_cbranch_execz .LBB369_48
; %bb.8:                                ;   in Loop: Header=BB369_7 Depth=1
	s_mul_i32 s1, s1, s15
	s_sub_i32 s0, s0, s1
	s_mulk_i32 s0, 0xa0
	s_sub_i32 s70, s0, s25
	s_addk_i32 s70, 0xa0
	v_writelane_b32 v127, s48, 23
	s_max_i32 s1, s70, 0
	s_mov_b32 s4, s13
	v_writelane_b32 v127, s49, 24
	s_sub_i32 s68, s0, s1
	s_and_saveexec_b64 s[0:1], s[34:35]
	s_xor_b64 s[0:1], exec, s[0:1]
	s_cbranch_execz .LBB369_38
; %bb.9:                                ;   in Loop: Header=BB369_7 Depth=1
	s_mov_b64 s[6:7], exec
	v_writelane_b32 v127, s6, 25
	s_nop 1
	v_writelane_b32 v127, s7, 26
	s_and_b64 s[6:7], s[6:7], s[42:43]
	s_mov_b64 exec, s[6:7]
	s_cbranch_execz .LBB369_37
; %bb.10:                               ;   in Loop: Header=BB369_7 Depth=1
	global_load_dword v120, v105, s[22:23]
	v_mov_b32_e32 v79, 0
	v_cmp_gt_i32_e32 vcc, s98, v119
	v_mov_b32_e32 v78, v79
	v_mov_b32_e32 v77, v79
	;; [unrolled: 1-line block ×79, first 2 shown]
	s_and_saveexec_b64 s[6:7], vcc
	s_cbranch_execz .LBB369_32
; %bb.11:                               ;   in Loop: Header=BB369_7 Depth=1
	v_mov_b32_e32 v0, 0
	s_mov_b64 s[8:9], 0
	v_mov_b32_e32 v1, v0
	v_mov_b32_e32 v2, v0
	;; [unrolled: 1-line block ×79, first 2 shown]
	s_branch .LBB369_13
.LBB369_12:                             ;   in Loop: Header=BB369_13 Depth=2
	s_or_b64 exec, exec, s[10:11]
	v_add_u32_e32 v82, 0x4000, v124
	ds_read2_b32 v[80:81], v82 offset1:32
	v_add_u32_e32 v119, s31, v119
	s_waitcnt lgkmcnt(0)
	v_mfma_f32_32x32x16_fp8_fp8 v[0:15], v[100:101], v[80:81], v[0:15]
	ds_read2_b32 v[80:81], v82 offset0:128 offset1:160
	v_add_u32_e32 v82, 0x4400, v124
	s_waitcnt lgkmcnt(0)
	v_mfma_f32_32x32x16_fp8_fp8 v[0:15], v[98:99], v[80:81], v[0:15]
	ds_read2_b32 v[80:81], v82 offset1:32
	s_waitcnt lgkmcnt(0)
	v_mfma_f32_32x32x16_fp8_fp8 v[0:15], v[96:97], v[80:81], v[0:15]
	ds_read2_b32 v[80:81], v82 offset0:128 offset1:160
	v_add_u32_e32 v82, 0x4800, v124
	s_waitcnt lgkmcnt(0)
	v_mfma_f32_32x32x16_fp8_fp8 v[0:15], v[94:95], v[80:81], v[0:15]
	ds_read2_b32 v[80:81], v82 offset1:32
	;; [unrolled: 7-line block ×3, first 2 shown]
	ds_read2_b32 v[82:83], v82 offset0:128 offset1:160
	ds_write_b32 v122, v123 offset:36900
	s_waitcnt lgkmcnt(2)
	v_mfma_f32_32x32x16_fp8_fp8 v[0:15], v[88:89], v[80:81], v[0:15]
	v_add_u32_e32 v88, s31, v121
	v_add_u32_e32 v80, 2, v103
	v_cmp_lt_i32_e32 vcc, 0, v88
	s_nop 1
	v_cndmask_b32_e32 v103, v103, v80, vcc
	v_cmp_le_i32_e32 vcc, s98, v119
	s_waitcnt lgkmcnt(1)
	v_mfma_f32_32x32x16_fp8_fp8 v[0:15], v[86:87], v[82:83], v[0:15]
	s_or_b64 s[8:9], vcc, s[8:9]
	s_andn2_b64 exec, exec, s[8:9]
	s_cbranch_execz .LBB369_31
.LBB369_13:                             ;   Parent Loop BB369_7 Depth=1
                                        ; =>  This Loop Header: Depth=2
                                        ;       Child Loop BB369_15 Depth 3
                                        ;       Child Loop BB369_18 Depth 3
	;; [unrolled: 1-line block ×6, first 2 shown]
	v_cmp_lt_i32_e32 vcc, 0, v88
	s_nop 1
	v_subbrev_co_u32_e32 v121, vcc, 0, v88, vcc
	v_mul_lo_u32 v122, v121, 40
	ds_read_b32 v80, v122 offset:36864
	s_waitcnt lgkmcnt(0)
	v_cmp_ne_u32_e32 vcc, v80, v103
	s_and_saveexec_b64 s[10:11], vcc
	s_cbranch_execz .LBB369_16
; %bb.14:                               ;   in Loop: Header=BB369_13 Depth=2
	s_mov_b64 s[12:13], 0
.LBB369_15:                             ;   Parent Loop BB369_7 Depth=1
                                        ;     Parent Loop BB369_13 Depth=2
                                        ; =>    This Inner Loop Header: Depth=3
	;;#ASMSTART
	s_sleep 0
	;;#ASMEND
	ds_read_b32 v80, v122 offset:36864
	s_waitcnt lgkmcnt(0)
	v_cmp_eq_u32_e32 vcc, v80, v103
	s_or_b64 s[12:13], vcc, s[12:13]
	s_andn2_b64 exec, exec, s[12:13]
	s_cbranch_execnz .LBB369_15
.LBB369_16:                             ;   in Loop: Header=BB369_13 Depth=2
	s_or_b64 exec, exec, s[10:11]
	scratch_load_dword v80, off, off offset:8 ; 4-byte Folded Reload
	v_add_u32_e32 v123, 1, v103
	s_waitcnt vmcnt(0)
	v_lshl_add_u32 v80, v121, 12, v80
	v_add_u32_e32 v81, 0x400, v80
	ds_read2_b32 v[100:101], v80 offset1:32
	ds_read2_b32 v[98:99], v80 offset0:128 offset1:160
	ds_read2_b32 v[96:97], v81 offset1:32
	ds_read2_b32 v[94:95], v81 offset0:128 offset1:160
	v_add_u32_e32 v81, 0x800, v80
	v_add_u32_e32 v80, 0xc00, v80
	ds_read2_b32 v[92:93], v81 offset1:32
	ds_read2_b32 v[90:91], v81 offset0:128 offset1:160
	ds_read2_b32 v[88:89], v80 offset1:32
	ds_read_b32 v81, v122 offset:36868
	ds_read2_b32 v[86:87], v80 offset0:128 offset1:160
	ds_write_b32 v122, v123 offset:36864
	s_waitcnt lgkmcnt(2)
	v_cmp_ne_u32_e32 vcc, v81, v103
	s_and_saveexec_b64 s[10:11], vcc
	s_cbranch_execz .LBB369_19
; %bb.17:                               ;   in Loop: Header=BB369_13 Depth=2
	s_mov_b64 s[12:13], 0
.LBB369_18:                             ;   Parent Loop BB369_7 Depth=1
                                        ;     Parent Loop BB369_13 Depth=2
                                        ; =>    This Inner Loop Header: Depth=3
	;;#ASMSTART
	s_sleep 0
	;;#ASMEND
	ds_read_b32 v80, v122 offset:36868
	s_waitcnt lgkmcnt(0)
	v_cmp_eq_u32_e32 vcc, v80, v103
	s_or_b64 s[12:13], vcc, s[12:13]
	s_andn2_b64 exec, exec, s[12:13]
	s_cbranch_execnz .LBB369_18
.LBB369_19:                             ;   in Loop: Header=BB369_13 Depth=2
	s_or_b64 exec, exec, s[10:11]
	scratch_load_dword v81, off, off offset:12 ; 4-byte Folded Reload
	s_movk_i32 s5, 0x5000
	v_mul_lo_u32 v80, v121, s5
	ds_write_b32 v122, v123 offset:36868
	s_waitcnt vmcnt(0)
	v_or_b32_e32 v124, v81, v80
	ds_read2_b32 v[80:81], v124 offset1:32
	v_add_u32_e32 v82, 0x400, v124
	s_waitcnt lgkmcnt(0)
	v_mfma_f32_32x32x16_fp8_fp8 v[64:79], v[100:101], v[80:81], v[64:79]
	ds_read2_b32 v[80:81], v124 offset0:128 offset1:160
	s_waitcnt lgkmcnt(0)
	v_mfma_f32_32x32x16_fp8_fp8 v[64:79], v[98:99], v[80:81], v[64:79]
	ds_read2_b32 v[80:81], v82 offset1:32
	s_waitcnt lgkmcnt(0)
	v_mfma_f32_32x32x16_fp8_fp8 v[64:79], v[96:97], v[80:81], v[64:79]
	ds_read2_b32 v[80:81], v82 offset0:128 offset1:160
	v_add_u32_e32 v82, 0x800, v124
	s_waitcnt lgkmcnt(0)
	v_mfma_f32_32x32x16_fp8_fp8 v[64:79], v[94:95], v[80:81], v[64:79]
	ds_read2_b32 v[80:81], v82 offset1:32
	s_waitcnt lgkmcnt(0)
	v_mfma_f32_32x32x16_fp8_fp8 v[64:79], v[92:93], v[80:81], v[64:79]
	ds_read2_b32 v[80:81], v82 offset0:128 offset1:160
	v_add_u32_e32 v82, 0xc00, v124
	s_waitcnt lgkmcnt(0)
	v_mfma_f32_32x32x16_fp8_fp8 v[64:79], v[90:91], v[80:81], v[64:79]
	ds_read2_b32 v[80:81], v82 offset1:32
	s_waitcnt lgkmcnt(0)
	v_mfma_f32_32x32x16_fp8_fp8 v[64:79], v[88:89], v[80:81], v[64:79]
	ds_read2_b32 v[80:81], v82 offset0:128 offset1:160
	ds_read_b32 v82, v122 offset:36876
	s_waitcnt lgkmcnt(0)
	v_cmp_ne_u32_e32 vcc, v82, v103
	v_mfma_f32_32x32x16_fp8_fp8 v[64:79], v[86:87], v[80:81], v[64:79]
	s_and_saveexec_b64 s[10:11], vcc
	s_cbranch_execz .LBB369_22
; %bb.20:                               ;   in Loop: Header=BB369_13 Depth=2
	s_mov_b64 s[12:13], 0
.LBB369_21:                             ;   Parent Loop BB369_7 Depth=1
                                        ;     Parent Loop BB369_13 Depth=2
                                        ; =>    This Inner Loop Header: Depth=3
	;;#ASMSTART
	s_sleep 0
	;;#ASMEND
	ds_read_b32 v80, v122 offset:36876
	s_waitcnt lgkmcnt(0)
	v_cmp_eq_u32_e32 vcc, v80, v103
	s_or_b64 s[12:13], vcc, s[12:13]
	s_andn2_b64 exec, exec, s[12:13]
	s_cbranch_execnz .LBB369_21
.LBB369_22:                             ;   in Loop: Header=BB369_13 Depth=2
	s_or_b64 exec, exec, s[10:11]
	v_add_u32_e32 v82, 0x1000, v124
	ds_read2_b32 v[80:81], v82 offset1:32
	s_waitcnt lgkmcnt(0)
	v_mfma_f32_32x32x16_fp8_fp8 v[48:63], v[100:101], v[80:81], v[48:63]
	ds_read2_b32 v[80:81], v82 offset0:128 offset1:160
	v_add_u32_e32 v82, 0x1400, v124
	s_waitcnt lgkmcnt(0)
	v_mfma_f32_32x32x16_fp8_fp8 v[48:63], v[98:99], v[80:81], v[48:63]
	ds_read2_b32 v[80:81], v82 offset1:32
	s_waitcnt lgkmcnt(0)
	v_mfma_f32_32x32x16_fp8_fp8 v[48:63], v[96:97], v[80:81], v[48:63]
	ds_read2_b32 v[80:81], v82 offset0:128 offset1:160
	v_add_u32_e32 v82, 0x1800, v124
	s_waitcnt lgkmcnt(0)
	v_mfma_f32_32x32x16_fp8_fp8 v[48:63], v[94:95], v[80:81], v[48:63]
	ds_read2_b32 v[80:81], v82 offset1:32
	s_waitcnt lgkmcnt(0)
	v_mfma_f32_32x32x16_fp8_fp8 v[48:63], v[92:93], v[80:81], v[48:63]
	ds_read2_b32 v[80:81], v82 offset0:128 offset1:160
	v_add_u32_e32 v82, 0x1c00, v124
	s_waitcnt lgkmcnt(0)
	v_mfma_f32_32x32x16_fp8_fp8 v[48:63], v[90:91], v[80:81], v[48:63]
	ds_read2_b32 v[80:81], v82 offset1:32
	s_waitcnt lgkmcnt(0)
	v_mfma_f32_32x32x16_fp8_fp8 v[48:63], v[88:89], v[80:81], v[48:63]
	ds_read_b32 v83, v122 offset:36884
	ds_read2_b32 v[80:81], v82 offset0:128 offset1:160
	ds_write_b32 v122, v123 offset:36876
	s_waitcnt lgkmcnt(2)
	v_cmp_ne_u32_e32 vcc, v83, v103
	s_waitcnt lgkmcnt(1)
	v_mfma_f32_32x32x16_fp8_fp8 v[48:63], v[86:87], v[80:81], v[48:63]
	s_and_saveexec_b64 s[10:11], vcc
	s_cbranch_execz .LBB369_25
; %bb.23:                               ;   in Loop: Header=BB369_13 Depth=2
	s_mov_b64 s[12:13], 0
.LBB369_24:                             ;   Parent Loop BB369_7 Depth=1
                                        ;     Parent Loop BB369_13 Depth=2
                                        ; =>    This Inner Loop Header: Depth=3
	;;#ASMSTART
	s_sleep 0
	;;#ASMEND
	ds_read_b32 v80, v122 offset:36884
	s_waitcnt lgkmcnt(0)
	v_cmp_eq_u32_e32 vcc, v80, v103
	s_or_b64 s[12:13], vcc, s[12:13]
	s_andn2_b64 exec, exec, s[12:13]
	s_cbranch_execnz .LBB369_24
.LBB369_25:                             ;   in Loop: Header=BB369_13 Depth=2
	s_or_b64 exec, exec, s[10:11]
	v_add_u32_e32 v82, 0x2000, v124
	ds_read2_b32 v[80:81], v82 offset1:32
	s_waitcnt lgkmcnt(0)
	v_mfma_f32_32x32x16_fp8_fp8 v[32:47], v[100:101], v[80:81], v[32:47]
	ds_read2_b32 v[80:81], v82 offset0:128 offset1:160
	v_add_u32_e32 v82, 0x2400, v124
	s_waitcnt lgkmcnt(0)
	v_mfma_f32_32x32x16_fp8_fp8 v[32:47], v[98:99], v[80:81], v[32:47]
	ds_read2_b32 v[80:81], v82 offset1:32
	s_waitcnt lgkmcnt(0)
	v_mfma_f32_32x32x16_fp8_fp8 v[32:47], v[96:97], v[80:81], v[32:47]
	ds_read2_b32 v[80:81], v82 offset0:128 offset1:160
	v_add_u32_e32 v82, 0x2800, v124
	s_waitcnt lgkmcnt(0)
	v_mfma_f32_32x32x16_fp8_fp8 v[32:47], v[94:95], v[80:81], v[32:47]
	ds_read2_b32 v[80:81], v82 offset1:32
	s_waitcnt lgkmcnt(0)
	v_mfma_f32_32x32x16_fp8_fp8 v[32:47], v[92:93], v[80:81], v[32:47]
	ds_read2_b32 v[80:81], v82 offset0:128 offset1:160
	v_add_u32_e32 v82, 0x2c00, v124
	s_waitcnt lgkmcnt(0)
	v_mfma_f32_32x32x16_fp8_fp8 v[32:47], v[90:91], v[80:81], v[32:47]
	ds_read2_b32 v[80:81], v82 offset1:32
	s_waitcnt lgkmcnt(0)
	v_mfma_f32_32x32x16_fp8_fp8 v[32:47], v[88:89], v[80:81], v[32:47]
	ds_read_b32 v83, v122 offset:36892
	ds_read2_b32 v[80:81], v82 offset0:128 offset1:160
	ds_write_b32 v122, v123 offset:36884
	s_waitcnt lgkmcnt(2)
	v_cmp_ne_u32_e32 vcc, v83, v103
	s_waitcnt lgkmcnt(1)
	;; [unrolled: 50-line block ×3, first 2 shown]
	v_mfma_f32_32x32x16_fp8_fp8 v[16:31], v[86:87], v[80:81], v[16:31]
	s_and_saveexec_b64 s[10:11], vcc
	s_cbranch_execz .LBB369_12
; %bb.29:                               ;   in Loop: Header=BB369_13 Depth=2
	s_mov_b64 s[12:13], 0
.LBB369_30:                             ;   Parent Loop BB369_7 Depth=1
                                        ;     Parent Loop BB369_13 Depth=2
                                        ; =>    This Inner Loop Header: Depth=3
	;;#ASMSTART
	s_sleep 0
	;;#ASMEND
	ds_read_b32 v80, v122 offset:36900
	s_waitcnt lgkmcnt(0)
	v_cmp_eq_u32_e32 vcc, v80, v103
	s_or_b64 s[12:13], vcc, s[12:13]
	s_andn2_b64 exec, exec, s[12:13]
	s_cbranch_execnz .LBB369_30
	s_branch .LBB369_12
.LBB369_31:                             ;   in Loop: Header=BB369_7 Depth=1
	s_or_b64 exec, exec, s[8:9]
.LBB369_32:                             ;   in Loop: Header=BB369_7 Depth=1
	s_or_b64 exec, exec, s[6:7]
	scratch_load_dword v107, off, off offset:40 ; 4-byte Folded Reload
	scratch_load_dword v113, off, off offset:48 ; 4-byte Folded Reload
	;; [unrolled: 1-line block ×3, first 2 shown]
	v_cmp_le_i32_e32 vcc, s70, v102
	v_writelane_b32 v127, s47, 27
	s_mul_i32 s6, s47, s25
	s_waitcnt vmcnt(3)
	v_cndmask_b32_e32 v80, 0, v120, vcc
	v_pk_mul_f32 v[64:65], v[80:81], v[64:65] op_sel_hi:[0,1]
	v_pk_mul_f32 v[78:79], v[80:81], v[78:79] op_sel_hi:[0,1]
	;; [unrolled: 1-line block ×8, first 2 shown]
	s_ashr_i32 s7, s6, 31
	s_lshl_b64 s[6:7], s[6:7], 1
	s_add_u32 s71, s20, s6
	s_addc_u32 s72, s21, s7
	s_ashr_i32 s69, s68, 31
	s_mov_b32 s82, s68
	s_lshl_b64 s[68:69], s[68:69], 1
	v_writelane_b32 v127, s82, 28
	s_add_u32 s68, s71, s68
	s_addc_u32 s69, s72, s69
	v_writelane_b32 v127, s83, 29
	v_writelane_b32 v127, s68, 30
	scratch_store_dwordx2 off, v[104:105], off offset:28 ; 8-byte Folded Spill
	v_subrev_u32_e32 v119, s98, v119
	v_writelane_b32 v127, s69, 31
	s_mov_b32 s5, 0
	scratch_load_dword v115, off, off offset:60 ; 4-byte Folded Reload
	s_waitcnt vmcnt(4)
	v_cmp_eq_u32_e64 s[64:65], 1, v107
	s_nop 1
	v_cndmask_b32_e64 v80, v64, v65, s[64:65]
	v_cmp_eq_u32_e64 s[38:39], 2, v107
	v_cmp_eq_u32_e64 s[40:41], 3, v107
	v_cmp_eq_u32_e64 s[42:43], 4, v107
	v_cndmask_b32_e64 v80, v80, v66, s[38:39]
	v_cndmask_b32_e64 v80, v80, v67, s[40:41]
	v_cndmask_b32_e64 v80, v80, v68, s[42:43]
	v_cmp_eq_u32_e64 s[44:45], 5, v107
	v_cmp_eq_u32_e64 s[46:47], 6, v107
	v_cmp_eq_u32_e64 s[48:49], 7, v107
	v_cndmask_b32_e64 v80, v80, v69, s[44:45]
	v_cndmask_b32_e64 v80, v80, v70, s[46:47]
	;; [unrolled: 6-line block ×5, first 2 shown]
	ds_bpermute_b32 v80, v118, v80
	s_waitcnt vmcnt(3)
	v_cmp_eq_u32_e64 s[72:73], 8, v113
	s_waitcnt lgkmcnt(0)
	v_cndmask_b32_e64 v79, v79, v80, s[66:67]
	v_cndmask_b32_e64 v78, v78, v80, s[62:63]
	;; [unrolled: 1-line block ×16, first 2 shown]
	scratch_load_dword v80, off, off offset:44 ; 4-byte Folded Reload
	s_waitcnt vmcnt(0)
	v_cmp_eq_u32_e32 vcc, 1, v80
	s_nop 1
	v_cndmask_b32_e32 v64, v87, v90, vcc
	v_cmp_eq_u32_e64 s[6:7], 2, v80
	v_cmp_eq_u32_e64 s[8:9], 3, v80
	v_cmp_eq_u32_e64 s[10:11], 4, v80
	v_cndmask_b32_e64 v64, v64, v66, s[6:7]
	v_cndmask_b32_e64 v64, v64, v86, s[8:9]
	v_cndmask_b32_e64 v64, v64, v85, s[10:11]
	v_cmp_eq_u32_e64 s[12:13], 5, v80
	v_cmp_eq_u32_e64 s[14:15], 6, v80
	v_cmp_eq_u32_e64 s[16:17], 7, v80
	v_cndmask_b32_e64 v64, v64, v84, s[12:13]
	v_cndmask_b32_e64 v64, v64, v83, s[14:15]
	v_cndmask_b32_e64 v64, v64, v82, s[16:17]
	;; [unrolled: 6-line block ×4, first 2 shown]
	v_cmp_eq_u32_e64 s[80:81], 14, v80
	v_cmp_eq_u32_e64 s[34:35], 15, v80
	s_nop 0
	v_cndmask_b32_e64 v64, v64, v78, s[80:81]
	v_cndmask_b32_e64 v64, v64, v79, s[34:35]
	ds_bpermute_b32 v89, v118, v64
	v_or_b32_e32 v64, 32, v102
	v_cmp_le_i32_e64 s[68:69], s70, v64
	s_waitcnt lgkmcnt(0)
	v_cndmask_b32_e64 v65, v79, v89, s[34:35]
	v_cndmask_b32_e64 v64, 0, v120, s[68:69]
	v_pk_mul_f32 v[62:63], v[64:65], v[62:63] op_sel_hi:[0,1]
	v_pk_mul_f32 v[60:61], v[64:65], v[60:61] op_sel_hi:[0,1]
	;; [unrolled: 1-line block ×8, first 2 shown]
	v_or_b32_e32 v64, 64, v102
	v_cndmask_b32_e64 v79, v66, v89, s[6:7]
	v_cmp_le_i32_e64 s[68:69], s70, v64
	v_or_b32_e32 v66, 0x60, v102
	v_cndmask_b32_e64 v67, v78, v89, s[80:81]
	v_cndmask_b32_e64 v64, 0, v120, s[68:69]
	v_cmp_le_i32_e64 s[68:69], s70, v66
	v_pk_mul_f32 v[32:33], v[64:65], v[32:33] op_sel_hi:[0,1]
	v_cndmask_b32_e64 v70, v75, v89, s[74:75]
	v_cndmask_b32_e64 v66, 0, v120, s[68:69]
	;; [unrolled: 1-line block ×7, first 2 shown]
	v_pk_mul_f32 v[34:35], v[64:65], v[34:35] op_sel_hi:[0,1]
	v_cndmask_b32_e64 v81, v48, v49, s[64:65]
	v_pk_mul_f32 v[82:83], v[66:67], v[28:29] op_sel_hi:[0,1]
	v_cndmask_b32_e64 v28, v32, v33, s[64:65]
	v_cndmask_b32_e64 v81, v81, v50, s[38:39]
	v_cndmask_b32_e64 v28, v28, v34, s[38:39]
	v_pk_mul_f32 v[36:37], v[64:65], v[36:37] op_sel_hi:[0,1]
	v_cndmask_b32_e64 v81, v81, v51, s[40:41]
	v_cndmask_b32_e64 v28, v28, v35, s[40:41]
	v_cndmask_b32_e64 v81, v81, v52, s[42:43]
	v_cndmask_b32_e64 v28, v28, v36, s[42:43]
	v_pk_mul_f32 v[38:39], v[64:65], v[38:39] op_sel_hi:[0,1]
	v_cndmask_b32_e64 v81, v81, v53, s[44:45]
	;; [unrolled: 5-line block ×5, first 2 shown]
	v_cndmask_b32_e64 v28, v28, v43, s[56:57]
	v_cmp_eq_u32_e64 s[68:69], 0, v80
	v_cndmask_b32_e64 v81, v81, v60, s[58:59]
	v_cndmask_b32_e64 v28, v28, v44, s[58:59]
	;; [unrolled: 1-line block ×7, first 2 shown]
	v_cndmask_b32_e32 v86, v90, v89, vcc
	v_cndmask_b32_e64 v87, v87, v89, s[68:69]
	v_or_b32_e32 v89, 0x80, v102
	v_pk_mul_f32 v[46:47], v[64:65], v[46:47] op_sel_hi:[0,1]
	v_cndmask_b32_e64 v81, v81, v61, s[60:61]
	v_cndmask_b32_e64 v28, v28, v45, s[60:61]
	v_cmp_le_i32_e64 s[70:71], s70, v89
	v_cndmask_b32_e64 v81, v81, v62, s[62:63]
	v_cndmask_b32_e64 v28, v28, v46, s[62:63]
	;; [unrolled: 1-line block ×4, first 2 shown]
	v_pk_mul_f32 v[16:17], v[66:67], v[16:17] op_sel_hi:[0,1]
	v_cndmask_b32_e64 v28, v28, v47, s[66:67]
	v_pk_mul_f32 v[18:19], v[66:67], v[18:19] op_sel_hi:[0,1]
	ds_bpermute_b32 v123, v118, v28
	v_cndmask_b32_e64 v28, v16, v17, s[64:65]
	v_pk_mul_f32 v[0:1], v[80:81], v[0:1] op_sel_hi:[0,1]
	v_cndmask_b32_e64 v28, v28, v18, s[38:39]
	v_pk_mul_f32 v[96:97], v[80:81], v[8:9] op_sel_hi:[0,1]
	v_pk_mul_f32 v[2:3], v[80:81], v[2:3] op_sel_hi:[0,1]
	v_cndmask_b32_e64 v9, v0, v1, s[64:65]
	v_pk_mul_f32 v[20:21], v[66:67], v[20:21] op_sel_hi:[0,1]
	v_cndmask_b32_e64 v28, v28, v19, s[40:41]
	v_cndmask_b32_e64 v9, v9, v2, s[38:39]
	v_cndmask_b32_e64 v28, v28, v20, s[42:43]
	v_pk_mul_f32 v[4:5], v[80:81], v[4:5] op_sel_hi:[0,1]
	v_cndmask_b32_e64 v9, v9, v3, s[40:41]
	v_pk_mul_f32 v[22:23], v[66:67], v[22:23] op_sel_hi:[0,1]
	v_cndmask_b32_e64 v28, v28, v21, s[44:45]
	v_cndmask_b32_e64 v9, v9, v4, s[42:43]
	v_cndmask_b32_e64 v28, v28, v22, s[46:47]
	;; [unrolled: 6-line block ×3, first 2 shown]
	v_cndmask_b32_e64 v9, v9, v111, s[48:49]
	v_pk_mul_f32 v[26:27], v[66:67], v[26:27] op_sel_hi:[0,1]
	v_cndmask_b32_e64 v28, v28, v25, s[52:53]
	v_cndmask_b32_e64 v9, v9, v96, s[50:51]
	;; [unrolled: 1-line block ×3, first 2 shown]
	v_pk_mul_f32 v[10:11], v[80:81], v[10:11] op_sel_hi:[0,1]
	v_cndmask_b32_e64 v9, v9, v97, s[52:53]
	v_cndmask_b32_e64 v28, v28, v27, s[56:57]
	;; [unrolled: 1-line block ×4, first 2 shown]
	v_pk_mul_f32 v[12:13], v[80:81], v[12:13] op_sel_hi:[0,1]
	v_cndmask_b32_e64 v9, v9, v11, s[56:57]
	v_pk_mul_f32 v[30:31], v[66:67], v[30:31] op_sel_hi:[0,1]
	v_cndmask_b32_e64 v28, v28, v83, s[60:61]
	v_cndmask_b32_e64 v9, v9, v12, s[58:59]
	;; [unrolled: 1-line block ×3, first 2 shown]
	v_pk_mul_f32 v[14:15], v[80:81], v[14:15] op_sel_hi:[0,1]
	v_cndmask_b32_e64 v9, v9, v13, s[60:61]
	v_cndmask_b32_e64 v28, v28, v31, s[66:67]
	;; [unrolled: 1-line block ×3, first 2 shown]
	ds_bpermute_b32 v122, v118, v81
	ds_bpermute_b32 v124, v118, v28
	v_cndmask_b32_e64 v9, v9, v15, s[66:67]
	ds_bpermute_b32 v125, v118, v9
	v_cmp_eq_u32_e64 s[70:71], 1, v113
	s_waitcnt lgkmcnt(2)
	v_cndmask_b32_e64 v6, v49, v122, s[64:65]
	v_cndmask_b32_e64 v7, v33, v123, s[64:65]
	;; [unrolled: 1-line block ×3, first 2 shown]
	s_waitcnt lgkmcnt(1)
	v_cndmask_b32_e64 v8, v17, v124, s[64:65]
	v_cmp_eq_u32_e64 s[64:65], 2, v113
	v_cndmask_b32_e64 v28, v63, v122, s[66:67]
	v_cndmask_b32_e64 v63, v47, v123, s[66:67]
	;; [unrolled: 1-line block ×4, first 2 shown]
	s_waitcnt lgkmcnt(0)
	v_cndmask_b32_e64 v98, v15, v125, s[66:67]
	v_cmp_eq_u32_e64 s[66:67], 3, v113
	v_cndmask_b32_e64 v29, v62, v122, s[62:63]
	v_cndmask_b32_e64 v62, v46, v123, s[62:63]
	v_cndmask_b32_e64 v9, v9, v78, s[66:67]
	v_cndmask_b32_e64 v89, v30, v124, s[62:63]
	v_cndmask_b32_e64 v99, v14, v125, s[62:63]
	v_cmp_eq_u32_e64 s[62:63], 4, v113
	v_cndmask_b32_e64 v30, v61, v122, s[60:61]
	v_cndmask_b32_e64 v61, v45, v123, s[60:61]
	v_cndmask_b32_e64 v9, v9, v77, s[62:63]
	v_cndmask_b32_e64 v90, v83, v124, s[60:61]
	;; [unrolled: 6-line block ×5, first 2 shown]
	v_cndmask_b32_e64 v93, v25, v124, s[52:53]
	v_cndmask_b32_e64 v105, v97, v125, s[52:53]
	v_cmp_eq_u32_e64 s[52:53], 9, v113
	v_cndmask_b32_e64 v46, v56, v122, s[50:51]
	v_cndmask_b32_e64 v81, v40, v123, s[50:51]
	v_cndmask_b32_e64 v9, v9, v72, s[52:53]
	v_cndmask_b32_e64 v94, v24, v124, s[50:51]
	v_cndmask_b32_e64 v106, v96, v125, s[50:51]
	v_cmp_eq_u32_e64 s[50:51], 10, v113
	v_cndmask_b32_e64 v44, v58, v122, s[54:55]
	v_cndmask_b32_e64 v64, v42, v123, s[54:55]
	v_cndmask_b32_e64 v92, v26, v124, s[54:55]
	;; [unrolled: 6-line block ×5, first 2 shown]
	v_cndmask_b32_e64 v84, v36, v123, s[42:43]
	v_cndmask_b32_e64 v97, v20, v124, s[42:43]
	;; [unrolled: 1-line block ×3, first 2 shown]
	v_cmp_eq_u32_e64 s[42:43], 14, v113
	v_cndmask_b32_e64 v36, v51, v122, s[40:41]
	v_cndmask_b32_e64 v37, v35, v123, s[40:41]
	;; [unrolled: 1-line block ×5, first 2 shown]
	v_cmp_eq_u32_e64 s[40:41], 15, v113
	v_cndmask_b32_e64 v18, v18, v124, s[38:39]
	v_cndmask_b32_e64 v2, v2, v125, s[38:39]
	;; [unrolled: 1-line block ×3, first 2 shown]
	ds_bpermute_b32 v23, v118, v3
	v_cndmask_b32_e64 v96, v22, v124, s[46:47]
	v_cndmask_b32_e64 v49, v54, v122, s[46:47]
	;; [unrolled: 1-line block ×4, first 2 shown]
	s_waitcnt lgkmcnt(0)
	v_cndmask_b32_e64 v5, v68, v23, s[44:45]
	v_cndmask_b32_e64 v9, v69, v23, s[48:49]
	;; [unrolled: 1-line block ×4, first 2 shown]
	v_cmp_ne_u32_e64 s[38:39], 0, v107
	scratch_load_dword v107, off, off offset:52 ; 4-byte Folded Reload
	v_cndmask_b32_e64 v10, v70, v23, s[54:55]
	v_cndmask_b32_e64 v70, v1, v125, s[38:39]
	v_cmp_eq_u32_e64 s[38:39], 0, v113
	v_cndmask_b32_e64 v3, v65, v23, s[40:41]
	v_cndmask_b32_e64 v4, v67, v23, s[42:43]
	;; [unrolled: 1-line block ×15, first 2 shown]
	v_cndmask_b32_e32 v0, v23, v6, vcc
	v_cndmask_b32_e64 v0, v0, v68, s[6:7]
	v_cndmask_b32_e64 v0, v0, v36, s[8:9]
	;; [unrolled: 1-line block ×14, first 2 shown]
	ds_bpermute_b32 v122, v118, v0
	v_cndmask_b32_e32 v0, v38, v7, vcc
	v_cndmask_b32_e64 v0, v0, v69, s[6:7]
	v_cndmask_b32_e64 v0, v0, v37, s[8:9]
	v_cndmask_b32_e64 v0, v0, v84, s[10:11]
	v_cndmask_b32_e64 v0, v0, v112, s[12:13]
	v_cndmask_b32_e64 v0, v0, v83, s[14:15]
	v_cndmask_b32_e64 v0, v0, v82, s[16:17]
	v_cndmask_b32_e64 v0, v0, v81, s[18:19]
	v_cndmask_b32_e64 v0, v0, v80, s[20:21]
	v_cndmask_b32_e64 v0, v0, v64, s[22:23]
	v_cndmask_b32_e64 v0, v0, v43, s[74:75]
	v_cndmask_b32_e64 v0, v0, v60, s[76:77]
	v_cndmask_b32_e64 v0, v0, v61, s[78:79]
	v_cndmask_b32_e64 v0, v0, v62, s[80:81]
	v_cndmask_b32_e64 v54, v16, v124, s[36:37]
	v_cndmask_b32_e64 v0, v0, v63, s[34:35]
	ds_bpermute_b32 v123, v118, v0
	v_cndmask_b32_e32 v0, v54, v8, vcc
	v_cndmask_b32_e64 v0, v0, v18, s[6:7]
	v_cndmask_b32_e64 v0, v0, v52, s[8:9]
	;; [unrolled: 1-line block ×14, first 2 shown]
	ds_bpermute_b32 v124, v118, v0
	v_cndmask_b32_e32 v0, v71, v70, vcc
	v_cndmask_b32_e64 v0, v0, v2, s[6:7]
	v_cndmask_b32_e64 v0, v0, v53, s[8:9]
	;; [unrolled: 1-line block ×14, first 2 shown]
	ds_bpermute_b32 v125, v118, v0
	s_waitcnt lgkmcnt(2)
	v_cndmask_b32_e64 v48, v83, v123, s[14:15]
	scratch_load_dword v83, off, off offset:56 ; 4-byte Folded Reload
	s_waitcnt vmcnt(1)
	v_cmp_eq_u32_e64 s[36:37], 1, v107
	v_cndmask_b32_e64 v24, v28, v122, s[34:35]
	v_cndmask_b32_e64 v39, v63, v123, s[34:35]
	;; [unrolled: 1-line block ×3, first 2 shown]
	s_waitcnt lgkmcnt(1)
	v_cndmask_b32_e64 v55, v85, v124, s[34:35]
	s_waitcnt lgkmcnt(0)
	v_cndmask_b32_e64 v72, v98, v125, s[34:35]
	v_cmp_eq_u32_e64 s[34:35], 2, v107
	v_cmp_eq_u32_e64 s[88:89], 3, v107
	;; [unrolled: 1-line block ×3, first 2 shown]
	v_cndmask_b32_e64 v0, v0, v21, s[34:35]
	v_cndmask_b32_e64 v0, v0, v20, s[88:89]
	;; [unrolled: 1-line block ×3, first 2 shown]
	v_cmp_eq_u32_e64 s[94:95], 5, v107
	v_cmp_eq_u32_e64 s[96:97], 6, v107
	v_cndmask_b32_e64 v25, v29, v122, s[80:81]
	v_cndmask_b32_e64 v0, v0, v17, s[94:95]
	;; [unrolled: 1-line block ×8, first 2 shown]
	v_cmp_eq_u32_e64 s[22:23], 7, v107
	v_cndmask_b32_e64 v28, v33, v122, s[74:75]
	v_cndmask_b32_e64 v43, v43, v123, s[74:75]
	;; [unrolled: 1-line block ×5, first 2 shown]
	v_cmp_eq_u32_e64 s[74:75], 8, v107
	v_cndmask_b32_e64 v40, v62, v123, s[80:81]
	v_cndmask_b32_e64 v27, v31, v122, s[76:77]
	;; [unrolled: 1-line block ×7, first 2 shown]
	v_cmp_eq_u32_e64 s[18:19], 9, v107
	v_cndmask_b32_e64 v32, v47, v122, s[16:17]
	v_cndmask_b32_e64 v47, v82, v123, s[16:17]
	v_cndmask_b32_e64 v0, v0, v12, s[18:19]
	v_cndmask_b32_e64 v63, v95, v124, s[16:17]
	v_cndmask_b32_e64 v86, v108, v125, s[16:17]
	v_cmp_eq_u32_e64 s[16:17], 10, v107
	v_cndmask_b32_e64 v33, v49, v122, s[14:15]
	v_cndmask_b32_e64 v64, v96, v124, s[14:15]
	;; [unrolled: 1-line block ×4, first 2 shown]
	v_cmp_eq_u32_e64 s[14:15], 11, v107
	v_cndmask_b32_e64 v56, v89, v124, s[80:81]
	v_cndmask_b32_e64 v34, v111, v122, s[12:13]
	;; [unrolled: 1-line block ×6, first 2 shown]
	v_cmp_eq_u32_e64 s[12:13], 12, v107
	v_cmp_eq_u32_e64 s[84:85], 13, v107
	v_cndmask_b32_e64 v57, v90, v124, s[78:79]
	v_cndmask_b32_e64 v0, v0, v9, s[12:13]
	;; [unrolled: 1-line block ×7, first 2 shown]
	v_cmp_eq_u32_e64 s[10:11], 14, v107
	v_cndmask_b32_e64 v58, v91, v124, s[76:77]
	v_cndmask_b32_e64 v36, v36, v122, s[8:9]
	;; [unrolled: 1-line block ×6, first 2 shown]
	v_cmp_eq_u32_e64 s[8:9], 15, v107
	v_cndmask_b32_e64 v26, v30, v122, s[78:79]
	v_cndmask_b32_e64 v30, v45, v122, s[20:21]
	;; [unrolled: 1-line block ×4, first 2 shown]
	ds_bpermute_b32 v80, v118, v0
	v_cndmask_b32_e64 v92, v2, v125, s[6:7]
	v_cndmask_b32_e64 v37, v68, v122, s[6:7]
	v_cndmask_b32_e32 v53, v7, v123, vcc
	v_cndmask_b32_e64 v38, v38, v123, s[68:69]
	s_waitcnt lgkmcnt(0)
	v_cndmask_b32_e64 v2, v4, v80, s[10:11]
	v_cndmask_b32_e64 v4, v9, v80, s[12:13]
	;; [unrolled: 1-line block ×7, first 2 shown]
	v_cndmask_b32_e32 v19, v6, v122, vcc
	v_cndmask_b32_e64 v20, v23, v122, s[68:69]
	v_cndmask_b32_e64 v6, v20, v19, s[70:71]
	;; [unrolled: 1-line block ×19, first 2 shown]
	v_cndmask_b32_e32 v93, v70, v125, vcc
	v_cndmask_b32_e64 v70, v54, v124, s[68:69]
	ds_bpermute_b32 v54, v118, v6
	v_cndmask_b32_e64 v6, v38, v53, s[70:71]
	v_cndmask_b32_e64 v6, v6, v52, s[64:65]
	;; [unrolled: 1-line block ×15, first 2 shown]
	v_cndmask_b32_e32 v69, v8, v124, vcc
	v_cmp_eq_u32_e64 s[6:7], 0, v107
	v_cndmask_b32_e64 v6, v6, v39, s[40:41]
	v_cndmask_b32_e64 v0, v3, v80, s[8:9]
	;; [unrolled: 1-line block ×10, first 2 shown]
	ds_bpermute_b32 v80, v118, v6
	v_cndmask_b32_e64 v6, v70, v69, s[70:71]
	v_cndmask_b32_e64 v6, v6, v68, s[64:65]
	v_cndmask_b32_e64 v6, v6, v67, s[66:67]
	v_cndmask_b32_e64 v6, v6, v66, s[62:63]
	v_cndmask_b32_e64 v6, v6, v65, s[60:61]
	v_cndmask_b32_e64 v6, v6, v64, s[58:59]
	v_cndmask_b32_e64 v6, v6, v63, s[56:57]
	v_cndmask_b32_e64 v6, v6, v62, s[72:73]
	v_cndmask_b32_e64 v6, v6, v61, s[52:53]
	v_cndmask_b32_e64 v6, v6, v60, s[50:51]
	v_cndmask_b32_e64 v6, v6, v59, s[54:55]
	v_cndmask_b32_e64 v6, v6, v58, s[48:49]
	v_cndmask_b32_e64 v6, v6, v57, s[44:45]
	v_cndmask_b32_e64 v6, v6, v56, s[42:43]
	v_cndmask_b32_e64 v94, v71, v125, s[68:69]
	v_cndmask_b32_e64 v6, v6, v55, s[40:41]
	ds_bpermute_b32 v81, v118, v6
	v_cndmask_b32_e64 v6, v94, v93, s[70:71]
	v_cndmask_b32_e64 v6, v6, v92, s[64:65]
	v_cndmask_b32_e64 v6, v6, v91, s[66:67]
	v_cndmask_b32_e64 v6, v6, v90, s[62:63]
	v_cndmask_b32_e64 v6, v6, v89, s[60:61]
	v_cndmask_b32_e64 v6, v6, v87, s[58:59]
	v_cndmask_b32_e64 v6, v6, v86, s[56:57]
	v_cndmask_b32_e64 v78, v105, v125, s[20:21]
	v_cndmask_b32_e64 v6, v6, v79, s[72:73]
	v_cndmask_b32_e64 v6, v6, v78, s[52:53]
	v_cndmask_b32_e64 v6, v6, v77, s[50:51]
	v_cndmask_b32_e64 v75, v101, v125, s[76:77]
	v_cndmask_b32_e64 v6, v6, v76, s[54:55]
	v_cndmask_b32_e64 v74, v100, v125, s[78:79]
	v_cndmask_b32_e64 v6, v6, v75, s[48:49]
	v_cndmask_b32_e64 v73, v99, v125, s[80:81]
	v_cndmask_b32_e64 v6, v6, v74, s[44:45]
	v_cndmask_b32_e64 v6, v6, v73, s[42:43]
	v_cndmask_b32_e64 v6, v6, v72, s[40:41]
	ds_bpermute_b32 v82, v118, v6
	s_waitcnt vmcnt(0)
	v_cmp_eq_u32_e64 s[20:21], 1, v83
	v_cmp_eq_u32_e64 s[46:47], 2, v83
	s_waitcnt lgkmcnt(3)
	v_cndmask_b32_e64 v22, v25, v54, s[42:43]
	v_cndmask_b32_e64 v6, v1, v18, s[20:21]
	s_waitcnt lgkmcnt(0)
	v_cndmask_b32_e64 v95, v72, v82, s[40:41]
	v_cndmask_b32_e64 v6, v6, v17, s[46:47]
	;; [unrolled: 1-line block ×5, first 2 shown]
	v_cmp_eq_u32_e64 s[42:43], 3, v83
	v_cndmask_b32_e64 v21, v24, v54, s[40:41]
	v_cndmask_b32_e64 v39, v39, v80, s[40:41]
	;; [unrolled: 1-line block ×4, first 2 shown]
	v_cmp_eq_u32_e64 s[40:41], 4, v83
	v_cndmask_b32_e64 v97, v74, v82, s[44:45]
	v_cndmask_b32_e64 v24, v27, v54, s[48:49]
	;; [unrolled: 1-line block ×6, first 2 shown]
	v_cmp_eq_u32_e64 s[48:49], 5, v83
	v_cndmask_b32_e64 v25, v28, v54, s[54:55]
	v_cndmask_b32_e64 v43, v43, v80, s[54:55]
	;; [unrolled: 1-line block ×5, first 2 shown]
	v_cmp_eq_u32_e64 s[54:55], 6, v83
	v_cmp_eq_u32_e64 s[68:69], 7, v83
	;; [unrolled: 1-line block ×3, first 2 shown]
	v_cndmask_b32_e64 v6, v6, v13, s[54:55]
	v_cndmask_b32_e64 v6, v6, v12, s[68:69]
	v_cndmask_b32_e64 v101, v78, v82, s[52:53]
	v_cndmask_b32_e64 v6, v6, v11, s[76:77]
	v_cndmask_b32_e64 v28, v31, v54, s[72:73]
	v_cndmask_b32_e64 v46, v46, v80, s[72:73]
	v_cndmask_b32_e64 v78, v62, v81, s[72:73]
	v_cndmask_b32_e64 v120, v79, v82, s[72:73]
	v_cmp_eq_u32_e64 s[72:73], 9, v83
	v_cmp_eq_u32_e64 s[78:79], 10, v83
	;; [unrolled: 1-line block ×3, first 2 shown]
	v_cndmask_b32_e64 v6, v6, v10, s[72:73]
	v_cndmask_b32_e64 v6, v6, v9, s[78:79]
	;; [unrolled: 1-line block ×3, first 2 shown]
	v_cmp_eq_u32_e64 s[82:83], 12, v83
	v_cndmask_b32_e64 v23, v26, v54, s[44:45]
	v_cndmask_b32_e64 v26, v29, v54, s[50:51]
	;; [unrolled: 1-line block ×8, first 2 shown]
	v_cmp_eq_u32_e64 s[62:63], 13, v83
	v_cmp_eq_u32_e64 s[86:87], 14, v83
	;; [unrolled: 1-line block ×3, first 2 shown]
	v_cndmask_b32_e64 v6, v6, v3, s[62:63]
	v_cndmask_b32_e64 v6, v6, v2, s[86:87]
	;; [unrolled: 1-line block ×6, first 2 shown]
	ds_bpermute_b32 v36, v118, v6
	v_cndmask_b32_e64 v35, v19, v54, s[70:71]
	v_cndmask_b32_e64 v20, v20, v54, s[38:39]
	;; [unrolled: 1-line block ×4, first 2 shown]
	s_waitcnt lgkmcnt(0)
	v_cndmask_b32_e64 v7, v10, v36, s[72:73]
	v_cndmask_b32_e64 v10, v13, v36, s[54:55]
	;; [unrolled: 1-line block ×21, first 2 shown]
	ds_bpermute_b32 v112, v118, v16
	v_cndmask_b32_e64 v16, v54, v53, s[36:37]
	v_cndmask_b32_e64 v51, v51, v80, s[66:67]
	;; [unrolled: 1-line block ×25, first 2 shown]
	ds_bpermute_b32 v113, v118, v16
	v_cndmask_b32_e64 v16, v70, v69, s[36:37]
	v_cndmask_b32_e64 v67, v67, v81, s[66:67]
	;; [unrolled: 1-line block ×26, first 2 shown]
	ds_bpermute_b32 v114, v118, v16
	v_cndmask_b32_e64 v16, v126, v125, s[36:37]
	v_cndmask_b32_e64 v123, v91, v82, s[66:67]
	v_cndmask_b32_e64 v16, v16, v124, s[34:35]
	v_cndmask_b32_e64 v16, v16, v123, s[88:89]
	v_cndmask_b32_e64 v89, v89, v82, s[60:61]
	v_cndmask_b32_e64 v16, v16, v122, s[92:93]
	v_cndmask_b32_e64 v121, v87, v82, s[58:59]
	v_cndmask_b32_e64 v16, v16, v89, s[94:95]
	v_cndmask_b32_e64 v86, v86, v82, s[56:57]
	v_cndmask_b32_e64 v16, v16, v121, s[96:97]
	v_cndmask_b32_e64 v16, v16, v86, s[22:23]
	v_cndmask_b32_e64 v16, v16, v120, s[74:75]
	v_cndmask_b32_e64 v16, v16, v101, s[18:19]
	v_cndmask_b32_e64 v16, v16, v100, s[16:17]
	v_cndmask_b32_e64 v16, v16, v99, s[14:15]
	v_cndmask_b32_e64 v16, v16, v98, s[12:13]
	v_cndmask_b32_e64 v16, v16, v97, s[84:85]
	v_cndmask_b32_e64 v16, v16, v96, s[10:11]
	v_cndmask_b32_e64 v16, v16, v95, s[8:9]
	ds_bpermute_b32 v107, v118, v16
	v_cmp_eq_u32_e64 s[50:51], 0, v83
	v_cndmask_b32_e64 v6, v9, v36, s[78:79]
	v_cndmask_b32_e64 v9, v12, v36, s[68:69]
	;; [unrolled: 1-line block ×5, first 2 shown]
	v_cmp_eq_u32_e32 vcc, 1, v115
	v_cndmask_b32_e64 v8, v11, v36, s[76:77]
	v_cndmask_b32_e64 v11, v14, v36, s[48:49]
	;; [unrolled: 1-line block ×3, first 2 shown]
	v_cndmask_b32_e32 v16, v1, v15, vcc
	s_waitcnt lgkmcnt(3)
	v_cndmask_b32_e64 v21, v21, v112, s[8:9]
	s_waitcnt lgkmcnt(2)
	v_cndmask_b32_e64 v55, v39, v113, s[8:9]
	;; [unrolled: 2-line block ×4, first 2 shown]
	v_cmp_eq_u32_e64 s[8:9], 2, v115
	v_cndmask_b32_e64 v0, v0, v36, s[90:91]
	v_cndmask_b32_e64 v2, v2, v36, s[86:87]
	;; [unrolled: 1-line block ×10, first 2 shown]
	v_cmp_eq_u32_e64 s[10:11], 3, v115
	v_cmp_eq_u32_e64 s[44:45], 4, v115
	;; [unrolled: 1-line block ×3, first 2 shown]
	v_cndmask_b32_e64 v16, v16, v13, s[10:11]
	v_cndmask_b32_e64 v16, v16, v12, s[44:45]
	v_cndmask_b32_e64 v16, v16, v11, s[52:53]
	v_cmp_eq_u32_e64 s[56:57], 6, v115
	v_cmp_eq_u32_e64 s[58:59], 7, v115
	v_cmp_eq_u32_e64 s[60:61], 8, v115
	v_cndmask_b32_e64 v16, v16, v10, s[56:57]
	v_cndmask_b32_e64 v16, v16, v9, s[58:59]
	;; [unrolled: 1-line block ×3, first 2 shown]
	v_cmp_eq_u32_e64 s[64:65], 9, v115
	v_cmp_eq_u32_e64 s[70:71], 10, v115
	v_cndmask_b32_e64 v28, v28, v112, s[74:75]
	v_cndmask_b32_e64 v16, v16, v7, s[64:65]
	;; [unrolled: 1-line block ×6, first 2 shown]
	v_cmp_eq_u32_e64 s[74:75], 11, v115
	v_cmp_eq_u32_e64 s[66:67], 12, v115
	v_cndmask_b32_e64 v37, v23, v112, s[84:85]
	v_cndmask_b32_e64 v16, v16, v5, s[74:75]
	;; [unrolled: 1-line block ×6, first 2 shown]
	v_cmp_eq_u32_e64 s[84:85], 13, v115
	v_cndmask_b32_e64 v33, v33, v112, s[88:89]
	v_cndmask_b32_e64 v51, v51, v113, s[88:89]
	;; [unrolled: 1-line block ×5, first 2 shown]
	v_cmp_eq_u32_e64 s[88:89], 14, v115
	v_cndmask_b32_e64 v32, v32, v112, s[92:93]
	v_cndmask_b32_e64 v50, v50, v113, s[92:93]
	;; [unrolled: 1-line block ×5, first 2 shown]
	v_cmp_eq_u32_e64 s[92:93], 15, v115
	v_cndmask_b32_e64 v41, v27, v112, s[18:19]
	v_cndmask_b32_e64 v58, v42, v113, s[12:13]
	;; [unrolled: 1-line block ×3, first 2 shown]
	ds_bpermute_b32 v27, v118, v16
	v_cndmask_b32_e64 v31, v31, v112, s[94:95]
	v_cndmask_b32_e64 v49, v49, v113, s[94:95]
	;; [unrolled: 1-line block ×5, first 2 shown]
	v_cmp_eq_u32_e64 s[94:95], 0, v115
	v_cndmask_b32_e64 v42, v20, v112, s[6:7]
	v_cndmask_b32_e64 v38, v24, v112, s[12:13]
	;; [unrolled: 1-line block ×5, first 2 shown]
	s_waitcnt lgkmcnt(0)
	v_cndmask_b32_e64 v0, v0, v27, s[92:93]
	v_cndmask_b32_e64 v2, v2, v27, s[88:89]
	;; [unrolled: 1-line block ×14, first 2 shown]
	v_cndmask_b32_e32 v15, v15, v27, vcc
	v_cndmask_b32_e64 v27, v1, v27, s[94:95]
	v_cndmask_b32_e64 v1, v42, v35, s[20:21]
	;; [unrolled: 1-line block ×31, first 2 shown]
	ds_bpermute_b32 v107, v118, v1
	v_cndmask_b32_e64 v1, v65, v64, s[20:21]
	v_cndmask_b32_e64 v1, v1, v52, s[46:47]
	;; [unrolled: 1-line block ×23, first 2 shown]
	ds_bpermute_b32 v113, v118, v1
	v_cndmask_b32_e64 v1, v96, v95, s[20:21]
	v_cndmask_b32_e64 v1, v1, v94, s[46:47]
	;; [unrolled: 1-line block ×20, first 2 shown]
	ds_bpermute_b32 v114, v118, v1
	v_cndmask_b32_e64 v1, v126, v125, s[20:21]
	v_cndmask_b32_e64 v1, v1, v111, s[46:47]
	;; [unrolled: 1-line block ×14, first 2 shown]
	v_cmp_eq_u32_e64 s[6:7], 1, v117
	v_cndmask_b32_e64 v1, v1, v84, s[90:91]
	ds_bpermute_b32 v115, v118, v1
	v_cndmask_b32_e64 v1, v27, v15, s[6:7]
	v_cmp_eq_u32_e64 s[12:13], 2, v117
	v_cmp_eq_u32_e64 s[14:15], 3, v117
	;; [unrolled: 1-line block ×3, first 2 shown]
	v_cndmask_b32_e64 v1, v1, v14, s[12:13]
	v_cndmask_b32_e64 v1, v1, v13, s[14:15]
	;; [unrolled: 1-line block ×3, first 2 shown]
	v_cmp_eq_u32_e64 s[18:19], 5, v117
	v_cmp_eq_u32_e64 s[22:23], 6, v117
	s_waitcnt lgkmcnt(3)
	v_cndmask_b32_e64 v53, v40, v107, s[78:79]
	v_cndmask_b32_e64 v1, v1, v26, s[18:19]
	;; [unrolled: 1-line block ×3, first 2 shown]
	s_waitcnt lgkmcnt(2)
	v_cndmask_b32_e64 v78, v60, v113, s[78:79]
	s_waitcnt lgkmcnt(1)
	v_cndmask_b32_e64 v120, v76, v114, s[78:79]
	;; [unrolled: 2-line block ×3, first 2 shown]
	v_cmp_eq_u32_e64 s[78:79], 7, v117
	v_cndmask_b32_e64 v54, v41, v107, s[72:73]
	v_cndmask_b32_e64 v61, v61, v113, s[72:73]
	;; [unrolled: 1-line block ×5, first 2 shown]
	v_cmp_eq_u32_e64 s[72:73], 8, v117
	v_cndmask_b32_e64 v66, v55, v113, s[90:91]
	v_cndmask_b32_e64 v55, v28, v107, s[76:77]
	;; [unrolled: 1-line block ×6, first 2 shown]
	v_cmp_eq_u32_e64 s[76:77], 9, v117
	v_cmp_eq_u32_e64 s[34:35], 10, v117
	v_cmp_eq_u32_e64 s[36:37], 11, v117
	v_cndmask_b32_e64 v1, v1, v22, s[76:77]
	v_cndmask_b32_e64 v1, v1, v19, s[34:35]
	v_cndmask_b32_e64 v1, v1, v18, s[36:37]
	v_cmp_eq_u32_e64 s[38:39], 12, v117
	v_cndmask_b32_e64 v97, v71, v114, s[90:91]
	v_cndmask_b32_e64 v98, v72, v114, s[86:87]
	v_cndmask_b32_e64 v87, v63, v113, s[68:69]
	v_cndmask_b32_e64 v1, v1, v17, s[38:39]
	v_cndmask_b32_e64 v112, v32, v107, s[40:41]
	v_cndmask_b32_e64 v63, v50, v113, s[40:41]
	v_cndmask_b32_e64 v71, v92, v114, s[40:41]
	v_cndmask_b32_e64 v72, v109, v115, s[40:41]
	v_cmp_eq_u32_e64 s[40:41], 13, v117
	v_cndmask_b32_e64 v68, v57, v113, s[62:63]
	v_cndmask_b32_e64 v100, v74, v114, s[82:83]
	v_cndmask_b32_e64 v57, v30, v107, s[54:55]
	v_cndmask_b32_e64 v1, v1, v16, s[40:41]
	v_cndmask_b32_e64 v74, v33, v107, s[42:43]
	;; [unrolled: 9-line block ×3, first 2 shown]
	v_cmp_eq_u32_e64 s[46:47], 15, v117
	v_cndmask_b32_e64 v43, v21, v107, s[90:91]
	v_cndmask_b32_e64 v67, v56, v113, s[86:87]
	v_cndmask_b32_e64 v1, v1, v0, s[46:47]
	ds_bpermute_b32 v28, v118, v1
	v_cndmask_b32_e64 v56, v29, v107, s[68:69]
	v_cndmask_b32_e64 v69, v58, v113, s[82:83]
	;; [unrolled: 1-line block ×4, first 2 shown]
	s_waitcnt lgkmcnt(0)
	v_cndmask_b32_e64 v11, v17, v28, s[38:39]
	v_cndmask_b32_e64 v17, v14, v28, s[12:13]
	;; [unrolled: 1-line block ×3, first 2 shown]
	scratch_load_dword v95, off, off offset:68 ; 4-byte Folded Reload
	v_cndmask_b32_e64 v9, v2, v28, s[42:43]
	v_cndmask_b32_e64 v20, v18, v28, s[36:37]
	;; [unrolled: 1-line block ×8, first 2 shown]
	v_cmp_eq_u32_e64 s[20:21], 0, v117
	v_cndmask_b32_e64 v8, v0, v28, s[46:47]
	v_cndmask_b32_e64 v10, v16, v28, s[40:41]
	;; [unrolled: 1-line block ×10, first 2 shown]
	v_cndmask_b32_e32 v29, v28, v12, vcc
	v_cndmask_b32_e64 v29, v29, v3, s[8:9]
	v_cndmask_b32_e64 v29, v29, v74, s[10:11]
	;; [unrolled: 1-line block ×19, first 2 shown]
	ds_bpermute_b32 v42, v118, v29
	v_cndmask_b32_e32 v29, v16, v13, vcc
	v_cndmask_b32_e32 v32, v27, v15, vcc
	v_cndmask_b32_e64 v29, v29, v4, s[8:9]
	v_cndmask_b32_e64 v32, v32, v7, s[8:9]
	;; [unrolled: 1-line block ×13, first 2 shown]
	v_cndmask_b32_e32 v31, v19, v14, vcc
	v_cndmask_b32_e64 v32, v32, v108, s[52:53]
	v_cndmask_b32_e64 v105, v105, v115, s[68:69]
	;; [unrolled: 1-line block ×42, first 2 shown]
	ds_bpermute_b32 v29, v118, v29
	v_cndmask_b32_e64 v31, v31, v100, s[66:67]
	ds_bpermute_b32 v40, v118, v32
	v_cndmask_b32_e64 v31, v31, v99, s[84:85]
	v_cndmask_b32_e64 v31, v31, v98, s[88:89]
	;; [unrolled: 1-line block ×3, first 2 shown]
	ds_bpermute_b32 v31, v118, v31
	s_waitcnt lgkmcnt(2)
	v_cndmask_b32_e64 v37, v67, v29, s[88:89]
	v_cndmask_b32_e64 v38, v68, v29, s[84:85]
	s_waitcnt lgkmcnt(1)
	v_cndmask_b32_e64 v67, v104, v40, s[60:61]
	v_cndmask_b32_e64 v68, v105, v40, s[58:59]
	scratch_load_dwordx2 v[104:105], off, off offset:28 ; 8-byte Folded Reload
	s_waitcnt vmcnt(1)
	v_cmp_eq_u32_e64 s[48:49], 1, v95
	v_cmp_eq_u32_e64 s[50:51], 2, v95
	;; [unrolled: 1-line block ×3, first 2 shown]
	v_cndmask_b32_e64 v33, v0, v18, s[48:49]
	v_cndmask_b32_e64 v34, v33, v17, s[50:51]
	;; [unrolled: 1-line block ×3, first 2 shown]
	v_cmp_eq_u32_e64 s[62:63], 4, v95
	v_cndmask_b32_e64 v75, v46, v42, s[66:67]
	v_cndmask_b32_e64 v39, v69, v29, s[66:67]
	;; [unrolled: 1-line block ×3, first 2 shown]
	s_waitcnt lgkmcnt(0)
	v_cndmask_b32_e64 v35, v100, v31, s[66:67]
	v_cndmask_b32_e64 v51, v81, v40, s[66:67]
	v_cmp_eq_u32_e64 s[66:67], 5, v95
	v_cndmask_b32_e64 v59, v43, v42, s[92:93]
	v_cmp_eq_u32_e64 s[68:69], 6, v95
	v_cndmask_b32_e64 v43, v41, v26, s[66:67]
	v_cndmask_b32_e64 v62, v44, v42, s[88:89]
	;; [unrolled: 1-line block ×7, first 2 shown]
	v_cmp_eq_u32_e64 s[70:71], 7, v95
	v_cndmask_b32_e64 v36, v66, v29, s[92:93]
	v_cndmask_b32_e64 v73, v45, v42, s[84:85]
	;; [unrolled: 1-line block ×7, first 2 shown]
	v_cmp_eq_u32_e64 s[64:65], 8, v95
	v_cndmask_b32_e64 v79, v55, v42, s[60:61]
	v_cndmask_b32_e64 v55, v122, v31, s[60:61]
	v_cndmask_b32_e64 v46, v45, v23, s[64:65]
	v_cndmask_b32_e64 v45, v86, v29, s[60:61]
	v_cmp_eq_u32_e64 s[60:61], 9, v95
	v_cndmask_b32_e64 v76, v47, v42, s[74:75]
	v_cndmask_b32_e64 v86, v56, v42, s[58:59]
	v_cndmask_b32_e64 v47, v46, v22, s[60:61]
	v_cndmask_b32_e64 v46, v87, v29, s[58:59]
	v_cndmask_b32_e64 v56, v123, v31, s[58:59]
	v_cmp_eq_u32_e64 s[58:59], 10, v95
	v_cndmask_b32_e64 v87, v57, v42, s[56:57]
	;; [unrolled: 6-line block ×3, first 2 shown]
	v_cndmask_b32_e64 v41, v70, v29, s[74:75]
	v_cndmask_b32_e64 v81, v61, v20, s[56:57]
	v_cndmask_b32_e64 v80, v58, v42, s[52:53]
	v_cndmask_b32_e64 v61, v90, v29, s[52:53]
	v_cndmask_b32_e64 v58, v91, v31, s[52:53]
	v_cndmask_b32_e64 v70, v108, v40, s[52:53]
	v_cmp_eq_u32_e64 s[52:53], 12, v95
	v_cndmask_b32_e64 v64, v82, v40, s[74:75]
	v_cndmask_b32_e64 v82, v112, v42, s[44:45]
	v_cndmask_b32_e64 v83, v81, v11, s[52:53]
	v_cndmask_b32_e64 v81, v63, v29, s[44:45]
	v_cndmask_b32_e64 v63, v71, v31, s[44:45]
	v_cndmask_b32_e64 v71, v72, v40, s[44:45]
	v_cmp_eq_u32_e64 s[44:45], 13, v95
	;; [unrolled: 7-line block ×4, first 2 shown]
	v_cndmask_b32_e32 v91, v12, v42, vcc
	v_cndmask_b32_e32 v92, v13, v29, vcc
	v_cndmask_b32_e64 v3, v6, v8, s[8:9]
	ds_bpermute_b32 v90, v118, v3
	v_cndmask_b32_e32 v94, v15, v40, vcc
	v_cndmask_b32_e32 v93, v14, v31, vcc
	v_cndmask_b32_e64 v16, v16, v29, s[94:95]
	v_cndmask_b32_e64 v32, v97, v31, s[92:93]
	s_waitcnt lgkmcnt(0)
	v_cndmask_b32_e64 v12, v11, v90, s[52:53]
	v_cndmask_b32_e64 v11, v20, v90, s[56:57]
	;; [unrolled: 1-line block ×20, first 2 shown]
	ds_bpermute_b32 v21, v118, v3
	v_cndmask_b32_e64 v3, v2, v90, s[54:55]
	v_cndmask_b32_e64 v2, v17, v90, s[50:51]
	;; [unrolled: 1-line block ×4, first 2 shown]
	s_waitcnt lgkmcnt(0)
	v_cndmask_b32_e64 v17, v59, v21, s[46:47]
	v_cndmask_b32_e64 v42, v78, v21, s[76:77]
	;; [unrolled: 1-line block ×37, first 2 shown]
	ds_bpermute_b32 v80, v118, v20
	v_cndmask_b32_e64 v33, v98, v31, s[88:89]
	v_cndmask_b32_e64 v34, v99, v31, s[84:85]
	;; [unrolled: 1-line block ×4, first 2 shown]
	s_waitcnt lgkmcnt(0)
	v_cndmask_b32_e64 v31, v17, v80, s[8:9]
	v_cndmask_b32_e64 v17, v16, v92, s[6:7]
	;; [unrolled: 1-line block ×16, first 2 shown]
	ds_bpermute_b32 v17, v118, v17
	v_cndmask_b32_e64 v20, v76, v80, s[62:63]
	v_cndmask_b32_e64 v21, v75, v80, s[66:67]
	;; [unrolled: 1-line block ×4, first 2 shown]
	s_waitcnt lgkmcnt(0)
	v_cndmask_b32_e64 v76, v81, v17, s[16:17]
	v_cndmask_b32_e64 v81, v83, v17, s[12:13]
	;; [unrolled: 1-line block ×35, first 2 shown]
	v_cmp_eq_u32_e32 vcc, 0, v95
	v_cndmask_b32_e64 v16, v16, v36, s[8:9]
	v_cndmask_b32_e64 v5, v26, v90, s[66:67]
	v_cndmask_b32_e32 v0, v0, v90, vcc
	ds_bpermute_b32 v90, v118, v16
	v_cndmask_b32_e64 v26, v25, v80, s[58:59]
	v_cndmask_b32_e64 v25, v42, v80, s[60:61]
	;; [unrolled: 1-line block ×4, first 2 shown]
	s_waitcnt lgkmcnt(0)
	v_cndmask_b32_e64 v47, v36, v90, s[8:9]
	v_cndmask_b32_e64 v36, v82, v93, s[6:7]
	;; [unrolled: 1-line block ×18, first 2 shown]
	ds_bpermute_b32 v59, v118, v36
	v_cndmask_b32_e64 v18, v77, v80, s[50:51]
	v_cndmask_b32_e64 v17, v78, v80, s[48:49]
	v_cndmask_b32_e32 v16, v79, v80, vcc
	v_cndmask_b32_e64 v46, v37, v90, s[10:11]
	s_waitcnt lgkmcnt(0)
	v_cndmask_b32_e64 v80, v93, v59, s[6:7]
	v_cndmask_b32_e64 v82, v82, v59, s[20:21]
	;; [unrolled: 1-line block ×39, first 2 shown]
	ds_bpermute_b32 v85, v118, v32
	v_cndmask_b32_e64 v35, v60, v90, s[54:55]
	v_cndmask_b32_e64 v34, v81, v90, s[50:51]
	;; [unrolled: 1-line block ×3, first 2 shown]
	v_cndmask_b32_e32 v32, v87, v90, vcc
	s_waitcnt lgkmcnt(0)
	v_cndmask_b32_e64 v59, v52, v85, s[56:57]
	v_cndmask_b32_e64 v52, v86, v94, s[6:7]
	;; [unrolled: 1-line block ×18, first 2 shown]
	ds_bpermute_b32 v73, v118, v52
	v_cndmask_b32_e64 v60, v74, v85, s[52:53]
	v_cndmask_b32_e64 v57, v54, v85, s[60:61]
	;; [unrolled: 1-line block ×4, first 2 shown]
	s_waitcnt lgkmcnt(0)
	v_cndmask_b32_e64 v90, v94, v73, s[6:7]
	v_cndmask_b32_e64 v86, v86, v73, s[20:21]
	;; [unrolled: 1-line block ×32, first 2 shown]
	ds_bpermute_b32 v91, v118, v48
	v_readlane_b32 s6, v127, 30
	v_readlane_b32 s7, v127, 31
	;; [unrolled: 1-line block ×5, first 2 shown]
	v_cndmask_b32_e64 v62, v62, v85, s[10:11]
	v_cndmask_b32_e64 v58, v53, v85, s[58:59]
	;; [unrolled: 1-line block ×7, first 2 shown]
	v_cndmask_b32_e32 v48, v82, v85, vcc
	s_waitcnt lgkmcnt(0)
	v_cndmask_b32_e64 v79, v74, v91, s[8:9]
	v_cndmask_b32_e64 v78, v75, v91, s[10:11]
	;; [unrolled: 1-line block ×15, first 2 shown]
	v_cndmask_b32_e32 v64, v86, v91, vcc
	s_waitcnt vmcnt(0)
	v_lshl_add_u64 v[86:87], s[6:7], 0, v[104:105]
	s_mov_b64 s[6:7], 0
	s_mov_b32 s12, 0
	v_readlane_b32 s35, v127, 11
	v_readlane_b32 s37, v127, 13
	;; [unrolled: 1-line block ×10, first 2 shown]
                                        ; implicit-def: $sgpr8_sgpr9
	s_branch .LBB369_34
.LBB369_33:                             ;   in Loop: Header=BB369_34 Depth=2
	s_or_b64 exec, exec, s[10:11]
	s_and_b64 s[10:11], exec, s[8:9]
	s_or_b64 s[6:7], s[10:11], s[6:7]
	s_andn2_b64 exec, exec, s[6:7]
	s_cbranch_execz .LBB369_36
.LBB369_34:                             ;   Parent Loop BB369_7 Depth=1
                                        ; =>  This Inner Loop Header: Depth=2
	scratch_load_dword v80, off, off offset:4 ; 4-byte Folded Reload
	s_and_b32 s10, s12, 2
	s_and_b32 s11, s5, 24
	s_or_b32 s10, s11, s10
	s_or_b64 s[8:9], s[8:9], exec
	s_waitcnt vmcnt(0)
	v_or_b32_e32 v80, s10, v80
	v_add_u32_e32 v81, s99, v80
	v_cmp_gt_u32_e32 vcc, 32, v81
	s_and_saveexec_b64 s[10:11], vcc
	s_cbranch_execz .LBB369_33
; %bb.35:                               ;   in Loop: Header=BB369_34 Depth=2
	s_add_i32 s13, s12, 1
	s_set_gpr_idx_on s12, gpr_idx(SRC0)
	v_mov_b32_e32 v81, v0
	s_set_gpr_idx_off
	v_cvt_f16_f32_e32 v82, v81
	s_set_gpr_idx_on s13, gpr_idx(SRC0)
	v_mov_b32_e32 v81, v0
	s_set_gpr_idx_off
	v_cvt_f16_f32_sdwa v83, v81 dst_sel:WORD_1 dst_unused:UNUSED_PAD src0_sel:DWORD
	v_mul_lo_u32 v80, v80, s25
	v_ashrrev_i32_e32 v81, 31, v80
	v_lshl_add_u64 v[80:81], v[80:81], 1, v[86:87]
	v_or_b32_e32 v82, v83, v82
	;;#ASMSTART
	global_atomic_pk_add_f16 v[80:81], v82, off
	
	;;#ASMEND
	s_set_gpr_idx_on s12, gpr_idx(SRC0)
	v_mov_b32_e32 v82, v16
	s_set_gpr_idx_off
	v_cvt_f16_f32_e32 v84, v82
	s_set_gpr_idx_on s13, gpr_idx(SRC0)
	v_mov_b32_e32 v82, v16
	s_set_gpr_idx_off
	v_cvt_f16_f32_sdwa v85, v82 dst_sel:WORD_1 dst_unused:UNUSED_PAD src0_sel:DWORD
	v_lshl_add_u64 v[82:83], v[80:81], 0, 64
	s_mov_b64 s[14:15], 0x80
	s_add_i32 s5, s5, 4
	v_or_b32_e32 v84, v85, v84
	;;#ASMSTART
	global_atomic_pk_add_f16 v[82:83], v84, off
	
	;;#ASMEND
	s_set_gpr_idx_on s12, gpr_idx(SRC0)
	v_mov_b32_e32 v82, v32
	s_set_gpr_idx_off
	v_cvt_f16_f32_e32 v84, v82
	s_set_gpr_idx_on s13, gpr_idx(SRC0)
	v_mov_b32_e32 v82, v32
	s_set_gpr_idx_off
	v_cvt_f16_f32_sdwa v85, v82 dst_sel:WORD_1 dst_unused:UNUSED_PAD src0_sel:DWORD
	v_lshl_add_u64 v[82:83], v[80:81], 0, s[14:15]
	s_mov_b64 s[14:15], 0xc0
	v_or_b32_e32 v84, v85, v84
	;;#ASMSTART
	global_atomic_pk_add_f16 v[82:83], v84, off
	
	;;#ASMEND
	s_set_gpr_idx_on s12, gpr_idx(SRC0)
	v_mov_b32_e32 v82, v48
	s_set_gpr_idx_off
	v_cvt_f16_f32_e32 v84, v82
	s_set_gpr_idx_on s13, gpr_idx(SRC0)
	v_mov_b32_e32 v82, v48
	s_set_gpr_idx_off
	v_cvt_f16_f32_sdwa v85, v82 dst_sel:WORD_1 dst_unused:UNUSED_PAD src0_sel:DWORD
	v_lshl_add_u64 v[82:83], v[80:81], 0, s[14:15]
	s_mov_b64 s[14:15], 0x100
	v_lshl_add_u64 v[80:81], v[80:81], 0, s[14:15]
	v_or_b32_e32 v84, v85, v84
	;;#ASMSTART
	global_atomic_pk_add_f16 v[82:83], v84, off
	
	;;#ASMEND
	s_set_gpr_idx_on s12, gpr_idx(SRC0)
	v_mov_b32_e32 v82, v64
	s_set_gpr_idx_off
	v_cvt_f16_f32_e32 v82, v82
	s_set_gpr_idx_on s13, gpr_idx(SRC0)
	v_mov_b32_e32 v83, v64
	s_set_gpr_idx_off
	s_add_i32 s12, s12, 2
	v_cvt_f16_f32_sdwa v83, v83 dst_sel:WORD_1 dst_unused:UNUSED_PAD src0_sel:DWORD
	s_cmp_eq_u32 s12, 16
	s_cselect_b64 s[14:15], -1, 0
	s_andn2_b64 s[8:9], s[8:9], exec
	s_and_b64 s[14:15], s[14:15], exec
	s_or_b64 s[8:9], s[8:9], s[14:15]
	v_or_b32_e32 v82, v83, v82
	;;#ASMSTART
	global_atomic_pk_add_f16 v[80:81], v82, off
	
	;;#ASMEND
	s_branch .LBB369_33
.LBB369_36:                             ;   in Loop: Header=BB369_7 Depth=1
	s_or_b64 exec, exec, s[6:7]
	scratch_load_dword v102, off, off offset:36 ; 4-byte Folded Reload
	v_readlane_b32 s16, v127, 2
	v_readlane_b32 s14, v127, 0
	;; [unrolled: 1-line block ×13, first 2 shown]
.LBB369_37:                             ;   in Loop: Header=BB369_7 Depth=1
	v_readlane_b32 s6, v127, 25
	v_readlane_b32 s7, v127, 26
	s_or_b64 exec, exec, s[6:7]
.LBB369_38:                             ;   in Loop: Header=BB369_7 Depth=1
	s_or_saveexec_b64 s[0:1], s[0:1]
	v_readlane_b32 s48, v127, 23
	s_mov_b32 s13, s4
	v_readlane_b32 s49, v127, 24
	s_xor_b64 exec, exec, s[0:1]
	s_cbranch_execz .LBB369_47
; %bb.39:                               ;   in Loop: Header=BB369_7 Depth=1
	s_mul_i32 s12, s98, 5
	v_cmp_gt_i32_e32 vcc, s12, v119
	s_and_saveexec_b64 s[6:7], vcc
	s_cbranch_execz .LBB369_46
; %bb.40:                               ;   in Loop: Header=BB369_7 Depth=1
	scratch_load_dwordx2 v[0:1], off, off offset:72 ; 8-byte Folded Reload
	scratch_load_dwordx2 v[2:3], off, off offset:20 ; 8-byte Folded Reload
	s_mul_i32 s4, s68, s27
	s_ashr_i32 s5, s4, 31
	s_add_u32 s4, s18, s4
	s_addc_u32 s5, s19, s5
	s_ashr_i32 s8, s13, 31
	s_add_u32 s4, s4, s13
	s_addc_u32 s5, s5, s8
	s_waitcnt vmcnt(1)
	v_lshl_add_u64 v[0:1], s[4:5], 0, v[0:1]
	s_waitcnt vmcnt(0)
	v_lshl_add_u64 v[16:17], v[0:1], 0, v[2:3]
	s_mov_b64 s[4:5], 0
	s_branch .LBB369_42
.LBB369_41:                             ;   in Loop: Header=BB369_42 Depth=2
	s_or_b64 exec, exec, s[8:9]
	;;#ASMSTART
	s_waitcnt vmcnt(3)
	;;#ASMEND
	scratch_load_dword v20, off, off        ; 4-byte Folded Reload
	v_add_u32_e32 v119, s30, v119
	v_add_u32_e32 v88, s30, v18
	v_cmp_le_i32_e32 vcc, s12, v119
	s_or_b64 s[4:5], vcc, s[4:5]
	v_cmp_lt_i32_e32 vcc, 4, v88
	s_waitcnt vmcnt(0)
	v_lshl_or_b32 v20, v18, 12, v20
	ds_write2_b32 v20, v12, v13 offset1:32
	ds_write2_b32 v20, v14, v15 offset0:64 offset1:96
	v_add_u32_e32 v12, 0x400, v20
	;;#ASMSTART
	s_waitcnt vmcnt(2)
	;;#ASMEND
	ds_write2_b32 v12, v8, v9 offset1:32
	ds_write2_b32 v12, v10, v11 offset0:64 offset1:96
	v_add_u32_e32 v8, 0x800, v20
	;;#ASMSTART
	s_waitcnt vmcnt(1)
	;;#ASMEND
	ds_write2_b32 v8, v4, v5 offset1:32
	ds_write2_b32 v8, v6, v7 offset0:64 offset1:96
	v_add_u32_e32 v4, 0xc00, v20
	;;#ASMSTART
	s_waitcnt vmcnt(0)
	;;#ASMEND
	ds_write2_b32 v4, v0, v1 offset1:32
	ds_write2_b32 v4, v2, v3 offset0:64 offset1:96
	v_add_u32_e32 v0, 1, v103
	ds_write_b32 v19, v0 offset:16
	v_add_u32_e32 v0, 2, v103
	v_cndmask_b32_e32 v103, v103, v0, vcc
	s_andn2_b64 exec, exec, s[4:5]
	s_cbranch_execz .LBB369_45
.LBB369_42:                             ;   Parent Loop BB369_7 Depth=1
                                        ; =>  This Loop Header: Depth=2
                                        ;       Child Loop BB369_44 Depth 3
	v_cmp_gt_i32_e32 vcc, 5, v88
	s_mov_b32 s8, 0x66666667
	s_nop 0
	v_cndmask_b32_e64 v0, -5, 0, vcc
	v_add_u32_e32 v18, v0, v88
	v_mul_hi_i32 v0, v119, s8
	v_lshrrev_b32_e32 v1, 31, v0
	v_ashrrev_i32_e32 v0, 1, v0
	v_add_u32_e32 v0, v0, v1
	v_lshl_add_u32 v1, v0, 2, v0
	v_sub_u32_e32 v2, v119, v1
	v_lshlrev_b32_e32 v0, 7, v0
	v_ashrrev_i32_e32 v1, 31, v0
	v_mul_lo_u32 v2, s33, v2
	v_lshl_add_u64 v[0:1], v[16:17], 0, v[0:1]
	v_ashrrev_i32_e32 v3, 31, v2
	v_lshl_add_u64 v[0:1], v[0:1], 0, v[2:3]
	v_lshlrev_b32_e32 v19, 2, v18
	;;#ASMSTART
	global_load_dwordx4 v[12:15], v[0:1], off offset:0   sc0 sc1 nt  
	global_load_dwordx4 v[8:11], v[0:1], off offset:32  sc0 sc1 nt  
	global_load_dwordx4 v[4:7], v[0:1], off offset:64  sc0 sc1 nt  
	;; [unrolled: 1-line block ×3, first 2 shown]
	
	;;#ASMEND
	ds_read_b32 v20, v19 offset:36880
	v_add_u32_e32 v19, 0x9000, v19
	s_waitcnt lgkmcnt(0)
	v_cmp_ne_u32_e32 vcc, v20, v103
	s_and_saveexec_b64 s[8:9], vcc
	s_cbranch_execz .LBB369_41
; %bb.43:                               ;   in Loop: Header=BB369_42 Depth=2
	s_mov_b64 s[10:11], 0
.LBB369_44:                             ;   Parent Loop BB369_7 Depth=1
                                        ;     Parent Loop BB369_42 Depth=2
                                        ; =>    This Inner Loop Header: Depth=3
	;;#ASMSTART
	s_sleep 0
	;;#ASMEND
	ds_read_b32 v20, v19 offset:16
	s_waitcnt lgkmcnt(0)
	v_cmp_eq_u32_e32 vcc, v20, v103
	s_or_b64 s[10:11], vcc, s[10:11]
	s_andn2_b64 exec, exec, s[10:11]
	s_cbranch_execnz .LBB369_44
	s_branch .LBB369_41
.LBB369_45:                             ;   in Loop: Header=BB369_7 Depth=1
	s_or_b64 exec, exec, s[4:5]
.LBB369_46:                             ;   in Loop: Header=BB369_7 Depth=1
	s_or_b64 exec, exec, s[6:7]
	v_subrev_u32_e32 v119, s12, v119
.LBB369_47:                             ;   in Loop: Header=BB369_7 Depth=1
	s_or_b64 exec, exec, s[0:1]
.LBB369_48:                             ;   in Loop: Header=BB369_7 Depth=1
	s_andn2_saveexec_b64 s[0:1], s[48:49]
	s_cbranch_execz .LBB369_6
; %bb.49:                               ;   in Loop: Header=BB369_7 Depth=1
	s_lshl_b32 s12, s98, 2
	v_cmp_gt_i32_e32 vcc, s12, v119
	s_and_saveexec_b64 s[4:5], vcc
	s_cbranch_execz .LBB369_5
; %bb.50:                               ;   in Loop: Header=BB369_7 Depth=1
	scratch_load_dwordx2 v[4:5], off, off offset:20 ; 8-byte Folded Reload
	s_mul_i32 s6, s47, s26
	s_ashr_i32 s7, s6, 31
	s_add_u32 s6, s16, s6
	s_addc_u32 s7, s17, s7
	s_ashr_i32 s8, s13, 31
	s_add_u32 s6, s6, s13
	s_addc_u32 s7, s7, s8
	s_waitcnt vmcnt(1)
	v_add_u32_e32 v2, s99, v102
	s_movk_i32 s8, 0x80
	v_mul_lo_u32 v0, s26, v102
	v_cmp_gt_u32_e32 vcc, s8, v2
	v_sub_u32_e32 v18, 0x7f, v2
	s_nop 0
	v_cndmask_b32_e32 v0, 0, v0, vcc
	v_ashrrev_i32_e32 v1, 31, v0
	v_lshl_add_u64 v[0:1], s[6:7], 0, v[0:1]
	s_mov_b64 s[6:7], 0
	s_waitcnt vmcnt(0)
	v_lshl_add_u64 v[16:17], v[0:1], 0, v[4:5]
	s_branch .LBB369_52
.LBB369_51:                             ;   in Loop: Header=BB369_52 Depth=2
	s_or_b64 exec, exec, s[8:9]
	v_lshl_add_u32 v21, v19, 12, v116
	;;#ASMSTART
	s_waitcnt vmcnt(3)
	;;#ASMEND
	ds_write2_b32 v21, v12, v13 offset1:32
	ds_write2_b32 v21, v14, v15 offset0:64 offset1:96
	v_add_u32_e32 v12, 0x400, v21
	;;#ASMSTART
	s_waitcnt vmcnt(2)
	;;#ASMEND
	ds_write2_b32 v12, v8, v9 offset1:32
	ds_write2_b32 v12, v10, v11 offset0:64 offset1:96
	v_add_u32_e32 v8, 0x800, v21
	;; [unrolled: 6-line block ×3, first 2 shown]
	v_add_u32_e32 v119, s29, v119
	;;#ASMSTART
	s_waitcnt vmcnt(0)
	;;#ASMEND
	ds_write2_b32 v4, v0, v1 offset1:32
	ds_write2_b32 v4, v2, v3 offset0:64 offset1:96
	v_add_u32_e32 v0, 1, v103
	v_add_u32_e32 v88, s29, v19
	v_cmp_le_i32_e32 vcc, s12, v119
	ds_write_b32 v20, v0
	v_add_u32_e32 v0, 2, v103
	s_or_b64 s[6:7], vcc, s[6:7]
	v_cmp_lt_i32_e32 vcc, 3, v88
	s_nop 1
	v_cndmask_b32_e32 v103, v103, v0, vcc
	s_andn2_b64 exec, exec, s[6:7]
	s_cbranch_execz .LBB369_4
.LBB369_52:                             ;   Parent Loop BB369_7 Depth=1
                                        ; =>  This Loop Header: Depth=2
                                        ;       Child Loop BB369_54 Depth 3
	v_cmp_gt_i32_e32 vcc, 4, v88
	s_nop 1
	v_cndmask_b32_e64 v0, -4, 0, vcc
	v_add_u32_e32 v19, v0, v88
	v_ashrrev_i32_e32 v0, 31, v119
	v_lshrrev_b32_e32 v0, 30, v0
	v_add_u32_e32 v0, v119, v0
	v_and_b32_e32 v1, 0x7fffffc, v0
	v_sub_u32_e32 v1, v119, v1
	v_lshlrev_b32_e32 v1, 5, v1
	v_cmp_le_i32_e32 vcc, v1, v18
	v_lshlrev_b32_e32 v0, 5, v0
	v_and_b32_e32 v0, 0xffffff80, v0
	v_cndmask_b32_e32 v2, 0, v1, vcc
	v_ashrrev_i32_e32 v1, 31, v0
	v_mul_lo_u32 v2, v2, s26
	v_lshl_add_u64 v[0:1], v[16:17], 0, v[0:1]
	v_ashrrev_i32_e32 v3, 31, v2
	v_lshl_add_u64 v[0:1], v[0:1], 0, v[2:3]
	v_lshlrev_b32_e32 v20, 2, v19
	;;#ASMSTART
	global_load_dwordx4 v[12:15], v[0:1], off offset:0   
	global_load_dwordx4 v[8:11], v[0:1], off offset:32  
	;; [unrolled: 1-line block ×4, first 2 shown]
	
	;;#ASMEND
	ds_read_b32 v21, v20 offset:36864
	v_add_u32_e32 v20, 0x9000, v20
	s_waitcnt lgkmcnt(0)
	v_cmp_ne_u32_e32 vcc, v21, v103
	s_and_saveexec_b64 s[8:9], vcc
	s_cbranch_execz .LBB369_51
; %bb.53:                               ;   in Loop: Header=BB369_52 Depth=2
	s_mov_b64 s[10:11], 0
.LBB369_54:                             ;   Parent Loop BB369_7 Depth=1
                                        ;     Parent Loop BB369_52 Depth=2
                                        ; =>    This Inner Loop Header: Depth=3
	;;#ASMSTART
	s_sleep 0
	;;#ASMEND
	ds_read_b32 v21, v20
	s_waitcnt lgkmcnt(0)
	v_cmp_eq_u32_e32 vcc, v21, v103
	s_or_b64 s[10:11], vcc, s[10:11]
	s_andn2_b64 exec, exec, s[10:11]
	s_cbranch_execnz .LBB369_54
	s_branch .LBB369_51
.LBB369_55:
	s_endpgm
	.section	.rodata,"a",@progbits
	.p2align	6, 0x0
	.amdhsa_kernel _Z19_skinny_gemm_kernelILi4ELi5ELi1ELi32ELi8EEvPKhS1_P6__halfPKfiiiiiiii
		.amdhsa_group_segment_fixed_size 36900
		.amdhsa_private_segment_fixed_size 84
		.amdhsa_kernarg_size 64
		.amdhsa_user_sgpr_count 2
		.amdhsa_user_sgpr_dispatch_ptr 0
		.amdhsa_user_sgpr_queue_ptr 0
		.amdhsa_user_sgpr_kernarg_segment_ptr 1
		.amdhsa_user_sgpr_dispatch_id 0
		.amdhsa_user_sgpr_kernarg_preload_length 0
		.amdhsa_user_sgpr_kernarg_preload_offset 0
		.amdhsa_user_sgpr_private_segment_size 0
		.amdhsa_uses_dynamic_stack 0
		.amdhsa_enable_private_segment 1
		.amdhsa_system_sgpr_workgroup_id_x 1
		.amdhsa_system_sgpr_workgroup_id_y 0
		.amdhsa_system_sgpr_workgroup_id_z 0
		.amdhsa_system_sgpr_workgroup_info 0
		.amdhsa_system_vgpr_workitem_id 0
		.amdhsa_next_free_vgpr 128
		.amdhsa_next_free_sgpr 100
		.amdhsa_accum_offset 128
		.amdhsa_reserve_vcc 1
		.amdhsa_float_round_mode_32 0
		.amdhsa_float_round_mode_16_64 0
		.amdhsa_float_denorm_mode_32 3
		.amdhsa_float_denorm_mode_16_64 3
		.amdhsa_dx10_clamp 1
		.amdhsa_ieee_mode 1
		.amdhsa_fp16_overflow 0
		.amdhsa_tg_split 0
		.amdhsa_exception_fp_ieee_invalid_op 0
		.amdhsa_exception_fp_denorm_src 0
		.amdhsa_exception_fp_ieee_div_zero 0
		.amdhsa_exception_fp_ieee_overflow 0
		.amdhsa_exception_fp_ieee_underflow 0
		.amdhsa_exception_fp_ieee_inexact 0
		.amdhsa_exception_int_div_zero 0
	.end_amdhsa_kernel
	.section	.text._Z19_skinny_gemm_kernelILi4ELi5ELi1ELi32ELi8EEvPKhS1_P6__halfPKfiiiiiiii,"axG",@progbits,_Z19_skinny_gemm_kernelILi4ELi5ELi1ELi32ELi8EEvPKhS1_P6__halfPKfiiiiiiii,comdat
.Lfunc_end369:
	.size	_Z19_skinny_gemm_kernelILi4ELi5ELi1ELi32ELi8EEvPKhS1_P6__halfPKfiiiiiiii, .Lfunc_end369-_Z19_skinny_gemm_kernelILi4ELi5ELi1ELi32ELi8EEvPKhS1_P6__halfPKfiiiiiiii
                                        ; -- End function
	.set _Z19_skinny_gemm_kernelILi4ELi5ELi1ELi32ELi8EEvPKhS1_P6__halfPKfiiiiiiii.num_vgpr, 128
	.set _Z19_skinny_gemm_kernelILi4ELi5ELi1ELi32ELi8EEvPKhS1_P6__halfPKfiiiiiiii.num_agpr, 0
	.set _Z19_skinny_gemm_kernelILi4ELi5ELi1ELi32ELi8EEvPKhS1_P6__halfPKfiiiiiiii.numbered_sgpr, 100
	.set _Z19_skinny_gemm_kernelILi4ELi5ELi1ELi32ELi8EEvPKhS1_P6__halfPKfiiiiiiii.num_named_barrier, 0
	.set _Z19_skinny_gemm_kernelILi4ELi5ELi1ELi32ELi8EEvPKhS1_P6__halfPKfiiiiiiii.private_seg_size, 84
	.set _Z19_skinny_gemm_kernelILi4ELi5ELi1ELi32ELi8EEvPKhS1_P6__halfPKfiiiiiiii.uses_vcc, 1
	.set _Z19_skinny_gemm_kernelILi4ELi5ELi1ELi32ELi8EEvPKhS1_P6__halfPKfiiiiiiii.uses_flat_scratch, 0
	.set _Z19_skinny_gemm_kernelILi4ELi5ELi1ELi32ELi8EEvPKhS1_P6__halfPKfiiiiiiii.has_dyn_sized_stack, 0
	.set _Z19_skinny_gemm_kernelILi4ELi5ELi1ELi32ELi8EEvPKhS1_P6__halfPKfiiiiiiii.has_recursion, 0
	.set _Z19_skinny_gemm_kernelILi4ELi5ELi1ELi32ELi8EEvPKhS1_P6__halfPKfiiiiiiii.has_indirect_call, 0
	.section	.AMDGPU.csdata,"",@progbits
; Kernel info:
; codeLenInByte = 17552
; TotalNumSgprs: 106
; NumVgprs: 128
; NumAgprs: 0
; TotalNumVgprs: 128
; ScratchSize: 84
; MemoryBound: 0
; FloatMode: 240
; IeeeMode: 1
; LDSByteSize: 36900 bytes/workgroup (compile time only)
; SGPRBlocks: 13
; VGPRBlocks: 15
; NumSGPRsForWavesPerEU: 106
; NumVGPRsForWavesPerEU: 128
; AccumOffset: 128
; Occupancy: 4
; WaveLimiterHint : 0
; COMPUTE_PGM_RSRC2:SCRATCH_EN: 1
; COMPUTE_PGM_RSRC2:USER_SGPR: 2
; COMPUTE_PGM_RSRC2:TRAP_HANDLER: 0
; COMPUTE_PGM_RSRC2:TGID_X_EN: 1
; COMPUTE_PGM_RSRC2:TGID_Y_EN: 0
; COMPUTE_PGM_RSRC2:TGID_Z_EN: 0
; COMPUTE_PGM_RSRC2:TIDIG_COMP_CNT: 0
; COMPUTE_PGM_RSRC3_GFX90A:ACCUM_OFFSET: 31
; COMPUTE_PGM_RSRC3_GFX90A:TG_SPLIT: 0
	.section	.text._Z19_skinny_gemm_kernelILi4ELi5ELi2ELi16ELi4EEvPKhS1_P6__halfPKfiiiiiiii,"axG",@progbits,_Z19_skinny_gemm_kernelILi4ELi5ELi2ELi16ELi4EEvPKhS1_P6__halfPKfiiiiiiii,comdat
	.protected	_Z19_skinny_gemm_kernelILi4ELi5ELi2ELi16ELi4EEvPKhS1_P6__halfPKfiiiiiiii ; -- Begin function _Z19_skinny_gemm_kernelILi4ELi5ELi2ELi16ELi4EEvPKhS1_P6__halfPKfiiiiiiii
	.globl	_Z19_skinny_gemm_kernelILi4ELi5ELi2ELi16ELi4EEvPKhS1_P6__halfPKfiiiiiiii
	.p2align	8
	.type	_Z19_skinny_gemm_kernelILi4ELi5ELi2ELi16ELi4EEvPKhS1_P6__halfPKfiiiiiiii,@function
_Z19_skinny_gemm_kernelILi4ELi5ELi2ELi16ELi4EEvPKhS1_P6__halfPKfiiiiiiii: ; @_Z19_skinny_gemm_kernelILi4ELi5ELi2ELi16ELi4EEvPKhS1_P6__halfPKfiiiiiiii
; %bb.0:
	v_cmp_gt_u32_e32 vcc, 18, v0
	v_lshlrev_b32_e32 v1, 2, v0
	s_and_saveexec_b64 s[4:5], vcc
; %bb.1:
	v_mov_b32_e32 v2, 0
	ds_write_b32 v1, v2 offset:36864
; %bb.2:
	s_or_b64 exec, exec, s[4:5]
	s_load_dwordx8 s[20:27], s[0:1], 0x20
	s_mov_b32 s56, 0x66666667
	s_waitcnt lgkmcnt(0)
	s_barrier
	s_add_i32 s3, s20, 63
	s_ashr_i32 s5, s3, 31
	s_lshr_b32 s5, s5, 26
	s_add_i32 s4, s21, 0x4f
	s_add_i32 s3, s3, s5
	s_ashr_i32 s33, s3, 6
	s_mul_hi_i32 s3, s4, 0x66666667
	s_lshr_b32 s4, s3, 31
	s_ashr_i32 s54, s3, 5
	s_add_i32 s54, s54, s4
	s_mul_i32 s3, s54, s33
	s_mul_i32 s3, s3, s24
	s_add_i32 s4, s3, 0x12f
	s_mul_hi_i32 s4, s4, 0x6bca1af3
	s_lshr_b32 s5, s4, 31
	s_ashr_i32 s4, s4, 7
	s_add_i32 s4, s4, s5
	s_add_i32 s5, s2, 1
	s_mul_i32 s5, s4, s5
	v_cvt_f64_i32_e32 v[2:3], s3
	v_cvt_f64_u32_e32 v[4:5], s5
	v_min_f64 v[2:3], v[2:3], v[4:5]
	v_cvt_i32_f64_e32 v14, v[2:3]
	s_mul_i32 s55, s4, s2
	v_cmp_ge_i32_e32 vcc, s55, v14
	s_cbranch_vccnz .LBB370_69
; %bb.3:
	v_lshrrev_b32_e32 v2, 6, v0
	s_add_i32 s4, s26, s25
	s_load_dwordx8 s[36:43], s[0:1], 0x0
	v_cmp_le_i32_e64 s[0:1], s4, v2
	v_mov_b32_e32 v3, s25
	v_cmp_le_i32_e64 s[2:3], s25, v2
	v_mov_b32_e32 v4, s26
	v_cndmask_b32_e64 v4, 0, v4, s[0:1]
	v_cndmask_b32_e64 v3, 0, v3, s[2:3]
	s_abs_i32 s5, s24
	v_add_u32_e32 v3, v3, v4
	v_cvt_f32_u32_e32 v4, s5
	v_sub_u32_e32 v88, v2, v3
	s_ashr_i32 s6, s22, 31
	s_lshr_b32 s6, s6, 25
	v_rcp_iflag_f32_e32 v3, v4
	s_sub_i32 s9, 0, s5
	s_add_i32 s6, s22, s6
	s_ashr_i32 s6, s6, 7
	v_mul_f32_e32 v3, 0x4f7ffffe, v3
	v_cvt_u32_f32_e32 v3, v3
	s_abs_i32 s8, s6
	s_xor_b32 s7, s6, s24
	s_ashr_i32 s7, s7, 31
	v_readfirstlane_b32 s10, v3
	s_mul_i32 s9, s9, s10
	s_mul_hi_u32 s9, s10, s9
	s_add_i32 s10, s10, s9
	s_mul_hi_u32 s9, s8, s10
	s_mul_i32 s10, s9, s5
	s_sub_i32 s8, s8, s10
	s_add_i32 s10, s9, 1
	s_sub_i32 s11, s8, s5
	s_cmp_ge_u32 s8, s5
	s_cselect_b32 s9, s10, s9
	s_cselect_b32 s8, s11, s8
	s_add_i32 s10, s9, 1
	s_cmp_ge_u32 s8, s5
	s_cselect_b32 s5, s10, s9
	s_xor_b32 s5, s5, s7
	s_sub_i32 s57, s5, s7
	s_add_i32 s24, s24, -1
	s_mul_i32 s5, s57, s24
	s_add_i32 s4, s4, s27
	s_sub_i32 s58, s6, s5
	v_cmp_gt_i32_e64 s[4:5], s4, v2
	v_lshlrev_b32_e32 v2, 1, v0
	v_lshlrev_b32_e32 v3, 4, v0
	v_and_b32_e32 v1, 60, v1
	v_and_b32_e32 v2, 64, v2
	;; [unrolled: 1-line block ×3, first 2 shown]
	v_or3_b32 v85, v1, v2, v4
	v_and_b32_e32 v6, 14, v0
	v_and_b32_e32 v1, 1, v0
	v_lshrrev_b32_e32 v4, 2, v0
	v_lshlrev_b32_e32 v2, 1, v1
	v_bitop3_b32 v5, v0, 1, v0 bitop3:0xc
	v_and_or_b32 v1, v4, 12, v1
	v_mov_b32_e32 v4, v6
	scratch_store_dword off, v5, off offset:20 ; 4-byte Folded Spill
	scratch_store_dwordx2 off, v[4:5], off offset:32 ; 8-byte Folded Spill
	scratch_store_dword off, v1, off offset:24 ; 4-byte Folded Spill
	v_mad_u64_u32 v[4:5], s[6:7], s21, v1, v[6:7]
	v_ashrrev_i32_e32 v5, 31, v4
	s_lshl_b32 s6, s21, 4
	scratch_store_dwordx2 off, v[4:5], off offset:64 ; 8-byte Folded Spill
	v_add_u32_e32 v4, s6, v4
	v_ashrrev_i32_e32 v5, 31, v4
	scratch_store_dwordx2 off, v[4:5], off offset:72 ; 8-byte Folded Spill
	v_add_u32_e32 v4, s6, v4
	v_ashrrev_i32_e32 v5, 31, v4
	scratch_store_dwordx2 off, v[4:5], off offset:80 ; 8-byte Folded Spill
	v_add_u32_e32 v4, s6, v4
	s_abs_i32 s59, s33
	v_ashrrev_i32_e32 v5, 31, v4
	v_and_b32_e32 v16, 48, v3
	v_bfe_u32 v15, v0, 2, 4
	v_cvt_f32_u32_e32 v3, s59
	scratch_store_dwordx2 off, v[4:5], off offset:88 ; 8-byte Folded Spill
	v_mul_lo_u32 v4, s23, v15
	v_ashrrev_i32_e32 v5, 31, v4
	v_sub_u32_e32 v2, v0, v2
	v_bitop3_b32 v82, v0, 3, 1 bitop3:0x6c
	scratch_store_dwordx2 off, v[4:5], off offset:52 ; 8-byte Folded Spill
	v_and_b32_e32 v1, 60, v0
	v_lshlrev_b32_e32 v4, 8, v0
	v_lshlrev_b32_e32 v0, 6, v0
	v_and_b32_e32 v4, 0x200, v4
	v_rcp_iflag_f32_e32 v3, v3
	v_and_b32_e32 v0, 64, v0
	s_abs_i32 s61, s54
	v_or3_b32 v92, v1, v4, v0
	v_cvt_f32_u32_e32 v1, s61
	v_mul_f32_e32 v0, 0x4f7ffffe, v3
	v_cvt_u32_f32_e32 v0, v0
	s_sub_i32 s6, 0, s59
	v_rcp_iflag_f32_e32 v1, v1
	v_add_u32_e32 v2, 1, v2
	v_readfirstlane_b32 s7, v0
	s_mul_i32 s6, s6, s7
	v_mul_f32_e32 v0, 0x4f7ffffe, v1
	v_cvt_u32_f32_e32 v0, v0
	s_mul_hi_u32 s6, s7, s6
	s_add_i32 s63, s7, s6
	s_sub_i32 s6, 0, s61
	v_readfirstlane_b32 s7, v0
	v_mbcnt_lo_u32_b32 v0, -1, 0
	v_and_b32_e32 v2, 63, v2
	s_mul_i32 s6, s6, s7
	v_mbcnt_hi_u32_b32 v0, -1, v0
	s_mul_hi_u32 s6, s7, s6
	v_and_or_b32 v0, v0, 64, v2
	v_cndmask_b32_e64 v84, 0, 1, s[0:1]
	s_ashr_i32 s29, s21, 31
	s_mov_b32 s28, s21
	v_mov_b32_e32 v17, 0
	s_lshl_b32 s60, s23, 4
	s_ashr_i32 s62, s33, 31
	s_ashr_i32 s64, s54, 31
	s_add_i32 s65, s7, s6
	s_movk_i32 s66, 0x2800
	s_mov_b64 s[30:31], 0x60
	s_mov_b64 s[34:35], 0x80
	v_lshlrev_b32_e32 v93, 2, v0
	v_mov_b32_e32 v90, v88
	scratch_store_dword off, v14, off offset:28 ; 4-byte Folded Spill
	scratch_store_dword off, v82, off offset:60 ; 4-byte Folded Spill
	scratch_store_dwordx2 off, v[16:17], off offset:40 ; 8-byte Folded Spill
	scratch_store_dword off, v15, off offset:48 ; 4-byte Folded Spill
	s_branch .LBB370_7
.LBB370_4:                              ;   in Loop: Header=BB370_7 Depth=1
	s_or_b64 exec, exec, s[10:11]
.LBB370_5:                              ;   in Loop: Header=BB370_7 Depth=1
	s_or_b64 exec, exec, s[8:9]
	v_subrev_u32_e32 v90, s16, v90
.LBB370_6:                              ;   in Loop: Header=BB370_7 Depth=1
	s_or_b64 exec, exec, s[6:7]
	s_add_i32 s55, s55, 1
	s_waitcnt vmcnt(2)
	v_cmp_ge_i32_e32 vcc, s55, v14
	s_cbranch_vccnz .LBB370_69
.LBB370_7:                              ; =>This Loop Header: Depth=1
                                        ;     Child Loop BB370_13 Depth 2
                                        ;       Child Loop BB370_15 Depth 3
                                        ;       Child Loop BB370_18 Depth 3
	;; [unrolled: 1-line block ×9, first 2 shown]
                                        ;     Child Loop BB370_56 Depth 2
                                        ;       Child Loop BB370_58 Depth 3
                                        ;     Child Loop BB370_66 Depth 2
                                        ;       Child Loop BB370_68 Depth 3
	s_abs_i32 s7, s55
	s_mul_hi_u32 s8, s7, s63
	s_mul_i32 s9, s8, s59
	s_ashr_i32 s6, s55, 31
	s_sub_i32 s7, s7, s9
	s_xor_b32 s6, s6, s62
	s_add_i32 s9, s8, 1
	s_sub_i32 s10, s7, s59
	s_cmp_ge_u32 s7, s59
	s_cselect_b32 s8, s9, s8
	s_cselect_b32 s7, s10, s7
	s_add_i32 s9, s8, 1
	s_cmp_ge_u32 s7, s59
	s_cselect_b32 s7, s9, s8
	s_xor_b32 s7, s7, s6
	s_sub_i32 s6, s7, s6
	s_abs_i32 s8, s6
	s_mul_i32 s7, s6, s33
	s_mul_hi_u32 s9, s8, s65
	s_sub_i32 s7, s55, s7
	s_mul_i32 s10, s9, s61
	s_lshl_b32 s67, s7, 6
	s_ashr_i32 s7, s6, 31
	s_sub_i32 s8, s8, s10
	s_xor_b32 s7, s7, s64
	s_add_i32 s10, s9, 1
	s_sub_i32 s11, s8, s61
	s_cmp_ge_u32 s8, s61
	s_cselect_b32 s9, s10, s9
	s_cselect_b32 s8, s11, s8
	s_add_i32 s10, s9, 1
	s_cmp_ge_u32 s8, s61
	s_cselect_b32 s8, s10, s9
	s_xor_b32 s8, s8, s7
	s_sub_i32 s7, s8, s7
	s_mul_i32 s8, s7, s57
	s_lshl_b32 s68, s8, 7
	s_cmp_eq_u32 s7, s24
	s_cselect_b32 s70, s58, s57
	s_sub_i32 s8, s67, s20
	s_add_i32 s8, s8, 64
	s_max_i32 s69, s8, 0
	s_and_saveexec_b64 s[8:9], s[2:3]
	s_xor_b64 s[44:45], exec, s[8:9]
	s_cbranch_execz .LBB370_62
; %bb.8:                                ;   in Loop: Header=BB370_7 Depth=1
	s_mul_i32 s7, s7, s54
	s_sub_i32 s6, s6, s7
	s_mulk_i32 s6, 0x50
	s_sub_i32 s47, s6, s21
	s_addk_i32 s47, 0x50
	s_max_i32 s7, s47, 0
	s_sub_i32 s46, s6, s7
	s_and_saveexec_b64 s[6:7], s[0:1]
	s_xor_b64 s[48:49], exec, s[6:7]
	s_cbranch_execz .LBB370_52
; %bb.9:                                ;   in Loop: Header=BB370_7 Depth=1
	s_and_saveexec_b64 s[50:51], s[4:5]
	s_cbranch_execz .LBB370_51
; %bb.10:                               ;   in Loop: Header=BB370_7 Depth=1
	s_waitcnt vmcnt(1) lgkmcnt(0)
	global_load_dword v0, v17, s[42:43]
	v_mov_b32_e32 v71, 0
	v_cmp_gt_i32_e32 vcc, s70, v90
	v_mov_b32_e32 v70, v71
	v_mov_b32_e32 v69, v71
	;; [unrolled: 1-line block ×75, first 2 shown]
	s_waitcnt vmcnt(1)
	v_mov_b32_e32 v15, v71
	v_mov_b32_e32 v14, v71
	;; [unrolled: 1-line block ×4, first 2 shown]
	s_waitcnt vmcnt(0)
	scratch_store_dword off, v0, off offset:16 ; 4-byte Folded Spill
	s_and_saveexec_b64 s[6:7], vcc
	s_cbranch_execz .LBB370_41
; %bb.11:                               ;   in Loop: Header=BB370_7 Depth=1
	v_mov_b32_e32 v12, 0
	s_mov_b64 s[8:9], 0
	v_mov_b32_e32 v13, v12
	v_mov_b32_e32 v14, v12
	;; [unrolled: 1-line block ×79, first 2 shown]
	s_branch .LBB370_13
.LBB370_12:                             ;   in Loop: Header=BB370_13 Depth=2
	s_or_b64 exec, exec, s[10:11]
	scratch_load_dwordx4 v[20:23], off, off ; 16-byte Folded Reload
	v_add_u32_e32 v2, 0x2000, v81
	ds_read2_b32 v[0:1], v2 offset1:32
	ds_read2_b32 v[2:3], v2 offset0:128 offset1:160
	v_add_u32_e32 v81, 0x2400, v81
	v_add_u32_e32 v90, s27, v90
	s_waitcnt lgkmcnt(1)
	v_mfma_f32_16x16x32_fp8_fp8 v[60:63], v[100:101], v[0:1], v[60:63]
	v_mfma_f32_16x16x32_fp8_fp8 v[40:43], v[102:103], v[0:1], v[40:43]
	;; [unrolled: 1-line block ×3, first 2 shown]
	s_waitcnt lgkmcnt(0)
	v_mfma_f32_16x16x32_fp8_fp8 v[60:63], v[96:97], v[2:3], v[60:63]
	ds_read2_b32 v[96:97], v81 offset1:32
	v_mfma_f32_16x16x32_fp8_fp8 v[40:43], v[104:105], v[2:3], v[40:43]
	v_mfma_f32_16x16x32_fp8_fp8 v[12:15], v[88:89], v[2:3], v[12:15]
	v_add_u32_e32 v88, s27, v80
	v_cmp_lt_i32_e32 vcc, 1, v88
	s_waitcnt lgkmcnt(0)
	v_mfma_f32_16x16x32_fp8_fp8 v[60:63], v[98:99], v[96:97], v[60:63]
	ds_read2_b32 v[98:99], v81 offset0:128 offset1:160
	;;#ASMSTART
	s_waitcnt lgkmcnt(0)
	;;#ASMEND
	ds_write_b32 v82, v83 offset:36912
	v_mfma_f32_16x16x32_fp8_fp8 v[40:43], v[106:107], v[96:97], v[40:43]
	v_mfma_f32_16x16x32_fp8_fp8 v[12:15], v[86:87], v[96:97], v[12:15]
	s_waitcnt lgkmcnt(1)
	v_mfma_f32_16x16x32_fp8_fp8 v[60:63], v[94:95], v[98:99], v[60:63]
	v_mfma_f32_16x16x32_fp8_fp8 v[40:43], v[108:109], v[98:99], v[40:43]
	v_mfma_f32_16x16x32_fp8_fp8 v[12:15], v[118:119], v[98:99], v[12:15]
	s_waitcnt vmcnt(0)
	v_mfma_f32_16x16x32_fp8_fp8 v[20:23], v[110:111], v[0:1], v[20:23]
	v_add_u32_e32 v0, 2, v84
	v_cndmask_b32_e32 v84, v84, v0, vcc
	v_cmp_le_i32_e32 vcc, s70, v90
	v_mfma_f32_16x16x32_fp8_fp8 v[20:23], v[112:113], v[2:3], v[20:23]
	s_or_b64 s[8:9], vcc, s[8:9]
	v_mfma_f32_16x16x32_fp8_fp8 v[20:23], v[114:115], v[96:97], v[20:23]
	v_mfma_f32_16x16x32_fp8_fp8 v[100:103], v[116:117], v[98:99], v[20:23]
	s_andn2_b64 exec, exec, s[8:9]
	s_cbranch_execz .LBB370_40
.LBB370_13:                             ;   Parent Loop BB370_7 Depth=1
                                        ; =>  This Loop Header: Depth=2
                                        ;       Child Loop BB370_15 Depth 3
                                        ;       Child Loop BB370_18 Depth 3
	;; [unrolled: 1-line block ×9, first 2 shown]
	v_cmp_gt_i32_e32 vcc, 2, v88
	s_nop 1
	v_cndmask_b32_e64 v0, -2, 0, vcc
	v_add_u32_e32 v80, v0, v88
	v_mul_lo_u32 v82, v80, 20
	ds_read_b32 v0, v82 offset:36896
	s_waitcnt lgkmcnt(0)
	v_cmp_ne_u32_e32 vcc, v0, v84
	s_and_saveexec_b64 s[10:11], vcc
	s_cbranch_execz .LBB370_16
; %bb.14:                               ;   in Loop: Header=BB370_13 Depth=2
	s_mov_b64 s[12:13], 0
.LBB370_15:                             ;   Parent Loop BB370_7 Depth=1
                                        ;     Parent Loop BB370_13 Depth=2
                                        ; =>    This Inner Loop Header: Depth=3
	;;#ASMSTART
	s_sleep 0
	;;#ASMEND
	ds_read_b32 v0, v82 offset:36896
	s_waitcnt lgkmcnt(0)
	v_cmp_eq_u32_e32 vcc, v0, v84
	s_or_b64 s[12:13], vcc, s[12:13]
	s_andn2_b64 exec, exec, s[12:13]
	s_cbranch_execnz .LBB370_15
.LBB370_16:                             ;   in Loop: Header=BB370_13 Depth=2
	s_or_b64 exec, exec, s[10:11]
	v_mul_lo_u32 v81, v80, s66
	v_mov_b64_e32 v[20:21], v[120:121]
	v_or_b32_e32 v0, v85, v81
	v_mov_b64_e32 v[22:23], v[122:123]
	ds_read2_b32 v[118:119], v0 offset1:32
	ds_read2_b32 v[120:121], v0 offset0:128 offset1:160
	v_add_u32_e32 v0, 0x400, v0
	v_add_u32_e32 v83, 1, v84
	ds_read2_b32 v[124:125], v0 offset1:32
	ds_read2_b32 v[122:123], v0 offset0:128 offset1:160
	;;#ASMSTART
	s_waitcnt lgkmcnt(0)
	;;#ASMEND
	ds_write_b32 v82, v83 offset:36896
	v_lshlrev_b32_e32 v91, 4, v80
	ds_read_b32 v0, v91 offset:36864
	s_waitcnt lgkmcnt(0)
	v_cmp_ne_u32_e32 vcc, v0, v84
	s_and_saveexec_b64 s[10:11], vcc
	s_cbranch_execz .LBB370_19
; %bb.17:                               ;   in Loop: Header=BB370_13 Depth=2
	s_mov_b64 s[12:13], 0
.LBB370_18:                             ;   Parent Loop BB370_7 Depth=1
                                        ;     Parent Loop BB370_13 Depth=2
                                        ; =>    This Inner Loop Header: Depth=3
	;;#ASMSTART
	s_sleep 0
	;;#ASMEND
	ds_read_b32 v0, v91 offset:36864
	s_waitcnt lgkmcnt(0)
	v_cmp_eq_u32_e32 vcc, v0, v84
	s_or_b64 s[12:13], vcc, s[12:13]
	s_andn2_b64 exec, exec, s[12:13]
	s_cbranch_execnz .LBB370_18
.LBB370_19:                             ;   in Loop: Header=BB370_13 Depth=2
	s_or_b64 exec, exec, s[10:11]
	v_lshlrev_b32_e32 v0, 13, v80
	v_or_b32_e32 v1, 0x5000, v85
	scratch_store_dwordx4 off, v[100:103], off ; 16-byte Folded Spill
	v_add_u32_e32 v86, v1, v0
	ds_read2_b32 v[100:101], v86 offset1:32
	ds_read2_b32 v[96:97], v86 offset0:128 offset1:160
	v_add_u32_e32 v0, 0x400, v86
	s_waitcnt lgkmcnt(1)
	v_mfma_f32_16x16x32_fp8_fp8 v[68:71], v[100:101], v[118:119], v[68:71]
	ds_read2_b32 v[98:99], v0 offset1:32
	ds_read2_b32 v[94:95], v0 offset0:128 offset1:160
	ds_read_b32 v0, v91 offset:36868
	ds_write_b32 v91, v83 offset:36864
	s_waitcnt lgkmcnt(4)
	v_mfma_f32_16x16x32_fp8_fp8 v[68:71], v[96:97], v[120:121], v[68:71]
	s_waitcnt lgkmcnt(1)
	v_cmp_ne_u32_e32 vcc, v0, v84
	v_mfma_f32_16x16x32_fp8_fp8 v[68:71], v[98:99], v[124:125], v[68:71]
	v_mfma_f32_16x16x32_fp8_fp8 v[68:71], v[94:95], v[122:123], v[68:71]
	s_and_saveexec_b64 s[10:11], vcc
	s_cbranch_execz .LBB370_22
; %bb.20:                               ;   in Loop: Header=BB370_13 Depth=2
	s_mov_b64 s[12:13], 0
.LBB370_21:                             ;   Parent Loop BB370_7 Depth=1
                                        ;     Parent Loop BB370_13 Depth=2
                                        ; =>    This Inner Loop Header: Depth=3
	;;#ASMSTART
	s_sleep 0
	;;#ASMEND
	ds_read_b32 v0, v91 offset:36868
	s_waitcnt lgkmcnt(0)
	v_cmp_eq_u32_e32 vcc, v0, v84
	s_or_b64 s[12:13], vcc, s[12:13]
	s_andn2_b64 exec, exec, s[12:13]
	s_cbranch_execnz .LBB370_21
.LBB370_22:                             ;   in Loop: Header=BB370_13 Depth=2
	s_or_b64 exec, exec, s[10:11]
	v_add_u32_e32 v0, 0x800, v86
	ds_read2_b32 v[102:103], v0 offset1:32
	ds_read2_b32 v[104:105], v0 offset0:128 offset1:160
	v_add_u32_e32 v0, 0xc00, v86
	ds_read2_b32 v[106:107], v0 offset1:32
	ds_read2_b32 v[108:109], v0 offset0:128 offset1:160
	ds_read_b32 v0, v91 offset:36872
	s_waitcnt lgkmcnt(4)
	v_mfma_f32_16x16x32_fp8_fp8 v[56:59], v[102:103], v[118:119], v[56:59]
	ds_write_b32 v91, v83 offset:36868
	s_waitcnt lgkmcnt(1)
	v_cmp_ne_u32_e32 vcc, v0, v84
	v_mfma_f32_16x16x32_fp8_fp8 v[56:59], v[104:105], v[120:121], v[56:59]
	v_mfma_f32_16x16x32_fp8_fp8 v[56:59], v[106:107], v[124:125], v[56:59]
	;; [unrolled: 1-line block ×3, first 2 shown]
	s_and_saveexec_b64 s[10:11], vcc
	s_cbranch_execz .LBB370_25
; %bb.23:                               ;   in Loop: Header=BB370_13 Depth=2
	s_mov_b64 s[12:13], 0
.LBB370_24:                             ;   Parent Loop BB370_7 Depth=1
                                        ;     Parent Loop BB370_13 Depth=2
                                        ; =>    This Inner Loop Header: Depth=3
	;;#ASMSTART
	s_sleep 0
	;;#ASMEND
	ds_read_b32 v0, v91 offset:36872
	s_waitcnt lgkmcnt(0)
	v_cmp_eq_u32_e32 vcc, v0, v84
	s_or_b64 s[12:13], vcc, s[12:13]
	s_andn2_b64 exec, exec, s[12:13]
	s_cbranch_execnz .LBB370_24
.LBB370_25:                             ;   in Loop: Header=BB370_13 Depth=2
	s_or_b64 exec, exec, s[10:11]
	v_add_u32_e32 v0, 0x1000, v86
	ds_read2_b32 v[110:111], v0 offset1:32
	ds_read2_b32 v[112:113], v0 offset0:128 offset1:160
	v_add_u32_e32 v0, 0x1400, v86
	ds_read2_b32 v[114:115], v0 offset1:32
	ds_read2_b32 v[116:117], v0 offset0:128 offset1:160
	ds_read_b32 v0, v91 offset:36876
	s_waitcnt lgkmcnt(4)
	v_mfma_f32_16x16x32_fp8_fp8 v[36:39], v[110:111], v[118:119], v[36:39]
	ds_write_b32 v91, v83 offset:36872
	s_waitcnt lgkmcnt(1)
	v_cmp_ne_u32_e32 vcc, v0, v84
	v_mfma_f32_16x16x32_fp8_fp8 v[36:39], v[112:113], v[120:121], v[36:39]
	v_mfma_f32_16x16x32_fp8_fp8 v[36:39], v[114:115], v[124:125], v[36:39]
	;; [unrolled: 1-line block ×3, first 2 shown]
	s_and_saveexec_b64 s[10:11], vcc
	s_cbranch_execz .LBB370_28
; %bb.26:                               ;   in Loop: Header=BB370_13 Depth=2
	s_mov_b64 s[12:13], 0
.LBB370_27:                             ;   Parent Loop BB370_7 Depth=1
                                        ;     Parent Loop BB370_13 Depth=2
                                        ; =>    This Inner Loop Header: Depth=3
	;;#ASMSTART
	s_sleep 0
	;;#ASMEND
	ds_read_b32 v0, v91 offset:36876
	s_waitcnt lgkmcnt(0)
	v_cmp_eq_u32_e32 vcc, v0, v84
	s_or_b64 s[12:13], vcc, s[12:13]
	s_andn2_b64 exec, exec, s[12:13]
	s_cbranch_execnz .LBB370_27
.LBB370_28:                             ;   in Loop: Header=BB370_13 Depth=2
	s_or_b64 exec, exec, s[10:11]
	v_add_u32_e32 v0, 0x1800, v86
	ds_read2_b32 v[126:127], v0 offset1:32
	ds_read2_b32 v[88:89], v0 offset0:128 offset1:160
	v_add_u32_e32 v0, 0x1c00, v86
	ds_read2_b32 v[86:87], v0 offset1:32
	ds_write_b32 v91, v83 offset:36876
	s_waitcnt lgkmcnt(3)
	v_mfma_f32_16x16x32_fp8_fp8 v[16:19], v[126:127], v[118:119], v[16:19]
	ds_read2_b32 v[118:119], v0 offset0:128 offset1:160
	ds_read_b32 v0, v82 offset:36900
	s_waitcnt lgkmcnt(0)
	v_cmp_ne_u32_e32 vcc, v0, v84
	v_mfma_f32_16x16x32_fp8_fp8 v[16:19], v[88:89], v[120:121], v[16:19]
	v_mfma_f32_16x16x32_fp8_fp8 v[16:19], v[86:87], v[124:125], v[16:19]
	;; [unrolled: 1-line block ×3, first 2 shown]
	s_and_saveexec_b64 s[10:11], vcc
	s_cbranch_execz .LBB370_31
; %bb.29:                               ;   in Loop: Header=BB370_13 Depth=2
	s_mov_b64 s[12:13], 0
.LBB370_30:                             ;   Parent Loop BB370_7 Depth=1
                                        ;     Parent Loop BB370_13 Depth=2
                                        ; =>    This Inner Loop Header: Depth=3
	;;#ASMSTART
	s_sleep 0
	;;#ASMEND
	ds_read_b32 v0, v82 offset:36900
	s_waitcnt lgkmcnt(0)
	v_cmp_eq_u32_e32 vcc, v0, v84
	s_or_b64 s[12:13], vcc, s[12:13]
	s_andn2_b64 exec, exec, s[12:13]
	s_cbranch_execnz .LBB370_30
.LBB370_31:                             ;   in Loop: Header=BB370_13 Depth=2
	s_or_b64 exec, exec, s[10:11]
	v_add_u32_e32 v81, v85, v81
	v_add_u32_e32 v0, 0x800, v81
	ds_read2_b32 v[120:121], v0 offset1:32
	ds_read2_b32 v[122:123], v0 offset0:128 offset1:160
	v_add_u32_e32 v0, 0xc00, v81
	ds_read2_b32 v[124:125], v0 offset1:32
	ds_read2_b32 v[0:1], v0 offset0:128 offset1:160
	s_waitcnt lgkmcnt(3)
	v_mfma_f32_16x16x32_fp8_fp8 v[76:79], v[100:101], v[120:121], v[76:79]
	;;#ASMSTART
	s_waitcnt lgkmcnt(0)
	;;#ASMEND
	ds_read_b32 v2, v82 offset:36904
	ds_write_b32 v82, v83 offset:36900
	v_mfma_f32_16x16x32_fp8_fp8 v[52:55], v[102:103], v[120:121], v[52:55]
	s_waitcnt lgkmcnt(1)
	v_cmp_ne_u32_e32 vcc, v2, v84
	v_mfma_f32_16x16x32_fp8_fp8 v[32:35], v[110:111], v[120:121], v[32:35]
	v_mfma_f32_16x16x32_fp8_fp8 v[8:11], v[126:127], v[120:121], v[8:11]
	;; [unrolled: 1-line block ×14, first 2 shown]
	s_and_saveexec_b64 s[10:11], vcc
	s_cbranch_execz .LBB370_34
; %bb.32:                               ;   in Loop: Header=BB370_13 Depth=2
	s_mov_b64 s[12:13], 0
.LBB370_33:                             ;   Parent Loop BB370_7 Depth=1
                                        ;     Parent Loop BB370_13 Depth=2
                                        ; =>    This Inner Loop Header: Depth=3
	;;#ASMSTART
	s_sleep 0
	;;#ASMEND
	ds_read_b32 v0, v82 offset:36904
	s_waitcnt lgkmcnt(0)
	v_cmp_eq_u32_e32 vcc, v0, v84
	s_or_b64 s[12:13], vcc, s[12:13]
	s_andn2_b64 exec, exec, s[12:13]
	s_cbranch_execnz .LBB370_33
.LBB370_34:                             ;   in Loop: Header=BB370_13 Depth=2
	s_or_b64 exec, exec, s[10:11]
	v_add_u32_e32 v2, 0x1000, v81
	ds_read2_b32 v[0:1], v2 offset1:32
	ds_read2_b32 v[2:3], v2 offset0:128 offset1:160
	v_add_u32_e32 v91, 0x1400, v81
	ds_read2_b32 v[120:121], v91 offset1:32
	ds_read2_b32 v[122:123], v91 offset0:128 offset1:160
	s_waitcnt lgkmcnt(3)
	v_mfma_f32_16x16x32_fp8_fp8 v[72:75], v[100:101], v[0:1], v[72:75]
	;;#ASMSTART
	s_waitcnt lgkmcnt(0)
	;;#ASMEND
	ds_write_b32 v82, v83 offset:36904
	v_mfma_f32_16x16x32_fp8_fp8 v[48:51], v[102:103], v[0:1], v[48:51]
	v_mfma_f32_16x16x32_fp8_fp8 v[28:31], v[110:111], v[0:1], v[28:31]
	;; [unrolled: 1-line block ×3, first 2 shown]
	ds_read_b32 v0, v82 offset:36908
	s_waitcnt lgkmcnt(0)
	v_cmp_ne_u32_e32 vcc, v0, v84
	v_mfma_f32_16x16x32_fp8_fp8 v[72:75], v[96:97], v[2:3], v[72:75]
	v_mfma_f32_16x16x32_fp8_fp8 v[48:51], v[104:105], v[2:3], v[48:51]
	;; [unrolled: 1-line block ×12, first 2 shown]
	s_and_saveexec_b64 s[10:11], vcc
	s_cbranch_execz .LBB370_37
; %bb.35:                               ;   in Loop: Header=BB370_13 Depth=2
	s_mov_b64 s[12:13], 0
.LBB370_36:                             ;   Parent Loop BB370_7 Depth=1
                                        ;     Parent Loop BB370_13 Depth=2
                                        ; =>    This Inner Loop Header: Depth=3
	;;#ASMSTART
	s_sleep 0
	;;#ASMEND
	ds_read_b32 v0, v82 offset:36908
	s_waitcnt lgkmcnt(0)
	v_cmp_eq_u32_e32 vcc, v0, v84
	s_or_b64 s[12:13], vcc, s[12:13]
	s_andn2_b64 exec, exec, s[12:13]
	s_cbranch_execnz .LBB370_36
.LBB370_37:                             ;   in Loop: Header=BB370_13 Depth=2
	s_or_b64 exec, exec, s[10:11]
	v_add_u32_e32 v2, 0x1800, v81
	ds_read2_b32 v[0:1], v2 offset1:32
	ds_read2_b32 v[120:121], v2 offset0:128 offset1:160
	v_add_u32_e32 v2, 0x1c00, v81
	ds_read2_b32 v[122:123], v2 offset1:32
	ds_read2_b32 v[124:125], v2 offset0:128 offset1:160
	s_waitcnt lgkmcnt(3)
	v_mfma_f32_16x16x32_fp8_fp8 v[64:67], v[100:101], v[0:1], v[64:67]
	;;#ASMSTART
	s_waitcnt lgkmcnt(0)
	;;#ASMEND
	ds_read_b32 v91, v82 offset:36912
	ds_write_b32 v82, v83 offset:36908
	v_mfma_f32_16x16x32_fp8_fp8 v[44:47], v[102:103], v[0:1], v[44:47]
	s_waitcnt lgkmcnt(1)
	v_cmp_ne_u32_e32 vcc, v91, v84
	v_mfma_f32_16x16x32_fp8_fp8 v[24:27], v[110:111], v[0:1], v[24:27]
	v_mfma_f32_16x16x32_fp8_fp8 v[0:3], v[126:127], v[0:1], v[20:23]
	v_mfma_f32_16x16x32_fp8_fp8 v[64:67], v[96:97], v[120:121], v[64:67]
	v_mfma_f32_16x16x32_fp8_fp8 v[44:47], v[104:105], v[120:121], v[44:47]
	v_mfma_f32_16x16x32_fp8_fp8 v[24:27], v[112:113], v[120:121], v[24:27]
	v_mfma_f32_16x16x32_fp8_fp8 v[0:3], v[88:89], v[120:121], v[0:3]
	v_mfma_f32_16x16x32_fp8_fp8 v[64:67], v[98:99], v[122:123], v[64:67]
	v_mfma_f32_16x16x32_fp8_fp8 v[44:47], v[106:107], v[122:123], v[44:47]
	v_mfma_f32_16x16x32_fp8_fp8 v[24:27], v[114:115], v[122:123], v[24:27]
	v_mfma_f32_16x16x32_fp8_fp8 v[0:3], v[86:87], v[122:123], v[0:3]
	v_mfma_f32_16x16x32_fp8_fp8 v[64:67], v[94:95], v[124:125], v[64:67]
	v_mfma_f32_16x16x32_fp8_fp8 v[44:47], v[108:109], v[124:125], v[44:47]
	v_mfma_f32_16x16x32_fp8_fp8 v[24:27], v[116:117], v[124:125], v[24:27]
	v_mfma_f32_16x16x32_fp8_fp8 v[120:123], v[118:119], v[124:125], v[0:3]
	s_and_saveexec_b64 s[10:11], vcc
	s_cbranch_execz .LBB370_12
; %bb.38:                               ;   in Loop: Header=BB370_13 Depth=2
	s_mov_b64 s[12:13], 0
.LBB370_39:                             ;   Parent Loop BB370_7 Depth=1
                                        ;     Parent Loop BB370_13 Depth=2
                                        ; =>    This Inner Loop Header: Depth=3
	;;#ASMSTART
	s_sleep 0
	;;#ASMEND
	s_nop 0
	ds_read_b32 v0, v82 offset:36912
	s_waitcnt lgkmcnt(0)
	v_cmp_eq_u32_e32 vcc, v0, v84
	s_or_b64 s[12:13], vcc, s[12:13]
	s_andn2_b64 exec, exec, s[12:13]
	s_cbranch_execnz .LBB370_39
	s_branch .LBB370_12
.LBB370_40:                             ;   in Loop: Header=BB370_7 Depth=1
	s_or_b64 exec, exec, s[8:9]
	scratch_load_dword v82, off, off offset:60 ; 4-byte Folded Reload
.LBB370_41:                             ;   in Loop: Header=BB370_7 Depth=1
	s_or_b64 exec, exec, s[6:7]
	scratch_load_dwordx2 v[0:1], off, off offset:32 ; 8-byte Folded Reload
	s_nop 0
	scratch_load_dword v20, off, off offset:16 ; 4-byte Folded Reload
	scratch_load_dword v89, off, off offset:20 ; 4-byte Folded Reload
	s_waitcnt vmcnt(3)
	v_cmp_eq_u32_e64 s[10:11], 1, v82
	v_cmp_eq_u32_e64 s[16:17], 3, v82
	v_mov_b32_e32 v97, v82
	s_waitcnt vmcnt(2)
	v_mov_b32_e32 v98, v0
	v_cmp_le_i32_e32 vcc, s47, v98
	s_waitcnt vmcnt(0)
	v_cmp_eq_u32_e64 s[12:13], 1, v89
	v_cmp_eq_u32_e64 s[6:7], 3, v89
	v_cndmask_b32_e32 v94, 0, v20, vcc
	v_pk_mul_f32 v[2:3], v[94:95], v[68:69] op_sel_hi:[0,1]
	v_pk_mul_f32 v[0:1], v[94:95], v[70:71] op_sel_hi:[0,1]
	v_cndmask_b32_e64 v68, v2, v3, s[12:13]
	v_cmp_eq_u32_e32 vcc, 2, v89
	v_cmp_eq_u32_e64 s[8:9], 0, v89
	s_nop 0
	v_cndmask_b32_e32 v68, v68, v0, vcc
	v_cndmask_b32_e64 v68, v68, v1, s[6:7]
	ds_bpermute_b32 v68, v93, v68
	s_waitcnt lgkmcnt(0)
	v_cndmask_b32_e32 v81, v0, v68, vcc
	v_or_b32_e32 v0, 16, v98
	v_cmp_le_i32_e64 s[14:15], s47, v0
	v_cndmask_b32_e64 v80, v1, v68, s[6:7]
	v_cndmask_b32_e64 v69, v3, v68, s[12:13]
	;; [unrolled: 1-line block ×4, first 2 shown]
	v_pk_mul_f32 v[2:3], v[68:69], v[76:77] op_sel_hi:[0,1]
	v_pk_mul_f32 v[0:1], v[68:69], v[78:79] op_sel_hi:[0,1]
	v_cndmask_b32_e64 v76, v2, v3, s[12:13]
	v_cndmask_b32_e32 v76, v76, v0, vcc
	v_cndmask_b32_e64 v76, v76, v1, s[6:7]
	ds_bpermute_b32 v79, v93, v76
	v_cndmask_b32_e64 v70, v71, v69, s[10:11]
	v_cmp_eq_u32_e64 s[14:15], 2, v82
	s_waitcnt lgkmcnt(0)
	v_cndmask_b32_e32 v78, v0, v79, vcc
	v_cndmask_b32_e64 v70, v70, v81, s[14:15]
	v_or_b32_e32 v0, 32, v98
	v_cndmask_b32_e64 v70, v70, v80, s[16:17]
	v_cmp_le_i32_e64 s[18:19], s47, v0
	ds_bpermute_b32 v76, v93, v70
	v_cndmask_b32_e64 v86, v3, v79, s[12:13]
	v_cndmask_b32_e64 v70, 0, v20, s[18:19]
	v_cndmask_b32_e64 v87, v2, v79, s[8:9]
	v_pk_mul_f32 v[2:3], v[70:71], v[72:73] op_sel_hi:[0,1]
	v_cndmask_b32_e64 v77, v1, v79, s[6:7]
	v_pk_mul_f32 v[0:1], v[70:71], v[74:75] op_sel_hi:[0,1]
	v_cndmask_b32_e64 v72, v2, v3, s[12:13]
	v_cndmask_b32_e32 v72, v72, v0, vcc
	v_cndmask_b32_e64 v72, v72, v1, s[6:7]
	ds_bpermute_b32 v72, v93, v72
	v_cndmask_b32_e64 v73, v87, v86, s[10:11]
	v_cndmask_b32_e64 v73, v73, v78, s[14:15]
	;; [unrolled: 1-line block ×3, first 2 shown]
	ds_bpermute_b32 v74, v93, v73
	s_waitcnt lgkmcnt(1)
	v_cndmask_b32_e32 v79, v0, v72, vcc
	v_or_b32_e32 v0, 48, v98
	v_cmp_le_i32_e64 s[18:19], s47, v0
	v_cndmask_b32_e64 v75, v1, v72, s[6:7]
	v_cndmask_b32_e64 v73, v3, v72, s[12:13]
	;; [unrolled: 1-line block ×4, first 2 shown]
	v_pk_mul_f32 v[2:3], v[72:73], v[64:65] op_sel_hi:[0,1]
	v_pk_mul_f32 v[0:1], v[72:73], v[66:67] op_sel_hi:[0,1]
	v_cndmask_b32_e64 v64, v2, v3, s[12:13]
	v_cndmask_b32_e32 v64, v64, v0, vcc
	v_cndmask_b32_e64 v64, v64, v1, s[6:7]
	ds_bpermute_b32 v64, v93, v64
	v_cndmask_b32_e64 v65, v91, v73, s[10:11]
	v_cndmask_b32_e64 v65, v65, v79, s[14:15]
	;; [unrolled: 1-line block ×3, first 2 shown]
	ds_bpermute_b32 v66, v93, v65
	s_waitcnt lgkmcnt(1)
	v_cndmask_b32_e32 v82, v0, v64, vcc
	v_or_b32_e32 v0, 64, v98
	v_cmp_le_i32_e64 s[18:19], s47, v0
	v_cndmask_b32_e64 v67, v1, v64, s[6:7]
	v_cndmask_b32_e64 v95, v3, v64, s[12:13]
	;; [unrolled: 1-line block ×4, first 2 shown]
	v_pk_mul_f32 v[2:3], v[64:65], v[60:61] op_sel_hi:[0,1]
	v_pk_mul_f32 v[0:1], v[64:65], v[62:63] op_sel_hi:[0,1]
	v_cndmask_b32_e64 v60, v2, v3, s[12:13]
	v_cndmask_b32_e32 v60, v60, v0, vcc
	v_cndmask_b32_e64 v60, v60, v1, s[6:7]
	ds_bpermute_b32 v61, v93, v60
	v_cndmask_b32_e64 v60, v96, v95, s[10:11]
	v_cndmask_b32_e64 v60, v60, v82, s[14:15]
	;; [unrolled: 1-line block ×3, first 2 shown]
	ds_bpermute_b32 v62, v93, v60
	s_waitcnt lgkmcnt(1)
	v_cndmask_b32_e32 v83, v0, v61, vcc
	v_cmp_ne_u32_e32 vcc, 0, v89
	v_cndmask_b32_e64 v63, v1, v61, s[6:7]
	s_nop 0
	v_cndmask_b32_e32 v60, v3, v61, vcc
	v_cndmask_b32_e64 v61, v2, v61, s[8:9]
	v_cndmask_b32_e64 v0, v61, v60, s[10:11]
	;; [unrolled: 1-line block ×4, first 2 shown]
	ds_bpermute_b32 v89, v93, v0
	scratch_load_dword v0, off, off offset:24 ; 4-byte Folded Reload
	s_waitcnt vmcnt(0)
	v_add_u32_e32 v65, s69, v0
	v_cmp_gt_u32_e32 vcc, 64, v65
	s_and_saveexec_b64 s[18:19], vcc
	s_cbranch_execz .LBB370_50
; %bb.42:                               ;   in Loop: Header=BB370_7 Depth=1
	v_cmp_eq_u32_e64 s[8:9], 1, v97
	v_cmp_eq_u32_e64 s[10:11], 0, v97
	v_cmp_eq_u32_e32 vcc, 3, v97
	v_cndmask_b32_e64 v0, v69, v76, s[8:9]
	v_cndmask_b32_e64 v1, v71, v76, s[10:11]
	;; [unrolled: 1-line block ×4, first 2 shown]
	s_waitcnt lgkmcnt(0)
	v_cndmask_b32_e64 v87, v60, v89, s[8:9]
	v_cndmask_b32_e64 v91, v61, v89, s[10:11]
	scratch_load_dwordx2 v[60:61], off, off offset:64 ; 8-byte Folded Reload
	v_cndmask_b32_e64 v2, v86, v74, s[8:9]
	v_cndmask_b32_e64 v69, v73, v66, s[8:9]
	;; [unrolled: 1-line block ×3, first 2 shown]
	s_mul_i32 s8, s67, s21
	s_ashr_i32 s9, s8, 31
	s_lshl_b64 s[8:9], s[8:9], 1
	v_cndmask_b32_e64 v86, v96, v62, s[10:11]
	s_add_u32 s10, s40, s8
	s_addc_u32 s11, s41, s9
	s_ashr_i32 s47, s46, 31
	v_cvt_f16_f32_e32 v1, v1
	v_cvt_f16_f32_sdwa v0, v0 dst_sel:WORD_1 dst_unused:UNUSED_PAD src0_sel:DWORD
	v_cvt_f16_f32_e32 v3, v3
	v_cvt_f16_f32_sdwa v2, v2 dst_sel:WORD_1 dst_unused:UNUSED_PAD src0_sel:DWORD
	s_lshl_b64 s[8:9], s[46:47], 1
	v_cvt_f16_f32_e32 v71, v71
	v_cvt_f16_f32_sdwa v69, v69 dst_sel:WORD_1 dst_unused:UNUSED_PAD src0_sel:DWORD
	s_add_u32 s52, s10, s8
	s_addc_u32 s53, s11, s9
	v_or_b32_e32 v0, v0, v1
	v_or_b32_e32 v2, v2, v3
	v_cvt_f16_f32_sdwa v3, v73 dst_sel:WORD_1 dst_unused:UNUSED_PAD src0_sel:DWORD
	v_cmp_eq_u32_e64 s[6:7], 2, v97
	v_cmp_gt_u32_e64 s[8:9], 62, v65
	s_waitcnt vmcnt(0)
	v_lshl_add_u64 v[60:61], v[60:61], 1, s[52:53]
	;;#ASMSTART
	global_atomic_pk_add_f16 v[60:61], v0, off
	
	;;#ASMEND
	v_lshl_add_u64 v[0:1], v[60:61], 0, 32
	;;#ASMSTART
	global_atomic_pk_add_f16 v[0:1], v2, off
	
	;;#ASMEND
	v_or_b32_e32 v2, v69, v71
	v_lshl_add_u64 v[0:1], v[60:61], 0, 64
	;;#ASMSTART
	global_atomic_pk_add_f16 v[0:1], v2, off
	
	;;#ASMEND
	v_cvt_f16_f32_e32 v2, v86
	v_cvt_f16_f32_e32 v69, v91
	v_cvt_f16_f32_sdwa v71, v87 dst_sel:WORD_1 dst_unused:UNUSED_PAD src0_sel:DWORD
	v_lshl_add_u64 v[0:1], v[60:61], 0, s[30:31]
	v_or_b32_e32 v2, v3, v2
	;;#ASMSTART
	global_atomic_pk_add_f16 v[0:1], v2, off
	
	;;#ASMEND
	v_lshl_add_u64 v[0:1], v[60:61], 0, s[34:35]
	v_or_b32_e32 v2, v71, v69
	;;#ASMSTART
	global_atomic_pk_add_f16 v[0:1], v2, off
	
	;;#ASMEND
	s_and_b64 exec, exec, s[8:9]
	s_cbranch_execz .LBB370_50
; %bb.43:                               ;   in Loop: Header=BB370_7 Depth=1
	v_cndmask_b32_e32 v0, v80, v76, vcc
	v_cndmask_b32_e64 v1, v81, v76, s[6:7]
	v_cndmask_b32_e32 v2, v77, v74, vcc
	v_cndmask_b32_e64 v3, v78, v74, s[6:7]
	v_cvt_f16_f32_e32 v76, v1
	v_cvt_f16_f32_sdwa v77, v0 dst_sel:WORD_1 dst_unused:UNUSED_PAD src0_sel:DWORD
	v_lshl_add_u64 v[0:1], s[28:29], 2, v[60:61]
	v_cvt_f16_f32_e32 v60, v3
	v_cvt_f16_f32_sdwa v61, v2 dst_sel:WORD_1 dst_unused:UNUSED_PAD src0_sel:DWORD
	v_cndmask_b32_e32 v74, v75, v66, vcc
	v_cndmask_b32_e64 v66, v79, v66, s[6:7]
	v_or_b32_e32 v2, v77, v76
	v_or_b32_e32 v60, v61, v60
	;;#ASMSTART
	global_atomic_pk_add_f16 v[0:1], v2, off
	
	;;#ASMEND
	v_lshl_add_u64 v[2:3], v[0:1], 0, 32
	;;#ASMSTART
	global_atomic_pk_add_f16 v[2:3], v60, off
	
	;;#ASMEND
	v_cvt_f16_f32_e32 v60, v66
	v_cvt_f16_f32_sdwa v61, v74 dst_sel:WORD_1 dst_unused:UNUSED_PAD src0_sel:DWORD
	v_lshl_add_u64 v[2:3], v[0:1], 0, 64
	v_mov_b32_e32 v95, v94
	v_cndmask_b32_e32 v67, v67, v62, vcc
	v_or_b32_e32 v60, v61, v60
	;;#ASMSTART
	global_atomic_pk_add_f16 v[2:3], v60, off
	
	;;#ASMEND
	scratch_load_dword v78, off, off offset:20 ; 4-byte Folded Reload
	v_cndmask_b32_e64 v62, v82, v62, s[6:7]
	v_mov_b32_e32 v60, v94
	v_mov_b32_e32 v61, v94
	v_cvt_f16_f32_e32 v62, v62
	v_cvt_f16_f32_sdwa v66, v67 dst_sel:WORD_1 dst_unused:UNUSED_PAD src0_sel:DWORD
	v_pk_mul_f32 v[58:59], v[60:61], v[58:59]
	v_pk_mul_f32 v[60:61], v[94:95], v[56:57]
	v_cndmask_b32_e32 v63, v63, v89, vcc
	v_cndmask_b32_e64 v75, v83, v89, s[6:7]
	v_or_b32_e32 v62, v66, v62
	v_mov_b32_e32 v69, v68
	v_lshl_add_u64 v[2:3], v[0:1], 0, s[30:31]
	;;#ASMSTART
	global_atomic_pk_add_f16 v[2:3], v62, off
	
	;;#ASMEND
	v_mov_b32_e32 v2, v68
	v_mov_b32_e32 v3, v68
	v_pk_mul_f32 v[2:3], v[2:3], v[54:55]
	v_cvt_f16_f32_sdwa v77, v63 dst_sel:WORD_1 dst_unused:UNUSED_PAD src0_sel:DWORD
	v_cmp_eq_u32_e64 s[12:13], 1, v97
	v_mov_b32_e32 v71, v70
	v_cmp_eq_u32_e64 s[14:15], 2, v97
	v_mov_b32_e32 v73, v72
	v_cvt_f16_f32_e32 v76, v75
	v_pk_mul_f32 v[74:75], v[72:73], v[44:45]
	v_mov_b32_e32 v65, v64
	v_cmp_eq_u32_e64 s[16:17], 3, v97
	v_lshl_add_u64 v[0:1], v[0:1], 0, s[34:35]
	s_waitcnt vmcnt(0)
	v_cmp_eq_u32_e64 s[8:9], 1, v78
	s_nop 1
	v_cndmask_b32_e64 v56, v60, v61, s[8:9]
	v_cmp_eq_u32_e32 vcc, 2, v78
	v_cmp_eq_u32_e64 s[6:7], 3, v78
	v_cmp_eq_u32_e64 s[10:11], 0, v78
	v_cndmask_b32_e32 v56, v56, v58, vcc
	v_cndmask_b32_e64 v56, v56, v59, s[6:7]
	ds_bpermute_b32 v66, v93, v56
	v_cndmask_b32_e64 v44, v74, v75, s[8:9]
	s_waitcnt lgkmcnt(0)
	v_cndmask_b32_e64 v56, v59, v66, s[6:7]
	v_cndmask_b32_e32 v57, v58, v66, vcc
	v_cndmask_b32_e64 v58, v61, v66, s[8:9]
	v_cndmask_b32_e64 v59, v60, v66, s[10:11]
	v_pk_mul_f32 v[60:61], v[68:69], v[52:53]
	v_cndmask_b32_e64 v62, v59, v58, s[12:13]
	v_cndmask_b32_e64 v52, v60, v61, s[8:9]
	v_cndmask_b32_e32 v52, v52, v2, vcc
	v_cndmask_b32_e64 v52, v52, v3, s[6:7]
	ds_bpermute_b32 v63, v93, v52
	v_cndmask_b32_e64 v52, v62, v57, s[14:15]
	v_cndmask_b32_e64 v52, v52, v56, s[16:17]
	ds_bpermute_b32 v52, v93, v52
	s_waitcnt lgkmcnt(1)
	v_cndmask_b32_e64 v53, v3, v63, s[6:7]
	v_cndmask_b32_e32 v54, v2, v63, vcc
	v_cndmask_b32_e64 v55, v61, v63, s[8:9]
	v_cndmask_b32_e64 v60, v60, v63, s[10:11]
	v_mov_b32_e32 v2, v70
	v_mov_b32_e32 v3, v70
	v_pk_mul_f32 v[62:63], v[70:71], v[48:49]
	v_pk_mul_f32 v[2:3], v[2:3], v[50:51]
	v_cndmask_b32_e64 v48, v62, v63, s[8:9]
	v_cndmask_b32_e32 v48, v48, v2, vcc
	v_cndmask_b32_e64 v48, v48, v3, s[6:7]
	ds_bpermute_b32 v51, v93, v48
	v_cndmask_b32_e64 v48, v60, v55, s[12:13]
	v_cndmask_b32_e64 v48, v48, v54, s[14:15]
	;; [unrolled: 1-line block ×3, first 2 shown]
	ds_bpermute_b32 v48, v93, v48
	s_waitcnt lgkmcnt(1)
	v_cndmask_b32_e64 v49, v3, v51, s[6:7]
	v_cndmask_b32_e32 v50, v2, v51, vcc
	v_mov_b32_e32 v2, v72
	v_mov_b32_e32 v3, v72
	v_pk_mul_f32 v[2:3], v[2:3], v[46:47]
	v_cndmask_b32_e64 v61, v63, v51, s[8:9]
	v_cndmask_b32_e32 v44, v44, v2, vcc
	v_cndmask_b32_e64 v44, v44, v3, s[6:7]
	ds_bpermute_b32 v47, v93, v44
	v_cndmask_b32_e64 v62, v62, v51, s[10:11]
	v_cndmask_b32_e64 v44, v62, v61, s[12:13]
	v_cndmask_b32_e64 v44, v44, v50, s[14:15]
	v_cndmask_b32_e64 v44, v44, v49, s[16:17]
	s_waitcnt lgkmcnt(0)
	v_cndmask_b32_e64 v45, v3, v47, s[6:7]
	v_cndmask_b32_e32 v46, v2, v47, vcc
	v_cndmask_b32_e64 v66, v75, v47, s[8:9]
	v_cndmask_b32_e64 v67, v74, v47, s[10:11]
	v_mov_b32_e32 v2, v64
	v_mov_b32_e32 v3, v64
	v_pk_mul_f32 v[74:75], v[64:65], v[40:41]
	v_pk_mul_f32 v[2:3], v[2:3], v[42:43]
	v_cndmask_b32_e64 v40, v74, v75, s[8:9]
	v_cndmask_b32_e32 v40, v40, v2, vcc
	v_cndmask_b32_e64 v40, v40, v3, s[6:7]
	ds_bpermute_b32 v41, v93, v40
	v_cndmask_b32_e64 v40, v67, v66, s[12:13]
	v_cndmask_b32_e64 v40, v40, v46, s[14:15]
	;; [unrolled: 1-line block ×3, first 2 shown]
	ds_bpermute_b32 v42, v93, v40
	s_waitcnt lgkmcnt(1)
	v_cndmask_b32_e32 v47, v2, v41, vcc
	v_cmp_ne_u32_e32 vcc, 0, v78
	v_cndmask_b32_e64 v43, v3, v41, s[6:7]
	ds_bpermute_b32 v44, v93, v44
	v_cndmask_b32_e32 v40, v75, v41, vcc
	v_cndmask_b32_e64 v41, v74, v41, s[10:11]
	v_cndmask_b32_e64 v2, v41, v40, s[12:13]
	;; [unrolled: 1-line block ×4, first 2 shown]
	ds_bpermute_b32 v51, v93, v2
	v_or_b32_e32 v2, v77, v76
	;;#ASMSTART
	global_atomic_pk_add_f16 v[0:1], v2, off
	
	;;#ASMEND
	scratch_load_dword v0, off, off offset:24 ; 4-byte Folded Reload
	s_waitcnt vmcnt(0)
	v_or_b32_e32 v0, 16, v0
	v_add_u32_e32 v63, s69, v0
	v_cmp_gt_u32_e32 vcc, 64, v63
	s_and_b64 exec, exec, vcc
	s_cbranch_execz .LBB370_50
; %bb.44:                               ;   in Loop: Header=BB370_7 Depth=1
	v_cmp_eq_u32_e64 s[8:9], 1, v97
	v_cmp_eq_u32_e64 s[10:11], 0, v97
	v_cmp_eq_u32_e32 vcc, 3, v97
	v_cndmask_b32_e64 v0, v58, v52, s[8:9]
	v_cndmask_b32_e64 v2, v55, v48, s[8:9]
	s_waitcnt lgkmcnt(1)
	v_cndmask_b32_e64 v55, v61, v44, s[8:9]
	v_cndmask_b32_e64 v58, v62, v44, s[10:11]
	s_waitcnt lgkmcnt(0)
	v_cndmask_b32_e64 v61, v40, v51, s[8:9]
	v_cndmask_b32_e64 v62, v41, v51, s[10:11]
	scratch_load_dwordx2 v[40:41], off, off offset:72 ; 8-byte Folded Reload
	v_cndmask_b32_e64 v1, v59, v52, s[10:11]
	v_cndmask_b32_e64 v3, v60, v48, s[10:11]
	v_cvt_f16_f32_e32 v1, v1
	v_cvt_f16_f32_sdwa v0, v0 dst_sel:WORD_1 dst_unused:UNUSED_PAD src0_sel:DWORD
	v_cvt_f16_f32_e32 v3, v3
	v_cvt_f16_f32_sdwa v2, v2 dst_sel:WORD_1 dst_unused:UNUSED_PAD src0_sel:DWORD
	;; [unrolled: 2-line block ×3, first 2 shown]
	v_or_b32_e32 v0, v0, v1
	v_or_b32_e32 v2, v2, v3
	v_cndmask_b32_e64 v59, v66, v42, s[8:9]
	v_cndmask_b32_e64 v60, v67, v42, s[10:11]
	v_cvt_f16_f32_sdwa v3, v59 dst_sel:WORD_1 dst_unused:UNUSED_PAD src0_sel:DWORD
	v_cmp_eq_u32_e64 s[6:7], 2, v97
	v_cmp_gt_u32_e64 s[8:9], 62, v63
	s_waitcnt vmcnt(0)
	v_lshl_add_u64 v[40:41], v[40:41], 1, s[52:53]
	;;#ASMSTART
	global_atomic_pk_add_f16 v[40:41], v0, off
	
	;;#ASMEND
	v_lshl_add_u64 v[0:1], v[40:41], 0, 32
	;;#ASMSTART
	global_atomic_pk_add_f16 v[0:1], v2, off
	
	;;#ASMEND
	v_or_b32_e32 v2, v55, v58
	v_lshl_add_u64 v[0:1], v[40:41], 0, 64
	;;#ASMSTART
	global_atomic_pk_add_f16 v[0:1], v2, off
	
	;;#ASMEND
	v_cvt_f16_f32_e32 v2, v60
	v_cvt_f16_f32_e32 v55, v62
	v_cvt_f16_f32_sdwa v58, v61 dst_sel:WORD_1 dst_unused:UNUSED_PAD src0_sel:DWORD
	v_lshl_add_u64 v[0:1], v[40:41], 0, s[30:31]
	v_or_b32_e32 v2, v3, v2
	;;#ASMSTART
	global_atomic_pk_add_f16 v[0:1], v2, off
	
	;;#ASMEND
	v_lshl_add_u64 v[0:1], v[40:41], 0, s[34:35]
	v_or_b32_e32 v2, v58, v55
	;;#ASMSTART
	global_atomic_pk_add_f16 v[0:1], v2, off
	
	;;#ASMEND
	s_and_b64 exec, exec, s[8:9]
	s_cbranch_execz .LBB370_50
; %bb.45:                               ;   in Loop: Header=BB370_7 Depth=1
	v_cndmask_b32_e32 v0, v56, v52, vcc
	v_cndmask_b32_e64 v1, v57, v52, s[6:7]
	v_cndmask_b32_e32 v2, v53, v48, vcc
	v_cndmask_b32_e64 v3, v54, v48, s[6:7]
	v_cndmask_b32_e32 v48, v49, v44, vcc
	v_cndmask_b32_e32 v45, v45, v42, vcc
	v_cndmask_b32_e64 v42, v46, v42, s[6:7]
	v_cndmask_b32_e64 v46, v47, v51, s[6:7]
	v_cvt_f16_f32_e32 v47, v1
	v_cvt_f16_f32_sdwa v49, v0 dst_sel:WORD_1 dst_unused:UNUSED_PAD src0_sel:DWORD
	v_lshl_add_u64 v[0:1], s[28:29], 2, v[40:41]
	v_cvt_f16_f32_e32 v40, v3
	v_cvt_f16_f32_sdwa v41, v2 dst_sel:WORD_1 dst_unused:UNUSED_PAD src0_sel:DWORD
	v_cndmask_b32_e64 v44, v50, v44, s[6:7]
	v_or_b32_e32 v2, v49, v47
	;;#ASMSTART
	global_atomic_pk_add_f16 v[0:1], v2, off
	
	;;#ASMEND
	v_or_b32_e32 v40, v41, v40
	v_lshl_add_u64 v[2:3], v[0:1], 0, 32
	;;#ASMSTART
	global_atomic_pk_add_f16 v[2:3], v40, off
	
	;;#ASMEND
	v_cvt_f16_f32_e32 v40, v44
	v_cvt_f16_f32_sdwa v41, v48 dst_sel:WORD_1 dst_unused:UNUSED_PAD src0_sel:DWORD
	v_lshl_add_u64 v[2:3], v[0:1], 0, 64
	v_cvt_f16_f32_e32 v42, v42
	v_cvt_f16_f32_sdwa v44, v45 dst_sel:WORD_1 dst_unused:UNUSED_PAD src0_sel:DWORD
	v_or_b32_e32 v40, v41, v40
	;;#ASMSTART
	global_atomic_pk_add_f16 v[2:3], v40, off
	
	;;#ASMEND
	scratch_load_dword v50, off, off offset:20 ; 4-byte Folded Reload
	v_mov_b32_e32 v40, v94
	v_mov_b32_e32 v41, v94
	v_pk_mul_f32 v[38:39], v[40:41], v[38:39]
	v_pk_mul_f32 v[40:41], v[94:95], v[36:37]
	v_cndmask_b32_e32 v43, v43, v51, vcc
	v_or_b32_e32 v42, v44, v42
	v_lshl_add_u64 v[2:3], v[0:1], 0, s[30:31]
	;;#ASMSTART
	global_atomic_pk_add_f16 v[2:3], v42, off
	
	;;#ASMEND
	v_mov_b32_e32 v2, v68
	v_mov_b32_e32 v3, v68
	v_pk_mul_f32 v[2:3], v[2:3], v[34:35]
	v_cvt_f16_f32_sdwa v49, v43 dst_sel:WORD_1 dst_unused:UNUSED_PAD src0_sel:DWORD
	v_cmp_eq_u32_e64 s[12:13], 1, v97
	v_cmp_eq_u32_e64 s[14:15], 2, v97
	v_cvt_f16_f32_e32 v48, v46
	v_pk_mul_f32 v[46:47], v[72:73], v[24:25]
	v_cmp_eq_u32_e64 s[16:17], 3, v97
	v_lshl_add_u64 v[0:1], v[0:1], 0, s[34:35]
	s_waitcnt vmcnt(0)
	v_cmp_eq_u32_e64 s[8:9], 1, v50
	s_nop 1
	v_cndmask_b32_e64 v36, v40, v41, s[8:9]
	v_cmp_eq_u32_e32 vcc, 2, v50
	v_cmp_eq_u32_e64 s[6:7], 3, v50
	v_cmp_eq_u32_e64 s[10:11], 0, v50
	v_cndmask_b32_e32 v36, v36, v38, vcc
	v_cndmask_b32_e64 v36, v36, v39, s[6:7]
	ds_bpermute_b32 v44, v93, v36
	v_cndmask_b32_e64 v24, v46, v47, s[8:9]
	s_waitcnt lgkmcnt(0)
	v_cndmask_b32_e64 v36, v39, v44, s[6:7]
	v_cndmask_b32_e32 v37, v38, v44, vcc
	v_cndmask_b32_e64 v38, v41, v44, s[8:9]
	v_cndmask_b32_e64 v39, v40, v44, s[10:11]
	v_pk_mul_f32 v[40:41], v[68:69], v[32:33]
	v_cndmask_b32_e64 v42, v39, v38, s[12:13]
	v_cndmask_b32_e64 v32, v40, v41, s[8:9]
	v_cndmask_b32_e32 v32, v32, v2, vcc
	v_cndmask_b32_e64 v32, v32, v3, s[6:7]
	ds_bpermute_b32 v43, v93, v32
	v_cndmask_b32_e64 v32, v42, v37, s[14:15]
	v_cndmask_b32_e64 v32, v32, v36, s[16:17]
	ds_bpermute_b32 v32, v93, v32
	s_waitcnt lgkmcnt(1)
	v_cndmask_b32_e64 v33, v3, v43, s[6:7]
	v_cndmask_b32_e32 v34, v2, v43, vcc
	v_cndmask_b32_e64 v35, v41, v43, s[8:9]
	v_cndmask_b32_e64 v40, v40, v43, s[10:11]
	v_mov_b32_e32 v2, v70
	v_mov_b32_e32 v3, v70
	v_pk_mul_f32 v[42:43], v[70:71], v[28:29]
	v_pk_mul_f32 v[2:3], v[2:3], v[30:31]
	v_cndmask_b32_e64 v28, v42, v43, s[8:9]
	v_cndmask_b32_e32 v28, v28, v2, vcc
	v_cndmask_b32_e64 v28, v28, v3, s[6:7]
	ds_bpermute_b32 v31, v93, v28
	v_cndmask_b32_e64 v28, v40, v35, s[12:13]
	v_cndmask_b32_e64 v28, v28, v34, s[14:15]
	;; [unrolled: 1-line block ×3, first 2 shown]
	ds_bpermute_b32 v28, v93, v28
	s_waitcnt lgkmcnt(1)
	v_cndmask_b32_e64 v29, v3, v31, s[6:7]
	v_cndmask_b32_e32 v30, v2, v31, vcc
	v_mov_b32_e32 v2, v72
	v_mov_b32_e32 v3, v72
	v_pk_mul_f32 v[2:3], v[2:3], v[26:27]
	v_cndmask_b32_e64 v41, v43, v31, s[8:9]
	v_cndmask_b32_e32 v24, v24, v2, vcc
	v_cndmask_b32_e64 v24, v24, v3, s[6:7]
	ds_bpermute_b32 v27, v93, v24
	v_cndmask_b32_e64 v42, v42, v31, s[10:11]
	v_cndmask_b32_e64 v24, v42, v41, s[12:13]
	;; [unrolled: 1-line block ×4, first 2 shown]
	s_waitcnt lgkmcnt(0)
	v_cndmask_b32_e64 v25, v3, v27, s[6:7]
	v_cndmask_b32_e32 v26, v2, v27, vcc
	v_cndmask_b32_e64 v44, v47, v27, s[8:9]
	v_cndmask_b32_e64 v45, v46, v27, s[10:11]
	v_mov_b32_e32 v2, v64
	v_mov_b32_e32 v3, v64
	v_pk_mul_f32 v[46:47], v[64:65], v[100:101]
	v_pk_mul_f32 v[2:3], v[2:3], v[102:103]
	v_cndmask_b32_e64 v20, v46, v47, s[8:9]
	v_cndmask_b32_e32 v20, v20, v2, vcc
	v_cndmask_b32_e64 v20, v20, v3, s[6:7]
	ds_bpermute_b32 v21, v93, v20
	v_cndmask_b32_e64 v20, v45, v44, s[12:13]
	v_cndmask_b32_e64 v20, v20, v26, s[14:15]
	v_cndmask_b32_e64 v20, v20, v25, s[16:17]
	ds_bpermute_b32 v22, v93, v20
	s_waitcnt lgkmcnt(1)
	v_cndmask_b32_e32 v27, v2, v21, vcc
	v_cmp_ne_u32_e32 vcc, 0, v50
	v_cndmask_b32_e64 v23, v3, v21, s[6:7]
	ds_bpermute_b32 v24, v93, v24
	v_cndmask_b32_e32 v20, v47, v21, vcc
	v_cndmask_b32_e64 v21, v46, v21, s[10:11]
	v_cndmask_b32_e64 v2, v21, v20, s[12:13]
	;; [unrolled: 1-line block ×4, first 2 shown]
	ds_bpermute_b32 v31, v93, v2
	v_or_b32_e32 v2, v49, v48
	;;#ASMSTART
	global_atomic_pk_add_f16 v[0:1], v2, off
	
	;;#ASMEND
	scratch_load_dword v0, off, off offset:24 ; 4-byte Folded Reload
	s_waitcnt vmcnt(0)
	v_or_b32_e32 v0, 32, v0
	v_add_u32_e32 v43, s69, v0
	v_cmp_gt_u32_e32 vcc, 64, v43
	s_and_b64 exec, exec, vcc
	s_cbranch_execz .LBB370_50
; %bb.46:                               ;   in Loop: Header=BB370_7 Depth=1
	v_cmp_eq_u32_e64 s[8:9], 1, v97
	v_cmp_eq_u32_e64 s[10:11], 0, v97
	v_cmp_eq_u32_e32 vcc, 3, v97
	v_cndmask_b32_e64 v0, v38, v32, s[8:9]
	v_cndmask_b32_e64 v2, v35, v28, s[8:9]
	s_waitcnt lgkmcnt(1)
	v_cndmask_b32_e64 v35, v41, v24, s[8:9]
	v_cndmask_b32_e64 v38, v42, v24, s[10:11]
	s_waitcnt lgkmcnt(0)
	v_cndmask_b32_e64 v41, v20, v31, s[8:9]
	v_cndmask_b32_e64 v42, v21, v31, s[10:11]
	scratch_load_dwordx2 v[20:21], off, off offset:80 ; 8-byte Folded Reload
	v_cndmask_b32_e64 v1, v39, v32, s[10:11]
	v_cndmask_b32_e64 v3, v40, v28, s[10:11]
	v_cvt_f16_f32_e32 v1, v1
	v_cvt_f16_f32_sdwa v0, v0 dst_sel:WORD_1 dst_unused:UNUSED_PAD src0_sel:DWORD
	v_cvt_f16_f32_e32 v3, v3
	v_cvt_f16_f32_sdwa v2, v2 dst_sel:WORD_1 dst_unused:UNUSED_PAD src0_sel:DWORD
	;; [unrolled: 2-line block ×3, first 2 shown]
	v_or_b32_e32 v0, v0, v1
	v_or_b32_e32 v2, v2, v3
	v_cndmask_b32_e64 v39, v44, v22, s[8:9]
	v_cndmask_b32_e64 v40, v45, v22, s[10:11]
	v_cvt_f16_f32_sdwa v3, v39 dst_sel:WORD_1 dst_unused:UNUSED_PAD src0_sel:DWORD
	v_cmp_eq_u32_e64 s[6:7], 2, v97
	v_cmp_gt_u32_e64 s[8:9], 62, v43
	s_waitcnt vmcnt(0)
	v_lshl_add_u64 v[20:21], v[20:21], 1, s[52:53]
	;;#ASMSTART
	global_atomic_pk_add_f16 v[20:21], v0, off
	
	;;#ASMEND
	v_lshl_add_u64 v[0:1], v[20:21], 0, 32
	;;#ASMSTART
	global_atomic_pk_add_f16 v[0:1], v2, off
	
	;;#ASMEND
	v_or_b32_e32 v2, v35, v38
	v_lshl_add_u64 v[0:1], v[20:21], 0, 64
	;;#ASMSTART
	global_atomic_pk_add_f16 v[0:1], v2, off
	
	;;#ASMEND
	v_cvt_f16_f32_e32 v2, v40
	v_cvt_f16_f32_e32 v35, v42
	v_cvt_f16_f32_sdwa v38, v41 dst_sel:WORD_1 dst_unused:UNUSED_PAD src0_sel:DWORD
	v_lshl_add_u64 v[0:1], v[20:21], 0, s[30:31]
	v_or_b32_e32 v2, v3, v2
	;;#ASMSTART
	global_atomic_pk_add_f16 v[0:1], v2, off
	
	;;#ASMEND
	v_lshl_add_u64 v[0:1], v[20:21], 0, s[34:35]
	v_or_b32_e32 v2, v38, v35
	;;#ASMSTART
	global_atomic_pk_add_f16 v[0:1], v2, off
	
	;;#ASMEND
	s_and_b64 exec, exec, s[8:9]
	s_cbranch_execz .LBB370_50
; %bb.47:                               ;   in Loop: Header=BB370_7 Depth=1
	v_cndmask_b32_e32 v0, v36, v32, vcc
	v_cndmask_b32_e64 v1, v37, v32, s[6:7]
	v_cndmask_b32_e32 v2, v33, v28, vcc
	v_cndmask_b32_e64 v3, v34, v28, s[6:7]
	v_cndmask_b32_e32 v28, v29, v24, vcc
	v_cndmask_b32_e32 v25, v25, v22, vcc
	v_cndmask_b32_e64 v22, v26, v22, s[6:7]
	v_cndmask_b32_e64 v26, v27, v31, s[6:7]
	v_cvt_f16_f32_e32 v27, v1
	v_cvt_f16_f32_sdwa v29, v0 dst_sel:WORD_1 dst_unused:UNUSED_PAD src0_sel:DWORD
	v_lshl_add_u64 v[0:1], s[28:29], 2, v[20:21]
	v_cvt_f16_f32_e32 v20, v3
	v_cvt_f16_f32_sdwa v21, v2 dst_sel:WORD_1 dst_unused:UNUSED_PAD src0_sel:DWORD
	v_cndmask_b32_e64 v24, v30, v24, s[6:7]
	v_or_b32_e32 v2, v29, v27
	;;#ASMSTART
	global_atomic_pk_add_f16 v[0:1], v2, off
	
	;;#ASMEND
	v_or_b32_e32 v20, v21, v20
	v_lshl_add_u64 v[2:3], v[0:1], 0, 32
	;;#ASMSTART
	global_atomic_pk_add_f16 v[2:3], v20, off
	
	;;#ASMEND
	v_cvt_f16_f32_e32 v20, v24
	v_cvt_f16_f32_sdwa v21, v28 dst_sel:WORD_1 dst_unused:UNUSED_PAD src0_sel:DWORD
	v_cndmask_b32_e32 v23, v23, v31, vcc
	v_lshl_add_u64 v[2:3], v[0:1], 0, 64
	v_cvt_f16_f32_e32 v30, v26
	v_or_b32_e32 v20, v21, v20
	;;#ASMSTART
	global_atomic_pk_add_f16 v[2:3], v20, off
	
	;;#ASMEND
	scratch_load_dword v31, off, off offset:20 ; 4-byte Folded Reload
	v_cvt_f16_f32_sdwa v23, v23 dst_sel:WORD_1 dst_unused:UNUSED_PAD src0_sel:DWORD
	v_cvt_f16_f32_e32 v22, v22
	v_cvt_f16_f32_sdwa v24, v25 dst_sel:WORD_1 dst_unused:UNUSED_PAD src0_sel:DWORD
	v_lshl_add_u64 v[2:3], v[0:1], 0, s[30:31]
	v_or_b32_e32 v23, v23, v30
	v_lshl_add_u64 v[26:27], v[0:1], 0, s[34:35]
	v_or_b32_e32 v22, v24, v22
	;;#ASMSTART
	global_atomic_pk_add_f16 v[2:3], v22, off
	
	;;#ASMEND
	;;#ASMSTART
	global_atomic_pk_add_f16 v[26:27], v23, off
	
	;;#ASMEND
	scratch_load_dword v23, off, off offset:24 ; 4-byte Folded Reload
	v_mov_b32_e32 v20, v94
	v_mov_b32_e32 v21, v94
	v_pk_mul_f32 v[18:19], v[20:21], v[18:19]
	v_pk_mul_f32 v[20:21], v[94:95], v[16:17]
	v_mov_b32_e32 v0, v68
	v_mov_b32_e32 v1, v68
	v_pk_mul_f32 v[2:3], v[68:69], v[8:9]
	v_pk_mul_f32 v[0:1], v[0:1], v[10:11]
	v_cmp_eq_u32_e64 s[12:13], 1, v97
	v_cmp_eq_u32_e64 s[14:15], 2, v97
	;; [unrolled: 1-line block ×3, first 2 shown]
	s_waitcnt vmcnt(1)
	v_cmp_eq_u32_e64 s[8:9], 1, v31
	s_nop 1
	v_cndmask_b32_e64 v16, v20, v21, s[8:9]
	v_cmp_eq_u32_e32 vcc, 2, v31
	v_cmp_eq_u32_e64 s[6:7], 3, v31
	v_cndmask_b32_e64 v8, v2, v3, s[8:9]
	v_cndmask_b32_e32 v16, v16, v18, vcc
	v_cndmask_b32_e64 v16, v16, v19, s[6:7]
	ds_bpermute_b32 v24, v93, v16
	v_cndmask_b32_e32 v8, v8, v0, vcc
	v_cndmask_b32_e64 v8, v8, v1, s[6:7]
	v_cmp_eq_u32_e64 s[10:11], 0, v31
	s_waitcnt vmcnt(0)
	v_or_b32_e32 v23, 48, v23
	s_waitcnt lgkmcnt(0)
	v_cndmask_b32_e32 v17, v18, v24, vcc
	v_cndmask_b32_e64 v18, v21, v24, s[8:9]
	ds_bpermute_b32 v21, v93, v8
	v_cndmask_b32_e64 v16, v19, v24, s[6:7]
	v_cndmask_b32_e64 v19, v20, v24, s[10:11]
	;; [unrolled: 1-line block ×4, first 2 shown]
	s_waitcnt lgkmcnt(0)
	v_cndmask_b32_e64 v9, v1, v21, s[6:7]
	v_cndmask_b32_e32 v10, v0, v21, vcc
	v_cndmask_b32_e64 v11, v3, v21, s[8:9]
	v_cndmask_b32_e64 v20, v2, v21, s[10:11]
	v_mov_b32_e32 v0, v70
	v_mov_b32_e32 v1, v70
	v_pk_mul_f32 v[2:3], v[70:71], v[4:5]
	v_pk_mul_f32 v[0:1], v[0:1], v[6:7]
	v_cndmask_b32_e64 v4, v2, v3, s[8:9]
	v_cndmask_b32_e32 v4, v4, v0, vcc
	v_cndmask_b32_e64 v4, v4, v1, s[6:7]
	ds_bpermute_b32 v7, v93, v4
	v_pk_mul_f32 v[24:25], v[72:73], v[120:121]
	v_cndmask_b32_e64 v4, v20, v11, s[12:13]
	v_cndmask_b32_e64 v4, v4, v10, s[14:15]
	;; [unrolled: 1-line block ×3, first 2 shown]
	s_waitcnt lgkmcnt(0)
	v_cndmask_b32_e64 v5, v1, v7, s[6:7]
	v_cndmask_b32_e32 v6, v0, v7, vcc
	v_mov_b32_e32 v0, v72
	v_mov_b32_e32 v1, v72
	v_cndmask_b32_e64 v22, v2, v7, s[10:11]
	v_pk_mul_f32 v[0:1], v[0:1], v[122:123]
	v_cndmask_b32_e64 v2, v24, v25, s[8:9]
	v_cndmask_b32_e32 v2, v2, v0, vcc
	v_cndmask_b32_e64 v2, v2, v1, s[6:7]
	ds_bpermute_b32 v28, v93, v2
	v_cndmask_b32_e64 v21, v3, v7, s[8:9]
	v_cndmask_b32_e64 v2, v22, v21, s[12:13]
	v_cndmask_b32_e64 v2, v2, v6, s[14:15]
	v_cndmask_b32_e64 v4, v4, v9, s[16:17]
	s_waitcnt lgkmcnt(0)
	v_cndmask_b32_e64 v3, v1, v28, s[6:7]
	v_cndmask_b32_e32 v7, v0, v28, vcc
	v_cndmask_b32_e64 v0, v25, v28, s[8:9]
	v_cndmask_b32_e64 v1, v24, v28, s[10:11]
	v_mov_b32_e32 v24, v64
	v_mov_b32_e32 v25, v64
	v_pk_mul_f32 v[28:29], v[64:65], v[12:13]
	v_pk_mul_f32 v[24:25], v[24:25], v[14:15]
	v_cndmask_b32_e64 v12, v28, v29, s[8:9]
	v_cndmask_b32_e32 v12, v12, v24, vcc
	v_cndmask_b32_e64 v12, v12, v25, s[6:7]
	ds_bpermute_b32 v15, v93, v12
	v_cndmask_b32_e64 v12, v1, v0, s[12:13]
	v_cndmask_b32_e64 v12, v12, v7, s[14:15]
	;; [unrolled: 1-line block ×3, first 2 shown]
	ds_bpermute_b32 v14, v93, v12
	s_waitcnt lgkmcnt(1)
	v_cndmask_b32_e32 v13, v24, v15, vcc
	v_cmp_ne_u32_e32 vcc, 0, v31
	v_cndmask_b32_e64 v12, v25, v15, s[6:7]
	v_cndmask_b32_e64 v25, v28, v15, s[10:11]
	v_cndmask_b32_e32 v24, v29, v15, vcc
	v_cndmask_b32_e64 v15, v25, v24, s[12:13]
	v_cndmask_b32_e64 v15, v15, v13, s[14:15]
	;; [unrolled: 1-line block ×4, first 2 shown]
	ds_bpermute_b32 v8, v93, v8
	ds_bpermute_b32 v4, v93, v4
	;; [unrolled: 1-line block ×4, first 2 shown]
	v_add_u32_e32 v23, s69, v23
	v_cmp_gt_u32_e32 vcc, 64, v23
	s_and_b64 exec, exec, vcc
	s_cbranch_execz .LBB370_50
; %bb.48:                               ;   in Loop: Header=BB370_7 Depth=1
	v_cmp_eq_u32_e64 s[8:9], 1, v97
	v_cmp_eq_u32_e64 s[10:11], 0, v97
	v_cmp_eq_u32_e32 vcc, 3, v97
	s_waitcnt lgkmcnt(4)
	v_cndmask_b32_e64 v26, v0, v14, s[8:9]
	v_cndmask_b32_e64 v27, v1, v14, s[10:11]
	scratch_load_dwordx2 v[0:1], off, off offset:88 ; 8-byte Folded Reload
	s_waitcnt lgkmcnt(3)
	v_cndmask_b32_e64 v18, v18, v8, s[8:9]
	v_cndmask_b32_e64 v19, v19, v8, s[10:11]
	s_waitcnt lgkmcnt(2)
	v_cndmask_b32_e64 v11, v11, v4, s[8:9]
	v_cndmask_b32_e64 v20, v20, v4, s[10:11]
	;; [unrolled: 3-line block ×3, first 2 shown]
	v_cvt_f16_f32_e32 v19, v19
	v_cvt_f16_f32_sdwa v18, v18 dst_sel:WORD_1 dst_unused:UNUSED_PAD src0_sel:DWORD
	v_cvt_f16_f32_e32 v20, v20
	v_cvt_f16_f32_sdwa v11, v11 dst_sel:WORD_1 dst_unused:UNUSED_PAD src0_sel:DWORD
	;; [unrolled: 2-line block ×3, first 2 shown]
	v_or_b32_e32 v18, v18, v19
	v_or_b32_e32 v11, v11, v20
	s_waitcnt lgkmcnt(0)
	v_cndmask_b32_e64 v24, v24, v15, s[8:9]
	v_cndmask_b32_e64 v25, v25, v15, s[10:11]
	v_cvt_f16_f32_sdwa v20, v26 dst_sel:WORD_1 dst_unused:UNUSED_PAD src0_sel:DWORD
	v_cmp_eq_u32_e64 s[6:7], 2, v97
	v_cmp_gt_u32_e64 s[8:9], 62, v23
	s_waitcnt vmcnt(0)
	v_lshl_add_u64 v[0:1], v[0:1], 1, s[52:53]
	;;#ASMSTART
	global_atomic_pk_add_f16 v[0:1], v18, off
	
	;;#ASMEND
	v_lshl_add_u64 v[18:19], v[0:1], 0, 32
	;;#ASMSTART
	global_atomic_pk_add_f16 v[18:19], v11, off
	
	;;#ASMEND
	v_or_b32_e32 v11, v21, v22
	v_lshl_add_u64 v[18:19], v[0:1], 0, 64
	;;#ASMSTART
	global_atomic_pk_add_f16 v[18:19], v11, off
	
	;;#ASMEND
	v_cvt_f16_f32_e32 v11, v27
	v_cvt_f16_f32_e32 v21, v25
	v_cvt_f16_f32_sdwa v22, v24 dst_sel:WORD_1 dst_unused:UNUSED_PAD src0_sel:DWORD
	v_lshl_add_u64 v[18:19], v[0:1], 0, s[30:31]
	v_or_b32_e32 v11, v20, v11
	;;#ASMSTART
	global_atomic_pk_add_f16 v[18:19], v11, off
	
	;;#ASMEND
	v_lshl_add_u64 v[18:19], v[0:1], 0, s[34:35]
	v_or_b32_e32 v11, v22, v21
	;;#ASMSTART
	global_atomic_pk_add_f16 v[18:19], v11, off
	
	;;#ASMEND
	s_and_b64 exec, exec, s[8:9]
	s_cbranch_execz .LBB370_50
; %bb.49:                               ;   in Loop: Header=BB370_7 Depth=1
	v_cndmask_b32_e32 v11, v16, v8, vcc
	v_cndmask_b32_e64 v8, v17, v8, s[6:7]
	v_cndmask_b32_e32 v9, v9, v4, vcc
	v_cndmask_b32_e64 v4, v10, v4, s[6:7]
	;; [unrolled: 2-line block ×3, first 2 shown]
	v_cndmask_b32_e32 v10, v3, v14, vcc
	v_cvt_f16_f32_e32 v2, v8
	v_cvt_f16_f32_sdwa v3, v11 dst_sel:WORD_1 dst_unused:UNUSED_PAD src0_sel:DWORD
	v_cvt_f16_f32_e32 v4, v4
	v_cvt_f16_f32_sdwa v9, v9 dst_sel:WORD_1 dst_unused:UNUSED_PAD src0_sel:DWORD
	;; [unrolled: 2-line block ×3, first 2 shown]
	v_lshl_add_u64 v[0:1], s[28:29], 2, v[0:1]
	v_or_b32_e32 v2, v3, v2
	v_or_b32_e32 v4, v9, v4
	v_cndmask_b32_e64 v7, v7, v14, s[6:7]
	v_cndmask_b32_e32 v8, v12, v15, vcc
	v_cndmask_b32_e64 v11, v13, v15, s[6:7]
	;;#ASMSTART
	global_atomic_pk_add_f16 v[0:1], v2, off
	
	;;#ASMEND
	v_lshl_add_u64 v[2:3], v[0:1], 0, 32
	;;#ASMSTART
	global_atomic_pk_add_f16 v[2:3], v4, off
	
	;;#ASMEND
	v_or_b32_e32 v4, v5, v6
	v_lshl_add_u64 v[2:3], v[0:1], 0, 64
	;;#ASMSTART
	global_atomic_pk_add_f16 v[2:3], v4, off
	
	;;#ASMEND
	v_cvt_f16_f32_e32 v4, v7
	v_cvt_f16_f32_sdwa v5, v10 dst_sel:WORD_1 dst_unused:UNUSED_PAD src0_sel:DWORD
	v_cvt_f16_f32_e32 v6, v11
	v_cvt_f16_f32_sdwa v7, v8 dst_sel:WORD_1 dst_unused:UNUSED_PAD src0_sel:DWORD
	v_lshl_add_u64 v[2:3], v[0:1], 0, s[30:31]
	v_or_b32_e32 v4, v5, v4
	;;#ASMSTART
	global_atomic_pk_add_f16 v[2:3], v4, off
	
	;;#ASMEND
	v_lshl_add_u64 v[0:1], v[0:1], 0, s[34:35]
	v_or_b32_e32 v2, v7, v6
	;;#ASMSTART
	global_atomic_pk_add_f16 v[0:1], v2, off
	
	;;#ASMEND
.LBB370_50:                             ;   in Loop: Header=BB370_7 Depth=1
	s_or_b64 exec, exec, s[18:19]
	s_waitcnt lgkmcnt(4)
	scratch_load_dword v14, off, off offset:28 ; 4-byte Folded Reload
	scratch_load_dwordx2 v[16:17], off, off offset:40 ; 8-byte Folded Reload
	s_waitcnt lgkmcnt(0)
	scratch_load_dword v15, off, off offset:48 ; 4-byte Folded Reload
	v_subrev_u32_e32 v90, s70, v90
	v_mov_b32_e32 v82, v97
.LBB370_51:                             ;   in Loop: Header=BB370_7 Depth=1
	s_or_b64 exec, exec, s[50:51]
.LBB370_52:                             ;   in Loop: Header=BB370_7 Depth=1
	s_andn2_saveexec_b64 s[6:7], s[48:49]
	s_cbranch_execz .LBB370_61
; %bb.53:                               ;   in Loop: Header=BB370_7 Depth=1
	s_mul_i32 s16, s70, 5
	v_cmp_gt_i32_e32 vcc, s16, v90
	s_and_saveexec_b64 s[8:9], vcc
	s_cbranch_execz .LBB370_60
; %bb.54:                               ;   in Loop: Header=BB370_7 Depth=1
	scratch_load_dwordx2 v[0:1], off, off offset:52 ; 8-byte Folded Reload
	s_mul_i32 s10, s46, s23
	s_ashr_i32 s11, s10, 31
	s_waitcnt lgkmcnt(0)
	s_add_u32 s10, s38, s10
	s_addc_u32 s11, s39, s11
	s_ashr_i32 s12, s68, 31
	s_add_u32 s10, s10, s68
	s_addc_u32 s11, s11, s12
	s_waitcnt vmcnt(0)
	v_lshl_add_u64 v[0:1], s[10:11], 0, v[0:1]
	v_lshl_add_u64 v[8:9], v[0:1], 0, v[16:17]
	s_mov_b64 s[10:11], 0
	s_branch .LBB370_56
.LBB370_55:                             ;   in Loop: Header=BB370_56 Depth=2
	s_or_b64 exec, exec, s[12:13]
	v_lshl_or_b32 v12, v10, 11, v92
	;;#ASMSTART
	s_waitcnt vmcnt(1)
	;;#ASMEND
	ds_write2_b32 v12, v4, v5 offset1:32
	ds_write2_b32 v12, v6, v7 offset0:64 offset1:96
	v_add_u32_e32 v4, 0x400, v12
	v_add_u32_e32 v90, s26, v90
	;;#ASMSTART
	s_waitcnt vmcnt(0)
	;;#ASMEND
	ds_write2_b32 v4, v0, v1 offset1:32
	ds_write2_b32 v4, v2, v3 offset0:64 offset1:96
	v_add_u32_e32 v0, 1, v84
	v_add_u32_e32 v88, s26, v10
	v_cmp_le_i32_e32 vcc, s16, v90
	ds_write_b32 v11, v0 offset:32
	v_add_u32_e32 v0, 2, v84
	s_or_b64 s[10:11], vcc, s[10:11]
	v_cmp_lt_i32_e32 vcc, 9, v88
	s_nop 1
	v_cndmask_b32_e32 v84, v84, v0, vcc
	s_andn2_b64 exec, exec, s[10:11]
	s_cbranch_execz .LBB370_59
.LBB370_56:                             ;   Parent Loop BB370_7 Depth=1
                                        ; =>  This Loop Header: Depth=2
                                        ;       Child Loop BB370_58 Depth 3
	v_cmp_gt_i32_e32 vcc, 10, v88
	s_nop 1
	v_cndmask_b32_e64 v0, -10, 0, vcc
	v_add_u32_e32 v10, v0, v88
	v_mul_hi_i32 v0, v90, s56
	v_lshrrev_b32_e32 v1, 31, v0
	v_ashrrev_i32_e32 v0, 1, v0
	v_add_u32_e32 v0, v0, v1
	v_lshl_add_u32 v1, v0, 2, v0
	v_sub_u32_e32 v2, v90, v1
	v_lshlrev_b32_e32 v0, 7, v0
	v_ashrrev_i32_e32 v1, 31, v0
	v_mul_lo_u32 v2, s60, v2
	v_lshl_add_u64 v[0:1], v[8:9], 0, v[0:1]
	v_ashrrev_i32_e32 v3, 31, v2
	v_lshl_add_u64 v[0:1], v[0:1], 0, v[2:3]
	v_lshlrev_b32_e32 v11, 2, v10
	;;#ASMSTART
	global_load_dwordx4 v[4:7], v[0:1], off offset:0   sc0 sc1 nt  
	global_load_dwordx4 v[0:3], v[0:1], off offset:64  sc0 sc1 nt  
	
	;;#ASMEND
	ds_read_b32 v12, v11 offset:36896
	v_add_u32_e32 v11, 0x9000, v11
	s_waitcnt lgkmcnt(0)
	v_cmp_ne_u32_e32 vcc, v12, v84
	s_and_saveexec_b64 s[12:13], vcc
	s_cbranch_execz .LBB370_55
; %bb.57:                               ;   in Loop: Header=BB370_56 Depth=2
	s_mov_b64 s[14:15], 0
.LBB370_58:                             ;   Parent Loop BB370_7 Depth=1
                                        ;     Parent Loop BB370_56 Depth=2
                                        ; =>    This Inner Loop Header: Depth=3
	;;#ASMSTART
	s_sleep 0
	;;#ASMEND
	ds_read_b32 v12, v11 offset:32
	s_waitcnt lgkmcnt(0)
	v_cmp_eq_u32_e32 vcc, v12, v84
	s_or_b64 s[14:15], vcc, s[14:15]
	s_andn2_b64 exec, exec, s[14:15]
	s_cbranch_execnz .LBB370_58
	s_branch .LBB370_55
.LBB370_59:                             ;   in Loop: Header=BB370_7 Depth=1
	s_or_b64 exec, exec, s[10:11]
.LBB370_60:                             ;   in Loop: Header=BB370_7 Depth=1
	s_or_b64 exec, exec, s[8:9]
	v_subrev_u32_e32 v90, s16, v90
.LBB370_61:                             ;   in Loop: Header=BB370_7 Depth=1
	s_or_b64 exec, exec, s[6:7]
.LBB370_62:                             ;   in Loop: Header=BB370_7 Depth=1
	s_andn2_saveexec_b64 s[6:7], s[44:45]
	s_cbranch_execz .LBB370_6
; %bb.63:                               ;   in Loop: Header=BB370_7 Depth=1
	s_lshl_b32 s16, s70, 2
	v_cmp_gt_i32_e32 vcc, s16, v90
	s_and_saveexec_b64 s[8:9], vcc
	s_cbranch_execz .LBB370_5
; %bb.64:                               ;   in Loop: Header=BB370_7 Depth=1
	s_mul_i32 s67, s67, s22
	s_ashr_i32 s10, s67, 31
	s_waitcnt lgkmcnt(0)
	s_add_u32 s11, s36, s67
	s_waitcnt vmcnt(0)
	v_add_u32_e32 v2, s69, v15
	s_addc_u32 s12, s37, s10
	s_ashr_i32 s13, s68, 31
	v_mul_lo_u32 v0, s22, v15
	v_cmp_gt_u32_e32 vcc, 64, v2
	s_add_u32 s10, s11, s68
	s_addc_u32 s11, s12, s13
	v_cndmask_b32_e32 v0, 0, v0, vcc
	v_ashrrev_i32_e32 v1, 31, v0
	v_lshl_add_u64 v[0:1], s[10:11], 0, v[0:1]
	v_lshl_add_u64 v[8:9], v[0:1], 0, v[16:17]
	v_sub_u32_e32 v10, 63, v2
	s_mov_b64 s[10:11], 0
	s_branch .LBB370_66
.LBB370_65:                             ;   in Loop: Header=BB370_66 Depth=2
	s_or_b64 exec, exec, s[12:13]
	v_or_b32_e32 v13, 0x5000, v92
	v_lshl_add_u32 v13, v11, 11, v13
	;;#ASMSTART
	s_waitcnt vmcnt(1)
	;;#ASMEND
	ds_write2_b32 v13, v4, v5 offset1:32
	ds_write2_b32 v13, v6, v7 offset0:64 offset1:96
	v_add_u32_e32 v4, 0x400, v13
	v_add_u32_e32 v90, s25, v90
	;;#ASMSTART
	s_waitcnt vmcnt(0)
	;;#ASMEND
	ds_write2_b32 v4, v0, v1 offset1:32
	ds_write2_b32 v4, v2, v3 offset0:64 offset1:96
	v_add_u32_e32 v0, 1, v84
	v_add_u32_e32 v88, s25, v11
	v_cmp_le_i32_e32 vcc, s16, v90
	ds_write_b32 v12, v0
	v_add_u32_e32 v0, 2, v84
	s_or_b64 s[10:11], vcc, s[10:11]
	v_cmp_lt_i32_e32 vcc, 7, v88
	s_nop 1
	v_cndmask_b32_e32 v84, v84, v0, vcc
	s_andn2_b64 exec, exec, s[10:11]
	s_cbranch_execz .LBB370_4
.LBB370_66:                             ;   Parent Loop BB370_7 Depth=1
                                        ; =>  This Loop Header: Depth=2
                                        ;       Child Loop BB370_68 Depth 3
	v_cmp_gt_i32_e32 vcc, 8, v88
	s_nop 1
	v_cndmask_b32_e64 v0, -8, 0, vcc
	v_add_u32_e32 v11, v0, v88
	v_ashrrev_i32_e32 v0, 31, v90
	v_lshrrev_b32_e32 v0, 30, v0
	v_add_u32_e32 v0, v90, v0
	v_and_b32_e32 v1, 0xffffffc, v0
	v_sub_u32_e32 v1, v90, v1
	v_lshlrev_b32_e32 v1, 4, v1
	v_cmp_le_i32_e32 vcc, v1, v10
	v_lshlrev_b32_e32 v0, 5, v0
	v_and_b32_e32 v0, 0xffffff80, v0
	v_cndmask_b32_e32 v2, 0, v1, vcc
	v_ashrrev_i32_e32 v1, 31, v0
	v_mul_lo_u32 v2, v2, s22
	v_lshl_add_u64 v[0:1], v[8:9], 0, v[0:1]
	v_ashrrev_i32_e32 v3, 31, v2
	v_lshl_add_u64 v[0:1], v[0:1], 0, v[2:3]
	v_lshlrev_b32_e32 v12, 2, v11
	;;#ASMSTART
	global_load_dwordx4 v[4:7], v[0:1], off offset:0   
	global_load_dwordx4 v[0:3], v[0:1], off offset:64  
	
	;;#ASMEND
	ds_read_b32 v13, v12 offset:36864
	v_add_u32_e32 v12, 0x9000, v12
	s_waitcnt lgkmcnt(0)
	v_cmp_ne_u32_e32 vcc, v13, v84
	s_and_saveexec_b64 s[12:13], vcc
	s_cbranch_execz .LBB370_65
; %bb.67:                               ;   in Loop: Header=BB370_66 Depth=2
	s_mov_b64 s[14:15], 0
.LBB370_68:                             ;   Parent Loop BB370_7 Depth=1
                                        ;     Parent Loop BB370_66 Depth=2
                                        ; =>    This Inner Loop Header: Depth=3
	;;#ASMSTART
	s_sleep 0
	;;#ASMEND
	ds_read_b32 v13, v12
	s_waitcnt lgkmcnt(0)
	v_cmp_eq_u32_e32 vcc, v13, v84
	s_or_b64 s[14:15], vcc, s[14:15]
	s_andn2_b64 exec, exec, s[14:15]
	s_cbranch_execnz .LBB370_68
	s_branch .LBB370_65
.LBB370_69:
	s_endpgm
	.section	.rodata,"a",@progbits
	.p2align	6, 0x0
	.amdhsa_kernel _Z19_skinny_gemm_kernelILi4ELi5ELi2ELi16ELi4EEvPKhS1_P6__halfPKfiiiiiiii
		.amdhsa_group_segment_fixed_size 36936
		.amdhsa_private_segment_fixed_size 100
		.amdhsa_kernarg_size 64
		.amdhsa_user_sgpr_count 2
		.amdhsa_user_sgpr_dispatch_ptr 0
		.amdhsa_user_sgpr_queue_ptr 0
		.amdhsa_user_sgpr_kernarg_segment_ptr 1
		.amdhsa_user_sgpr_dispatch_id 0
		.amdhsa_user_sgpr_kernarg_preload_length 0
		.amdhsa_user_sgpr_kernarg_preload_offset 0
		.amdhsa_user_sgpr_private_segment_size 0
		.amdhsa_uses_dynamic_stack 0
		.amdhsa_enable_private_segment 1
		.amdhsa_system_sgpr_workgroup_id_x 1
		.amdhsa_system_sgpr_workgroup_id_y 0
		.amdhsa_system_sgpr_workgroup_id_z 0
		.amdhsa_system_sgpr_workgroup_info 0
		.amdhsa_system_vgpr_workitem_id 0
		.amdhsa_next_free_vgpr 128
		.amdhsa_next_free_sgpr 71
		.amdhsa_accum_offset 128
		.amdhsa_reserve_vcc 1
		.amdhsa_float_round_mode_32 0
		.amdhsa_float_round_mode_16_64 0
		.amdhsa_float_denorm_mode_32 3
		.amdhsa_float_denorm_mode_16_64 3
		.amdhsa_dx10_clamp 1
		.amdhsa_ieee_mode 1
		.amdhsa_fp16_overflow 0
		.amdhsa_tg_split 0
		.amdhsa_exception_fp_ieee_invalid_op 0
		.amdhsa_exception_fp_denorm_src 0
		.amdhsa_exception_fp_ieee_div_zero 0
		.amdhsa_exception_fp_ieee_overflow 0
		.amdhsa_exception_fp_ieee_underflow 0
		.amdhsa_exception_fp_ieee_inexact 0
		.amdhsa_exception_int_div_zero 0
	.end_amdhsa_kernel
	.section	.text._Z19_skinny_gemm_kernelILi4ELi5ELi2ELi16ELi4EEvPKhS1_P6__halfPKfiiiiiiii,"axG",@progbits,_Z19_skinny_gemm_kernelILi4ELi5ELi2ELi16ELi4EEvPKhS1_P6__halfPKfiiiiiiii,comdat
.Lfunc_end370:
	.size	_Z19_skinny_gemm_kernelILi4ELi5ELi2ELi16ELi4EEvPKhS1_P6__halfPKfiiiiiiii, .Lfunc_end370-_Z19_skinny_gemm_kernelILi4ELi5ELi2ELi16ELi4EEvPKhS1_P6__halfPKfiiiiiiii
                                        ; -- End function
	.set _Z19_skinny_gemm_kernelILi4ELi5ELi2ELi16ELi4EEvPKhS1_P6__halfPKfiiiiiiii.num_vgpr, 128
	.set _Z19_skinny_gemm_kernelILi4ELi5ELi2ELi16ELi4EEvPKhS1_P6__halfPKfiiiiiiii.num_agpr, 0
	.set _Z19_skinny_gemm_kernelILi4ELi5ELi2ELi16ELi4EEvPKhS1_P6__halfPKfiiiiiiii.numbered_sgpr, 71
	.set _Z19_skinny_gemm_kernelILi4ELi5ELi2ELi16ELi4EEvPKhS1_P6__halfPKfiiiiiiii.num_named_barrier, 0
	.set _Z19_skinny_gemm_kernelILi4ELi5ELi2ELi16ELi4EEvPKhS1_P6__halfPKfiiiiiiii.private_seg_size, 100
	.set _Z19_skinny_gemm_kernelILi4ELi5ELi2ELi16ELi4EEvPKhS1_P6__halfPKfiiiiiiii.uses_vcc, 1
	.set _Z19_skinny_gemm_kernelILi4ELi5ELi2ELi16ELi4EEvPKhS1_P6__halfPKfiiiiiiii.uses_flat_scratch, 0
	.set _Z19_skinny_gemm_kernelILi4ELi5ELi2ELi16ELi4EEvPKhS1_P6__halfPKfiiiiiiii.has_dyn_sized_stack, 0
	.set _Z19_skinny_gemm_kernelILi4ELi5ELi2ELi16ELi4EEvPKhS1_P6__halfPKfiiiiiiii.has_recursion, 0
	.set _Z19_skinny_gemm_kernelILi4ELi5ELi2ELi16ELi4EEvPKhS1_P6__halfPKfiiiiiiii.has_indirect_call, 0
	.section	.AMDGPU.csdata,"",@progbits
; Kernel info:
; codeLenInByte = 10152
; TotalNumSgprs: 77
; NumVgprs: 128
; NumAgprs: 0
; TotalNumVgprs: 128
; ScratchSize: 100
; MemoryBound: 0
; FloatMode: 240
; IeeeMode: 1
; LDSByteSize: 36936 bytes/workgroup (compile time only)
; SGPRBlocks: 9
; VGPRBlocks: 15
; NumSGPRsForWavesPerEU: 77
; NumVGPRsForWavesPerEU: 128
; AccumOffset: 128
; Occupancy: 4
; WaveLimiterHint : 0
; COMPUTE_PGM_RSRC2:SCRATCH_EN: 1
; COMPUTE_PGM_RSRC2:USER_SGPR: 2
; COMPUTE_PGM_RSRC2:TRAP_HANDLER: 0
; COMPUTE_PGM_RSRC2:TGID_X_EN: 1
; COMPUTE_PGM_RSRC2:TGID_Y_EN: 0
; COMPUTE_PGM_RSRC2:TGID_Z_EN: 0
; COMPUTE_PGM_RSRC2:TIDIG_COMP_CNT: 0
; COMPUTE_PGM_RSRC3_GFX90A:ACCUM_OFFSET: 31
; COMPUTE_PGM_RSRC3_GFX90A:TG_SPLIT: 0
	.section	.text._Z19_skinny_gemm_kernelILi4ELi5ELi2ELi32ELi4EEvPKhS1_P6__halfPKfiiiiiiii,"axG",@progbits,_Z19_skinny_gemm_kernelILi4ELi5ELi2ELi32ELi4EEvPKhS1_P6__halfPKfiiiiiiii,comdat
	.protected	_Z19_skinny_gemm_kernelILi4ELi5ELi2ELi32ELi4EEvPKhS1_P6__halfPKfiiiiiiii ; -- Begin function _Z19_skinny_gemm_kernelILi4ELi5ELi2ELi32ELi4EEvPKhS1_P6__halfPKfiiiiiiii
	.globl	_Z19_skinny_gemm_kernelILi4ELi5ELi2ELi32ELi4EEvPKhS1_P6__halfPKfiiiiiiii
	.p2align	8
	.type	_Z19_skinny_gemm_kernelILi4ELi5ELi2ELi32ELi4EEvPKhS1_P6__halfPKfiiiiiiii,@function
_Z19_skinny_gemm_kernelILi4ELi5ELi2ELi32ELi4EEvPKhS1_P6__halfPKfiiiiiiii: ; @_Z19_skinny_gemm_kernelILi4ELi5ELi2ELi32ELi4EEvPKhS1_P6__halfPKfiiiiiiii
; %bb.0:
	v_cmp_gt_u32_e32 vcc, 18, v0
	s_and_saveexec_b64 s[4:5], vcc
; %bb.1:
	v_lshlrev_b32_e32 v1, 2, v0
	v_mov_b32_e32 v2, 0
	ds_write_b32 v1, v2 offset:36864
; %bb.2:
	s_or_b64 exec, exec, s[4:5]
	s_load_dwordx8 s[24:31], s[0:1], 0x20
	s_waitcnt lgkmcnt(0)
	s_barrier
	s_add_i32 s3, s24, 0x7f
	s_ashr_i32 s5, s3, 31
	s_add_i32 s4, s25, 0x9f
	s_lshr_b32 s5, s5, 25
	s_mul_hi_i32 s4, s4, 0x66666667
	s_add_i32 s3, s3, s5
	s_ashr_i32 s14, s3, 7
	s_lshr_b32 s3, s4, 31
	s_ashr_i32 s4, s4, 6
	s_add_i32 s15, s4, s3
	s_mul_i32 s3, s15, s14
	s_mul_i32 s3, s3, s28
	s_add_i32 s4, s3, 0x12f
	s_mul_hi_i32 s4, s4, 0x6bca1af3
	s_lshr_b32 s5, s4, 31
	s_ashr_i32 s4, s4, 7
	s_add_i32 s4, s4, s5
	s_add_i32 s5, s2, 1
	s_mul_i32 s5, s4, s5
	v_cvt_f64_i32_e32 v[2:3], s3
	v_cvt_f64_u32_e32 v[4:5], s5
	v_min_f64 v[2:3], v[2:3], v[4:5]
	v_cvt_i32_f64_e32 v1, v[2:3]
	s_mul_i32 s2, s4, s2
	v_cmp_ge_i32_e32 vcc, s2, v1
	scratch_store_dword off, v1, off offset:4 ; 4-byte Folded Spill
	s_cbranch_vccnz .LBB371_55
; %bb.3:
	s_load_dwordx8 s[16:23], s[0:1], 0x0
	v_lshrrev_b32_e32 v1, 6, v0
	s_add_i32 s0, s30, s29
	v_cmp_le_i32_e64 s[34:35], s0, v1
	v_mov_b32_e32 v2, s29
	v_cmp_le_i32_e64 s[36:37], s29, v1
	v_mov_b32_e32 v3, s30
	v_cndmask_b32_e64 v3, 0, v3, s[34:35]
	v_cndmask_b32_e64 v2, 0, v2, s[36:37]
	s_abs_i32 s1, s28
	v_add_u32_e32 v2, v2, v3
	v_cvt_f32_u32_e32 v3, s1
	v_sub_u32_e32 v88, v1, v2
	s_ashr_i32 s3, s26, 31
	s_lshr_b32 s3, s3, 26
	v_rcp_iflag_f32_e32 v2, v3
	s_sub_i32 s6, 0, s1
	s_add_i32 s3, s26, s3
	s_ashr_i32 s3, s3, 6
	v_mul_f32_e32 v2, 0x4f7ffffe, v2
	v_cvt_u32_f32_e32 v2, v2
	s_abs_i32 s5, s3
	s_xor_b32 s4, s3, s28
	s_ashr_i32 s4, s4, 31
	v_readfirstlane_b32 s7, v2
	s_mul_i32 s6, s6, s7
	s_mul_hi_u32 s6, s7, s6
	s_add_i32 s7, s7, s6
	s_mul_hi_u32 s6, s5, s7
	s_mul_i32 s7, s6, s1
	s_sub_i32 s5, s5, s7
	s_add_i32 s7, s6, 1
	s_sub_i32 s8, s5, s1
	s_cmp_ge_u32 s5, s1
	s_cselect_b32 s6, s7, s6
	s_cselect_b32 s5, s8, s5
	s_add_i32 s7, s6, 1
	s_cmp_ge_u32 s5, s1
	s_cselect_b32 s1, s7, s6
	s_add_i32 s0, s0, s31
	v_and_b32_e32 v85, 31, v0
	v_lshrrev_b32_e32 v2, 3, v0
	v_cmp_gt_i32_e64 s[42:43], s0, v1
	v_lshlrev_b32_e32 v1, 2, v85
	v_and_b32_e32 v3, 4, v2
	v_lshlrev_b32_e32 v2, 6, v3
	v_or_b32_e32 v4, 0x5000, v1
	v_or_b32_e32 v5, v4, v2
	scratch_store_dword off, v5, off        ; 4-byte Folded Spill
	v_and_b32_e32 v5, 1, v0
	v_or_b32_e32 v98, v1, v2
	v_lshlrev_b32_e32 v2, 1, v5
	v_sub_u32_e32 v2, v0, v2
	v_add_u32_e32 v2, 1, v2
	v_and_b32_e32 v6, 63, v2
	v_bitop3_b32 v2, v0, 1, v0 bitop3:0xc
	scratch_store_dword off, v2, off offset:32 ; 4-byte Folded Spill
	v_bitop3_b32 v2, v0, 3, 1 bitop3:0x6c
	scratch_store_dword off, v2, off offset:36 ; 4-byte Folded Spill
	v_bitop3_b32 v2, v0, 5, 1 bitop3:0x6c
	scratch_store_dword off, v2, off offset:40 ; 4-byte Folded Spill
	v_bitop3_b32 v2, v0, 7, 1 bitop3:0x6c
	scratch_store_dword off, v2, off offset:44 ; 4-byte Folded Spill
	v_bitop3_b32 v2, v0, 9, 1 bitop3:0x6c
	scratch_store_dword off, v2, off offset:48 ; 4-byte Folded Spill
	v_bitop3_b32 v2, v0, 11, 1 bitop3:0x6c
	scratch_store_dword off, v2, off offset:52 ; 4-byte Folded Spill
	v_bitop3_b32 v2, v0, 13, 1 bitop3:0x6c
	scratch_store_dword off, v2, off offset:56 ; 4-byte Folded Spill
	v_bitop3_b32 v2, v0, 15, 1 bitop3:0x6c
	scratch_store_dword off, v2, off offset:60 ; 4-byte Folded Spill
	v_or_b32_e32 v2, 32, v85
	s_add_i32 s39, s28, -1
	scratch_store_dword off, v2, off offset:64 ; 4-byte Folded Spill
	v_or_b32_e32 v2, 64, v85
	v_lshrrev_b32_e32 v7, 1, v0
	s_abs_i32 s28, s14
	scratch_store_dword off, v2, off offset:68 ; 4-byte Folded Spill
	v_or_b32_e32 v2, 0x60, v85
	v_and_b32_e32 v8, 16, v7
	v_cvt_f32_u32_e32 v7, s28
	scratch_store_dword off, v2, off offset:72 ; 4-byte Folded Spill
	v_or_b32_e32 v2, 0x80, v85
	scratch_store_dword off, v2, off offset:76 ; 4-byte Folded Spill
	v_and_b32_e32 v2, 30, v0
	v_lshlrev_b32_e32 v0, 4, v0
                                        ; implicit-def: $vgpr127 : SGPR spill to VGPR lane
	v_and_b32_e32 v0, 0x200, v0
	v_writelane_b32 v127, s14, 0
	s_xor_b32 s1, s1, s4
	v_or_b32_e32 v111, v1, v0
	v_rcp_iflag_f32_e32 v1, v7
	v_writelane_b32 v127, s15, 1
	s_sub_i32 s38, s1, s4
	s_waitcnt lgkmcnt(0)
	v_writelane_b32 v127, s16, 2
	s_mul_i32 s1, s38, s39
	s_sub_i32 s40, s3, s1
	v_writelane_b32 v127, s17, 3
	s_abs_i32 s3, s15
	v_writelane_b32 v127, s18, 4
	v_or_b32_e32 v113, v4, v0
	v_mul_f32_e32 v0, 0x4f7ffffe, v1
	v_cvt_f32_u32_e32 v1, s3
	v_writelane_b32 v127, s19, 5
	v_writelane_b32 v127, s20, 6
	;; [unrolled: 1-line block ×4, first 2 shown]
	v_cvt_u32_f32_e32 v0, v0
	v_rcp_iflag_f32_e32 v1, v1
	v_writelane_b32 v127, s23, 9
	v_cndmask_b32_e64 v95, 0, 1, s[34:35]
	v_writelane_b32 v127, s34, 10
	v_readfirstlane_b32 s1, v0
	v_mul_f32_e32 v0, 0x4f7ffffe, v1
	v_writelane_b32 v127, s35, 11
	v_writelane_b32 v127, s36, 12
	v_cvt_u32_f32_e32 v0, v0
	s_sub_i32 s0, 0, s28
	v_writelane_b32 v127, s37, 13
	v_writelane_b32 v127, s38, 14
	;; [unrolled: 1-line block ×3, first 2 shown]
	s_mul_i32 s0, s0, s1
	v_writelane_b32 v127, s40, 16
	s_mul_hi_u32 s0, s1, s0
	v_writelane_b32 v127, s42, 17
	s_ashr_i32 s41, s14, 31
	s_add_i32 s44, s1, s0
	s_sub_i32 s0, 0, s3
	v_readfirstlane_b32 s1, v0
	v_writelane_b32 v127, s43, 18
	s_mul_i32 s0, s0, s1
	v_mbcnt_lo_u32_b32 v0, -1, 0
	v_writelane_b32 v127, s41, 19
	s_ashr_i32 s45, s15, 31
	s_mul_hi_u32 s0, s1, s0
	v_mbcnt_hi_u32_b32 v0, -1, v0
	v_writelane_b32 v127, s44, 20
	v_mov_b32_e32 v97, 0
	v_mul_lo_u32 v10, s27, v85
	s_add_i32 s46, s1, s0
	v_and_or_b32 v0, v0, 64, v6
	v_writelane_b32 v127, s45, 21
	v_ashrrev_i32_e32 v11, 31, v10
	v_mov_b32_e32 v9, v97
	s_lshl_b32 s33, s27, 5
	v_mul_lo_u32 v7, s26, v85
	v_or_b32_e32 v114, v5, v3
	v_lshlrev_b32_e32 v96, 1, v2
	v_lshlrev_b32_e32 v115, 2, v0
	v_mov_b32_e32 v116, v88
	v_writelane_b32 v127, s46, 22
	scratch_store_dwordx2 off, v[10:11], off offset:80 ; 8-byte Folded Spill
	scratch_store_dwordx2 off, v[8:9], off offset:8 ; 8-byte Folded Spill
	scratch_store_dword off, v7, off offset:16 ; 4-byte Folded Spill
	scratch_store_dword off, v85, off offset:28 ; 4-byte Folded Spill
	s_branch .LBB371_7
.LBB371_4:                              ;   in Loop: Header=BB371_7 Depth=1
	s_or_b64 exec, exec, s[6:7]
.LBB371_5:                              ;   in Loop: Header=BB371_7 Depth=1
	s_or_b64 exec, exec, s[4:5]
	v_subrev_u32_e32 v116, s12, v116
.LBB371_6:                              ;   in Loop: Header=BB371_7 Depth=1
	s_or_b64 exec, exec, s[0:1]
	scratch_load_dword v0, off, off offset:4 ; 4-byte Folded Reload
	s_add_i32 s2, s2, 1
	s_waitcnt vmcnt(0)
	v_cmp_ge_i32_e32 vcc, s2, v0
	s_cbranch_vccnz .LBB371_55
.LBB371_7:                              ; =>This Loop Header: Depth=1
                                        ;     Child Loop BB371_13 Depth 2
                                        ;       Child Loop BB371_15 Depth 3
                                        ;       Child Loop BB371_18 Depth 3
	;; [unrolled: 1-line block ×6, first 2 shown]
                                        ;     Child Loop BB371_34 Depth 2
                                        ;     Child Loop BB371_42 Depth 2
                                        ;       Child Loop BB371_44 Depth 3
                                        ;     Child Loop BB371_52 Depth 2
                                        ;       Child Loop BB371_54 Depth 3
	s_abs_i32 s1, s2
	s_mul_hi_u32 s4, s1, s44
	s_mul_i32 s5, s4, s28
	s_ashr_i32 s0, s2, 31
	s_sub_i32 s1, s1, s5
	s_xor_b32 s0, s0, s41
	s_add_i32 s5, s4, 1
	s_sub_i32 s6, s1, s28
	s_cmp_ge_u32 s1, s28
	s_cselect_b32 s4, s5, s4
	s_cselect_b32 s1, s6, s1
	s_add_i32 s5, s4, 1
	s_cmp_ge_u32 s1, s28
	s_cselect_b32 s1, s5, s4
	s_xor_b32 s1, s1, s0
	s_sub_i32 s0, s1, s0
	s_abs_i32 s4, s0
	s_mul_i32 s1, s0, s14
	s_mul_hi_u32 s5, s4, s46
	s_sub_i32 s1, s2, s1
	s_mul_i32 s6, s5, s3
	s_lshl_b32 s47, s1, 7
	s_ashr_i32 s1, s0, 31
	s_sub_i32 s4, s4, s6
	s_xor_b32 s1, s1, s45
	s_add_i32 s6, s5, 1
	s_sub_i32 s7, s4, s3
	s_cmp_ge_u32 s4, s3
	s_cselect_b32 s5, s6, s5
	s_cselect_b32 s4, s7, s4
	s_add_i32 s6, s5, 1
	s_cmp_ge_u32 s4, s3
	s_cselect_b32 s4, s6, s5
	s_xor_b32 s4, s4, s1
	s_sub_i32 s1, s4, s1
	s_mul_i32 s4, s1, s38
	s_lshl_b32 s13, s4, 6
	s_cmp_eq_u32 s1, s39
	s_cselect_b32 s98, s40, s38
	s_sub_i32 s4, s47, s24
	s_addk_i32 s4, 0x80
	s_max_i32 s99, s4, 0
	s_and_saveexec_b64 s[4:5], s[36:37]
	s_xor_b64 s[48:49], exec, s[4:5]
	s_cbranch_execz .LBB371_48
; %bb.8:                                ;   in Loop: Header=BB371_7 Depth=1
	s_mul_i32 s1, s1, s15
	s_sub_i32 s0, s0, s1
	s_mulk_i32 s0, 0xa0
	s_sub_i32 s70, s0, s25
	s_addk_i32 s70, 0xa0
	v_writelane_b32 v127, s48, 23
	s_max_i32 s1, s70, 0
	s_mov_b32 s4, s13
	v_writelane_b32 v127, s49, 24
	s_sub_i32 s68, s0, s1
	s_and_saveexec_b64 s[0:1], s[34:35]
	s_xor_b64 s[0:1], exec, s[0:1]
	s_cbranch_execz .LBB371_38
; %bb.9:                                ;   in Loop: Header=BB371_7 Depth=1
	s_mov_b64 s[6:7], exec
	v_writelane_b32 v127, s6, 25
	s_nop 1
	v_writelane_b32 v127, s7, 26
	s_and_b64 s[6:7], s[6:7], s[42:43]
	s_mov_b64 exec, s[6:7]
	s_cbranch_execz .LBB371_37
; %bb.10:                               ;   in Loop: Header=BB371_7 Depth=1
	global_load_dword v117, v97, s[22:23]
	v_mov_b32_e32 v79, 0
	v_cmp_gt_i32_e32 vcc, s98, v116
	v_mov_b32_e32 v78, v79
	v_mov_b32_e32 v77, v79
	v_mov_b32_e32 v76, v79
	v_mov_b32_e32 v75, v79
	v_mov_b32_e32 v74, v79
	v_mov_b32_e32 v73, v79
	v_mov_b32_e32 v72, v79
	v_mov_b32_e32 v71, v79
	v_mov_b32_e32 v70, v79
	v_mov_b32_e32 v69, v79
	v_mov_b32_e32 v68, v79
	v_mov_b32_e32 v67, v79
	v_mov_b32_e32 v66, v79
	v_mov_b32_e32 v65, v79
	v_mov_b32_e32 v64, v79
	v_mov_b32_e32 v63, v79
	v_mov_b32_e32 v62, v79
	v_mov_b32_e32 v61, v79
	v_mov_b32_e32 v60, v79
	v_mov_b32_e32 v59, v79
	v_mov_b32_e32 v58, v79
	v_mov_b32_e32 v57, v79
	v_mov_b32_e32 v56, v79
	v_mov_b32_e32 v55, v79
	v_mov_b32_e32 v54, v79
	v_mov_b32_e32 v53, v79
	v_mov_b32_e32 v52, v79
	v_mov_b32_e32 v51, v79
	v_mov_b32_e32 v50, v79
	v_mov_b32_e32 v49, v79
	v_mov_b32_e32 v48, v79
	v_mov_b32_e32 v47, v79
	v_mov_b32_e32 v46, v79
	v_mov_b32_e32 v45, v79
	v_mov_b32_e32 v44, v79
	v_mov_b32_e32 v43, v79
	v_mov_b32_e32 v42, v79
	v_mov_b32_e32 v41, v79
	v_mov_b32_e32 v40, v79
	v_mov_b32_e32 v39, v79
	v_mov_b32_e32 v38, v79
	v_mov_b32_e32 v37, v79
	v_mov_b32_e32 v36, v79
	v_mov_b32_e32 v35, v79
	v_mov_b32_e32 v34, v79
	v_mov_b32_e32 v33, v79
	v_mov_b32_e32 v32, v79
	v_mov_b32_e32 v31, v79
	v_mov_b32_e32 v30, v79
	v_mov_b32_e32 v29, v79
	v_mov_b32_e32 v28, v79
	v_mov_b32_e32 v27, v79
	v_mov_b32_e32 v26, v79
	v_mov_b32_e32 v25, v79
	v_mov_b32_e32 v24, v79
	v_mov_b32_e32 v23, v79
	v_mov_b32_e32 v22, v79
	v_mov_b32_e32 v21, v79
	v_mov_b32_e32 v20, v79
	v_mov_b32_e32 v19, v79
	v_mov_b32_e32 v18, v79
	v_mov_b32_e32 v17, v79
	v_mov_b32_e32 v16, v79
	v_mov_b32_e32 v15, v79
	v_mov_b32_e32 v14, v79
	v_mov_b32_e32 v13, v79
	v_mov_b32_e32 v12, v79
	v_mov_b32_e32 v11, v79
	v_mov_b32_e32 v10, v79
	v_mov_b32_e32 v9, v79
	v_mov_b32_e32 v8, v79
	v_mov_b32_e32 v7, v79
	v_mov_b32_e32 v6, v79
	v_mov_b32_e32 v5, v79
	v_mov_b32_e32 v4, v79
	v_mov_b32_e32 v3, v79
	v_mov_b32_e32 v2, v79
	v_mov_b32_e32 v1, v79
	v_mov_b32_e32 v0, v79
	s_and_saveexec_b64 s[6:7], vcc
	s_cbranch_execz .LBB371_32
; %bb.11:                               ;   in Loop: Header=BB371_7 Depth=1
	v_mov_b32_e32 v0, 0
	s_mov_b64 s[8:9], 0
	v_mov_b32_e32 v1, v0
	v_mov_b32_e32 v2, v0
	;; [unrolled: 1-line block ×79, first 2 shown]
	s_branch .LBB371_13
.LBB371_12:                             ;   in Loop: Header=BB371_13 Depth=2
	s_or_b64 exec, exec, s[10:11]
	v_add_u32_e32 v81, 0x2000, v80
	ds_read2_b32 v[82:83], v81 offset1:32
	v_add_u32_e32 v116, s31, v116
	s_waitcnt lgkmcnt(0)
	v_mfma_f32_32x32x16_fp8_fp8 v[0:15], v[92:93], v[82:83], v[0:15]
	ds_read2_b32 v[82:83], v81 offset0:128 offset1:160
	s_waitcnt lgkmcnt(0)
	v_mfma_f32_32x32x16_fp8_fp8 v[0:15], v[90:91], v[82:83], v[0:15]
	v_add_u32_e32 v82, 0x2400, v80
	ds_read2_b32 v[80:81], v82 offset1:32
	ds_read2_b32 v[82:83], v82 offset0:128 offset1:160
	ds_write_b32 v119, v120 offset:36900
	s_waitcnt lgkmcnt(2)
	v_mfma_f32_32x32x16_fp8_fp8 v[0:15], v[88:89], v[80:81], v[0:15]
	v_add_u32_e32 v88, s31, v118
	v_add_u32_e32 v80, 2, v95
	v_cmp_lt_i32_e32 vcc, 1, v88
	s_nop 1
	v_cndmask_b32_e32 v95, v95, v80, vcc
	v_cmp_le_i32_e32 vcc, s98, v116
	s_waitcnt lgkmcnt(1)
	v_mfma_f32_32x32x16_fp8_fp8 v[0:15], v[86:87], v[82:83], v[0:15]
	s_or_b64 s[8:9], vcc, s[8:9]
	s_andn2_b64 exec, exec, s[8:9]
	s_cbranch_execz .LBB371_31
.LBB371_13:                             ;   Parent Loop BB371_7 Depth=1
                                        ; =>  This Loop Header: Depth=2
                                        ;       Child Loop BB371_15 Depth 3
                                        ;       Child Loop BB371_18 Depth 3
	;; [unrolled: 1-line block ×6, first 2 shown]
	v_cmp_gt_i32_e32 vcc, 2, v88
	s_nop 1
	v_cndmask_b32_e64 v80, -2, 0, vcc
	v_add_u32_e32 v118, v80, v88
	v_mul_lo_u32 v119, v118, 40
	ds_read_b32 v80, v119 offset:36864
	s_waitcnt lgkmcnt(0)
	v_cmp_ne_u32_e32 vcc, v80, v95
	s_and_saveexec_b64 s[10:11], vcc
	s_cbranch_execz .LBB371_16
; %bb.14:                               ;   in Loop: Header=BB371_13 Depth=2
	s_mov_b64 s[12:13], 0
.LBB371_15:                             ;   Parent Loop BB371_7 Depth=1
                                        ;     Parent Loop BB371_13 Depth=2
                                        ; =>    This Inner Loop Header: Depth=3
	;;#ASMSTART
	s_sleep 0
	;;#ASMEND
	ds_read_b32 v80, v119 offset:36864
	s_waitcnt lgkmcnt(0)
	v_cmp_eq_u32_e32 vcc, v80, v95
	s_or_b64 s[12:13], vcc, s[12:13]
	s_andn2_b64 exec, exec, s[12:13]
	s_cbranch_execnz .LBB371_15
.LBB371_16:                             ;   in Loop: Header=BB371_13 Depth=2
	s_or_b64 exec, exec, s[10:11]
	scratch_load_dword v80, off, off        ; 4-byte Folded Reload
	v_add_u32_e32 v120, 1, v95
	s_waitcnt vmcnt(0)
	v_lshl_add_u32 v80, v118, 11, v80
	ds_read2_b32 v[92:93], v80 offset1:32
	ds_read2_b32 v[90:91], v80 offset0:128 offset1:160
	v_add_u32_e32 v80, 0x400, v80
	ds_read2_b32 v[88:89], v80 offset1:32
	ds_read_b32 v81, v119 offset:36868
	ds_read2_b32 v[86:87], v80 offset0:128 offset1:160
	ds_write_b32 v119, v120 offset:36864
	s_waitcnt lgkmcnt(2)
	v_cmp_ne_u32_e32 vcc, v81, v95
	s_and_saveexec_b64 s[10:11], vcc
	s_cbranch_execz .LBB371_19
; %bb.17:                               ;   in Loop: Header=BB371_13 Depth=2
	s_mov_b64 s[12:13], 0
.LBB371_18:                             ;   Parent Loop BB371_7 Depth=1
                                        ;     Parent Loop BB371_13 Depth=2
                                        ; =>    This Inner Loop Header: Depth=3
	;;#ASMSTART
	s_sleep 0
	;;#ASMEND
	ds_read_b32 v80, v119 offset:36868
	s_waitcnt lgkmcnt(0)
	v_cmp_eq_u32_e32 vcc, v80, v95
	s_or_b64 s[12:13], vcc, s[12:13]
	s_andn2_b64 exec, exec, s[12:13]
	s_cbranch_execnz .LBB371_18
.LBB371_19:                             ;   in Loop: Header=BB371_13 Depth=2
	s_or_b64 exec, exec, s[10:11]
	s_movk_i32 s5, 0x2800
	v_mul_lo_u32 v80, v118, s5
	v_or_b32_e32 v81, v98, v80
	ds_read2_b32 v[82:83], v81 offset1:32
	ds_write_b32 v119, v120 offset:36868
	s_waitcnt lgkmcnt(1)
	v_mfma_f32_32x32x16_fp8_fp8 v[64:79], v[92:93], v[82:83], v[64:79]
	ds_read2_b32 v[82:83], v81 offset0:128 offset1:160
	v_add_u32_e32 v81, 0x400, v81
	s_waitcnt lgkmcnt(0)
	v_mfma_f32_32x32x16_fp8_fp8 v[64:79], v[90:91], v[82:83], v[64:79]
	ds_read2_b32 v[82:83], v81 offset1:32
	s_waitcnt lgkmcnt(0)
	v_mfma_f32_32x32x16_fp8_fp8 v[64:79], v[88:89], v[82:83], v[64:79]
	ds_read2_b32 v[82:83], v81 offset0:128 offset1:160
	ds_read_b32 v81, v119 offset:36876
	s_waitcnt lgkmcnt(0)
	v_cmp_ne_u32_e32 vcc, v81, v95
	v_mfma_f32_32x32x16_fp8_fp8 v[64:79], v[86:87], v[82:83], v[64:79]
	s_and_saveexec_b64 s[10:11], vcc
	s_cbranch_execz .LBB371_22
; %bb.20:                               ;   in Loop: Header=BB371_13 Depth=2
	s_mov_b64 s[12:13], 0
.LBB371_21:                             ;   Parent Loop BB371_7 Depth=1
                                        ;     Parent Loop BB371_13 Depth=2
                                        ; =>    This Inner Loop Header: Depth=3
	;;#ASMSTART
	s_sleep 0
	;;#ASMEND
	ds_read_b32 v81, v119 offset:36876
	s_waitcnt lgkmcnt(0)
	v_cmp_eq_u32_e32 vcc, v81, v95
	s_or_b64 s[12:13], vcc, s[12:13]
	s_andn2_b64 exec, exec, s[12:13]
	s_cbranch_execnz .LBB371_21
.LBB371_22:                             ;   in Loop: Header=BB371_13 Depth=2
	s_or_b64 exec, exec, s[10:11]
	v_add_u32_e32 v80, v98, v80
	v_add_u32_e32 v81, 0x800, v80
	ds_read2_b32 v[82:83], v81 offset1:32
	ds_write_b32 v119, v120 offset:36876
	s_waitcnt lgkmcnt(1)
	v_mfma_f32_32x32x16_fp8_fp8 v[48:63], v[92:93], v[82:83], v[48:63]
	ds_read2_b32 v[82:83], v81 offset0:128 offset1:160
	v_add_u32_e32 v81, 0xc00, v80
	s_waitcnt lgkmcnt(0)
	v_mfma_f32_32x32x16_fp8_fp8 v[48:63], v[90:91], v[82:83], v[48:63]
	ds_read2_b32 v[82:83], v81 offset1:32
	s_waitcnt lgkmcnt(0)
	v_mfma_f32_32x32x16_fp8_fp8 v[48:63], v[88:89], v[82:83], v[48:63]
	ds_read2_b32 v[82:83], v81 offset0:128 offset1:160
	ds_read_b32 v81, v119 offset:36884
	s_waitcnt lgkmcnt(0)
	v_cmp_ne_u32_e32 vcc, v81, v95
	v_mfma_f32_32x32x16_fp8_fp8 v[48:63], v[86:87], v[82:83], v[48:63]
	s_and_saveexec_b64 s[10:11], vcc
	s_cbranch_execz .LBB371_25
; %bb.23:                               ;   in Loop: Header=BB371_13 Depth=2
	s_mov_b64 s[12:13], 0
.LBB371_24:                             ;   Parent Loop BB371_7 Depth=1
                                        ;     Parent Loop BB371_13 Depth=2
                                        ; =>    This Inner Loop Header: Depth=3
	;;#ASMSTART
	s_sleep 0
	;;#ASMEND
	ds_read_b32 v81, v119 offset:36884
	s_waitcnt lgkmcnt(0)
	v_cmp_eq_u32_e32 vcc, v81, v95
	s_or_b64 s[12:13], vcc, s[12:13]
	s_andn2_b64 exec, exec, s[12:13]
	s_cbranch_execnz .LBB371_24
.LBB371_25:                             ;   in Loop: Header=BB371_13 Depth=2
	s_or_b64 exec, exec, s[10:11]
	v_add_u32_e32 v81, 0x1000, v80
	ds_read2_b32 v[82:83], v81 offset1:32
	s_waitcnt lgkmcnt(0)
	v_mfma_f32_32x32x16_fp8_fp8 v[32:47], v[92:93], v[82:83], v[32:47]
	ds_read2_b32 v[82:83], v81 offset0:128 offset1:160
	v_add_u32_e32 v81, 0x1400, v80
	s_waitcnt lgkmcnt(0)
	v_mfma_f32_32x32x16_fp8_fp8 v[32:47], v[90:91], v[82:83], v[32:47]
	ds_read2_b32 v[82:83], v81 offset1:32
	s_waitcnt lgkmcnt(0)
	v_mfma_f32_32x32x16_fp8_fp8 v[32:47], v[88:89], v[82:83], v[32:47]
	ds_read_b32 v84, v119 offset:36892
	ds_read2_b32 v[82:83], v81 offset0:128 offset1:160
	ds_write_b32 v119, v120 offset:36884
	s_waitcnt lgkmcnt(2)
	v_cmp_ne_u32_e32 vcc, v84, v95
	s_waitcnt lgkmcnt(1)
	v_mfma_f32_32x32x16_fp8_fp8 v[32:47], v[86:87], v[82:83], v[32:47]
	s_and_saveexec_b64 s[10:11], vcc
	s_cbranch_execz .LBB371_28
; %bb.26:                               ;   in Loop: Header=BB371_13 Depth=2
	s_mov_b64 s[12:13], 0
.LBB371_27:                             ;   Parent Loop BB371_7 Depth=1
                                        ;     Parent Loop BB371_13 Depth=2
                                        ; =>    This Inner Loop Header: Depth=3
	;;#ASMSTART
	s_sleep 0
	;;#ASMEND
	ds_read_b32 v81, v119 offset:36892
	s_waitcnt lgkmcnt(0)
	v_cmp_eq_u32_e32 vcc, v81, v95
	s_or_b64 s[12:13], vcc, s[12:13]
	s_andn2_b64 exec, exec, s[12:13]
	s_cbranch_execnz .LBB371_27
.LBB371_28:                             ;   in Loop: Header=BB371_13 Depth=2
	s_or_b64 exec, exec, s[10:11]
	v_add_u32_e32 v81, 0x1800, v80
	ds_read2_b32 v[82:83], v81 offset1:32
	s_waitcnt lgkmcnt(0)
	v_mfma_f32_32x32x16_fp8_fp8 v[16:31], v[92:93], v[82:83], v[16:31]
	ds_read2_b32 v[82:83], v81 offset0:128 offset1:160
	v_add_u32_e32 v81, 0x1c00, v80
	s_waitcnt lgkmcnt(0)
	v_mfma_f32_32x32x16_fp8_fp8 v[16:31], v[90:91], v[82:83], v[16:31]
	ds_read2_b32 v[82:83], v81 offset1:32
	s_waitcnt lgkmcnt(0)
	v_mfma_f32_32x32x16_fp8_fp8 v[16:31], v[88:89], v[82:83], v[16:31]
	ds_read_b32 v84, v119 offset:36900
	ds_read2_b32 v[82:83], v81 offset0:128 offset1:160
	ds_write_b32 v119, v120 offset:36892
	s_waitcnt lgkmcnt(2)
	v_cmp_ne_u32_e32 vcc, v84, v95
	s_waitcnt lgkmcnt(1)
	v_mfma_f32_32x32x16_fp8_fp8 v[16:31], v[86:87], v[82:83], v[16:31]
	s_and_saveexec_b64 s[10:11], vcc
	s_cbranch_execz .LBB371_12
; %bb.29:                               ;   in Loop: Header=BB371_13 Depth=2
	s_mov_b64 s[12:13], 0
.LBB371_30:                             ;   Parent Loop BB371_7 Depth=1
                                        ;     Parent Loop BB371_13 Depth=2
                                        ; =>    This Inner Loop Header: Depth=3
	;;#ASMSTART
	s_sleep 0
	;;#ASMEND
	ds_read_b32 v81, v119 offset:36900
	s_waitcnt lgkmcnt(0)
	v_cmp_eq_u32_e32 vcc, v81, v95
	s_or_b64 s[12:13], vcc, s[12:13]
	s_andn2_b64 exec, exec, s[12:13]
	s_cbranch_execnz .LBB371_30
	s_branch .LBB371_12
.LBB371_31:                             ;   in Loop: Header=BB371_7 Depth=1
	s_or_b64 exec, exec, s[8:9]
.LBB371_32:                             ;   in Loop: Header=BB371_7 Depth=1
	s_or_b64 exec, exec, s[6:7]
	scratch_load_dword v99, off, off offset:32 ; 4-byte Folded Reload
	scratch_load_dword v106, off, off offset:40 ; 4-byte Folded Reload
	v_cmp_le_i32_e32 vcc, s70, v85
	v_writelane_b32 v127, s47, 27
	s_mul_i32 s6, s47, s25
	s_waitcnt vmcnt(2)
	v_cndmask_b32_e32 v80, 0, v117, vcc
	v_pk_mul_f32 v[64:65], v[80:81], v[64:65] op_sel_hi:[0,1]
	v_pk_mul_f32 v[78:79], v[80:81], v[78:79] op_sel_hi:[0,1]
	;; [unrolled: 1-line block ×8, first 2 shown]
	s_ashr_i32 s7, s6, 31
	s_lshl_b64 s[6:7], s[6:7], 1
	s_add_u32 s71, s20, s6
	s_addc_u32 s72, s21, s7
	s_ashr_i32 s69, s68, 31
	s_mov_b32 s82, s68
	s_lshl_b64 s[68:69], s[68:69], 1
	v_writelane_b32 v127, s82, 28
	s_add_u32 s68, s71, s68
	s_addc_u32 s69, s72, s69
	v_writelane_b32 v127, s83, 29
	v_writelane_b32 v127, s68, 30
	scratch_store_dwordx2 off, v[96:97], off offset:20 ; 8-byte Folded Spill
	v_subrev_u32_e32 v116, s98, v116
	v_writelane_b32 v127, s69, 31
	s_mov_b32 s5, 0
	s_waitcnt vmcnt(2)
	v_cmp_eq_u32_e64 s[64:65], 1, v99
	s_nop 1
	v_cndmask_b32_e64 v80, v64, v65, s[64:65]
	v_cmp_eq_u32_e64 s[38:39], 2, v99
	v_cmp_eq_u32_e64 s[40:41], 3, v99
	v_cmp_eq_u32_e64 s[42:43], 4, v99
	v_cndmask_b32_e64 v80, v80, v66, s[38:39]
	v_cndmask_b32_e64 v80, v80, v67, s[40:41]
	v_cndmask_b32_e64 v80, v80, v68, s[42:43]
	v_cmp_eq_u32_e64 s[44:45], 5, v99
	v_cmp_eq_u32_e64 s[46:47], 6, v99
	v_cmp_eq_u32_e64 s[48:49], 7, v99
	v_cndmask_b32_e64 v80, v80, v69, s[44:45]
	v_cndmask_b32_e64 v80, v80, v70, s[46:47]
	;; [unrolled: 6-line block ×5, first 2 shown]
	ds_bpermute_b32 v80, v115, v80
	s_waitcnt vmcnt(1)
	v_cmp_eq_u32_e64 s[72:73], 8, v106
	s_waitcnt lgkmcnt(0)
	v_cndmask_b32_e64 v79, v79, v80, s[66:67]
	v_cndmask_b32_e64 v78, v78, v80, s[62:63]
	;; [unrolled: 1-line block ×16, first 2 shown]
	scratch_load_dword v80, off, off offset:36 ; 4-byte Folded Reload
	s_waitcnt vmcnt(0)
	v_cmp_eq_u32_e32 vcc, 1, v80
	s_nop 1
	v_cndmask_b32_e32 v64, v87, v90, vcc
	v_cmp_eq_u32_e64 s[6:7], 2, v80
	v_cmp_eq_u32_e64 s[8:9], 3, v80
	v_cmp_eq_u32_e64 s[10:11], 4, v80
	v_cndmask_b32_e64 v64, v64, v66, s[6:7]
	v_cndmask_b32_e64 v64, v64, v86, s[8:9]
	v_cndmask_b32_e64 v64, v64, v85, s[10:11]
	v_cmp_eq_u32_e64 s[12:13], 5, v80
	v_cmp_eq_u32_e64 s[14:15], 6, v80
	v_cmp_eq_u32_e64 s[16:17], 7, v80
	v_cndmask_b32_e64 v64, v64, v84, s[12:13]
	v_cndmask_b32_e64 v64, v64, v83, s[14:15]
	v_cndmask_b32_e64 v64, v64, v82, s[16:17]
	;; [unrolled: 6-line block ×4, first 2 shown]
	v_cmp_eq_u32_e64 s[80:81], 14, v80
	v_cmp_eq_u32_e64 s[34:35], 15, v80
	s_nop 0
	v_cndmask_b32_e64 v64, v64, v78, s[80:81]
	v_cndmask_b32_e64 v64, v64, v79, s[34:35]
	ds_bpermute_b32 v89, v115, v64
	scratch_load_dword v64, off, off offset:64 ; 4-byte Folded Reload
	s_waitcnt lgkmcnt(0)
	v_cndmask_b32_e64 v65, v79, v89, s[34:35]
	v_cndmask_b32_e64 v79, v66, v89, s[6:7]
	scratch_load_dword v66, off, off offset:72 ; 4-byte Folded Reload
	v_cndmask_b32_e64 v67, v78, v89, s[80:81]
	v_cndmask_b32_e64 v70, v75, v89, s[74:75]
	;; [unrolled: 1-line block ×8, first 2 shown]
	v_cndmask_b32_e32 v86, v90, v89, vcc
	v_cndmask_b32_e64 v68, v77, v89, s[78:79]
	v_cndmask_b32_e64 v77, v85, v89, s[10:11]
	v_cndmask_b32_e64 v69, v76, v89, s[76:77]
	v_cndmask_b32_e64 v76, v84, v89, s[12:13]
	s_waitcnt vmcnt(1)
	v_cmp_le_i32_e64 s[68:69], s70, v64
	s_nop 1
	v_cndmask_b32_e64 v64, 0, v117, s[68:69]
	v_pk_mul_f32 v[62:63], v[64:65], v[62:63] op_sel_hi:[0,1]
	v_pk_mul_f32 v[60:61], v[64:65], v[60:61] op_sel_hi:[0,1]
	;; [unrolled: 1-line block ×8, first 2 shown]
	scratch_load_dword v64, off, off offset:68 ; 4-byte Folded Reload
	v_cndmask_b32_e64 v81, v48, v49, s[64:65]
	v_cndmask_b32_e64 v81, v81, v50, s[38:39]
	;; [unrolled: 1-line block ×15, first 2 shown]
	ds_bpermute_b32 v122, v115, v81
	s_waitcnt vmcnt(0)
	v_cmp_le_i32_e64 s[68:69], s70, v64
	s_nop 1
	v_cndmask_b32_e64 v64, 0, v117, s[68:69]
	v_cmp_le_i32_e64 s[68:69], s70, v66
	v_pk_mul_f32 v[32:33], v[64:65], v[32:33] op_sel_hi:[0,1]
	v_pk_mul_f32 v[34:35], v[64:65], v[34:35] op_sel_hi:[0,1]
	v_cndmask_b32_e64 v66, 0, v117, s[68:69]
	v_cmp_eq_u32_e64 s[68:69], 0, v80
	scratch_load_dword v80, off, off offset:76 ; 4-byte Folded Reload
	v_pk_mul_f32 v[82:83], v[66:67], v[28:29] op_sel_hi:[0,1]
	v_cndmask_b32_e64 v28, v32, v33, s[64:65]
	v_cndmask_b32_e64 v28, v28, v34, s[38:39]
	v_pk_mul_f32 v[36:37], v[64:65], v[36:37] op_sel_hi:[0,1]
	v_cndmask_b32_e64 v28, v28, v35, s[40:41]
	v_cndmask_b32_e64 v28, v28, v36, s[42:43]
	;; [unrolled: 3-line block ×7, first 2 shown]
	v_pk_mul_f32 v[16:17], v[66:67], v[16:17] op_sel_hi:[0,1]
	v_cndmask_b32_e64 v28, v28, v47, s[66:67]
	v_pk_mul_f32 v[18:19], v[66:67], v[18:19] op_sel_hi:[0,1]
	ds_bpermute_b32 v123, v115, v28
	v_cndmask_b32_e64 v28, v16, v17, s[64:65]
	v_cndmask_b32_e64 v28, v28, v18, s[38:39]
	v_pk_mul_f32 v[20:21], v[66:67], v[20:21] op_sel_hi:[0,1]
	v_cndmask_b32_e64 v28, v28, v19, s[40:41]
	v_cndmask_b32_e64 v28, v28, v20, s[42:43]
	v_pk_mul_f32 v[22:23], v[66:67], v[22:23] op_sel_hi:[0,1]
	;; [unrolled: 3-line block ×4, first 2 shown]
	v_cndmask_b32_e64 v28, v28, v25, s[52:53]
	v_cndmask_b32_e64 v28, v28, v26, s[54:55]
	;; [unrolled: 1-line block ×4, first 2 shown]
	v_pk_mul_f32 v[30:31], v[66:67], v[30:31] op_sel_hi:[0,1]
	v_cndmask_b32_e64 v28, v28, v83, s[60:61]
	v_cndmask_b32_e64 v28, v28, v30, s[62:63]
	;; [unrolled: 1-line block ×3, first 2 shown]
	ds_bpermute_b32 v124, v115, v28
	v_cndmask_b32_e64 v87, v87, v89, s[68:69]
	s_waitcnt lgkmcnt(2)
	v_cndmask_b32_e64 v28, v63, v122, s[66:67]
	s_waitcnt lgkmcnt(1)
	v_cndmask_b32_e64 v63, v47, v123, s[66:67]
	v_cndmask_b32_e64 v29, v62, v122, s[62:63]
	s_waitcnt lgkmcnt(0)
	v_cndmask_b32_e64 v85, v31, v124, s[66:67]
	v_cndmask_b32_e64 v62, v46, v123, s[62:63]
	;; [unrolled: 1-line block ×27, first 2 shown]
	s_waitcnt vmcnt(0)
	v_cmp_le_i32_e64 s[70:71], s70, v80
	s_nop 1
	v_cndmask_b32_e64 v80, 0, v117, s[70:71]
	v_pk_mul_f32 v[0:1], v[80:81], v[0:1] op_sel_hi:[0,1]
	v_pk_mul_f32 v[96:97], v[80:81], v[8:9] op_sel_hi:[0,1]
	v_pk_mul_f32 v[2:3], v[80:81], v[2:3] op_sel_hi:[0,1]
	v_cndmask_b32_e64 v9, v0, v1, s[64:65]
	v_cndmask_b32_e64 v9, v9, v2, s[38:39]
	v_pk_mul_f32 v[4:5], v[80:81], v[4:5] op_sel_hi:[0,1]
	v_cndmask_b32_e64 v9, v9, v3, s[40:41]
	v_cndmask_b32_e64 v9, v9, v4, s[42:43]
	v_pk_mul_f32 v[118:119], v[80:81], v[6:7] op_sel_hi:[0,1]
	v_cndmask_b32_e64 v9, v9, v5, s[44:45]
	v_cndmask_b32_e64 v9, v9, v118, s[46:47]
	;; [unrolled: 1-line block ×4, first 2 shown]
	v_pk_mul_f32 v[10:11], v[80:81], v[10:11] op_sel_hi:[0,1]
	v_cndmask_b32_e64 v9, v9, v97, s[52:53]
	v_cndmask_b32_e64 v9, v9, v10, s[54:55]
	v_pk_mul_f32 v[12:13], v[80:81], v[12:13] op_sel_hi:[0,1]
	v_cndmask_b32_e64 v9, v9, v11, s[56:57]
	v_cndmask_b32_e64 v9, v9, v12, s[58:59]
	;; [unrolled: 3-line block ×3, first 2 shown]
	v_cndmask_b32_e64 v9, v9, v15, s[66:67]
	ds_bpermute_b32 v125, v115, v9
	v_cmp_eq_u32_e64 s[70:71], 1, v106
	v_cndmask_b32_e64 v6, v49, v122, s[64:65]
	v_cndmask_b32_e64 v7, v33, v123, s[64:65]
	;; [unrolled: 1-line block ×4, first 2 shown]
	v_cmp_eq_u32_e64 s[64:65], 2, v106
	s_waitcnt lgkmcnt(0)
	v_cndmask_b32_e64 v101, v15, v125, s[66:67]
	v_cmp_eq_u32_e64 s[66:67], 3, v106
	v_cndmask_b32_e64 v9, v64, v79, s[64:65]
	v_cndmask_b32_e64 v102, v14, v125, s[62:63]
	;; [unrolled: 1-line block ×3, first 2 shown]
	v_cmp_eq_u32_e64 s[62:63], 4, v106
	v_cndmask_b32_e64 v103, v13, v125, s[60:61]
	v_cmp_eq_u32_e64 s[60:61], 5, v106
	v_cndmask_b32_e64 v9, v9, v77, s[62:63]
	v_cndmask_b32_e64 v104, v12, v125, s[58:59]
	v_cndmask_b32_e64 v9, v9, v76, s[60:61]
	v_cmp_eq_u32_e64 s[58:59], 6, v106
	v_cndmask_b32_e64 v33, v59, v122, s[56:57]
	v_cndmask_b32_e64 v59, v27, v124, s[56:57]
	v_cndmask_b32_e64 v9, v9, v75, s[58:59]
	v_cndmask_b32_e64 v105, v11, v125, s[56:57]
	v_cmp_eq_u32_e64 s[56:57], 7, v106
	v_cndmask_b32_e64 v80, v41, v123, s[52:53]
	;; [unrolled: 5-line block ×3, first 2 shown]
	v_cndmask_b32_e64 v109, v96, v125, s[50:51]
	v_cndmask_b32_e64 v9, v9, v72, s[52:53]
	v_cmp_eq_u32_e64 s[50:51], 10, v106
	v_cndmask_b32_e64 v64, v42, v123, s[54:55]
	v_cndmask_b32_e64 v107, v10, v125, s[54:55]
	v_cndmask_b32_e64 v9, v9, v71, s[50:51]
	v_cmp_eq_u32_e64 s[54:55], 11, v106
	v_cndmask_b32_e64 v96, v23, v124, s[48:49]
	;; [unrolled: 4-line block ×3, first 2 shown]
	v_cndmask_b32_e64 v118, v53, v122, s[44:45]
	v_cndmask_b32_e64 v9, v9, v69, s[48:49]
	v_cndmask_b32_e64 v119, v37, v123, s[44:45]
	v_cndmask_b32_e64 v121, v5, v125, s[44:45]
	v_cmp_eq_u32_e64 s[44:45], 13, v106
	v_cndmask_b32_e64 v117, v4, v125, s[42:43]
	v_cmp_eq_u32_e64 s[42:43], 14, v106
	v_cndmask_b32_e64 v5, v9, v68, s[44:45]
	v_cndmask_b32_e64 v37, v35, v123, s[40:41]
	;; [unrolled: 1-line block ×4, first 2 shown]
	v_cmp_eq_u32_e64 s[40:41], 15, v106
	v_cndmask_b32_e64 v2, v2, v125, s[38:39]
	v_cndmask_b32_e64 v97, v22, v124, s[46:47]
	;; [unrolled: 1-line block ×3, first 2 shown]
	ds_bpermute_b32 v23, v115, v3
	v_cndmask_b32_e64 v49, v54, v122, s[46:47]
	v_cndmask_b32_e64 v54, v16, v124, s[36:37]
	s_waitcnt lgkmcnt(0)
	v_cndmask_b32_e64 v5, v68, v23, s[44:45]
	v_cndmask_b32_e64 v9, v69, v23, s[48:49]
	;; [unrolled: 1-line block ×4, first 2 shown]
	v_cmp_ne_u32_e64 s[38:39], 0, v99
	scratch_load_dword v99, off, off offset:44 ; 4-byte Folded Reload
	v_cndmask_b32_e64 v10, v70, v23, s[54:55]
	v_cndmask_b32_e64 v70, v1, v125, s[38:39]
	v_cmp_eq_u32_e64 s[38:39], 0, v106
	v_cndmask_b32_e64 v3, v65, v23, s[40:41]
	v_cndmask_b32_e64 v4, v67, v23, s[42:43]
	v_cndmask_b32_e64 v11, v71, v23, s[50:51]
	v_cndmask_b32_e64 v12, v72, v23, s[52:53]
	v_cndmask_b32_e64 v13, v73, v23, s[72:73]
	v_cndmask_b32_e64 v14, v74, v23, s[56:57]
	v_cndmask_b32_e64 v15, v75, v23, s[58:59]
	v_cndmask_b32_e64 v17, v76, v23, s[60:61]
	v_cndmask_b32_e64 v19, v77, v23, s[62:63]
	v_cndmask_b32_e64 v20, v78, v23, s[66:67]
	v_cndmask_b32_e64 v21, v79, v23, s[64:65]
	v_cndmask_b32_e64 v22, v86, v23, s[70:71]
	v_cndmask_b32_e64 v1, v87, v23, s[38:39]
	v_cndmask_b32_e64 v23, v48, v122, s[36:37]
	v_cndmask_b32_e64 v71, v0, v125, s[36:37]
	v_cndmask_b32_e32 v0, v23, v6, vcc
	v_cndmask_b32_e64 v0, v0, v68, s[6:7]
	v_cndmask_b32_e64 v0, v0, v36, s[8:9]
	v_cndmask_b32_e64 v0, v0, v66, s[10:11]
	v_cndmask_b32_e64 v0, v0, v118, s[12:13]
	v_cndmask_b32_e64 v0, v0, v49, s[14:15]
	v_cndmask_b32_e64 v0, v0, v47, s[16:17]
	v_cndmask_b32_e64 v0, v0, v46, s[18:19]
	v_cndmask_b32_e64 v0, v0, v45, s[20:21]
	v_cndmask_b32_e64 v0, v0, v44, s[22:23]
	v_cndmask_b32_e64 v0, v0, v33, s[74:75]
	v_cndmask_b32_e64 v0, v0, v31, s[76:77]
	v_cndmask_b32_e64 v0, v0, v30, s[78:79]
	v_cndmask_b32_e64 v0, v0, v29, s[80:81]
	v_cndmask_b32_e64 v0, v0, v28, s[34:35]
	ds_bpermute_b32 v122, v115, v0
	v_cndmask_b32_e32 v0, v38, v7, vcc
	v_cndmask_b32_e64 v0, v0, v69, s[6:7]
	v_cndmask_b32_e64 v0, v0, v37, s[8:9]
	v_cndmask_b32_e64 v0, v0, v84, s[10:11]
	v_cndmask_b32_e64 v0, v0, v119, s[12:13]
	v_cndmask_b32_e64 v0, v0, v83, s[14:15]
	v_cndmask_b32_e64 v0, v0, v82, s[16:17]
	v_cndmask_b32_e64 v0, v0, v81, s[18:19]
	v_cndmask_b32_e64 v0, v0, v80, s[20:21]
	v_cndmask_b32_e64 v0, v0, v64, s[22:23]
	v_cndmask_b32_e64 v0, v0, v43, s[74:75]
	v_cndmask_b32_e64 v0, v0, v60, s[76:77]
	v_cndmask_b32_e64 v0, v0, v61, s[78:79]
	v_cndmask_b32_e64 v0, v0, v62, s[80:81]
	v_cndmask_b32_e64 v0, v0, v63, s[34:35]
	ds_bpermute_b32 v123, v115, v0
	;; [unrolled: 16-line block ×4, first 2 shown]
	s_waitcnt lgkmcnt(2)
	v_cndmask_b32_e64 v48, v83, v123, s[14:15]
	scratch_load_dword v83, off, off offset:48 ; 4-byte Folded Reload
	s_waitcnt vmcnt(1)
	v_cmp_eq_u32_e64 s[36:37], 1, v99
	v_cndmask_b32_e64 v24, v28, v122, s[34:35]
	v_cndmask_b32_e64 v39, v63, v123, s[34:35]
	;; [unrolled: 1-line block ×3, first 2 shown]
	s_waitcnt lgkmcnt(1)
	v_cndmask_b32_e64 v55, v85, v124, s[34:35]
	s_waitcnt lgkmcnt(0)
	v_cndmask_b32_e64 v72, v101, v125, s[34:35]
	v_cmp_eq_u32_e64 s[34:35], 2, v99
	v_cmp_eq_u32_e64 s[88:89], 3, v99
	;; [unrolled: 1-line block ×3, first 2 shown]
	v_cndmask_b32_e64 v0, v0, v21, s[34:35]
	v_cndmask_b32_e64 v0, v0, v20, s[88:89]
	;; [unrolled: 1-line block ×3, first 2 shown]
	v_cmp_eq_u32_e64 s[94:95], 5, v99
	v_cmp_eq_u32_e64 s[96:97], 6, v99
	v_cndmask_b32_e64 v25, v29, v122, s[80:81]
	v_cndmask_b32_e64 v0, v0, v17, s[94:95]
	;; [unrolled: 1-line block ×8, first 2 shown]
	v_cmp_eq_u32_e64 s[22:23], 7, v99
	v_cndmask_b32_e64 v28, v33, v122, s[74:75]
	v_cndmask_b32_e64 v43, v43, v123, s[74:75]
	;; [unrolled: 1-line block ×5, first 2 shown]
	v_cmp_eq_u32_e64 s[74:75], 8, v99
	v_cndmask_b32_e64 v40, v62, v123, s[80:81]
	v_cndmask_b32_e64 v27, v31, v122, s[76:77]
	;; [unrolled: 1-line block ×7, first 2 shown]
	v_cmp_eq_u32_e64 s[18:19], 9, v99
	v_cndmask_b32_e64 v32, v47, v122, s[16:17]
	v_cndmask_b32_e64 v47, v82, v123, s[16:17]
	;; [unrolled: 1-line block ×5, first 2 shown]
	v_cmp_eq_u32_e64 s[16:17], 10, v99
	v_cndmask_b32_e64 v33, v49, v122, s[14:15]
	v_cndmask_b32_e64 v64, v97, v124, s[14:15]
	;; [unrolled: 1-line block ×4, first 2 shown]
	v_cmp_eq_u32_e64 s[14:15], 11, v99
	v_cndmask_b32_e64 v56, v89, v124, s[80:81]
	v_cndmask_b32_e64 v34, v118, v122, s[12:13]
	;; [unrolled: 1-line block ×6, first 2 shown]
	v_cmp_eq_u32_e64 s[12:13], 12, v99
	v_cmp_eq_u32_e64 s[84:85], 13, v99
	v_cndmask_b32_e64 v57, v90, v124, s[78:79]
	v_cndmask_b32_e64 v0, v0, v9, s[12:13]
	;; [unrolled: 1-line block ×7, first 2 shown]
	v_cmp_eq_u32_e64 s[10:11], 14, v99
	v_cndmask_b32_e64 v58, v91, v124, s[76:77]
	v_cndmask_b32_e64 v36, v36, v122, s[8:9]
	;; [unrolled: 1-line block ×6, first 2 shown]
	v_cmp_eq_u32_e64 s[8:9], 15, v99
	v_cndmask_b32_e64 v26, v30, v122, s[78:79]
	v_cndmask_b32_e64 v30, v45, v122, s[20:21]
	;; [unrolled: 1-line block ×4, first 2 shown]
	ds_bpermute_b32 v80, v115, v0
	v_cndmask_b32_e64 v92, v2, v125, s[6:7]
	v_cndmask_b32_e64 v37, v68, v122, s[6:7]
	v_cndmask_b32_e32 v53, v7, v123, vcc
	v_cndmask_b32_e64 v38, v38, v123, s[68:69]
	s_waitcnt lgkmcnt(0)
	v_cndmask_b32_e64 v2, v4, v80, s[10:11]
	v_cndmask_b32_e64 v4, v9, v80, s[12:13]
	v_cndmask_b32_e64 v9, v11, v80, s[16:17]
	v_cndmask_b32_e64 v11, v13, v80, s[74:75]
	v_cndmask_b32_e64 v13, v15, v80, s[96:97]
	v_cndmask_b32_e64 v15, v19, v80, s[92:93]
	v_cndmask_b32_e64 v16, v20, v80, s[88:89]
	v_cndmask_b32_e32 v19, v6, v122, vcc
	v_cndmask_b32_e64 v20, v23, v122, s[68:69]
	v_cndmask_b32_e64 v6, v20, v19, s[70:71]
	;; [unrolled: 1-line block ×19, first 2 shown]
	v_cndmask_b32_e32 v93, v70, v125, vcc
	v_cndmask_b32_e64 v70, v54, v124, s[68:69]
	ds_bpermute_b32 v54, v115, v6
	v_cndmask_b32_e64 v6, v38, v53, s[70:71]
	v_cndmask_b32_e64 v6, v6, v52, s[64:65]
	;; [unrolled: 1-line block ×15, first 2 shown]
	v_cndmask_b32_e32 v69, v8, v124, vcc
	v_cmp_eq_u32_e64 s[6:7], 0, v99
	v_cndmask_b32_e64 v6, v6, v39, s[40:41]
	v_cndmask_b32_e64 v0, v3, v80, s[8:9]
	;; [unrolled: 1-line block ×10, first 2 shown]
	ds_bpermute_b32 v80, v115, v6
	v_cndmask_b32_e64 v6, v70, v69, s[70:71]
	v_cndmask_b32_e64 v6, v6, v68, s[64:65]
	;; [unrolled: 1-line block ×16, first 2 shown]
	ds_bpermute_b32 v81, v115, v6
	v_cndmask_b32_e64 v6, v107, v93, s[70:71]
	v_cndmask_b32_e64 v6, v6, v92, s[64:65]
	;; [unrolled: 1-line block ×19, first 2 shown]
	ds_bpermute_b32 v82, v115, v6
	s_waitcnt vmcnt(0)
	v_cmp_eq_u32_e64 s[20:21], 1, v83
	v_cmp_eq_u32_e64 s[46:47], 2, v83
	s_waitcnt lgkmcnt(3)
	v_cndmask_b32_e64 v22, v25, v54, s[42:43]
	v_cndmask_b32_e64 v6, v1, v18, s[20:21]
	s_waitcnt lgkmcnt(0)
	v_cndmask_b32_e64 v108, v72, v82, s[40:41]
	v_cndmask_b32_e64 v6, v6, v17, s[46:47]
	;; [unrolled: 1-line block ×5, first 2 shown]
	v_cmp_eq_u32_e64 s[42:43], 3, v83
	v_cndmask_b32_e64 v21, v24, v54, s[40:41]
	v_cndmask_b32_e64 v39, v39, v80, s[40:41]
	;; [unrolled: 1-line block ×4, first 2 shown]
	v_cmp_eq_u32_e64 s[40:41], 4, v83
	v_cndmask_b32_e64 v117, v74, v82, s[44:45]
	v_cndmask_b32_e64 v24, v27, v54, s[48:49]
	;; [unrolled: 1-line block ×6, first 2 shown]
	v_cmp_eq_u32_e64 s[48:49], 5, v83
	v_cndmask_b32_e64 v25, v28, v54, s[54:55]
	v_cndmask_b32_e64 v43, v43, v80, s[54:55]
	;; [unrolled: 1-line block ×5, first 2 shown]
	v_cmp_eq_u32_e64 s[54:55], 6, v83
	scratch_load_dword v99, off, off offset:52 ; 4-byte Folded Reload
	v_cmp_eq_u32_e64 s[68:69], 7, v83
	v_cndmask_b32_e64 v6, v6, v13, s[54:55]
	v_cmp_eq_u32_e64 s[76:77], 8, v83
	v_cndmask_b32_e64 v6, v6, v12, s[68:69]
	v_cndmask_b32_e64 v121, v78, v82, s[52:53]
	;; [unrolled: 1-line block ×7, first 2 shown]
	v_cmp_eq_u32_e64 s[72:73], 9, v83
	v_cmp_eq_u32_e64 s[78:79], 10, v83
	;; [unrolled: 1-line block ×3, first 2 shown]
	v_cndmask_b32_e64 v6, v6, v10, s[72:73]
	v_cndmask_b32_e64 v6, v6, v9, s[78:79]
	;; [unrolled: 1-line block ×3, first 2 shown]
	v_cmp_eq_u32_e64 s[82:83], 12, v83
	v_cndmask_b32_e64 v23, v26, v54, s[44:45]
	v_cndmask_b32_e64 v26, v29, v54, s[50:51]
	;; [unrolled: 1-line block ×8, first 2 shown]
	v_cmp_eq_u32_e64 s[62:63], 13, v83
	v_cmp_eq_u32_e64 s[86:87], 14, v83
	;; [unrolled: 1-line block ×3, first 2 shown]
	v_cndmask_b32_e64 v6, v6, v3, s[62:63]
	v_cndmask_b32_e64 v6, v6, v2, s[86:87]
	;; [unrolled: 1-line block ×6, first 2 shown]
	ds_bpermute_b32 v36, v115, v6
	v_cndmask_b32_e64 v35, v19, v54, s[70:71]
	v_cndmask_b32_e64 v20, v20, v54, s[38:39]
	;; [unrolled: 1-line block ×4, first 2 shown]
	s_waitcnt lgkmcnt(0)
	v_cndmask_b32_e64 v7, v10, v36, s[72:73]
	v_cndmask_b32_e64 v10, v13, v36, s[54:55]
	;; [unrolled: 1-line block ×21, first 2 shown]
	ds_bpermute_b32 v102, v115, v16
	v_cndmask_b32_e64 v16, v54, v53, s[36:37]
	v_cndmask_b32_e64 v51, v51, v80, s[66:67]
	;; [unrolled: 1-line block ×25, first 2 shown]
	ds_bpermute_b32 v103, v115, v16
	v_cndmask_b32_e64 v16, v70, v69, s[36:37]
	v_cndmask_b32_e64 v67, v67, v81, s[66:67]
	;; [unrolled: 1-line block ×26, first 2 shown]
	ds_bpermute_b32 v104, v115, v16
	v_cndmask_b32_e64 v16, v107, v110, s[36:37]
	v_cndmask_b32_e64 v125, v91, v82, s[66:67]
	;; [unrolled: 1-line block ×19, first 2 shown]
	ds_bpermute_b32 v105, v115, v16
	v_cmp_eq_u32_e64 s[50:51], 0, v83
	v_cndmask_b32_e64 v6, v9, v36, s[78:79]
	v_cndmask_b32_e64 v9, v12, v36, s[68:69]
	v_cndmask_b32_e64 v12, v15, v36, s[40:41]
	v_cndmask_b32_e64 v15, v18, v36, s[20:21]
	v_cndmask_b32_e64 v1, v1, v36, s[50:51]
	s_waitcnt vmcnt(0)
	v_cmp_eq_u32_e32 vcc, 1, v99
	v_cndmask_b32_e64 v8, v11, v36, s[76:77]
	v_cndmask_b32_e64 v11, v14, v36, s[48:49]
	;; [unrolled: 1-line block ×3, first 2 shown]
	v_cndmask_b32_e32 v16, v1, v15, vcc
	s_waitcnt lgkmcnt(3)
	v_cndmask_b32_e64 v21, v21, v102, s[8:9]
	s_waitcnt lgkmcnt(2)
	v_cndmask_b32_e64 v55, v39, v103, s[8:9]
	;; [unrolled: 2-line block ×4, first 2 shown]
	v_cmp_eq_u32_e64 s[8:9], 2, v99
	v_cndmask_b32_e64 v0, v0, v36, s[90:91]
	v_cndmask_b32_e64 v2, v2, v36, s[86:87]
	;; [unrolled: 1-line block ×10, first 2 shown]
	v_cmp_eq_u32_e64 s[10:11], 3, v99
	v_cmp_eq_u32_e64 s[44:45], 4, v99
	;; [unrolled: 1-line block ×3, first 2 shown]
	v_cndmask_b32_e64 v16, v16, v13, s[10:11]
	v_cndmask_b32_e64 v16, v16, v12, s[44:45]
	;; [unrolled: 1-line block ×3, first 2 shown]
	v_cmp_eq_u32_e64 s[56:57], 6, v99
	v_cmp_eq_u32_e64 s[58:59], 7, v99
	;; [unrolled: 1-line block ×3, first 2 shown]
	v_cndmask_b32_e64 v16, v16, v10, s[56:57]
	v_cndmask_b32_e64 v16, v16, v9, s[58:59]
	;; [unrolled: 1-line block ×3, first 2 shown]
	v_cmp_eq_u32_e64 s[64:65], 9, v99
	v_cmp_eq_u32_e64 s[70:71], 10, v99
	v_cndmask_b32_e64 v28, v28, v102, s[74:75]
	v_cndmask_b32_e64 v16, v16, v7, s[64:65]
	;; [unrolled: 1-line block ×6, first 2 shown]
	v_cmp_eq_u32_e64 s[74:75], 11, v99
	v_cmp_eq_u32_e64 s[66:67], 12, v99
	v_cndmask_b32_e64 v37, v23, v102, s[84:85]
	v_cndmask_b32_e64 v16, v16, v5, s[74:75]
	;; [unrolled: 1-line block ×6, first 2 shown]
	v_cmp_eq_u32_e64 s[84:85], 13, v99
	v_cndmask_b32_e64 v33, v33, v102, s[88:89]
	v_cndmask_b32_e64 v51, v51, v103, s[88:89]
	;; [unrolled: 1-line block ×5, first 2 shown]
	v_cmp_eq_u32_e64 s[88:89], 14, v99
	v_cndmask_b32_e64 v32, v32, v102, s[92:93]
	v_cndmask_b32_e64 v50, v50, v103, s[92:93]
	;; [unrolled: 1-line block ×5, first 2 shown]
	v_cmp_eq_u32_e64 s[92:93], 15, v99
	v_cndmask_b32_e64 v41, v27, v102, s[18:19]
	v_cndmask_b32_e64 v58, v42, v103, s[12:13]
	;; [unrolled: 1-line block ×3, first 2 shown]
	ds_bpermute_b32 v27, v115, v16
	v_cndmask_b32_e64 v31, v31, v102, s[94:95]
	v_cndmask_b32_e64 v49, v49, v103, s[94:95]
	;; [unrolled: 1-line block ×4, first 2 shown]
	s_waitcnt lgkmcnt(0)
	v_cndmask_b32_e64 v18, v5, v27, s[74:75]
	scratch_load_dword v5, off, off offset:56 ; 4-byte Folded Reload
	v_cndmask_b32_e64 v35, v35, v102, s[36:37]
	v_cmp_eq_u32_e64 s[94:95], 0, v99
	v_cndmask_b32_e64 v42, v20, v102, s[6:7]
	v_cndmask_b32_e64 v38, v24, v102, s[12:13]
	v_cndmask_b32_e64 v39, v25, v102, s[14:15]
	v_cndmask_b32_e64 v40, v26, v102, s[16:17]
	v_cndmask_b32_e64 v34, v34, v102, s[34:35]
	v_cndmask_b32_e64 v0, v0, v27, s[92:93]
	v_cndmask_b32_e64 v2, v2, v27, s[88:89]
	v_cndmask_b32_e64 v16, v3, v27, s[84:85]
	v_cndmask_b32_e64 v17, v4, v27, s[66:67]
	v_cndmask_b32_e64 v19, v6, v27, s[70:71]
	v_cndmask_b32_e64 v22, v7, v27, s[64:65]
	v_cndmask_b32_e64 v23, v8, v27, s[60:61]
	v_cndmask_b32_e64 v24, v9, v27, s[58:59]
	v_cndmask_b32_e64 v25, v10, v27, s[56:57]
	v_cndmask_b32_e64 v26, v11, v27, s[52:53]
	v_cndmask_b32_e64 v12, v12, v27, s[44:45]
	v_cndmask_b32_e64 v13, v13, v27, s[10:11]
	v_cndmask_b32_e64 v14, v14, v27, s[8:9]
	v_cndmask_b32_e32 v15, v15, v27, vcc
	v_cndmask_b32_e64 v27, v1, v27, s[94:95]
	v_cndmask_b32_e64 v1, v42, v35, s[20:21]
	;; [unrolled: 1-line block ×22, first 2 shown]
	ds_bpermute_b32 v106, v115, v1
	v_cndmask_b32_e64 v1, v65, v64, s[20:21]
	v_cndmask_b32_e64 v1, v1, v52, s[46:47]
	;; [unrolled: 1-line block ×28, first 2 shown]
	ds_bpermute_b32 v99, v115, v1
	v_cndmask_b32_e64 v1, v119, v118, s[20:21]
	v_cndmask_b32_e64 v3, v102, v110, s[20:21]
	;; [unrolled: 1-line block ×37, first 2 shown]
	s_waitcnt vmcnt(0)
	v_cmp_eq_u32_e64 s[6:7], 1, v5
	v_cndmask_b32_e64 v1, v1, v71, s[90:91]
	v_cndmask_b32_e64 v3, v3, v108, s[90:91]
	ds_bpermute_b32 v1, v115, v1
	ds_bpermute_b32 v3, v115, v3
	v_cndmask_b32_e64 v4, v27, v15, s[6:7]
	v_cmp_eq_u32_e64 s[12:13], 2, v5
	v_cmp_eq_u32_e64 s[14:15], 3, v5
	;; [unrolled: 1-line block ×3, first 2 shown]
	v_cndmask_b32_e64 v4, v4, v14, s[12:13]
	v_cndmask_b32_e64 v4, v4, v13, s[14:15]
	;; [unrolled: 1-line block ×3, first 2 shown]
	v_cmp_eq_u32_e64 s[18:19], 5, v5
	v_cmp_eq_u32_e64 s[22:23], 6, v5
	s_waitcnt lgkmcnt(3)
	v_cndmask_b32_e64 v53, v40, v106, s[78:79]
	v_cndmask_b32_e64 v4, v4, v26, s[18:19]
	;; [unrolled: 1-line block ×3, first 2 shown]
	s_waitcnt lgkmcnt(2)
	v_cndmask_b32_e64 v78, v60, v99, s[78:79]
	s_waitcnt lgkmcnt(1)
	v_cndmask_b32_e64 v125, v76, v1, s[78:79]
	;; [unrolled: 2-line block ×3, first 2 shown]
	v_cmp_eq_u32_e64 s[78:79], 7, v5
	v_cndmask_b32_e64 v54, v41, v106, s[72:73]
	v_cndmask_b32_e64 v61, v61, v99, s[72:73]
	;; [unrolled: 1-line block ×5, first 2 shown]
	v_cmp_eq_u32_e64 s[72:73], 8, v5
	v_cndmask_b32_e64 v66, v55, v99, s[90:91]
	v_cndmask_b32_e64 v55, v28, v106, s[76:77]
	;; [unrolled: 1-line block ×6, first 2 shown]
	v_cmp_eq_u32_e64 s[76:77], 9, v5
	v_cmp_eq_u32_e64 s[34:35], 10, v5
	;; [unrolled: 1-line block ×3, first 2 shown]
	v_cndmask_b32_e64 v4, v4, v22, s[76:77]
	v_cndmask_b32_e64 v4, v4, v19, s[34:35]
	v_cndmask_b32_e64 v4, v4, v18, s[36:37]
	v_cmp_eq_u32_e64 s[38:39], 12, v5
	v_cndmask_b32_e64 v120, v71, v1, s[90:91]
	v_cndmask_b32_e64 v121, v72, v1, s[86:87]
	v_cndmask_b32_e64 v87, v63, v99, s[68:69]
	v_cndmask_b32_e64 v4, v4, v17, s[38:39]
	v_cndmask_b32_e64 v105, v32, v106, s[40:41]
	v_cndmask_b32_e64 v63, v50, v99, s[40:41]
	v_cndmask_b32_e64 v71, v92, v1, s[40:41]
	v_cndmask_b32_e64 v72, v97, v3, s[40:41]
	v_cmp_eq_u32_e64 s[40:41], 13, v5
	v_cndmask_b32_e64 v68, v57, v99, s[62:63]
	v_cndmask_b32_e64 v123, v74, v1, s[82:83]
	v_cndmask_b32_e64 v57, v30, v106, s[54:55]
	v_cndmask_b32_e64 v4, v4, v16, s[40:41]
	v_cndmask_b32_e64 v74, v33, v106, s[42:43]
	v_cndmask_b32_e64 v60, v51, v99, s[42:43]
	v_cndmask_b32_e64 v30, v93, v1, s[42:43]
	v_cndmask_b32_e64 v6, v100, v3, s[42:43]
	v_cmp_eq_u32_e64 s[42:43], 14, v5
	v_cndmask_b32_e64 v93, v34, v106, s[46:47]
	v_cndmask_b32_e64 v97, v117, v1, s[46:47]
	v_cndmask_b32_e64 v8, v4, v2, s[42:43]
	v_cndmask_b32_e64 v4, v52, v99, s[46:47]
	v_cndmask_b32_e64 v7, v101, v3, s[46:47]
	v_cmp_eq_u32_e64 s[46:47], 15, v5
	v_cndmask_b32_e64 v67, v56, v99, s[86:87]
	v_cndmask_b32_e64 v104, v109, v3, s[86:87]
	;; [unrolled: 1-line block ×3, first 2 shown]
	ds_bpermute_b32 v28, v115, v8
	v_cndmask_b32_e64 v69, v58, v99, s[82:83]
	v_cndmask_b32_e64 v70, v59, v99, s[80:81]
	;; [unrolled: 1-line block ×5, first 2 shown]
	s_waitcnt lgkmcnt(0)
	v_cndmask_b32_e64 v9, v2, v28, s[42:43]
	v_cndmask_b32_e64 v10, v16, v28, s[40:41]
	;; [unrolled: 1-line block ×5, first 2 shown]
	scratch_load_dword v99, off, off offset:60 ; 4-byte Folded Reload
	v_cndmask_b32_e64 v11, v17, v28, s[38:39]
	v_cndmask_b32_e64 v20, v18, v28, s[36:37]
	;; [unrolled: 1-line block ×8, first 2 shown]
	v_cmp_eq_u32_e64 s[20:21], 0, v5
	v_cndmask_b32_e64 v43, v21, v106, s[90:91]
	v_cndmask_b32_e64 v8, v0, v28, s[46:47]
	;; [unrolled: 1-line block ×16, first 2 shown]
	v_cndmask_b32_e32 v1, v28, v12, vcc
	v_cndmask_b32_e64 v1, v1, v93, s[8:9]
	v_cndmask_b32_e64 v1, v1, v74, s[10:11]
	;; [unrolled: 1-line block ×20, first 2 shown]
	ds_bpermute_b32 v42, v115, v1
	v_cndmask_b32_e32 v1, v16, v13, vcc
	v_cndmask_b32_e64 v1, v1, v4, s[8:9]
	v_cndmask_b32_e64 v1, v1, v60, s[10:11]
	;; [unrolled: 1-line block ×14, first 2 shown]
	ds_bpermute_b32 v29, v115, v1
	v_cndmask_b32_e32 v1, v19, v14, vcc
	v_cndmask_b32_e64 v1, v1, v97, s[8:9]
	v_cndmask_b32_e64 v1, v1, v30, s[10:11]
	;; [unrolled: 1-line block ×15, first 2 shown]
	ds_bpermute_b32 v31, v115, v1
	v_cndmask_b32_e32 v1, v27, v15, vcc
	v_cndmask_b32_e64 v1, v1, v7, s[8:9]
	v_cndmask_b32_e64 v1, v1, v6, s[10:11]
	;; [unrolled: 1-line block ×20, first 2 shown]
	ds_bpermute_b32 v40, v115, v1
	s_waitcnt vmcnt(0)
	v_cmp_eq_u32_e64 s[48:49], 1, v99
	v_cmp_eq_u32_e64 s[50:51], 2, v99
	;; [unrolled: 1-line block ×3, first 2 shown]
	v_cndmask_b32_e64 v1, v0, v18, s[48:49]
	v_cndmask_b32_e64 v1, v1, v17, s[50:51]
	;; [unrolled: 1-line block ×3, first 2 shown]
	v_cmp_eq_u32_e64 s[62:63], 4, v99
	s_waitcnt lgkmcnt(3)
	v_cndmask_b32_e64 v75, v46, v42, s[66:67]
	s_waitcnt lgkmcnt(2)
	v_cndmask_b32_e64 v39, v69, v29, s[66:67]
	v_cndmask_b32_e64 v1, v1, v92, s[62:63]
	s_waitcnt lgkmcnt(1)
	v_cndmask_b32_e64 v35, v123, v31, s[66:67]
	s_waitcnt lgkmcnt(0)
	v_cndmask_b32_e64 v51, v85, v40, s[66:67]
	v_cmp_eq_u32_e64 s[66:67], 5, v99
	v_cmp_eq_u32_e64 s[68:69], 6, v99
	v_cndmask_b32_e64 v59, v43, v42, s[92:93]
	v_cndmask_b32_e64 v1, v1, v26, s[66:67]
	v_cndmask_b32_e64 v1, v1, v25, s[68:69]
	v_cndmask_b32_e64 v77, v53, v42, s[70:71]
	v_cndmask_b32_e64 v43, v78, v29, s[70:71]
	v_cndmask_b32_e64 v53, v125, v31, s[70:71]
	v_cndmask_b32_e64 v65, v80, v40, s[70:71]
	v_cmp_eq_u32_e64 s[70:71], 7, v99
	v_cndmask_b32_e64 v36, v66, v29, s[92:93]
	v_cndmask_b32_e64 v62, v44, v42, s[88:89]
	v_cndmask_b32_e64 v1, v1, v24, s[70:71]
	v_cndmask_b32_e64 v78, v54, v42, s[64:65]
	v_cndmask_b32_e64 v44, v61, v29, s[64:65]
	v_cndmask_b32_e64 v54, v126, v31, s[64:65]
	v_cndmask_b32_e64 v66, v81, v40, s[64:65]
	;; [unrolled: 8-line block ×3, first 2 shown]
	v_cmp_eq_u32_e64 s[60:61], 9, v99
	v_cndmask_b32_e64 v38, v68, v29, s[84:85]
	v_cndmask_b32_e64 v86, v56, v42, s[58:59]
	v_cndmask_b32_e64 v1, v1, v22, s[60:61]
	v_cndmask_b32_e64 v46, v87, v29, s[58:59]
	v_cndmask_b32_e64 v56, v108, v31, s[58:59]
	v_cndmask_b32_e64 v68, v83, v40, s[58:59]
	v_cmp_eq_u32_e64 s[58:59], 10, v99
	v_cndmask_b32_e64 v76, v47, v42, s[74:75]
	v_cndmask_b32_e64 v87, v57, v42, s[56:57]
	v_cndmask_b32_e64 v1, v1, v21, s[58:59]
	v_cndmask_b32_e64 v47, v89, v29, s[56:57]
	v_cndmask_b32_e64 v57, v109, v31, s[56:57]
	v_cndmask_b32_e64 v69, v96, v40, s[56:57]
	;; [unrolled: 7-line block ×3, first 2 shown]
	v_cmp_eq_u32_e64 s[52:53], 12, v99
	v_cndmask_b32_e64 v82, v105, v42, s[44:45]
	v_cndmask_b32_e64 v81, v63, v29, s[44:45]
	v_cndmask_b32_e64 v1, v1, v11, s[52:53]
	v_cndmask_b32_e64 v63, v71, v31, s[44:45]
	v_cndmask_b32_e64 v71, v72, v40, s[44:45]
	v_cmp_eq_u32_e64 s[44:45], 13, v99
	v_cndmask_b32_e64 v74, v74, v42, s[10:11]
	v_cndmask_b32_e64 v60, v60, v29, s[10:11]
	v_cndmask_b32_e64 v1, v1, v10, s[44:45]
	v_cndmask_b32_e64 v72, v30, v31, s[10:11]
	v_cndmask_b32_e64 v83, v6, v40, s[10:11]
	;; [unrolled: 6-line block ×3, first 2 shown]
	v_cndmask_b32_e64 v89, v7, v40, s[8:9]
	v_cmp_eq_u32_e64 s[8:9], 15, v99
	v_cndmask_b32_e32 v91, v12, v42, vcc
	v_cndmask_b32_e32 v93, v13, v29, vcc
	v_cndmask_b32_e64 v1, v1, v8, s[8:9]
	ds_bpermute_b32 v90, v115, v1
	v_cndmask_b32_e32 v96, v15, v40, vcc
	v_cndmask_b32_e32 v94, v14, v31, vcc
	v_cndmask_b32_e64 v16, v16, v29, s[94:95]
	v_cndmask_b32_e64 v32, v120, v31, s[92:93]
	s_waitcnt lgkmcnt(0)
	v_cndmask_b32_e64 v12, v11, v90, s[52:53]
	v_cndmask_b32_e64 v11, v20, v90, s[56:57]
	;; [unrolled: 1-line block ×20, first 2 shown]
	ds_bpermute_b32 v21, v115, v1
	v_cndmask_b32_e64 v3, v2, v90, s[54:55]
	v_cndmask_b32_e64 v2, v17, v90, s[50:51]
	;; [unrolled: 1-line block ×4, first 2 shown]
	s_waitcnt lgkmcnt(0)
	v_cndmask_b32_e64 v17, v59, v21, s[46:47]
	v_cndmask_b32_e64 v42, v78, v21, s[76:77]
	;; [unrolled: 1-line block ×36, first 2 shown]
	ds_bpermute_b32 v80, v115, v20
	v_cndmask_b32_e64 v33, v121, v31, s[88:89]
	v_cndmask_b32_e64 v34, v122, v31, s[84:85]
	;; [unrolled: 1-line block ×4, first 2 shown]
	s_waitcnt lgkmcnt(0)
	v_cndmask_b32_e64 v31, v17, v80, s[8:9]
	v_cndmask_b32_e64 v17, v16, v93, s[6:7]
	;; [unrolled: 1-line block ×16, first 2 shown]
	ds_bpermute_b32 v17, v115, v17
	v_cndmask_b32_e64 v20, v76, v80, s[62:63]
	v_cndmask_b32_e64 v21, v75, v80, s[66:67]
	;; [unrolled: 1-line block ×4, first 2 shown]
	s_waitcnt lgkmcnt(0)
	v_cndmask_b32_e64 v76, v81, v17, s[16:17]
	v_cndmask_b32_e64 v81, v84, v17, s[12:13]
	;; [unrolled: 1-line block ×38, first 2 shown]
	v_cmp_eq_u32_e32 vcc, 0, v99
	v_cndmask_b32_e64 v16, v16, v36, s[8:9]
	v_cndmask_b32_e64 v5, v26, v90, s[66:67]
	;; [unrolled: 1-line block ×3, first 2 shown]
	v_cndmask_b32_e32 v0, v0, v90, vcc
	ds_bpermute_b32 v90, v115, v16
	v_cndmask_b32_e64 v26, v25, v80, s[58:59]
	v_cndmask_b32_e64 v25, v42, v80, s[60:61]
	;; [unrolled: 1-line block ×4, first 2 shown]
	s_waitcnt lgkmcnt(0)
	v_cndmask_b32_e64 v47, v36, v90, s[8:9]
	v_cndmask_b32_e64 v36, v82, v94, s[6:7]
	;; [unrolled: 1-line block ×18, first 2 shown]
	ds_bpermute_b32 v59, v115, v36
	v_cndmask_b32_e64 v18, v77, v80, s[50:51]
	v_cndmask_b32_e64 v17, v78, v80, s[48:49]
	v_cndmask_b32_e32 v16, v79, v80, vcc
	v_cndmask_b32_e64 v46, v37, v90, s[10:11]
	s_waitcnt lgkmcnt(0)
	v_cndmask_b32_e64 v80, v94, v59, s[6:7]
	v_cndmask_b32_e64 v82, v82, v59, s[20:21]
	;; [unrolled: 1-line block ×39, first 2 shown]
	ds_bpermute_b32 v85, v115, v32
	v_cndmask_b32_e64 v35, v60, v90, s[54:55]
	v_cndmask_b32_e64 v34, v81, v90, s[50:51]
	;; [unrolled: 1-line block ×3, first 2 shown]
	v_cndmask_b32_e32 v32, v87, v90, vcc
	s_waitcnt lgkmcnt(0)
	v_cndmask_b32_e64 v59, v52, v85, s[56:57]
	v_cndmask_b32_e64 v52, v86, v96, s[6:7]
	;; [unrolled: 1-line block ×18, first 2 shown]
	ds_bpermute_b32 v73, v115, v52
	v_cndmask_b32_e64 v60, v74, v85, s[52:53]
	v_cndmask_b32_e64 v57, v54, v85, s[60:61]
	;; [unrolled: 1-line block ×4, first 2 shown]
	s_waitcnt lgkmcnt(0)
	v_cndmask_b32_e64 v90, v96, v73, s[6:7]
	scratch_load_dwordx2 v[96:97], off, off offset:20 ; 8-byte Folded Reload
	v_cndmask_b32_e64 v86, v86, v73, s[20:21]
	v_cndmask_b32_e64 v74, v48, v73, s[46:47]
	;; [unrolled: 1-line block ×31, first 2 shown]
	ds_bpermute_b32 v91, v115, v48
	v_readlane_b32 s6, v127, 30
	v_readlane_b32 s7, v127, 31
	;; [unrolled: 1-line block ×5, first 2 shown]
	v_cndmask_b32_e64 v62, v62, v85, s[10:11]
	v_cndmask_b32_e64 v58, v53, v85, s[58:59]
	;; [unrolled: 1-line block ×7, first 2 shown]
	v_cndmask_b32_e32 v48, v82, v85, vcc
	s_waitcnt lgkmcnt(0)
	v_cndmask_b32_e64 v79, v74, v91, s[8:9]
	v_cndmask_b32_e64 v78, v75, v91, s[10:11]
	;; [unrolled: 1-line block ×15, first 2 shown]
	v_cndmask_b32_e32 v64, v86, v91, vcc
	s_mov_b32 s12, 0
	v_readlane_b32 s35, v127, 11
	v_readlane_b32 s37, v127, 13
	;; [unrolled: 1-line block ×10, first 2 shown]
                                        ; implicit-def: $sgpr8_sgpr9
	s_waitcnt vmcnt(0)
	v_lshl_add_u64 v[86:87], s[6:7], 0, v[96:97]
	s_mov_b64 s[6:7], 0
	s_branch .LBB371_34
.LBB371_33:                             ;   in Loop: Header=BB371_34 Depth=2
	s_or_b64 exec, exec, s[10:11]
	s_and_b64 s[10:11], exec, s[8:9]
	s_or_b64 s[6:7], s[10:11], s[6:7]
	s_andn2_b64 exec, exec, s[6:7]
	s_cbranch_execz .LBB371_36
.LBB371_34:                             ;   Parent Loop BB371_7 Depth=1
                                        ; =>  This Inner Loop Header: Depth=2
	s_and_b32 s10, s12, 2
	s_and_b32 s11, s5, 24
	s_or_b32 s10, s11, s10
	v_or_b32_e32 v80, s10, v114
	v_add_u32_e32 v81, s99, v80
	v_cmp_gt_u32_e32 vcc, 32, v81
	s_or_b64 s[8:9], s[8:9], exec
	s_and_saveexec_b64 s[10:11], vcc
	s_cbranch_execz .LBB371_33
; %bb.35:                               ;   in Loop: Header=BB371_34 Depth=2
	s_add_i32 s13, s12, 1
	s_set_gpr_idx_on s12, gpr_idx(SRC0)
	v_mov_b32_e32 v81, v0
	s_set_gpr_idx_off
	v_cvt_f16_f32_e32 v82, v81
	s_set_gpr_idx_on s13, gpr_idx(SRC0)
	v_mov_b32_e32 v81, v0
	s_set_gpr_idx_off
	v_cvt_f16_f32_sdwa v83, v81 dst_sel:WORD_1 dst_unused:UNUSED_PAD src0_sel:DWORD
	v_mul_lo_u32 v80, v80, s25
	v_ashrrev_i32_e32 v81, 31, v80
	v_lshl_add_u64 v[80:81], v[80:81], 1, v[86:87]
	v_or_b32_e32 v82, v83, v82
	;;#ASMSTART
	global_atomic_pk_add_f16 v[80:81], v82, off
	
	;;#ASMEND
	s_set_gpr_idx_on s12, gpr_idx(SRC0)
	v_mov_b32_e32 v82, v16
	s_set_gpr_idx_off
	v_cvt_f16_f32_e32 v84, v82
	s_set_gpr_idx_on s13, gpr_idx(SRC0)
	v_mov_b32_e32 v82, v16
	s_set_gpr_idx_off
	v_cvt_f16_f32_sdwa v85, v82 dst_sel:WORD_1 dst_unused:UNUSED_PAD src0_sel:DWORD
	v_lshl_add_u64 v[82:83], v[80:81], 0, 64
	s_mov_b64 s[14:15], 0x80
	s_add_i32 s5, s5, 4
	v_or_b32_e32 v84, v85, v84
	;;#ASMSTART
	global_atomic_pk_add_f16 v[82:83], v84, off
	
	;;#ASMEND
	s_set_gpr_idx_on s12, gpr_idx(SRC0)
	v_mov_b32_e32 v82, v32
	s_set_gpr_idx_off
	v_cvt_f16_f32_e32 v84, v82
	s_set_gpr_idx_on s13, gpr_idx(SRC0)
	v_mov_b32_e32 v82, v32
	s_set_gpr_idx_off
	v_cvt_f16_f32_sdwa v85, v82 dst_sel:WORD_1 dst_unused:UNUSED_PAD src0_sel:DWORD
	v_lshl_add_u64 v[82:83], v[80:81], 0, s[14:15]
	s_mov_b64 s[14:15], 0xc0
	v_or_b32_e32 v84, v85, v84
	;;#ASMSTART
	global_atomic_pk_add_f16 v[82:83], v84, off
	
	;;#ASMEND
	s_set_gpr_idx_on s12, gpr_idx(SRC0)
	v_mov_b32_e32 v82, v48
	s_set_gpr_idx_off
	v_cvt_f16_f32_e32 v84, v82
	s_set_gpr_idx_on s13, gpr_idx(SRC0)
	v_mov_b32_e32 v82, v48
	s_set_gpr_idx_off
	v_cvt_f16_f32_sdwa v85, v82 dst_sel:WORD_1 dst_unused:UNUSED_PAD src0_sel:DWORD
	v_lshl_add_u64 v[82:83], v[80:81], 0, s[14:15]
	s_mov_b64 s[14:15], 0x100
	v_lshl_add_u64 v[80:81], v[80:81], 0, s[14:15]
	v_or_b32_e32 v84, v85, v84
	;;#ASMSTART
	global_atomic_pk_add_f16 v[82:83], v84, off
	
	;;#ASMEND
	s_set_gpr_idx_on s12, gpr_idx(SRC0)
	v_mov_b32_e32 v82, v64
	s_set_gpr_idx_off
	v_cvt_f16_f32_e32 v82, v82
	s_set_gpr_idx_on s13, gpr_idx(SRC0)
	v_mov_b32_e32 v83, v64
	s_set_gpr_idx_off
	s_add_i32 s12, s12, 2
	v_cvt_f16_f32_sdwa v83, v83 dst_sel:WORD_1 dst_unused:UNUSED_PAD src0_sel:DWORD
	s_cmp_eq_u32 s12, 16
	s_cselect_b64 s[14:15], -1, 0
	s_andn2_b64 s[8:9], s[8:9], exec
	s_and_b64 s[14:15], s[14:15], exec
	s_or_b64 s[8:9], s[8:9], s[14:15]
	v_or_b32_e32 v82, v83, v82
	;;#ASMSTART
	global_atomic_pk_add_f16 v[80:81], v82, off
	
	;;#ASMEND
	s_branch .LBB371_33
.LBB371_36:                             ;   in Loop: Header=BB371_7 Depth=1
	s_or_b64 exec, exec, s[6:7]
	scratch_load_dword v85, off, off offset:28 ; 4-byte Folded Reload
	v_readlane_b32 s16, v127, 2
	v_readlane_b32 s14, v127, 0
	;; [unrolled: 1-line block ×13, first 2 shown]
.LBB371_37:                             ;   in Loop: Header=BB371_7 Depth=1
	v_readlane_b32 s6, v127, 25
	v_readlane_b32 s7, v127, 26
	s_or_b64 exec, exec, s[6:7]
.LBB371_38:                             ;   in Loop: Header=BB371_7 Depth=1
	s_or_saveexec_b64 s[0:1], s[0:1]
	v_readlane_b32 s48, v127, 23
	s_mov_b32 s13, s4
	v_readlane_b32 s49, v127, 24
	s_xor_b64 exec, exec, s[0:1]
	s_cbranch_execz .LBB371_47
; %bb.39:                               ;   in Loop: Header=BB371_7 Depth=1
	s_mul_i32 s12, s98, 5
	v_cmp_gt_i32_e32 vcc, s12, v116
	s_and_saveexec_b64 s[6:7], vcc
	s_cbranch_execz .LBB371_46
; %bb.40:                               ;   in Loop: Header=BB371_7 Depth=1
	scratch_load_dwordx2 v[0:1], off, off offset:80 ; 8-byte Folded Reload
	scratch_load_dwordx2 v[2:3], off, off offset:8 ; 8-byte Folded Reload
	s_mul_i32 s4, s68, s27
	s_ashr_i32 s5, s4, 31
	s_add_u32 s4, s18, s4
	s_addc_u32 s5, s19, s5
	s_ashr_i32 s8, s13, 31
	s_add_u32 s4, s4, s13
	s_addc_u32 s5, s5, s8
	s_waitcnt vmcnt(1)
	v_lshl_add_u64 v[0:1], s[4:5], 0, v[0:1]
	s_waitcnt vmcnt(0)
	v_lshl_add_u64 v[8:9], v[0:1], 0, v[2:3]
	s_mov_b64 s[4:5], 0
	s_branch .LBB371_42
.LBB371_41:                             ;   in Loop: Header=BB371_42 Depth=2
	s_or_b64 exec, exec, s[8:9]
	v_lshl_or_b32 v12, v10, 11, v111
	;;#ASMSTART
	s_waitcnt vmcnt(1)
	;;#ASMEND
	ds_write2_b32 v12, v4, v5 offset1:32
	ds_write2_b32 v12, v6, v7 offset0:64 offset1:96
	v_add_u32_e32 v4, 0x400, v12
	v_add_u32_e32 v116, s30, v116
	;;#ASMSTART
	s_waitcnt vmcnt(0)
	;;#ASMEND
	ds_write2_b32 v4, v0, v1 offset1:32
	ds_write2_b32 v4, v2, v3 offset0:64 offset1:96
	v_add_u32_e32 v0, 1, v95
	v_add_u32_e32 v88, s30, v10
	v_cmp_le_i32_e32 vcc, s12, v116
	ds_write_b32 v11, v0 offset:32
	v_add_u32_e32 v0, 2, v95
	s_or_b64 s[4:5], vcc, s[4:5]
	v_cmp_lt_i32_e32 vcc, 9, v88
	s_nop 1
	v_cndmask_b32_e32 v95, v95, v0, vcc
	s_andn2_b64 exec, exec, s[4:5]
	s_cbranch_execz .LBB371_45
.LBB371_42:                             ;   Parent Loop BB371_7 Depth=1
                                        ; =>  This Loop Header: Depth=2
                                        ;       Child Loop BB371_44 Depth 3
	v_cmp_gt_i32_e32 vcc, 10, v88
	s_mov_b32 s8, 0x66666667
	s_nop 0
	v_cndmask_b32_e64 v0, -10, 0, vcc
	v_add_u32_e32 v10, v0, v88
	v_mul_hi_i32 v0, v116, s8
	v_lshrrev_b32_e32 v1, 31, v0
	v_ashrrev_i32_e32 v0, 1, v0
	v_add_u32_e32 v0, v0, v1
	v_lshl_add_u32 v1, v0, 2, v0
	v_sub_u32_e32 v2, v116, v1
	v_lshlrev_b32_e32 v0, 6, v0
	v_ashrrev_i32_e32 v1, 31, v0
	v_mul_lo_u32 v2, s33, v2
	v_lshl_add_u64 v[0:1], v[8:9], 0, v[0:1]
	v_ashrrev_i32_e32 v3, 31, v2
	v_lshl_add_u64 v[0:1], v[0:1], 0, v[2:3]
	v_lshlrev_b32_e32 v11, 2, v10
	;;#ASMSTART
	global_load_dwordx4 v[4:7], v[0:1], off offset:0   sc0 sc1 nt  
	global_load_dwordx4 v[0:3], v[0:1], off offset:32  sc0 sc1 nt  
	
	;;#ASMEND
	ds_read_b32 v12, v11 offset:36896
	v_add_u32_e32 v11, 0x9000, v11
	s_waitcnt lgkmcnt(0)
	v_cmp_ne_u32_e32 vcc, v12, v95
	s_and_saveexec_b64 s[8:9], vcc
	s_cbranch_execz .LBB371_41
; %bb.43:                               ;   in Loop: Header=BB371_42 Depth=2
	s_mov_b64 s[10:11], 0
.LBB371_44:                             ;   Parent Loop BB371_7 Depth=1
                                        ;     Parent Loop BB371_42 Depth=2
                                        ; =>    This Inner Loop Header: Depth=3
	;;#ASMSTART
	s_sleep 0
	;;#ASMEND
	ds_read_b32 v12, v11 offset:32
	s_waitcnt lgkmcnt(0)
	v_cmp_eq_u32_e32 vcc, v12, v95
	s_or_b64 s[10:11], vcc, s[10:11]
	s_andn2_b64 exec, exec, s[10:11]
	s_cbranch_execnz .LBB371_44
	s_branch .LBB371_41
.LBB371_45:                             ;   in Loop: Header=BB371_7 Depth=1
	s_or_b64 exec, exec, s[4:5]
.LBB371_46:                             ;   in Loop: Header=BB371_7 Depth=1
	s_or_b64 exec, exec, s[6:7]
	v_subrev_u32_e32 v116, s12, v116
.LBB371_47:                             ;   in Loop: Header=BB371_7 Depth=1
	s_or_b64 exec, exec, s[0:1]
.LBB371_48:                             ;   in Loop: Header=BB371_7 Depth=1
	s_andn2_saveexec_b64 s[0:1], s[48:49]
	s_cbranch_execz .LBB371_6
; %bb.49:                               ;   in Loop: Header=BB371_7 Depth=1
	s_lshl_b32 s12, s98, 2
	v_cmp_gt_i32_e32 vcc, s12, v116
	s_and_saveexec_b64 s[4:5], vcc
	s_cbranch_execz .LBB371_5
; %bb.50:                               ;   in Loop: Header=BB371_7 Depth=1
	scratch_load_dword v0, off, off offset:16 ; 4-byte Folded Reload
	scratch_load_dwordx2 v[4:5], off, off offset:8 ; 8-byte Folded Reload
	s_mul_i32 s6, s47, s26
	s_ashr_i32 s7, s6, 31
	s_add_u32 s6, s16, s6
	s_addc_u32 s7, s17, s7
	s_ashr_i32 s8, s13, 31
	s_add_u32 s6, s6, s13
	s_addc_u32 s7, s7, s8
	s_waitcnt vmcnt(2)
	v_add_u32_e32 v2, s99, v85
	s_movk_i32 s8, 0x80
	v_cmp_gt_u32_e32 vcc, s8, v2
	v_sub_u32_e32 v10, 0x7f, v2
	s_waitcnt vmcnt(1)
	v_cndmask_b32_e32 v0, 0, v0, vcc
	v_ashrrev_i32_e32 v1, 31, v0
	v_lshl_add_u64 v[0:1], s[6:7], 0, v[0:1]
	s_waitcnt vmcnt(0)
	v_lshl_add_u64 v[8:9], v[0:1], 0, v[4:5]
	s_mov_b64 s[6:7], 0
	s_branch .LBB371_52
.LBB371_51:                             ;   in Loop: Header=BB371_52 Depth=2
	s_or_b64 exec, exec, s[8:9]
	v_lshl_add_u32 v13, v11, 11, v113
	;;#ASMSTART
	s_waitcnt vmcnt(1)
	;;#ASMEND
	ds_write2_b32 v13, v4, v5 offset1:32
	ds_write2_b32 v13, v6, v7 offset0:64 offset1:96
	v_add_u32_e32 v4, 0x400, v13
	v_add_u32_e32 v116, s29, v116
	;;#ASMSTART
	s_waitcnt vmcnt(0)
	;;#ASMEND
	ds_write2_b32 v4, v0, v1 offset1:32
	ds_write2_b32 v4, v2, v3 offset0:64 offset1:96
	v_add_u32_e32 v0, 1, v95
	v_add_u32_e32 v88, s29, v11
	v_cmp_le_i32_e32 vcc, s12, v116
	ds_write_b32 v12, v0
	v_add_u32_e32 v0, 2, v95
	s_or_b64 s[6:7], vcc, s[6:7]
	v_cmp_lt_i32_e32 vcc, 7, v88
	s_nop 1
	v_cndmask_b32_e32 v95, v95, v0, vcc
	s_andn2_b64 exec, exec, s[6:7]
	s_cbranch_execz .LBB371_4
.LBB371_52:                             ;   Parent Loop BB371_7 Depth=1
                                        ; =>  This Loop Header: Depth=2
                                        ;       Child Loop BB371_54 Depth 3
	v_cmp_gt_i32_e32 vcc, 8, v88
	s_nop 1
	v_cndmask_b32_e64 v0, -8, 0, vcc
	v_add_u32_e32 v11, v0, v88
	v_ashrrev_i32_e32 v0, 31, v116
	v_lshrrev_b32_e32 v0, 30, v0
	v_add_u32_e32 v0, v116, v0
	v_and_b32_e32 v1, 0x7fffffc, v0
	v_sub_u32_e32 v1, v116, v1
	v_lshlrev_b32_e32 v1, 5, v1
	v_cmp_le_i32_e32 vcc, v1, v10
	v_lshlrev_b32_e32 v0, 4, v0
	v_and_b32_e32 v0, 0xffffffc0, v0
	v_cndmask_b32_e32 v2, 0, v1, vcc
	v_ashrrev_i32_e32 v1, 31, v0
	v_mul_lo_u32 v2, v2, s26
	v_lshl_add_u64 v[0:1], v[8:9], 0, v[0:1]
	v_ashrrev_i32_e32 v3, 31, v2
	v_lshl_add_u64 v[0:1], v[0:1], 0, v[2:3]
	v_lshlrev_b32_e32 v12, 2, v11
	;;#ASMSTART
	global_load_dwordx4 v[4:7], v[0:1], off offset:0   
	global_load_dwordx4 v[0:3], v[0:1], off offset:32  
	
	;;#ASMEND
	ds_read_b32 v13, v12 offset:36864
	v_add_u32_e32 v12, 0x9000, v12
	s_waitcnt lgkmcnt(0)
	v_cmp_ne_u32_e32 vcc, v13, v95
	s_and_saveexec_b64 s[8:9], vcc
	s_cbranch_execz .LBB371_51
; %bb.53:                               ;   in Loop: Header=BB371_52 Depth=2
	s_mov_b64 s[10:11], 0
.LBB371_54:                             ;   Parent Loop BB371_7 Depth=1
                                        ;     Parent Loop BB371_52 Depth=2
                                        ; =>    This Inner Loop Header: Depth=3
	;;#ASMSTART
	s_sleep 0
	;;#ASMEND
	ds_read_b32 v13, v12
	s_waitcnt lgkmcnt(0)
	v_cmp_eq_u32_e32 vcc, v13, v95
	s_or_b64 s[10:11], vcc, s[10:11]
	s_andn2_b64 exec, exec, s[10:11]
	s_cbranch_execnz .LBB371_54
	s_branch .LBB371_51
.LBB371_55:
	s_endpgm
	.section	.rodata,"a",@progbits
	.p2align	6, 0x0
	.amdhsa_kernel _Z19_skinny_gemm_kernelILi4ELi5ELi2ELi32ELi4EEvPKhS1_P6__halfPKfiiiiiiii
		.amdhsa_group_segment_fixed_size 36936
		.amdhsa_private_segment_fixed_size 92
		.amdhsa_kernarg_size 64
		.amdhsa_user_sgpr_count 2
		.amdhsa_user_sgpr_dispatch_ptr 0
		.amdhsa_user_sgpr_queue_ptr 0
		.amdhsa_user_sgpr_kernarg_segment_ptr 1
		.amdhsa_user_sgpr_dispatch_id 0
		.amdhsa_user_sgpr_kernarg_preload_length 0
		.amdhsa_user_sgpr_kernarg_preload_offset 0
		.amdhsa_user_sgpr_private_segment_size 0
		.amdhsa_uses_dynamic_stack 0
		.amdhsa_enable_private_segment 1
		.amdhsa_system_sgpr_workgroup_id_x 1
		.amdhsa_system_sgpr_workgroup_id_y 0
		.amdhsa_system_sgpr_workgroup_id_z 0
		.amdhsa_system_sgpr_workgroup_info 0
		.amdhsa_system_vgpr_workitem_id 0
		.amdhsa_next_free_vgpr 128
		.amdhsa_next_free_sgpr 100
		.amdhsa_accum_offset 128
		.amdhsa_reserve_vcc 1
		.amdhsa_float_round_mode_32 0
		.amdhsa_float_round_mode_16_64 0
		.amdhsa_float_denorm_mode_32 3
		.amdhsa_float_denorm_mode_16_64 3
		.amdhsa_dx10_clamp 1
		.amdhsa_ieee_mode 1
		.amdhsa_fp16_overflow 0
		.amdhsa_tg_split 0
		.amdhsa_exception_fp_ieee_invalid_op 0
		.amdhsa_exception_fp_denorm_src 0
		.amdhsa_exception_fp_ieee_div_zero 0
		.amdhsa_exception_fp_ieee_overflow 0
		.amdhsa_exception_fp_ieee_underflow 0
		.amdhsa_exception_fp_ieee_inexact 0
		.amdhsa_exception_int_div_zero 0
	.end_amdhsa_kernel
	.section	.text._Z19_skinny_gemm_kernelILi4ELi5ELi2ELi32ELi4EEvPKhS1_P6__halfPKfiiiiiiii,"axG",@progbits,_Z19_skinny_gemm_kernelILi4ELi5ELi2ELi32ELi4EEvPKhS1_P6__halfPKfiiiiiiii,comdat
.Lfunc_end371:
	.size	_Z19_skinny_gemm_kernelILi4ELi5ELi2ELi32ELi4EEvPKhS1_P6__halfPKfiiiiiiii, .Lfunc_end371-_Z19_skinny_gemm_kernelILi4ELi5ELi2ELi32ELi4EEvPKhS1_P6__halfPKfiiiiiiii
                                        ; -- End function
	.set _Z19_skinny_gemm_kernelILi4ELi5ELi2ELi32ELi4EEvPKhS1_P6__halfPKfiiiiiiii.num_vgpr, 128
	.set _Z19_skinny_gemm_kernelILi4ELi5ELi2ELi32ELi4EEvPKhS1_P6__halfPKfiiiiiiii.num_agpr, 0
	.set _Z19_skinny_gemm_kernelILi4ELi5ELi2ELi32ELi4EEvPKhS1_P6__halfPKfiiiiiiii.numbered_sgpr, 100
	.set _Z19_skinny_gemm_kernelILi4ELi5ELi2ELi32ELi4EEvPKhS1_P6__halfPKfiiiiiiii.num_named_barrier, 0
	.set _Z19_skinny_gemm_kernelILi4ELi5ELi2ELi32ELi4EEvPKhS1_P6__halfPKfiiiiiiii.private_seg_size, 92
	.set _Z19_skinny_gemm_kernelILi4ELi5ELi2ELi32ELi4EEvPKhS1_P6__halfPKfiiiiiiii.uses_vcc, 1
	.set _Z19_skinny_gemm_kernelILi4ELi5ELi2ELi32ELi4EEvPKhS1_P6__halfPKfiiiiiiii.uses_flat_scratch, 0
	.set _Z19_skinny_gemm_kernelILi4ELi5ELi2ELi32ELi4EEvPKhS1_P6__halfPKfiiiiiiii.has_dyn_sized_stack, 0
	.set _Z19_skinny_gemm_kernelILi4ELi5ELi2ELi32ELi4EEvPKhS1_P6__halfPKfiiiiiiii.has_recursion, 0
	.set _Z19_skinny_gemm_kernelILi4ELi5ELi2ELi32ELi4EEvPKhS1_P6__halfPKfiiiiiiii.has_indirect_call, 0
	.section	.AMDGPU.csdata,"",@progbits
; Kernel info:
; codeLenInByte = 16872
; TotalNumSgprs: 106
; NumVgprs: 128
; NumAgprs: 0
; TotalNumVgprs: 128
; ScratchSize: 92
; MemoryBound: 0
; FloatMode: 240
; IeeeMode: 1
; LDSByteSize: 36936 bytes/workgroup (compile time only)
; SGPRBlocks: 13
; VGPRBlocks: 15
; NumSGPRsForWavesPerEU: 106
; NumVGPRsForWavesPerEU: 128
; AccumOffset: 128
; Occupancy: 4
; WaveLimiterHint : 0
; COMPUTE_PGM_RSRC2:SCRATCH_EN: 1
; COMPUTE_PGM_RSRC2:USER_SGPR: 2
; COMPUTE_PGM_RSRC2:TRAP_HANDLER: 0
; COMPUTE_PGM_RSRC2:TGID_X_EN: 1
; COMPUTE_PGM_RSRC2:TGID_Y_EN: 0
; COMPUTE_PGM_RSRC2:TGID_Z_EN: 0
; COMPUTE_PGM_RSRC2:TIDIG_COMP_CNT: 0
; COMPUTE_PGM_RSRC3_GFX90A:ACCUM_OFFSET: 31
; COMPUTE_PGM_RSRC3_GFX90A:TG_SPLIT: 0
	.section	.text._Z19_skinny_gemm_kernelILi4ELi5ELi3ELi16ELi4EEvPKhS1_P6__halfPKfiiiiiiii,"axG",@progbits,_Z19_skinny_gemm_kernelILi4ELi5ELi3ELi16ELi4EEvPKhS1_P6__halfPKfiiiiiiii,comdat
	.protected	_Z19_skinny_gemm_kernelILi4ELi5ELi3ELi16ELi4EEvPKhS1_P6__halfPKfiiiiiiii ; -- Begin function _Z19_skinny_gemm_kernelILi4ELi5ELi3ELi16ELi4EEvPKhS1_P6__halfPKfiiiiiiii
	.globl	_Z19_skinny_gemm_kernelILi4ELi5ELi3ELi16ELi4EEvPKhS1_P6__halfPKfiiiiiiii
	.p2align	8
	.type	_Z19_skinny_gemm_kernelILi4ELi5ELi3ELi16ELi4EEvPKhS1_P6__halfPKfiiiiiiii,@function
_Z19_skinny_gemm_kernelILi4ELi5ELi3ELi16ELi4EEvPKhS1_P6__halfPKfiiiiiiii: ; @_Z19_skinny_gemm_kernelILi4ELi5ELi3ELi16ELi4EEvPKhS1_P6__halfPKfiiiiiiii
; %bb.0:
	v_cmp_gt_u32_e32 vcc, 27, v0
	v_lshlrev_b32_e32 v1, 2, v0
	s_and_saveexec_b64 s[4:5], vcc
; %bb.1:
	v_mov_b32_e32 v2, 0
	ds_write_b32 v1, v2 offset:55296
; %bb.2:
	s_or_b64 exec, exec, s[4:5]
	s_load_dwordx8 s[20:27], s[0:1], 0x20
	s_mov_b32 s56, 0x66666667
	s_waitcnt lgkmcnt(0)
	s_barrier
	s_add_i32 s3, s20, 63
	s_ashr_i32 s5, s3, 31
	s_lshr_b32 s5, s5, 26
	s_add_i32 s4, s21, 0x4f
	s_add_i32 s3, s3, s5
	s_ashr_i32 s33, s3, 6
	s_mul_hi_i32 s3, s4, 0x66666667
	s_lshr_b32 s4, s3, 31
	s_ashr_i32 s54, s3, 5
	s_add_i32 s54, s54, s4
	s_mul_i32 s3, s54, s33
	s_mul_i32 s3, s3, s24
	s_add_i32 s4, s3, 0x12f
	s_mul_hi_i32 s4, s4, 0x6bca1af3
	s_lshr_b32 s5, s4, 31
	s_ashr_i32 s4, s4, 7
	s_add_i32 s4, s4, s5
	s_add_i32 s5, s2, 1
	s_mul_i32 s5, s4, s5
	v_cvt_f64_i32_e32 v[2:3], s3
	v_cvt_f64_u32_e32 v[4:5], s5
	v_min_f64 v[2:3], v[2:3], v[4:5]
	v_cvt_i32_f64_e32 v14, v[2:3]
	s_mul_i32 s55, s4, s2
	v_cmp_ge_i32_e32 vcc, s55, v14
	s_cbranch_vccnz .LBB372_69
; %bb.3:
	v_lshrrev_b32_e32 v2, 6, v0
	s_add_i32 s4, s26, s25
	s_load_dwordx8 s[36:43], s[0:1], 0x0
	v_cmp_le_i32_e64 s[0:1], s4, v2
	v_mov_b32_e32 v3, s25
	v_cmp_le_i32_e64 s[2:3], s25, v2
	v_mov_b32_e32 v4, s26
	v_cndmask_b32_e64 v4, 0, v4, s[0:1]
	v_cndmask_b32_e64 v3, 0, v3, s[2:3]
	s_abs_i32 s5, s24
	v_add_u32_e32 v3, v3, v4
	v_cvt_f32_u32_e32 v4, s5
	v_sub_u32_e32 v88, v2, v3
	s_ashr_i32 s6, s22, 31
	s_lshr_b32 s6, s6, 25
	v_rcp_iflag_f32_e32 v3, v4
	s_sub_i32 s9, 0, s5
	s_add_i32 s6, s22, s6
	s_ashr_i32 s6, s6, 7
	v_mul_f32_e32 v3, 0x4f7ffffe, v3
	v_cvt_u32_f32_e32 v3, v3
	s_abs_i32 s8, s6
	s_xor_b32 s7, s6, s24
	s_ashr_i32 s7, s7, 31
	v_readfirstlane_b32 s10, v3
	s_mul_i32 s9, s9, s10
	s_mul_hi_u32 s9, s10, s9
	s_add_i32 s10, s10, s9
	s_mul_hi_u32 s9, s8, s10
	s_mul_i32 s10, s9, s5
	s_sub_i32 s8, s8, s10
	s_add_i32 s10, s9, 1
	s_sub_i32 s11, s8, s5
	s_cmp_ge_u32 s8, s5
	s_cselect_b32 s9, s10, s9
	s_cselect_b32 s8, s11, s8
	s_add_i32 s10, s9, 1
	s_cmp_ge_u32 s8, s5
	s_cselect_b32 s5, s10, s9
	s_xor_b32 s5, s5, s7
	s_sub_i32 s57, s5, s7
	s_add_i32 s24, s24, -1
	s_mul_i32 s5, s57, s24
	s_add_i32 s4, s4, s27
	s_sub_i32 s58, s6, s5
	v_cmp_gt_i32_e64 s[4:5], s4, v2
	v_lshlrev_b32_e32 v2, 1, v0
	v_lshlrev_b32_e32 v3, 4, v0
	v_and_b32_e32 v1, 60, v1
	v_and_b32_e32 v2, 64, v2
	;; [unrolled: 1-line block ×3, first 2 shown]
	v_or3_b32 v85, v1, v2, v4
	v_and_b32_e32 v6, 14, v0
	v_and_b32_e32 v1, 1, v0
	v_lshrrev_b32_e32 v4, 2, v0
	v_lshlrev_b32_e32 v2, 1, v1
	v_bitop3_b32 v5, v0, 1, v0 bitop3:0xc
	v_and_or_b32 v1, v4, 12, v1
	v_mov_b32_e32 v4, v6
	scratch_store_dword off, v5, off offset:20 ; 4-byte Folded Spill
	scratch_store_dwordx2 off, v[4:5], off offset:32 ; 8-byte Folded Spill
	scratch_store_dword off, v1, off offset:24 ; 4-byte Folded Spill
	v_mad_u64_u32 v[4:5], s[6:7], s21, v1, v[6:7]
	v_ashrrev_i32_e32 v5, 31, v4
	s_lshl_b32 s6, s21, 4
	scratch_store_dwordx2 off, v[4:5], off offset:64 ; 8-byte Folded Spill
	v_add_u32_e32 v4, s6, v4
	v_ashrrev_i32_e32 v5, 31, v4
	scratch_store_dwordx2 off, v[4:5], off offset:72 ; 8-byte Folded Spill
	v_add_u32_e32 v4, s6, v4
	v_ashrrev_i32_e32 v5, 31, v4
	scratch_store_dwordx2 off, v[4:5], off offset:80 ; 8-byte Folded Spill
	v_add_u32_e32 v4, s6, v4
	s_abs_i32 s59, s33
	v_ashrrev_i32_e32 v5, 31, v4
	v_and_b32_e32 v16, 48, v3
	v_bfe_u32 v15, v0, 2, 4
	v_cvt_f32_u32_e32 v3, s59
	scratch_store_dwordx2 off, v[4:5], off offset:88 ; 8-byte Folded Spill
	v_mul_lo_u32 v4, s23, v15
	v_ashrrev_i32_e32 v5, 31, v4
	v_sub_u32_e32 v2, v0, v2
	v_bitop3_b32 v82, v0, 3, 1 bitop3:0x6c
	scratch_store_dwordx2 off, v[4:5], off offset:52 ; 8-byte Folded Spill
	v_and_b32_e32 v1, 60, v0
	v_lshlrev_b32_e32 v4, 8, v0
	v_lshlrev_b32_e32 v0, 6, v0
	v_and_b32_e32 v4, 0x200, v4
	v_rcp_iflag_f32_e32 v3, v3
	v_and_b32_e32 v0, 64, v0
	s_abs_i32 s61, s54
	v_or3_b32 v92, v1, v4, v0
	v_cvt_f32_u32_e32 v1, s61
	v_mul_f32_e32 v0, 0x4f7ffffe, v3
	v_cvt_u32_f32_e32 v0, v0
	s_sub_i32 s6, 0, s59
	v_rcp_iflag_f32_e32 v1, v1
	v_add_u32_e32 v2, 1, v2
	v_readfirstlane_b32 s7, v0
	s_mul_i32 s6, s6, s7
	v_mul_f32_e32 v0, 0x4f7ffffe, v1
	v_cvt_u32_f32_e32 v0, v0
	s_mul_hi_u32 s6, s7, s6
	s_add_i32 s63, s7, s6
	s_sub_i32 s6, 0, s61
	v_readfirstlane_b32 s7, v0
	v_mbcnt_lo_u32_b32 v0, -1, 0
	v_and_b32_e32 v2, 63, v2
	s_mul_i32 s6, s6, s7
	v_mbcnt_hi_u32_b32 v0, -1, v0
	s_mul_hi_u32 s6, s7, s6
	v_and_or_b32 v0, v0, 64, v2
	v_cndmask_b32_e64 v84, 0, 1, s[0:1]
	s_ashr_i32 s29, s21, 31
	s_mov_b32 s28, s21
	v_mov_b32_e32 v17, 0
	s_lshl_b32 s60, s23, 4
	s_ashr_i32 s62, s33, 31
	s_ashr_i32 s64, s54, 31
	s_add_i32 s65, s7, s6
	s_movk_i32 s66, 0x2800
	s_mov_b64 s[30:31], 0x60
	s_mov_b64 s[34:35], 0x80
	v_lshlrev_b32_e32 v93, 2, v0
	v_mov_b32_e32 v90, v88
	scratch_store_dword off, v14, off offset:28 ; 4-byte Folded Spill
	scratch_store_dword off, v82, off offset:60 ; 4-byte Folded Spill
	scratch_store_dwordx2 off, v[16:17], off offset:40 ; 8-byte Folded Spill
	scratch_store_dword off, v15, off offset:48 ; 4-byte Folded Spill
	s_branch .LBB372_7
.LBB372_4:                              ;   in Loop: Header=BB372_7 Depth=1
	s_or_b64 exec, exec, s[10:11]
.LBB372_5:                              ;   in Loop: Header=BB372_7 Depth=1
	s_or_b64 exec, exec, s[8:9]
	v_subrev_u32_e32 v90, s16, v90
.LBB372_6:                              ;   in Loop: Header=BB372_7 Depth=1
	s_or_b64 exec, exec, s[6:7]
	s_add_i32 s55, s55, 1
	s_waitcnt vmcnt(2)
	v_cmp_ge_i32_e32 vcc, s55, v14
	s_cbranch_vccnz .LBB372_69
.LBB372_7:                              ; =>This Loop Header: Depth=1
                                        ;     Child Loop BB372_13 Depth 2
                                        ;       Child Loop BB372_15 Depth 3
                                        ;       Child Loop BB372_18 Depth 3
	;; [unrolled: 1-line block ×9, first 2 shown]
                                        ;     Child Loop BB372_56 Depth 2
                                        ;       Child Loop BB372_58 Depth 3
                                        ;     Child Loop BB372_66 Depth 2
                                        ;       Child Loop BB372_68 Depth 3
	s_abs_i32 s7, s55
	s_mul_hi_u32 s8, s7, s63
	s_mul_i32 s9, s8, s59
	s_ashr_i32 s6, s55, 31
	s_sub_i32 s7, s7, s9
	s_xor_b32 s6, s6, s62
	s_add_i32 s9, s8, 1
	s_sub_i32 s10, s7, s59
	s_cmp_ge_u32 s7, s59
	s_cselect_b32 s8, s9, s8
	s_cselect_b32 s7, s10, s7
	s_add_i32 s9, s8, 1
	s_cmp_ge_u32 s7, s59
	s_cselect_b32 s7, s9, s8
	s_xor_b32 s7, s7, s6
	s_sub_i32 s6, s7, s6
	s_abs_i32 s8, s6
	s_mul_i32 s7, s6, s33
	s_mul_hi_u32 s9, s8, s65
	s_sub_i32 s7, s55, s7
	s_mul_i32 s10, s9, s61
	s_lshl_b32 s67, s7, 6
	s_ashr_i32 s7, s6, 31
	s_sub_i32 s8, s8, s10
	s_xor_b32 s7, s7, s64
	s_add_i32 s10, s9, 1
	s_sub_i32 s11, s8, s61
	s_cmp_ge_u32 s8, s61
	s_cselect_b32 s9, s10, s9
	s_cselect_b32 s8, s11, s8
	s_add_i32 s10, s9, 1
	s_cmp_ge_u32 s8, s61
	s_cselect_b32 s8, s10, s9
	s_xor_b32 s8, s8, s7
	s_sub_i32 s7, s8, s7
	s_mul_i32 s8, s7, s57
	s_lshl_b32 s68, s8, 7
	s_cmp_eq_u32 s7, s24
	s_cselect_b32 s70, s58, s57
	s_sub_i32 s8, s67, s20
	s_add_i32 s8, s8, 64
	s_max_i32 s69, s8, 0
	s_and_saveexec_b64 s[8:9], s[2:3]
	s_xor_b64 s[44:45], exec, s[8:9]
	s_cbranch_execz .LBB372_62
; %bb.8:                                ;   in Loop: Header=BB372_7 Depth=1
	s_mul_i32 s7, s7, s54
	s_sub_i32 s6, s6, s7
	s_mulk_i32 s6, 0x50
	s_sub_i32 s47, s6, s21
	s_addk_i32 s47, 0x50
	s_max_i32 s7, s47, 0
	s_sub_i32 s46, s6, s7
	s_and_saveexec_b64 s[6:7], s[0:1]
	s_xor_b64 s[48:49], exec, s[6:7]
	s_cbranch_execz .LBB372_52
; %bb.9:                                ;   in Loop: Header=BB372_7 Depth=1
	s_and_saveexec_b64 s[50:51], s[4:5]
	s_cbranch_execz .LBB372_51
; %bb.10:                               ;   in Loop: Header=BB372_7 Depth=1
	s_waitcnt vmcnt(1) lgkmcnt(0)
	global_load_dword v0, v17, s[42:43]
	v_mov_b32_e32 v71, 0
	v_cmp_gt_i32_e32 vcc, s70, v90
	v_mov_b32_e32 v70, v71
	v_mov_b32_e32 v69, v71
	;; [unrolled: 1-line block ×75, first 2 shown]
	s_waitcnt vmcnt(1)
	v_mov_b32_e32 v15, v71
	v_mov_b32_e32 v14, v71
	v_mov_b32_e32 v13, v71
	v_mov_b32_e32 v12, v71
	s_waitcnt vmcnt(0)
	scratch_store_dword off, v0, off offset:16 ; 4-byte Folded Spill
	s_and_saveexec_b64 s[6:7], vcc
	s_cbranch_execz .LBB372_41
; %bb.11:                               ;   in Loop: Header=BB372_7 Depth=1
	v_mov_b32_e32 v12, 0
	s_mov_b64 s[8:9], 0
	v_mov_b32_e32 v13, v12
	v_mov_b32_e32 v14, v12
	;; [unrolled: 1-line block ×79, first 2 shown]
	s_branch .LBB372_13
.LBB372_12:                             ;   in Loop: Header=BB372_13 Depth=2
	s_or_b64 exec, exec, s[10:11]
	scratch_load_dwordx4 v[20:23], off, off ; 16-byte Folded Reload
	v_add_u32_e32 v2, 0x2000, v81
	ds_read2_b32 v[0:1], v2 offset1:32
	ds_read2_b32 v[2:3], v2 offset0:128 offset1:160
	v_add_u32_e32 v81, 0x2400, v81
	v_add_u32_e32 v90, s27, v90
	s_waitcnt lgkmcnt(1)
	v_mfma_f32_16x16x32_fp8_fp8 v[60:63], v[100:101], v[0:1], v[60:63]
	v_mfma_f32_16x16x32_fp8_fp8 v[40:43], v[102:103], v[0:1], v[40:43]
	;; [unrolled: 1-line block ×3, first 2 shown]
	s_waitcnt lgkmcnt(0)
	v_mfma_f32_16x16x32_fp8_fp8 v[60:63], v[96:97], v[2:3], v[60:63]
	ds_read2_b32 v[96:97], v81 offset1:32
	v_mfma_f32_16x16x32_fp8_fp8 v[40:43], v[104:105], v[2:3], v[40:43]
	v_mfma_f32_16x16x32_fp8_fp8 v[12:15], v[88:89], v[2:3], v[12:15]
	v_add_u32_e32 v88, s27, v80
	v_cmp_lt_i32_e32 vcc, 2, v88
	s_waitcnt lgkmcnt(0)
	v_mfma_f32_16x16x32_fp8_fp8 v[60:63], v[98:99], v[96:97], v[60:63]
	ds_read2_b32 v[98:99], v81 offset0:128 offset1:160
	;;#ASMSTART
	s_waitcnt lgkmcnt(0)
	;;#ASMEND
	ds_write_b32 v82, v83 offset:55360
	v_mfma_f32_16x16x32_fp8_fp8 v[40:43], v[106:107], v[96:97], v[40:43]
	v_mfma_f32_16x16x32_fp8_fp8 v[12:15], v[86:87], v[96:97], v[12:15]
	s_waitcnt lgkmcnt(1)
	v_mfma_f32_16x16x32_fp8_fp8 v[60:63], v[94:95], v[98:99], v[60:63]
	v_mfma_f32_16x16x32_fp8_fp8 v[40:43], v[108:109], v[98:99], v[40:43]
	v_mfma_f32_16x16x32_fp8_fp8 v[12:15], v[118:119], v[98:99], v[12:15]
	s_waitcnt vmcnt(0)
	v_mfma_f32_16x16x32_fp8_fp8 v[20:23], v[110:111], v[0:1], v[20:23]
	v_add_u32_e32 v0, 2, v84
	v_cndmask_b32_e32 v84, v84, v0, vcc
	v_cmp_le_i32_e32 vcc, s70, v90
	v_mfma_f32_16x16x32_fp8_fp8 v[20:23], v[112:113], v[2:3], v[20:23]
	s_or_b64 s[8:9], vcc, s[8:9]
	v_mfma_f32_16x16x32_fp8_fp8 v[20:23], v[114:115], v[96:97], v[20:23]
	v_mfma_f32_16x16x32_fp8_fp8 v[100:103], v[116:117], v[98:99], v[20:23]
	s_andn2_b64 exec, exec, s[8:9]
	s_cbranch_execz .LBB372_40
.LBB372_13:                             ;   Parent Loop BB372_7 Depth=1
                                        ; =>  This Loop Header: Depth=2
                                        ;       Child Loop BB372_15 Depth 3
                                        ;       Child Loop BB372_18 Depth 3
	;; [unrolled: 1-line block ×9, first 2 shown]
	v_cmp_gt_i32_e32 vcc, 3, v88
	s_nop 1
	v_cndmask_b32_e64 v0, -3, 0, vcc
	v_add_u32_e32 v80, v0, v88
	v_mul_lo_u32 v82, v80, 20
	ds_read_b32 v0, v82 offset:55344
	s_waitcnt lgkmcnt(0)
	v_cmp_ne_u32_e32 vcc, v0, v84
	s_and_saveexec_b64 s[10:11], vcc
	s_cbranch_execz .LBB372_16
; %bb.14:                               ;   in Loop: Header=BB372_13 Depth=2
	s_mov_b64 s[12:13], 0
.LBB372_15:                             ;   Parent Loop BB372_7 Depth=1
                                        ;     Parent Loop BB372_13 Depth=2
                                        ; =>    This Inner Loop Header: Depth=3
	;;#ASMSTART
	s_sleep 0
	;;#ASMEND
	ds_read_b32 v0, v82 offset:55344
	s_waitcnt lgkmcnt(0)
	v_cmp_eq_u32_e32 vcc, v0, v84
	s_or_b64 s[12:13], vcc, s[12:13]
	s_andn2_b64 exec, exec, s[12:13]
	s_cbranch_execnz .LBB372_15
.LBB372_16:                             ;   in Loop: Header=BB372_13 Depth=2
	s_or_b64 exec, exec, s[10:11]
	v_mul_lo_u32 v81, v80, s66
	v_mov_b64_e32 v[20:21], v[120:121]
	v_or_b32_e32 v0, v85, v81
	v_mov_b64_e32 v[22:23], v[122:123]
	ds_read2_b32 v[118:119], v0 offset1:32
	ds_read2_b32 v[120:121], v0 offset0:128 offset1:160
	v_add_u32_e32 v0, 0x400, v0
	v_add_u32_e32 v83, 1, v84
	ds_read2_b32 v[124:125], v0 offset1:32
	ds_read2_b32 v[122:123], v0 offset0:128 offset1:160
	;;#ASMSTART
	s_waitcnt lgkmcnt(0)
	;;#ASMEND
	ds_write_b32 v82, v83 offset:55344
	v_lshlrev_b32_e32 v91, 4, v80
	ds_read_b32 v0, v91 offset:55296
	s_waitcnt lgkmcnt(0)
	v_cmp_ne_u32_e32 vcc, v0, v84
	s_and_saveexec_b64 s[10:11], vcc
	s_cbranch_execz .LBB372_19
; %bb.17:                               ;   in Loop: Header=BB372_13 Depth=2
	s_mov_b64 s[12:13], 0
.LBB372_18:                             ;   Parent Loop BB372_7 Depth=1
                                        ;     Parent Loop BB372_13 Depth=2
                                        ; =>    This Inner Loop Header: Depth=3
	;;#ASMSTART
	s_sleep 0
	;;#ASMEND
	ds_read_b32 v0, v91 offset:55296
	s_waitcnt lgkmcnt(0)
	v_cmp_eq_u32_e32 vcc, v0, v84
	s_or_b64 s[12:13], vcc, s[12:13]
	s_andn2_b64 exec, exec, s[12:13]
	s_cbranch_execnz .LBB372_18
.LBB372_19:                             ;   in Loop: Header=BB372_13 Depth=2
	s_or_b64 exec, exec, s[10:11]
	v_lshlrev_b32_e32 v0, 13, v80
	v_or_b32_e32 v1, 0x7800, v85
	scratch_store_dwordx4 off, v[100:103], off ; 16-byte Folded Spill
	v_add_u32_e32 v86, v1, v0
	ds_read2_b32 v[100:101], v86 offset1:32
	ds_read2_b32 v[96:97], v86 offset0:128 offset1:160
	v_add_u32_e32 v0, 0x400, v86
	s_waitcnt lgkmcnt(1)
	v_mfma_f32_16x16x32_fp8_fp8 v[68:71], v[100:101], v[118:119], v[68:71]
	ds_read2_b32 v[98:99], v0 offset1:32
	ds_read2_b32 v[94:95], v0 offset0:128 offset1:160
	ds_read_b32 v0, v91 offset:55300
	ds_write_b32 v91, v83 offset:55296
	s_waitcnt lgkmcnt(4)
	v_mfma_f32_16x16x32_fp8_fp8 v[68:71], v[96:97], v[120:121], v[68:71]
	s_waitcnt lgkmcnt(1)
	v_cmp_ne_u32_e32 vcc, v0, v84
	v_mfma_f32_16x16x32_fp8_fp8 v[68:71], v[98:99], v[124:125], v[68:71]
	v_mfma_f32_16x16x32_fp8_fp8 v[68:71], v[94:95], v[122:123], v[68:71]
	s_and_saveexec_b64 s[10:11], vcc
	s_cbranch_execz .LBB372_22
; %bb.20:                               ;   in Loop: Header=BB372_13 Depth=2
	s_mov_b64 s[12:13], 0
.LBB372_21:                             ;   Parent Loop BB372_7 Depth=1
                                        ;     Parent Loop BB372_13 Depth=2
                                        ; =>    This Inner Loop Header: Depth=3
	;;#ASMSTART
	s_sleep 0
	;;#ASMEND
	ds_read_b32 v0, v91 offset:55300
	s_waitcnt lgkmcnt(0)
	v_cmp_eq_u32_e32 vcc, v0, v84
	s_or_b64 s[12:13], vcc, s[12:13]
	s_andn2_b64 exec, exec, s[12:13]
	s_cbranch_execnz .LBB372_21
.LBB372_22:                             ;   in Loop: Header=BB372_13 Depth=2
	s_or_b64 exec, exec, s[10:11]
	v_add_u32_e32 v0, 0x800, v86
	ds_read2_b32 v[102:103], v0 offset1:32
	ds_read2_b32 v[104:105], v0 offset0:128 offset1:160
	v_add_u32_e32 v0, 0xc00, v86
	ds_read2_b32 v[106:107], v0 offset1:32
	ds_read2_b32 v[108:109], v0 offset0:128 offset1:160
	ds_read_b32 v0, v91 offset:55304
	s_waitcnt lgkmcnt(4)
	v_mfma_f32_16x16x32_fp8_fp8 v[56:59], v[102:103], v[118:119], v[56:59]
	ds_write_b32 v91, v83 offset:55300
	s_waitcnt lgkmcnt(1)
	v_cmp_ne_u32_e32 vcc, v0, v84
	v_mfma_f32_16x16x32_fp8_fp8 v[56:59], v[104:105], v[120:121], v[56:59]
	v_mfma_f32_16x16x32_fp8_fp8 v[56:59], v[106:107], v[124:125], v[56:59]
	;; [unrolled: 1-line block ×3, first 2 shown]
	s_and_saveexec_b64 s[10:11], vcc
	s_cbranch_execz .LBB372_25
; %bb.23:                               ;   in Loop: Header=BB372_13 Depth=2
	s_mov_b64 s[12:13], 0
.LBB372_24:                             ;   Parent Loop BB372_7 Depth=1
                                        ;     Parent Loop BB372_13 Depth=2
                                        ; =>    This Inner Loop Header: Depth=3
	;;#ASMSTART
	s_sleep 0
	;;#ASMEND
	ds_read_b32 v0, v91 offset:55304
	s_waitcnt lgkmcnt(0)
	v_cmp_eq_u32_e32 vcc, v0, v84
	s_or_b64 s[12:13], vcc, s[12:13]
	s_andn2_b64 exec, exec, s[12:13]
	s_cbranch_execnz .LBB372_24
.LBB372_25:                             ;   in Loop: Header=BB372_13 Depth=2
	s_or_b64 exec, exec, s[10:11]
	v_add_u32_e32 v0, 0x1000, v86
	ds_read2_b32 v[110:111], v0 offset1:32
	ds_read2_b32 v[112:113], v0 offset0:128 offset1:160
	v_add_u32_e32 v0, 0x1400, v86
	ds_read2_b32 v[114:115], v0 offset1:32
	ds_read2_b32 v[116:117], v0 offset0:128 offset1:160
	ds_read_b32 v0, v91 offset:55308
	s_waitcnt lgkmcnt(4)
	v_mfma_f32_16x16x32_fp8_fp8 v[36:39], v[110:111], v[118:119], v[36:39]
	ds_write_b32 v91, v83 offset:55304
	s_waitcnt lgkmcnt(1)
	v_cmp_ne_u32_e32 vcc, v0, v84
	v_mfma_f32_16x16x32_fp8_fp8 v[36:39], v[112:113], v[120:121], v[36:39]
	v_mfma_f32_16x16x32_fp8_fp8 v[36:39], v[114:115], v[124:125], v[36:39]
	v_mfma_f32_16x16x32_fp8_fp8 v[36:39], v[116:117], v[122:123], v[36:39]
	s_and_saveexec_b64 s[10:11], vcc
	s_cbranch_execz .LBB372_28
; %bb.26:                               ;   in Loop: Header=BB372_13 Depth=2
	s_mov_b64 s[12:13], 0
.LBB372_27:                             ;   Parent Loop BB372_7 Depth=1
                                        ;     Parent Loop BB372_13 Depth=2
                                        ; =>    This Inner Loop Header: Depth=3
	;;#ASMSTART
	s_sleep 0
	;;#ASMEND
	ds_read_b32 v0, v91 offset:55308
	s_waitcnt lgkmcnt(0)
	v_cmp_eq_u32_e32 vcc, v0, v84
	s_or_b64 s[12:13], vcc, s[12:13]
	s_andn2_b64 exec, exec, s[12:13]
	s_cbranch_execnz .LBB372_27
.LBB372_28:                             ;   in Loop: Header=BB372_13 Depth=2
	s_or_b64 exec, exec, s[10:11]
	v_add_u32_e32 v0, 0x1800, v86
	ds_read2_b32 v[126:127], v0 offset1:32
	ds_read2_b32 v[88:89], v0 offset0:128 offset1:160
	v_add_u32_e32 v0, 0x1c00, v86
	ds_read2_b32 v[86:87], v0 offset1:32
	ds_write_b32 v91, v83 offset:55308
	s_waitcnt lgkmcnt(3)
	v_mfma_f32_16x16x32_fp8_fp8 v[16:19], v[126:127], v[118:119], v[16:19]
	ds_read2_b32 v[118:119], v0 offset0:128 offset1:160
	ds_read_b32 v0, v82 offset:55348
	s_waitcnt lgkmcnt(0)
	v_cmp_ne_u32_e32 vcc, v0, v84
	v_mfma_f32_16x16x32_fp8_fp8 v[16:19], v[88:89], v[120:121], v[16:19]
	v_mfma_f32_16x16x32_fp8_fp8 v[16:19], v[86:87], v[124:125], v[16:19]
	v_mfma_f32_16x16x32_fp8_fp8 v[16:19], v[118:119], v[122:123], v[16:19]
	s_and_saveexec_b64 s[10:11], vcc
	s_cbranch_execz .LBB372_31
; %bb.29:                               ;   in Loop: Header=BB372_13 Depth=2
	s_mov_b64 s[12:13], 0
.LBB372_30:                             ;   Parent Loop BB372_7 Depth=1
                                        ;     Parent Loop BB372_13 Depth=2
                                        ; =>    This Inner Loop Header: Depth=3
	;;#ASMSTART
	s_sleep 0
	;;#ASMEND
	ds_read_b32 v0, v82 offset:55348
	s_waitcnt lgkmcnt(0)
	v_cmp_eq_u32_e32 vcc, v0, v84
	s_or_b64 s[12:13], vcc, s[12:13]
	s_andn2_b64 exec, exec, s[12:13]
	s_cbranch_execnz .LBB372_30
.LBB372_31:                             ;   in Loop: Header=BB372_13 Depth=2
	s_or_b64 exec, exec, s[10:11]
	v_add_u32_e32 v81, v85, v81
	v_add_u32_e32 v0, 0x800, v81
	ds_read2_b32 v[120:121], v0 offset1:32
	ds_read2_b32 v[122:123], v0 offset0:128 offset1:160
	v_add_u32_e32 v0, 0xc00, v81
	ds_read2_b32 v[124:125], v0 offset1:32
	ds_read2_b32 v[0:1], v0 offset0:128 offset1:160
	s_waitcnt lgkmcnt(3)
	v_mfma_f32_16x16x32_fp8_fp8 v[76:79], v[100:101], v[120:121], v[76:79]
	;;#ASMSTART
	s_waitcnt lgkmcnt(0)
	;;#ASMEND
	ds_read_b32 v2, v82 offset:55352
	ds_write_b32 v82, v83 offset:55348
	v_mfma_f32_16x16x32_fp8_fp8 v[52:55], v[102:103], v[120:121], v[52:55]
	s_waitcnt lgkmcnt(1)
	v_cmp_ne_u32_e32 vcc, v2, v84
	v_mfma_f32_16x16x32_fp8_fp8 v[32:35], v[110:111], v[120:121], v[32:35]
	v_mfma_f32_16x16x32_fp8_fp8 v[8:11], v[126:127], v[120:121], v[8:11]
	;; [unrolled: 1-line block ×14, first 2 shown]
	s_and_saveexec_b64 s[10:11], vcc
	s_cbranch_execz .LBB372_34
; %bb.32:                               ;   in Loop: Header=BB372_13 Depth=2
	s_mov_b64 s[12:13], 0
.LBB372_33:                             ;   Parent Loop BB372_7 Depth=1
                                        ;     Parent Loop BB372_13 Depth=2
                                        ; =>    This Inner Loop Header: Depth=3
	;;#ASMSTART
	s_sleep 0
	;;#ASMEND
	ds_read_b32 v0, v82 offset:55352
	s_waitcnt lgkmcnt(0)
	v_cmp_eq_u32_e32 vcc, v0, v84
	s_or_b64 s[12:13], vcc, s[12:13]
	s_andn2_b64 exec, exec, s[12:13]
	s_cbranch_execnz .LBB372_33
.LBB372_34:                             ;   in Loop: Header=BB372_13 Depth=2
	s_or_b64 exec, exec, s[10:11]
	v_add_u32_e32 v2, 0x1000, v81
	ds_read2_b32 v[0:1], v2 offset1:32
	ds_read2_b32 v[2:3], v2 offset0:128 offset1:160
	v_add_u32_e32 v91, 0x1400, v81
	ds_read2_b32 v[120:121], v91 offset1:32
	ds_read2_b32 v[122:123], v91 offset0:128 offset1:160
	s_waitcnt lgkmcnt(3)
	v_mfma_f32_16x16x32_fp8_fp8 v[72:75], v[100:101], v[0:1], v[72:75]
	;;#ASMSTART
	s_waitcnt lgkmcnt(0)
	;;#ASMEND
	ds_write_b32 v82, v83 offset:55352
	v_mfma_f32_16x16x32_fp8_fp8 v[48:51], v[102:103], v[0:1], v[48:51]
	v_mfma_f32_16x16x32_fp8_fp8 v[28:31], v[110:111], v[0:1], v[28:31]
	v_mfma_f32_16x16x32_fp8_fp8 v[4:7], v[126:127], v[0:1], v[4:7]
	ds_read_b32 v0, v82 offset:55356
	s_waitcnt lgkmcnt(0)
	v_cmp_ne_u32_e32 vcc, v0, v84
	v_mfma_f32_16x16x32_fp8_fp8 v[72:75], v[96:97], v[2:3], v[72:75]
	v_mfma_f32_16x16x32_fp8_fp8 v[48:51], v[104:105], v[2:3], v[48:51]
	;; [unrolled: 1-line block ×12, first 2 shown]
	s_and_saveexec_b64 s[10:11], vcc
	s_cbranch_execz .LBB372_37
; %bb.35:                               ;   in Loop: Header=BB372_13 Depth=2
	s_mov_b64 s[12:13], 0
.LBB372_36:                             ;   Parent Loop BB372_7 Depth=1
                                        ;     Parent Loop BB372_13 Depth=2
                                        ; =>    This Inner Loop Header: Depth=3
	;;#ASMSTART
	s_sleep 0
	;;#ASMEND
	ds_read_b32 v0, v82 offset:55356
	s_waitcnt lgkmcnt(0)
	v_cmp_eq_u32_e32 vcc, v0, v84
	s_or_b64 s[12:13], vcc, s[12:13]
	s_andn2_b64 exec, exec, s[12:13]
	s_cbranch_execnz .LBB372_36
.LBB372_37:                             ;   in Loop: Header=BB372_13 Depth=2
	s_or_b64 exec, exec, s[10:11]
	v_add_u32_e32 v2, 0x1800, v81
	ds_read2_b32 v[0:1], v2 offset1:32
	ds_read2_b32 v[120:121], v2 offset0:128 offset1:160
	v_add_u32_e32 v2, 0x1c00, v81
	ds_read2_b32 v[122:123], v2 offset1:32
	ds_read2_b32 v[124:125], v2 offset0:128 offset1:160
	s_waitcnt lgkmcnt(3)
	v_mfma_f32_16x16x32_fp8_fp8 v[64:67], v[100:101], v[0:1], v[64:67]
	;;#ASMSTART
	s_waitcnt lgkmcnt(0)
	;;#ASMEND
	ds_read_b32 v91, v82 offset:55360
	ds_write_b32 v82, v83 offset:55356
	v_mfma_f32_16x16x32_fp8_fp8 v[44:47], v[102:103], v[0:1], v[44:47]
	s_waitcnt lgkmcnt(1)
	v_cmp_ne_u32_e32 vcc, v91, v84
	v_mfma_f32_16x16x32_fp8_fp8 v[24:27], v[110:111], v[0:1], v[24:27]
	v_mfma_f32_16x16x32_fp8_fp8 v[0:3], v[126:127], v[0:1], v[20:23]
	;; [unrolled: 1-line block ×14, first 2 shown]
	s_and_saveexec_b64 s[10:11], vcc
	s_cbranch_execz .LBB372_12
; %bb.38:                               ;   in Loop: Header=BB372_13 Depth=2
	s_mov_b64 s[12:13], 0
.LBB372_39:                             ;   Parent Loop BB372_7 Depth=1
                                        ;     Parent Loop BB372_13 Depth=2
                                        ; =>    This Inner Loop Header: Depth=3
	;;#ASMSTART
	s_sleep 0
	;;#ASMEND
	s_nop 0
	ds_read_b32 v0, v82 offset:55360
	s_waitcnt lgkmcnt(0)
	v_cmp_eq_u32_e32 vcc, v0, v84
	s_or_b64 s[12:13], vcc, s[12:13]
	s_andn2_b64 exec, exec, s[12:13]
	s_cbranch_execnz .LBB372_39
	s_branch .LBB372_12
.LBB372_40:                             ;   in Loop: Header=BB372_7 Depth=1
	s_or_b64 exec, exec, s[8:9]
	scratch_load_dword v82, off, off offset:60 ; 4-byte Folded Reload
.LBB372_41:                             ;   in Loop: Header=BB372_7 Depth=1
	s_or_b64 exec, exec, s[6:7]
	scratch_load_dwordx2 v[0:1], off, off offset:32 ; 8-byte Folded Reload
	s_nop 0
	scratch_load_dword v20, off, off offset:16 ; 4-byte Folded Reload
	scratch_load_dword v89, off, off offset:20 ; 4-byte Folded Reload
	s_waitcnt vmcnt(3)
	v_cmp_eq_u32_e64 s[10:11], 1, v82
	v_cmp_eq_u32_e64 s[16:17], 3, v82
	v_mov_b32_e32 v97, v82
	s_waitcnt vmcnt(2)
	v_mov_b32_e32 v98, v0
	v_cmp_le_i32_e32 vcc, s47, v98
	s_waitcnt vmcnt(0)
	v_cmp_eq_u32_e64 s[12:13], 1, v89
	v_cmp_eq_u32_e64 s[6:7], 3, v89
	v_cndmask_b32_e32 v94, 0, v20, vcc
	v_pk_mul_f32 v[2:3], v[94:95], v[68:69] op_sel_hi:[0,1]
	v_pk_mul_f32 v[0:1], v[94:95], v[70:71] op_sel_hi:[0,1]
	v_cndmask_b32_e64 v68, v2, v3, s[12:13]
	v_cmp_eq_u32_e32 vcc, 2, v89
	v_cmp_eq_u32_e64 s[8:9], 0, v89
	s_nop 0
	v_cndmask_b32_e32 v68, v68, v0, vcc
	v_cndmask_b32_e64 v68, v68, v1, s[6:7]
	ds_bpermute_b32 v68, v93, v68
	s_waitcnt lgkmcnt(0)
	v_cndmask_b32_e32 v81, v0, v68, vcc
	v_or_b32_e32 v0, 16, v98
	v_cmp_le_i32_e64 s[14:15], s47, v0
	v_cndmask_b32_e64 v80, v1, v68, s[6:7]
	v_cndmask_b32_e64 v69, v3, v68, s[12:13]
	;; [unrolled: 1-line block ×4, first 2 shown]
	v_pk_mul_f32 v[2:3], v[68:69], v[76:77] op_sel_hi:[0,1]
	v_pk_mul_f32 v[0:1], v[68:69], v[78:79] op_sel_hi:[0,1]
	v_cndmask_b32_e64 v76, v2, v3, s[12:13]
	v_cndmask_b32_e32 v76, v76, v0, vcc
	v_cndmask_b32_e64 v76, v76, v1, s[6:7]
	ds_bpermute_b32 v79, v93, v76
	v_cndmask_b32_e64 v70, v71, v69, s[10:11]
	v_cmp_eq_u32_e64 s[14:15], 2, v82
	s_waitcnt lgkmcnt(0)
	v_cndmask_b32_e32 v78, v0, v79, vcc
	v_cndmask_b32_e64 v70, v70, v81, s[14:15]
	v_or_b32_e32 v0, 32, v98
	v_cndmask_b32_e64 v70, v70, v80, s[16:17]
	v_cmp_le_i32_e64 s[18:19], s47, v0
	ds_bpermute_b32 v76, v93, v70
	v_cndmask_b32_e64 v86, v3, v79, s[12:13]
	v_cndmask_b32_e64 v70, 0, v20, s[18:19]
	;; [unrolled: 1-line block ×3, first 2 shown]
	v_pk_mul_f32 v[2:3], v[70:71], v[72:73] op_sel_hi:[0,1]
	v_cndmask_b32_e64 v77, v1, v79, s[6:7]
	v_pk_mul_f32 v[0:1], v[70:71], v[74:75] op_sel_hi:[0,1]
	v_cndmask_b32_e64 v72, v2, v3, s[12:13]
	v_cndmask_b32_e32 v72, v72, v0, vcc
	v_cndmask_b32_e64 v72, v72, v1, s[6:7]
	ds_bpermute_b32 v72, v93, v72
	v_cndmask_b32_e64 v73, v87, v86, s[10:11]
	v_cndmask_b32_e64 v73, v73, v78, s[14:15]
	;; [unrolled: 1-line block ×3, first 2 shown]
	ds_bpermute_b32 v74, v93, v73
	s_waitcnt lgkmcnt(1)
	v_cndmask_b32_e32 v79, v0, v72, vcc
	v_or_b32_e32 v0, 48, v98
	v_cmp_le_i32_e64 s[18:19], s47, v0
	v_cndmask_b32_e64 v75, v1, v72, s[6:7]
	v_cndmask_b32_e64 v73, v3, v72, s[12:13]
	;; [unrolled: 1-line block ×4, first 2 shown]
	v_pk_mul_f32 v[2:3], v[72:73], v[64:65] op_sel_hi:[0,1]
	v_pk_mul_f32 v[0:1], v[72:73], v[66:67] op_sel_hi:[0,1]
	v_cndmask_b32_e64 v64, v2, v3, s[12:13]
	v_cndmask_b32_e32 v64, v64, v0, vcc
	v_cndmask_b32_e64 v64, v64, v1, s[6:7]
	ds_bpermute_b32 v64, v93, v64
	v_cndmask_b32_e64 v65, v91, v73, s[10:11]
	v_cndmask_b32_e64 v65, v65, v79, s[14:15]
	;; [unrolled: 1-line block ×3, first 2 shown]
	ds_bpermute_b32 v66, v93, v65
	s_waitcnt lgkmcnt(1)
	v_cndmask_b32_e32 v82, v0, v64, vcc
	v_or_b32_e32 v0, 64, v98
	v_cmp_le_i32_e64 s[18:19], s47, v0
	v_cndmask_b32_e64 v67, v1, v64, s[6:7]
	v_cndmask_b32_e64 v95, v3, v64, s[12:13]
	v_cndmask_b32_e64 v96, v2, v64, s[8:9]
	v_cndmask_b32_e64 v64, 0, v20, s[18:19]
	v_pk_mul_f32 v[2:3], v[64:65], v[60:61] op_sel_hi:[0,1]
	v_pk_mul_f32 v[0:1], v[64:65], v[62:63] op_sel_hi:[0,1]
	v_cndmask_b32_e64 v60, v2, v3, s[12:13]
	v_cndmask_b32_e32 v60, v60, v0, vcc
	v_cndmask_b32_e64 v60, v60, v1, s[6:7]
	ds_bpermute_b32 v61, v93, v60
	v_cndmask_b32_e64 v60, v96, v95, s[10:11]
	v_cndmask_b32_e64 v60, v60, v82, s[14:15]
	;; [unrolled: 1-line block ×3, first 2 shown]
	ds_bpermute_b32 v62, v93, v60
	s_waitcnt lgkmcnt(1)
	v_cndmask_b32_e32 v83, v0, v61, vcc
	v_cmp_ne_u32_e32 vcc, 0, v89
	v_cndmask_b32_e64 v63, v1, v61, s[6:7]
	s_nop 0
	v_cndmask_b32_e32 v60, v3, v61, vcc
	v_cndmask_b32_e64 v61, v2, v61, s[8:9]
	v_cndmask_b32_e64 v0, v61, v60, s[10:11]
	;; [unrolled: 1-line block ×4, first 2 shown]
	ds_bpermute_b32 v89, v93, v0
	scratch_load_dword v0, off, off offset:24 ; 4-byte Folded Reload
	s_waitcnt vmcnt(0)
	v_add_u32_e32 v65, s69, v0
	v_cmp_gt_u32_e32 vcc, 64, v65
	s_and_saveexec_b64 s[18:19], vcc
	s_cbranch_execz .LBB372_50
; %bb.42:                               ;   in Loop: Header=BB372_7 Depth=1
	v_cmp_eq_u32_e64 s[8:9], 1, v97
	v_cmp_eq_u32_e64 s[10:11], 0, v97
	v_cmp_eq_u32_e32 vcc, 3, v97
	v_cndmask_b32_e64 v0, v69, v76, s[8:9]
	v_cndmask_b32_e64 v1, v71, v76, s[10:11]
	;; [unrolled: 1-line block ×4, first 2 shown]
	s_waitcnt lgkmcnt(0)
	v_cndmask_b32_e64 v87, v60, v89, s[8:9]
	v_cndmask_b32_e64 v91, v61, v89, s[10:11]
	scratch_load_dwordx2 v[60:61], off, off offset:64 ; 8-byte Folded Reload
	v_cndmask_b32_e64 v2, v86, v74, s[8:9]
	v_cndmask_b32_e64 v69, v73, v66, s[8:9]
	;; [unrolled: 1-line block ×3, first 2 shown]
	s_mul_i32 s8, s67, s21
	s_ashr_i32 s9, s8, 31
	s_lshl_b64 s[8:9], s[8:9], 1
	v_cndmask_b32_e64 v86, v96, v62, s[10:11]
	s_add_u32 s10, s40, s8
	s_addc_u32 s11, s41, s9
	s_ashr_i32 s47, s46, 31
	v_cvt_f16_f32_e32 v1, v1
	v_cvt_f16_f32_sdwa v0, v0 dst_sel:WORD_1 dst_unused:UNUSED_PAD src0_sel:DWORD
	v_cvt_f16_f32_e32 v3, v3
	v_cvt_f16_f32_sdwa v2, v2 dst_sel:WORD_1 dst_unused:UNUSED_PAD src0_sel:DWORD
	s_lshl_b64 s[8:9], s[46:47], 1
	v_cvt_f16_f32_e32 v71, v71
	v_cvt_f16_f32_sdwa v69, v69 dst_sel:WORD_1 dst_unused:UNUSED_PAD src0_sel:DWORD
	s_add_u32 s52, s10, s8
	s_addc_u32 s53, s11, s9
	v_or_b32_e32 v0, v0, v1
	v_or_b32_e32 v2, v2, v3
	v_cvt_f16_f32_sdwa v3, v73 dst_sel:WORD_1 dst_unused:UNUSED_PAD src0_sel:DWORD
	v_cmp_eq_u32_e64 s[6:7], 2, v97
	v_cmp_gt_u32_e64 s[8:9], 62, v65
	s_waitcnt vmcnt(0)
	v_lshl_add_u64 v[60:61], v[60:61], 1, s[52:53]
	;;#ASMSTART
	global_atomic_pk_add_f16 v[60:61], v0, off
	
	;;#ASMEND
	v_lshl_add_u64 v[0:1], v[60:61], 0, 32
	;;#ASMSTART
	global_atomic_pk_add_f16 v[0:1], v2, off
	
	;;#ASMEND
	v_or_b32_e32 v2, v69, v71
	v_lshl_add_u64 v[0:1], v[60:61], 0, 64
	;;#ASMSTART
	global_atomic_pk_add_f16 v[0:1], v2, off
	
	;;#ASMEND
	v_cvt_f16_f32_e32 v2, v86
	v_cvt_f16_f32_e32 v69, v91
	v_cvt_f16_f32_sdwa v71, v87 dst_sel:WORD_1 dst_unused:UNUSED_PAD src0_sel:DWORD
	v_lshl_add_u64 v[0:1], v[60:61], 0, s[30:31]
	v_or_b32_e32 v2, v3, v2
	;;#ASMSTART
	global_atomic_pk_add_f16 v[0:1], v2, off
	
	;;#ASMEND
	v_lshl_add_u64 v[0:1], v[60:61], 0, s[34:35]
	v_or_b32_e32 v2, v71, v69
	;;#ASMSTART
	global_atomic_pk_add_f16 v[0:1], v2, off
	
	;;#ASMEND
	s_and_b64 exec, exec, s[8:9]
	s_cbranch_execz .LBB372_50
; %bb.43:                               ;   in Loop: Header=BB372_7 Depth=1
	v_cndmask_b32_e32 v0, v80, v76, vcc
	v_cndmask_b32_e64 v1, v81, v76, s[6:7]
	v_cndmask_b32_e32 v2, v77, v74, vcc
	v_cndmask_b32_e64 v3, v78, v74, s[6:7]
	v_cvt_f16_f32_e32 v76, v1
	v_cvt_f16_f32_sdwa v77, v0 dst_sel:WORD_1 dst_unused:UNUSED_PAD src0_sel:DWORD
	v_lshl_add_u64 v[0:1], s[28:29], 2, v[60:61]
	v_cvt_f16_f32_e32 v60, v3
	v_cvt_f16_f32_sdwa v61, v2 dst_sel:WORD_1 dst_unused:UNUSED_PAD src0_sel:DWORD
	v_cndmask_b32_e32 v74, v75, v66, vcc
	v_cndmask_b32_e64 v66, v79, v66, s[6:7]
	v_or_b32_e32 v2, v77, v76
	v_or_b32_e32 v60, v61, v60
	;;#ASMSTART
	global_atomic_pk_add_f16 v[0:1], v2, off
	
	;;#ASMEND
	v_lshl_add_u64 v[2:3], v[0:1], 0, 32
	;;#ASMSTART
	global_atomic_pk_add_f16 v[2:3], v60, off
	
	;;#ASMEND
	v_cvt_f16_f32_e32 v60, v66
	v_cvt_f16_f32_sdwa v61, v74 dst_sel:WORD_1 dst_unused:UNUSED_PAD src0_sel:DWORD
	v_lshl_add_u64 v[2:3], v[0:1], 0, 64
	v_mov_b32_e32 v95, v94
	v_cndmask_b32_e32 v67, v67, v62, vcc
	v_or_b32_e32 v60, v61, v60
	;;#ASMSTART
	global_atomic_pk_add_f16 v[2:3], v60, off
	
	;;#ASMEND
	scratch_load_dword v78, off, off offset:20 ; 4-byte Folded Reload
	v_cndmask_b32_e64 v62, v82, v62, s[6:7]
	v_mov_b32_e32 v60, v94
	v_mov_b32_e32 v61, v94
	v_cvt_f16_f32_e32 v62, v62
	v_cvt_f16_f32_sdwa v66, v67 dst_sel:WORD_1 dst_unused:UNUSED_PAD src0_sel:DWORD
	v_pk_mul_f32 v[58:59], v[60:61], v[58:59]
	v_pk_mul_f32 v[60:61], v[94:95], v[56:57]
	v_cndmask_b32_e32 v63, v63, v89, vcc
	v_cndmask_b32_e64 v75, v83, v89, s[6:7]
	v_or_b32_e32 v62, v66, v62
	v_mov_b32_e32 v69, v68
	v_lshl_add_u64 v[2:3], v[0:1], 0, s[30:31]
	;;#ASMSTART
	global_atomic_pk_add_f16 v[2:3], v62, off
	
	;;#ASMEND
	v_mov_b32_e32 v2, v68
	v_mov_b32_e32 v3, v68
	v_pk_mul_f32 v[2:3], v[2:3], v[54:55]
	v_cvt_f16_f32_sdwa v77, v63 dst_sel:WORD_1 dst_unused:UNUSED_PAD src0_sel:DWORD
	v_cmp_eq_u32_e64 s[12:13], 1, v97
	v_mov_b32_e32 v71, v70
	v_cmp_eq_u32_e64 s[14:15], 2, v97
	v_mov_b32_e32 v73, v72
	v_cvt_f16_f32_e32 v76, v75
	v_pk_mul_f32 v[74:75], v[72:73], v[44:45]
	v_mov_b32_e32 v65, v64
	v_cmp_eq_u32_e64 s[16:17], 3, v97
	v_lshl_add_u64 v[0:1], v[0:1], 0, s[34:35]
	s_waitcnt vmcnt(0)
	v_cmp_eq_u32_e64 s[8:9], 1, v78
	s_nop 1
	v_cndmask_b32_e64 v56, v60, v61, s[8:9]
	v_cmp_eq_u32_e32 vcc, 2, v78
	v_cmp_eq_u32_e64 s[6:7], 3, v78
	v_cmp_eq_u32_e64 s[10:11], 0, v78
	v_cndmask_b32_e32 v56, v56, v58, vcc
	v_cndmask_b32_e64 v56, v56, v59, s[6:7]
	ds_bpermute_b32 v66, v93, v56
	v_cndmask_b32_e64 v44, v74, v75, s[8:9]
	s_waitcnt lgkmcnt(0)
	v_cndmask_b32_e64 v56, v59, v66, s[6:7]
	v_cndmask_b32_e32 v57, v58, v66, vcc
	v_cndmask_b32_e64 v58, v61, v66, s[8:9]
	v_cndmask_b32_e64 v59, v60, v66, s[10:11]
	v_pk_mul_f32 v[60:61], v[68:69], v[52:53]
	v_cndmask_b32_e64 v62, v59, v58, s[12:13]
	v_cndmask_b32_e64 v52, v60, v61, s[8:9]
	v_cndmask_b32_e32 v52, v52, v2, vcc
	v_cndmask_b32_e64 v52, v52, v3, s[6:7]
	ds_bpermute_b32 v63, v93, v52
	v_cndmask_b32_e64 v52, v62, v57, s[14:15]
	v_cndmask_b32_e64 v52, v52, v56, s[16:17]
	ds_bpermute_b32 v52, v93, v52
	s_waitcnt lgkmcnt(1)
	v_cndmask_b32_e64 v53, v3, v63, s[6:7]
	v_cndmask_b32_e32 v54, v2, v63, vcc
	v_cndmask_b32_e64 v55, v61, v63, s[8:9]
	v_cndmask_b32_e64 v60, v60, v63, s[10:11]
	v_mov_b32_e32 v2, v70
	v_mov_b32_e32 v3, v70
	v_pk_mul_f32 v[62:63], v[70:71], v[48:49]
	v_pk_mul_f32 v[2:3], v[2:3], v[50:51]
	v_cndmask_b32_e64 v48, v62, v63, s[8:9]
	v_cndmask_b32_e32 v48, v48, v2, vcc
	v_cndmask_b32_e64 v48, v48, v3, s[6:7]
	ds_bpermute_b32 v51, v93, v48
	v_cndmask_b32_e64 v48, v60, v55, s[12:13]
	v_cndmask_b32_e64 v48, v48, v54, s[14:15]
	v_cndmask_b32_e64 v48, v48, v53, s[16:17]
	ds_bpermute_b32 v48, v93, v48
	s_waitcnt lgkmcnt(1)
	v_cndmask_b32_e64 v49, v3, v51, s[6:7]
	v_cndmask_b32_e32 v50, v2, v51, vcc
	v_mov_b32_e32 v2, v72
	v_mov_b32_e32 v3, v72
	v_pk_mul_f32 v[2:3], v[2:3], v[46:47]
	v_cndmask_b32_e64 v61, v63, v51, s[8:9]
	v_cndmask_b32_e32 v44, v44, v2, vcc
	v_cndmask_b32_e64 v44, v44, v3, s[6:7]
	ds_bpermute_b32 v47, v93, v44
	v_cndmask_b32_e64 v62, v62, v51, s[10:11]
	v_cndmask_b32_e64 v44, v62, v61, s[12:13]
	;; [unrolled: 1-line block ×4, first 2 shown]
	s_waitcnt lgkmcnt(0)
	v_cndmask_b32_e64 v45, v3, v47, s[6:7]
	v_cndmask_b32_e32 v46, v2, v47, vcc
	v_cndmask_b32_e64 v66, v75, v47, s[8:9]
	v_cndmask_b32_e64 v67, v74, v47, s[10:11]
	v_mov_b32_e32 v2, v64
	v_mov_b32_e32 v3, v64
	v_pk_mul_f32 v[74:75], v[64:65], v[40:41]
	v_pk_mul_f32 v[2:3], v[2:3], v[42:43]
	v_cndmask_b32_e64 v40, v74, v75, s[8:9]
	v_cndmask_b32_e32 v40, v40, v2, vcc
	v_cndmask_b32_e64 v40, v40, v3, s[6:7]
	ds_bpermute_b32 v41, v93, v40
	v_cndmask_b32_e64 v40, v67, v66, s[12:13]
	v_cndmask_b32_e64 v40, v40, v46, s[14:15]
	;; [unrolled: 1-line block ×3, first 2 shown]
	ds_bpermute_b32 v42, v93, v40
	s_waitcnt lgkmcnt(1)
	v_cndmask_b32_e32 v47, v2, v41, vcc
	v_cmp_ne_u32_e32 vcc, 0, v78
	v_cndmask_b32_e64 v43, v3, v41, s[6:7]
	ds_bpermute_b32 v44, v93, v44
	v_cndmask_b32_e32 v40, v75, v41, vcc
	v_cndmask_b32_e64 v41, v74, v41, s[10:11]
	v_cndmask_b32_e64 v2, v41, v40, s[12:13]
	;; [unrolled: 1-line block ×4, first 2 shown]
	ds_bpermute_b32 v51, v93, v2
	v_or_b32_e32 v2, v77, v76
	;;#ASMSTART
	global_atomic_pk_add_f16 v[0:1], v2, off
	
	;;#ASMEND
	scratch_load_dword v0, off, off offset:24 ; 4-byte Folded Reload
	s_waitcnt vmcnt(0)
	v_or_b32_e32 v0, 16, v0
	v_add_u32_e32 v63, s69, v0
	v_cmp_gt_u32_e32 vcc, 64, v63
	s_and_b64 exec, exec, vcc
	s_cbranch_execz .LBB372_50
; %bb.44:                               ;   in Loop: Header=BB372_7 Depth=1
	v_cmp_eq_u32_e64 s[8:9], 1, v97
	v_cmp_eq_u32_e64 s[10:11], 0, v97
	v_cmp_eq_u32_e32 vcc, 3, v97
	v_cndmask_b32_e64 v0, v58, v52, s[8:9]
	v_cndmask_b32_e64 v2, v55, v48, s[8:9]
	s_waitcnt lgkmcnt(1)
	v_cndmask_b32_e64 v55, v61, v44, s[8:9]
	v_cndmask_b32_e64 v58, v62, v44, s[10:11]
	s_waitcnt lgkmcnt(0)
	v_cndmask_b32_e64 v61, v40, v51, s[8:9]
	v_cndmask_b32_e64 v62, v41, v51, s[10:11]
	scratch_load_dwordx2 v[40:41], off, off offset:72 ; 8-byte Folded Reload
	v_cndmask_b32_e64 v1, v59, v52, s[10:11]
	v_cndmask_b32_e64 v3, v60, v48, s[10:11]
	v_cvt_f16_f32_e32 v1, v1
	v_cvt_f16_f32_sdwa v0, v0 dst_sel:WORD_1 dst_unused:UNUSED_PAD src0_sel:DWORD
	v_cvt_f16_f32_e32 v3, v3
	v_cvt_f16_f32_sdwa v2, v2 dst_sel:WORD_1 dst_unused:UNUSED_PAD src0_sel:DWORD
	;; [unrolled: 2-line block ×3, first 2 shown]
	v_or_b32_e32 v0, v0, v1
	v_or_b32_e32 v2, v2, v3
	v_cndmask_b32_e64 v59, v66, v42, s[8:9]
	v_cndmask_b32_e64 v60, v67, v42, s[10:11]
	v_cvt_f16_f32_sdwa v3, v59 dst_sel:WORD_1 dst_unused:UNUSED_PAD src0_sel:DWORD
	v_cmp_eq_u32_e64 s[6:7], 2, v97
	v_cmp_gt_u32_e64 s[8:9], 62, v63
	s_waitcnt vmcnt(0)
	v_lshl_add_u64 v[40:41], v[40:41], 1, s[52:53]
	;;#ASMSTART
	global_atomic_pk_add_f16 v[40:41], v0, off
	
	;;#ASMEND
	v_lshl_add_u64 v[0:1], v[40:41], 0, 32
	;;#ASMSTART
	global_atomic_pk_add_f16 v[0:1], v2, off
	
	;;#ASMEND
	v_or_b32_e32 v2, v55, v58
	v_lshl_add_u64 v[0:1], v[40:41], 0, 64
	;;#ASMSTART
	global_atomic_pk_add_f16 v[0:1], v2, off
	
	;;#ASMEND
	v_cvt_f16_f32_e32 v2, v60
	v_cvt_f16_f32_e32 v55, v62
	v_cvt_f16_f32_sdwa v58, v61 dst_sel:WORD_1 dst_unused:UNUSED_PAD src0_sel:DWORD
	v_lshl_add_u64 v[0:1], v[40:41], 0, s[30:31]
	v_or_b32_e32 v2, v3, v2
	;;#ASMSTART
	global_atomic_pk_add_f16 v[0:1], v2, off
	
	;;#ASMEND
	v_lshl_add_u64 v[0:1], v[40:41], 0, s[34:35]
	v_or_b32_e32 v2, v58, v55
	;;#ASMSTART
	global_atomic_pk_add_f16 v[0:1], v2, off
	
	;;#ASMEND
	s_and_b64 exec, exec, s[8:9]
	s_cbranch_execz .LBB372_50
; %bb.45:                               ;   in Loop: Header=BB372_7 Depth=1
	v_cndmask_b32_e32 v0, v56, v52, vcc
	v_cndmask_b32_e64 v1, v57, v52, s[6:7]
	v_cndmask_b32_e32 v2, v53, v48, vcc
	v_cndmask_b32_e64 v3, v54, v48, s[6:7]
	v_cndmask_b32_e32 v48, v49, v44, vcc
	v_cndmask_b32_e32 v45, v45, v42, vcc
	v_cndmask_b32_e64 v42, v46, v42, s[6:7]
	v_cndmask_b32_e64 v46, v47, v51, s[6:7]
	v_cvt_f16_f32_e32 v47, v1
	v_cvt_f16_f32_sdwa v49, v0 dst_sel:WORD_1 dst_unused:UNUSED_PAD src0_sel:DWORD
	v_lshl_add_u64 v[0:1], s[28:29], 2, v[40:41]
	v_cvt_f16_f32_e32 v40, v3
	v_cvt_f16_f32_sdwa v41, v2 dst_sel:WORD_1 dst_unused:UNUSED_PAD src0_sel:DWORD
	v_cndmask_b32_e64 v44, v50, v44, s[6:7]
	v_or_b32_e32 v2, v49, v47
	;;#ASMSTART
	global_atomic_pk_add_f16 v[0:1], v2, off
	
	;;#ASMEND
	v_or_b32_e32 v40, v41, v40
	v_lshl_add_u64 v[2:3], v[0:1], 0, 32
	;;#ASMSTART
	global_atomic_pk_add_f16 v[2:3], v40, off
	
	;;#ASMEND
	v_cvt_f16_f32_e32 v40, v44
	v_cvt_f16_f32_sdwa v41, v48 dst_sel:WORD_1 dst_unused:UNUSED_PAD src0_sel:DWORD
	v_lshl_add_u64 v[2:3], v[0:1], 0, 64
	v_cvt_f16_f32_e32 v42, v42
	v_cvt_f16_f32_sdwa v44, v45 dst_sel:WORD_1 dst_unused:UNUSED_PAD src0_sel:DWORD
	v_or_b32_e32 v40, v41, v40
	;;#ASMSTART
	global_atomic_pk_add_f16 v[2:3], v40, off
	
	;;#ASMEND
	scratch_load_dword v50, off, off offset:20 ; 4-byte Folded Reload
	v_mov_b32_e32 v40, v94
	v_mov_b32_e32 v41, v94
	v_pk_mul_f32 v[38:39], v[40:41], v[38:39]
	v_pk_mul_f32 v[40:41], v[94:95], v[36:37]
	v_cndmask_b32_e32 v43, v43, v51, vcc
	v_or_b32_e32 v42, v44, v42
	v_lshl_add_u64 v[2:3], v[0:1], 0, s[30:31]
	;;#ASMSTART
	global_atomic_pk_add_f16 v[2:3], v42, off
	
	;;#ASMEND
	v_mov_b32_e32 v2, v68
	v_mov_b32_e32 v3, v68
	v_pk_mul_f32 v[2:3], v[2:3], v[34:35]
	v_cvt_f16_f32_sdwa v49, v43 dst_sel:WORD_1 dst_unused:UNUSED_PAD src0_sel:DWORD
	v_cmp_eq_u32_e64 s[12:13], 1, v97
	v_cmp_eq_u32_e64 s[14:15], 2, v97
	v_cvt_f16_f32_e32 v48, v46
	v_pk_mul_f32 v[46:47], v[72:73], v[24:25]
	v_cmp_eq_u32_e64 s[16:17], 3, v97
	v_lshl_add_u64 v[0:1], v[0:1], 0, s[34:35]
	s_waitcnt vmcnt(0)
	v_cmp_eq_u32_e64 s[8:9], 1, v50
	s_nop 1
	v_cndmask_b32_e64 v36, v40, v41, s[8:9]
	v_cmp_eq_u32_e32 vcc, 2, v50
	v_cmp_eq_u32_e64 s[6:7], 3, v50
	v_cmp_eq_u32_e64 s[10:11], 0, v50
	v_cndmask_b32_e32 v36, v36, v38, vcc
	v_cndmask_b32_e64 v36, v36, v39, s[6:7]
	ds_bpermute_b32 v44, v93, v36
	v_cndmask_b32_e64 v24, v46, v47, s[8:9]
	s_waitcnt lgkmcnt(0)
	v_cndmask_b32_e64 v36, v39, v44, s[6:7]
	v_cndmask_b32_e32 v37, v38, v44, vcc
	v_cndmask_b32_e64 v38, v41, v44, s[8:9]
	v_cndmask_b32_e64 v39, v40, v44, s[10:11]
	v_pk_mul_f32 v[40:41], v[68:69], v[32:33]
	v_cndmask_b32_e64 v42, v39, v38, s[12:13]
	v_cndmask_b32_e64 v32, v40, v41, s[8:9]
	v_cndmask_b32_e32 v32, v32, v2, vcc
	v_cndmask_b32_e64 v32, v32, v3, s[6:7]
	ds_bpermute_b32 v43, v93, v32
	v_cndmask_b32_e64 v32, v42, v37, s[14:15]
	v_cndmask_b32_e64 v32, v32, v36, s[16:17]
	ds_bpermute_b32 v32, v93, v32
	s_waitcnt lgkmcnt(1)
	v_cndmask_b32_e64 v33, v3, v43, s[6:7]
	v_cndmask_b32_e32 v34, v2, v43, vcc
	v_cndmask_b32_e64 v35, v41, v43, s[8:9]
	v_cndmask_b32_e64 v40, v40, v43, s[10:11]
	v_mov_b32_e32 v2, v70
	v_mov_b32_e32 v3, v70
	v_pk_mul_f32 v[42:43], v[70:71], v[28:29]
	v_pk_mul_f32 v[2:3], v[2:3], v[30:31]
	v_cndmask_b32_e64 v28, v42, v43, s[8:9]
	v_cndmask_b32_e32 v28, v28, v2, vcc
	v_cndmask_b32_e64 v28, v28, v3, s[6:7]
	ds_bpermute_b32 v31, v93, v28
	v_cndmask_b32_e64 v28, v40, v35, s[12:13]
	v_cndmask_b32_e64 v28, v28, v34, s[14:15]
	;; [unrolled: 1-line block ×3, first 2 shown]
	ds_bpermute_b32 v28, v93, v28
	s_waitcnt lgkmcnt(1)
	v_cndmask_b32_e64 v29, v3, v31, s[6:7]
	v_cndmask_b32_e32 v30, v2, v31, vcc
	v_mov_b32_e32 v2, v72
	v_mov_b32_e32 v3, v72
	v_pk_mul_f32 v[2:3], v[2:3], v[26:27]
	v_cndmask_b32_e64 v41, v43, v31, s[8:9]
	v_cndmask_b32_e32 v24, v24, v2, vcc
	v_cndmask_b32_e64 v24, v24, v3, s[6:7]
	ds_bpermute_b32 v27, v93, v24
	v_cndmask_b32_e64 v42, v42, v31, s[10:11]
	v_cndmask_b32_e64 v24, v42, v41, s[12:13]
	;; [unrolled: 1-line block ×4, first 2 shown]
	s_waitcnt lgkmcnt(0)
	v_cndmask_b32_e64 v25, v3, v27, s[6:7]
	v_cndmask_b32_e32 v26, v2, v27, vcc
	v_cndmask_b32_e64 v44, v47, v27, s[8:9]
	v_cndmask_b32_e64 v45, v46, v27, s[10:11]
	v_mov_b32_e32 v2, v64
	v_mov_b32_e32 v3, v64
	v_pk_mul_f32 v[46:47], v[64:65], v[100:101]
	v_pk_mul_f32 v[2:3], v[2:3], v[102:103]
	v_cndmask_b32_e64 v20, v46, v47, s[8:9]
	v_cndmask_b32_e32 v20, v20, v2, vcc
	v_cndmask_b32_e64 v20, v20, v3, s[6:7]
	ds_bpermute_b32 v21, v93, v20
	v_cndmask_b32_e64 v20, v45, v44, s[12:13]
	v_cndmask_b32_e64 v20, v20, v26, s[14:15]
	;; [unrolled: 1-line block ×3, first 2 shown]
	ds_bpermute_b32 v22, v93, v20
	s_waitcnt lgkmcnt(1)
	v_cndmask_b32_e32 v27, v2, v21, vcc
	v_cmp_ne_u32_e32 vcc, 0, v50
	v_cndmask_b32_e64 v23, v3, v21, s[6:7]
	ds_bpermute_b32 v24, v93, v24
	v_cndmask_b32_e32 v20, v47, v21, vcc
	v_cndmask_b32_e64 v21, v46, v21, s[10:11]
	v_cndmask_b32_e64 v2, v21, v20, s[12:13]
	v_cndmask_b32_e64 v2, v2, v27, s[14:15]
	v_cndmask_b32_e64 v2, v2, v23, s[16:17]
	ds_bpermute_b32 v31, v93, v2
	v_or_b32_e32 v2, v49, v48
	;;#ASMSTART
	global_atomic_pk_add_f16 v[0:1], v2, off
	
	;;#ASMEND
	scratch_load_dword v0, off, off offset:24 ; 4-byte Folded Reload
	s_waitcnt vmcnt(0)
	v_or_b32_e32 v0, 32, v0
	v_add_u32_e32 v43, s69, v0
	v_cmp_gt_u32_e32 vcc, 64, v43
	s_and_b64 exec, exec, vcc
	s_cbranch_execz .LBB372_50
; %bb.46:                               ;   in Loop: Header=BB372_7 Depth=1
	v_cmp_eq_u32_e64 s[8:9], 1, v97
	v_cmp_eq_u32_e64 s[10:11], 0, v97
	v_cmp_eq_u32_e32 vcc, 3, v97
	v_cndmask_b32_e64 v0, v38, v32, s[8:9]
	v_cndmask_b32_e64 v2, v35, v28, s[8:9]
	s_waitcnt lgkmcnt(1)
	v_cndmask_b32_e64 v35, v41, v24, s[8:9]
	v_cndmask_b32_e64 v38, v42, v24, s[10:11]
	s_waitcnt lgkmcnt(0)
	v_cndmask_b32_e64 v41, v20, v31, s[8:9]
	v_cndmask_b32_e64 v42, v21, v31, s[10:11]
	scratch_load_dwordx2 v[20:21], off, off offset:80 ; 8-byte Folded Reload
	v_cndmask_b32_e64 v1, v39, v32, s[10:11]
	v_cndmask_b32_e64 v3, v40, v28, s[10:11]
	v_cvt_f16_f32_e32 v1, v1
	v_cvt_f16_f32_sdwa v0, v0 dst_sel:WORD_1 dst_unused:UNUSED_PAD src0_sel:DWORD
	v_cvt_f16_f32_e32 v3, v3
	v_cvt_f16_f32_sdwa v2, v2 dst_sel:WORD_1 dst_unused:UNUSED_PAD src0_sel:DWORD
	;; [unrolled: 2-line block ×3, first 2 shown]
	v_or_b32_e32 v0, v0, v1
	v_or_b32_e32 v2, v2, v3
	v_cndmask_b32_e64 v39, v44, v22, s[8:9]
	v_cndmask_b32_e64 v40, v45, v22, s[10:11]
	v_cvt_f16_f32_sdwa v3, v39 dst_sel:WORD_1 dst_unused:UNUSED_PAD src0_sel:DWORD
	v_cmp_eq_u32_e64 s[6:7], 2, v97
	v_cmp_gt_u32_e64 s[8:9], 62, v43
	s_waitcnt vmcnt(0)
	v_lshl_add_u64 v[20:21], v[20:21], 1, s[52:53]
	;;#ASMSTART
	global_atomic_pk_add_f16 v[20:21], v0, off
	
	;;#ASMEND
	v_lshl_add_u64 v[0:1], v[20:21], 0, 32
	;;#ASMSTART
	global_atomic_pk_add_f16 v[0:1], v2, off
	
	;;#ASMEND
	v_or_b32_e32 v2, v35, v38
	v_lshl_add_u64 v[0:1], v[20:21], 0, 64
	;;#ASMSTART
	global_atomic_pk_add_f16 v[0:1], v2, off
	
	;;#ASMEND
	v_cvt_f16_f32_e32 v2, v40
	v_cvt_f16_f32_e32 v35, v42
	v_cvt_f16_f32_sdwa v38, v41 dst_sel:WORD_1 dst_unused:UNUSED_PAD src0_sel:DWORD
	v_lshl_add_u64 v[0:1], v[20:21], 0, s[30:31]
	v_or_b32_e32 v2, v3, v2
	;;#ASMSTART
	global_atomic_pk_add_f16 v[0:1], v2, off
	
	;;#ASMEND
	v_lshl_add_u64 v[0:1], v[20:21], 0, s[34:35]
	v_or_b32_e32 v2, v38, v35
	;;#ASMSTART
	global_atomic_pk_add_f16 v[0:1], v2, off
	
	;;#ASMEND
	s_and_b64 exec, exec, s[8:9]
	s_cbranch_execz .LBB372_50
; %bb.47:                               ;   in Loop: Header=BB372_7 Depth=1
	v_cndmask_b32_e32 v0, v36, v32, vcc
	v_cndmask_b32_e64 v1, v37, v32, s[6:7]
	v_cndmask_b32_e32 v2, v33, v28, vcc
	v_cndmask_b32_e64 v3, v34, v28, s[6:7]
	v_cndmask_b32_e32 v28, v29, v24, vcc
	v_cndmask_b32_e32 v25, v25, v22, vcc
	v_cndmask_b32_e64 v22, v26, v22, s[6:7]
	v_cndmask_b32_e64 v26, v27, v31, s[6:7]
	v_cvt_f16_f32_e32 v27, v1
	v_cvt_f16_f32_sdwa v29, v0 dst_sel:WORD_1 dst_unused:UNUSED_PAD src0_sel:DWORD
	v_lshl_add_u64 v[0:1], s[28:29], 2, v[20:21]
	v_cvt_f16_f32_e32 v20, v3
	v_cvt_f16_f32_sdwa v21, v2 dst_sel:WORD_1 dst_unused:UNUSED_PAD src0_sel:DWORD
	v_cndmask_b32_e64 v24, v30, v24, s[6:7]
	v_or_b32_e32 v2, v29, v27
	;;#ASMSTART
	global_atomic_pk_add_f16 v[0:1], v2, off
	
	;;#ASMEND
	v_or_b32_e32 v20, v21, v20
	v_lshl_add_u64 v[2:3], v[0:1], 0, 32
	;;#ASMSTART
	global_atomic_pk_add_f16 v[2:3], v20, off
	
	;;#ASMEND
	v_cvt_f16_f32_e32 v20, v24
	v_cvt_f16_f32_sdwa v21, v28 dst_sel:WORD_1 dst_unused:UNUSED_PAD src0_sel:DWORD
	v_cndmask_b32_e32 v23, v23, v31, vcc
	v_lshl_add_u64 v[2:3], v[0:1], 0, 64
	v_cvt_f16_f32_e32 v30, v26
	v_or_b32_e32 v20, v21, v20
	;;#ASMSTART
	global_atomic_pk_add_f16 v[2:3], v20, off
	
	;;#ASMEND
	scratch_load_dword v31, off, off offset:20 ; 4-byte Folded Reload
	v_cvt_f16_f32_sdwa v23, v23 dst_sel:WORD_1 dst_unused:UNUSED_PAD src0_sel:DWORD
	v_cvt_f16_f32_e32 v22, v22
	v_cvt_f16_f32_sdwa v24, v25 dst_sel:WORD_1 dst_unused:UNUSED_PAD src0_sel:DWORD
	v_lshl_add_u64 v[2:3], v[0:1], 0, s[30:31]
	v_or_b32_e32 v23, v23, v30
	v_lshl_add_u64 v[26:27], v[0:1], 0, s[34:35]
	v_or_b32_e32 v22, v24, v22
	;;#ASMSTART
	global_atomic_pk_add_f16 v[2:3], v22, off
	
	;;#ASMEND
	;;#ASMSTART
	global_atomic_pk_add_f16 v[26:27], v23, off
	
	;;#ASMEND
	scratch_load_dword v23, off, off offset:24 ; 4-byte Folded Reload
	v_mov_b32_e32 v20, v94
	v_mov_b32_e32 v21, v94
	v_pk_mul_f32 v[18:19], v[20:21], v[18:19]
	v_pk_mul_f32 v[20:21], v[94:95], v[16:17]
	v_mov_b32_e32 v0, v68
	v_mov_b32_e32 v1, v68
	v_pk_mul_f32 v[2:3], v[68:69], v[8:9]
	v_pk_mul_f32 v[0:1], v[0:1], v[10:11]
	v_cmp_eq_u32_e64 s[12:13], 1, v97
	v_cmp_eq_u32_e64 s[14:15], 2, v97
	v_cmp_eq_u32_e64 s[16:17], 3, v97
	s_waitcnt vmcnt(1)
	v_cmp_eq_u32_e64 s[8:9], 1, v31
	s_nop 1
	v_cndmask_b32_e64 v16, v20, v21, s[8:9]
	v_cmp_eq_u32_e32 vcc, 2, v31
	v_cmp_eq_u32_e64 s[6:7], 3, v31
	v_cndmask_b32_e64 v8, v2, v3, s[8:9]
	v_cndmask_b32_e32 v16, v16, v18, vcc
	v_cndmask_b32_e64 v16, v16, v19, s[6:7]
	ds_bpermute_b32 v24, v93, v16
	v_cndmask_b32_e32 v8, v8, v0, vcc
	v_cndmask_b32_e64 v8, v8, v1, s[6:7]
	v_cmp_eq_u32_e64 s[10:11], 0, v31
	s_waitcnt vmcnt(0)
	v_or_b32_e32 v23, 48, v23
	s_waitcnt lgkmcnt(0)
	v_cndmask_b32_e32 v17, v18, v24, vcc
	v_cndmask_b32_e64 v18, v21, v24, s[8:9]
	ds_bpermute_b32 v21, v93, v8
	v_cndmask_b32_e64 v16, v19, v24, s[6:7]
	v_cndmask_b32_e64 v19, v20, v24, s[10:11]
	;; [unrolled: 1-line block ×4, first 2 shown]
	s_waitcnt lgkmcnt(0)
	v_cndmask_b32_e64 v9, v1, v21, s[6:7]
	v_cndmask_b32_e32 v10, v0, v21, vcc
	v_cndmask_b32_e64 v11, v3, v21, s[8:9]
	v_cndmask_b32_e64 v20, v2, v21, s[10:11]
	v_mov_b32_e32 v0, v70
	v_mov_b32_e32 v1, v70
	v_pk_mul_f32 v[2:3], v[70:71], v[4:5]
	v_pk_mul_f32 v[0:1], v[0:1], v[6:7]
	v_cndmask_b32_e64 v4, v2, v3, s[8:9]
	v_cndmask_b32_e32 v4, v4, v0, vcc
	v_cndmask_b32_e64 v4, v4, v1, s[6:7]
	ds_bpermute_b32 v7, v93, v4
	v_pk_mul_f32 v[24:25], v[72:73], v[120:121]
	v_cndmask_b32_e64 v4, v20, v11, s[12:13]
	v_cndmask_b32_e64 v4, v4, v10, s[14:15]
	;; [unrolled: 1-line block ×3, first 2 shown]
	s_waitcnt lgkmcnt(0)
	v_cndmask_b32_e64 v5, v1, v7, s[6:7]
	v_cndmask_b32_e32 v6, v0, v7, vcc
	v_mov_b32_e32 v0, v72
	v_mov_b32_e32 v1, v72
	v_cndmask_b32_e64 v22, v2, v7, s[10:11]
	v_pk_mul_f32 v[0:1], v[0:1], v[122:123]
	v_cndmask_b32_e64 v2, v24, v25, s[8:9]
	v_cndmask_b32_e32 v2, v2, v0, vcc
	v_cndmask_b32_e64 v2, v2, v1, s[6:7]
	ds_bpermute_b32 v28, v93, v2
	v_cndmask_b32_e64 v21, v3, v7, s[8:9]
	v_cndmask_b32_e64 v2, v22, v21, s[12:13]
	;; [unrolled: 1-line block ×4, first 2 shown]
	s_waitcnt lgkmcnt(0)
	v_cndmask_b32_e64 v3, v1, v28, s[6:7]
	v_cndmask_b32_e32 v7, v0, v28, vcc
	v_cndmask_b32_e64 v0, v25, v28, s[8:9]
	v_cndmask_b32_e64 v1, v24, v28, s[10:11]
	v_mov_b32_e32 v24, v64
	v_mov_b32_e32 v25, v64
	v_pk_mul_f32 v[28:29], v[64:65], v[12:13]
	v_pk_mul_f32 v[24:25], v[24:25], v[14:15]
	v_cndmask_b32_e64 v12, v28, v29, s[8:9]
	v_cndmask_b32_e32 v12, v12, v24, vcc
	v_cndmask_b32_e64 v12, v12, v25, s[6:7]
	ds_bpermute_b32 v15, v93, v12
	v_cndmask_b32_e64 v12, v1, v0, s[12:13]
	v_cndmask_b32_e64 v12, v12, v7, s[14:15]
	;; [unrolled: 1-line block ×3, first 2 shown]
	ds_bpermute_b32 v14, v93, v12
	s_waitcnt lgkmcnt(1)
	v_cndmask_b32_e32 v13, v24, v15, vcc
	v_cmp_ne_u32_e32 vcc, 0, v31
	v_cndmask_b32_e64 v12, v25, v15, s[6:7]
	v_cndmask_b32_e64 v25, v28, v15, s[10:11]
	v_cndmask_b32_e32 v24, v29, v15, vcc
	v_cndmask_b32_e64 v15, v25, v24, s[12:13]
	v_cndmask_b32_e64 v15, v15, v13, s[14:15]
	;; [unrolled: 1-line block ×4, first 2 shown]
	ds_bpermute_b32 v8, v93, v8
	ds_bpermute_b32 v4, v93, v4
	;; [unrolled: 1-line block ×4, first 2 shown]
	v_add_u32_e32 v23, s69, v23
	v_cmp_gt_u32_e32 vcc, 64, v23
	s_and_b64 exec, exec, vcc
	s_cbranch_execz .LBB372_50
; %bb.48:                               ;   in Loop: Header=BB372_7 Depth=1
	v_cmp_eq_u32_e64 s[8:9], 1, v97
	v_cmp_eq_u32_e64 s[10:11], 0, v97
	v_cmp_eq_u32_e32 vcc, 3, v97
	s_waitcnt lgkmcnt(4)
	v_cndmask_b32_e64 v26, v0, v14, s[8:9]
	v_cndmask_b32_e64 v27, v1, v14, s[10:11]
	scratch_load_dwordx2 v[0:1], off, off offset:88 ; 8-byte Folded Reload
	s_waitcnt lgkmcnt(3)
	v_cndmask_b32_e64 v18, v18, v8, s[8:9]
	v_cndmask_b32_e64 v19, v19, v8, s[10:11]
	s_waitcnt lgkmcnt(2)
	v_cndmask_b32_e64 v11, v11, v4, s[8:9]
	v_cndmask_b32_e64 v20, v20, v4, s[10:11]
	;; [unrolled: 3-line block ×3, first 2 shown]
	v_cvt_f16_f32_e32 v19, v19
	v_cvt_f16_f32_sdwa v18, v18 dst_sel:WORD_1 dst_unused:UNUSED_PAD src0_sel:DWORD
	v_cvt_f16_f32_e32 v20, v20
	v_cvt_f16_f32_sdwa v11, v11 dst_sel:WORD_1 dst_unused:UNUSED_PAD src0_sel:DWORD
	;; [unrolled: 2-line block ×3, first 2 shown]
	v_or_b32_e32 v18, v18, v19
	v_or_b32_e32 v11, v11, v20
	s_waitcnt lgkmcnt(0)
	v_cndmask_b32_e64 v24, v24, v15, s[8:9]
	v_cndmask_b32_e64 v25, v25, v15, s[10:11]
	v_cvt_f16_f32_sdwa v20, v26 dst_sel:WORD_1 dst_unused:UNUSED_PAD src0_sel:DWORD
	v_cmp_eq_u32_e64 s[6:7], 2, v97
	v_cmp_gt_u32_e64 s[8:9], 62, v23
	s_waitcnt vmcnt(0)
	v_lshl_add_u64 v[0:1], v[0:1], 1, s[52:53]
	;;#ASMSTART
	global_atomic_pk_add_f16 v[0:1], v18, off
	
	;;#ASMEND
	v_lshl_add_u64 v[18:19], v[0:1], 0, 32
	;;#ASMSTART
	global_atomic_pk_add_f16 v[18:19], v11, off
	
	;;#ASMEND
	v_or_b32_e32 v11, v21, v22
	v_lshl_add_u64 v[18:19], v[0:1], 0, 64
	;;#ASMSTART
	global_atomic_pk_add_f16 v[18:19], v11, off
	
	;;#ASMEND
	v_cvt_f16_f32_e32 v11, v27
	v_cvt_f16_f32_e32 v21, v25
	v_cvt_f16_f32_sdwa v22, v24 dst_sel:WORD_1 dst_unused:UNUSED_PAD src0_sel:DWORD
	v_lshl_add_u64 v[18:19], v[0:1], 0, s[30:31]
	v_or_b32_e32 v11, v20, v11
	;;#ASMSTART
	global_atomic_pk_add_f16 v[18:19], v11, off
	
	;;#ASMEND
	v_lshl_add_u64 v[18:19], v[0:1], 0, s[34:35]
	v_or_b32_e32 v11, v22, v21
	;;#ASMSTART
	global_atomic_pk_add_f16 v[18:19], v11, off
	
	;;#ASMEND
	s_and_b64 exec, exec, s[8:9]
	s_cbranch_execz .LBB372_50
; %bb.49:                               ;   in Loop: Header=BB372_7 Depth=1
	v_cndmask_b32_e32 v11, v16, v8, vcc
	v_cndmask_b32_e64 v8, v17, v8, s[6:7]
	v_cndmask_b32_e32 v9, v9, v4, vcc
	v_cndmask_b32_e64 v4, v10, v4, s[6:7]
	;; [unrolled: 2-line block ×3, first 2 shown]
	v_cndmask_b32_e32 v10, v3, v14, vcc
	v_cvt_f16_f32_e32 v2, v8
	v_cvt_f16_f32_sdwa v3, v11 dst_sel:WORD_1 dst_unused:UNUSED_PAD src0_sel:DWORD
	v_cvt_f16_f32_e32 v4, v4
	v_cvt_f16_f32_sdwa v9, v9 dst_sel:WORD_1 dst_unused:UNUSED_PAD src0_sel:DWORD
	;; [unrolled: 2-line block ×3, first 2 shown]
	v_lshl_add_u64 v[0:1], s[28:29], 2, v[0:1]
	v_or_b32_e32 v2, v3, v2
	v_or_b32_e32 v4, v9, v4
	v_cndmask_b32_e64 v7, v7, v14, s[6:7]
	v_cndmask_b32_e32 v8, v12, v15, vcc
	v_cndmask_b32_e64 v11, v13, v15, s[6:7]
	;;#ASMSTART
	global_atomic_pk_add_f16 v[0:1], v2, off
	
	;;#ASMEND
	v_lshl_add_u64 v[2:3], v[0:1], 0, 32
	;;#ASMSTART
	global_atomic_pk_add_f16 v[2:3], v4, off
	
	;;#ASMEND
	v_or_b32_e32 v4, v5, v6
	v_lshl_add_u64 v[2:3], v[0:1], 0, 64
	;;#ASMSTART
	global_atomic_pk_add_f16 v[2:3], v4, off
	
	;;#ASMEND
	v_cvt_f16_f32_e32 v4, v7
	v_cvt_f16_f32_sdwa v5, v10 dst_sel:WORD_1 dst_unused:UNUSED_PAD src0_sel:DWORD
	v_cvt_f16_f32_e32 v6, v11
	v_cvt_f16_f32_sdwa v7, v8 dst_sel:WORD_1 dst_unused:UNUSED_PAD src0_sel:DWORD
	v_lshl_add_u64 v[2:3], v[0:1], 0, s[30:31]
	v_or_b32_e32 v4, v5, v4
	;;#ASMSTART
	global_atomic_pk_add_f16 v[2:3], v4, off
	
	;;#ASMEND
	v_lshl_add_u64 v[0:1], v[0:1], 0, s[34:35]
	v_or_b32_e32 v2, v7, v6
	;;#ASMSTART
	global_atomic_pk_add_f16 v[0:1], v2, off
	
	;;#ASMEND
.LBB372_50:                             ;   in Loop: Header=BB372_7 Depth=1
	s_or_b64 exec, exec, s[18:19]
	s_waitcnt lgkmcnt(4)
	scratch_load_dword v14, off, off offset:28 ; 4-byte Folded Reload
	scratch_load_dwordx2 v[16:17], off, off offset:40 ; 8-byte Folded Reload
	s_waitcnt lgkmcnt(0)
	scratch_load_dword v15, off, off offset:48 ; 4-byte Folded Reload
	v_subrev_u32_e32 v90, s70, v90
	v_mov_b32_e32 v82, v97
.LBB372_51:                             ;   in Loop: Header=BB372_7 Depth=1
	s_or_b64 exec, exec, s[50:51]
.LBB372_52:                             ;   in Loop: Header=BB372_7 Depth=1
	s_andn2_saveexec_b64 s[6:7], s[48:49]
	s_cbranch_execz .LBB372_61
; %bb.53:                               ;   in Loop: Header=BB372_7 Depth=1
	s_mul_i32 s16, s70, 5
	v_cmp_gt_i32_e32 vcc, s16, v90
	s_and_saveexec_b64 s[8:9], vcc
	s_cbranch_execz .LBB372_60
; %bb.54:                               ;   in Loop: Header=BB372_7 Depth=1
	scratch_load_dwordx2 v[0:1], off, off offset:52 ; 8-byte Folded Reload
	s_mul_i32 s10, s46, s23
	s_ashr_i32 s11, s10, 31
	s_waitcnt lgkmcnt(0)
	s_add_u32 s10, s38, s10
	s_addc_u32 s11, s39, s11
	s_ashr_i32 s12, s68, 31
	s_add_u32 s10, s10, s68
	s_addc_u32 s11, s11, s12
	s_waitcnt vmcnt(0)
	v_lshl_add_u64 v[0:1], s[10:11], 0, v[0:1]
	v_lshl_add_u64 v[8:9], v[0:1], 0, v[16:17]
	s_mov_b64 s[10:11], 0
	s_branch .LBB372_56
.LBB372_55:                             ;   in Loop: Header=BB372_56 Depth=2
	s_or_b64 exec, exec, s[12:13]
	v_lshl_or_b32 v12, v10, 11, v92
	;;#ASMSTART
	s_waitcnt vmcnt(1)
	;;#ASMEND
	ds_write2_b32 v12, v4, v5 offset1:32
	ds_write2_b32 v12, v6, v7 offset0:64 offset1:96
	v_add_u32_e32 v4, 0x400, v12
	v_add_u32_e32 v90, s26, v90
	;;#ASMSTART
	s_waitcnt vmcnt(0)
	;;#ASMEND
	ds_write2_b32 v4, v0, v1 offset1:32
	ds_write2_b32 v4, v2, v3 offset0:64 offset1:96
	v_add_u32_e32 v0, 1, v84
	v_add_u32_e32 v88, s26, v10
	v_cmp_le_i32_e32 vcc, s16, v90
	ds_write_b32 v11, v0 offset:48
	v_add_u32_e32 v0, 2, v84
	s_or_b64 s[10:11], vcc, s[10:11]
	v_cmp_lt_i32_e32 vcc, 14, v88
	s_nop 1
	v_cndmask_b32_e32 v84, v84, v0, vcc
	s_andn2_b64 exec, exec, s[10:11]
	s_cbranch_execz .LBB372_59
.LBB372_56:                             ;   Parent Loop BB372_7 Depth=1
                                        ; =>  This Loop Header: Depth=2
                                        ;       Child Loop BB372_58 Depth 3
	v_cmp_gt_i32_e32 vcc, 15, v88
	s_nop 1
	v_cndmask_b32_e64 v0, -15, 0, vcc
	v_add_u32_e32 v10, v0, v88
	v_mul_hi_i32 v0, v90, s56
	v_lshrrev_b32_e32 v1, 31, v0
	v_ashrrev_i32_e32 v0, 1, v0
	v_add_u32_e32 v0, v0, v1
	v_lshl_add_u32 v1, v0, 2, v0
	v_sub_u32_e32 v2, v90, v1
	v_lshlrev_b32_e32 v0, 7, v0
	v_ashrrev_i32_e32 v1, 31, v0
	v_mul_lo_u32 v2, s60, v2
	v_lshl_add_u64 v[0:1], v[8:9], 0, v[0:1]
	v_ashrrev_i32_e32 v3, 31, v2
	v_lshl_add_u64 v[0:1], v[0:1], 0, v[2:3]
	v_lshlrev_b32_e32 v11, 2, v10
	;;#ASMSTART
	global_load_dwordx4 v[4:7], v[0:1], off offset:0   sc0 sc1 nt  
	global_load_dwordx4 v[0:3], v[0:1], off offset:64  sc0 sc1 nt  
	
	;;#ASMEND
	ds_read_b32 v12, v11 offset:55344
	v_add_u32_e32 v11, 0xd800, v11
	s_waitcnt lgkmcnt(0)
	v_cmp_ne_u32_e32 vcc, v12, v84
	s_and_saveexec_b64 s[12:13], vcc
	s_cbranch_execz .LBB372_55
; %bb.57:                               ;   in Loop: Header=BB372_56 Depth=2
	s_mov_b64 s[14:15], 0
.LBB372_58:                             ;   Parent Loop BB372_7 Depth=1
                                        ;     Parent Loop BB372_56 Depth=2
                                        ; =>    This Inner Loop Header: Depth=3
	;;#ASMSTART
	s_sleep 0
	;;#ASMEND
	ds_read_b32 v12, v11 offset:48
	s_waitcnt lgkmcnt(0)
	v_cmp_eq_u32_e32 vcc, v12, v84
	s_or_b64 s[14:15], vcc, s[14:15]
	s_andn2_b64 exec, exec, s[14:15]
	s_cbranch_execnz .LBB372_58
	s_branch .LBB372_55
.LBB372_59:                             ;   in Loop: Header=BB372_7 Depth=1
	s_or_b64 exec, exec, s[10:11]
.LBB372_60:                             ;   in Loop: Header=BB372_7 Depth=1
	s_or_b64 exec, exec, s[8:9]
	v_subrev_u32_e32 v90, s16, v90
.LBB372_61:                             ;   in Loop: Header=BB372_7 Depth=1
	s_or_b64 exec, exec, s[6:7]
.LBB372_62:                             ;   in Loop: Header=BB372_7 Depth=1
	s_andn2_saveexec_b64 s[6:7], s[44:45]
	s_cbranch_execz .LBB372_6
; %bb.63:                               ;   in Loop: Header=BB372_7 Depth=1
	s_lshl_b32 s16, s70, 2
	v_cmp_gt_i32_e32 vcc, s16, v90
	s_and_saveexec_b64 s[8:9], vcc
	s_cbranch_execz .LBB372_5
; %bb.64:                               ;   in Loop: Header=BB372_7 Depth=1
	s_mul_i32 s67, s67, s22
	s_ashr_i32 s10, s67, 31
	s_waitcnt lgkmcnt(0)
	s_add_u32 s11, s36, s67
	s_waitcnt vmcnt(0)
	v_add_u32_e32 v2, s69, v15
	s_addc_u32 s12, s37, s10
	s_ashr_i32 s13, s68, 31
	v_mul_lo_u32 v0, s22, v15
	v_cmp_gt_u32_e32 vcc, 64, v2
	s_add_u32 s10, s11, s68
	s_addc_u32 s11, s12, s13
	v_cndmask_b32_e32 v0, 0, v0, vcc
	v_ashrrev_i32_e32 v1, 31, v0
	v_lshl_add_u64 v[0:1], s[10:11], 0, v[0:1]
	v_lshl_add_u64 v[8:9], v[0:1], 0, v[16:17]
	v_sub_u32_e32 v10, 63, v2
	s_mov_b64 s[10:11], 0
	s_branch .LBB372_66
.LBB372_65:                             ;   in Loop: Header=BB372_66 Depth=2
	s_or_b64 exec, exec, s[12:13]
	v_or_b32_e32 v13, 0x7800, v92
	v_lshl_add_u32 v13, v11, 11, v13
	;;#ASMSTART
	s_waitcnt vmcnt(1)
	;;#ASMEND
	ds_write2_b32 v13, v4, v5 offset1:32
	ds_write2_b32 v13, v6, v7 offset0:64 offset1:96
	v_add_u32_e32 v4, 0x400, v13
	v_add_u32_e32 v90, s25, v90
	;;#ASMSTART
	s_waitcnt vmcnt(0)
	;;#ASMEND
	ds_write2_b32 v4, v0, v1 offset1:32
	ds_write2_b32 v4, v2, v3 offset0:64 offset1:96
	v_add_u32_e32 v0, 1, v84
	v_add_u32_e32 v88, s25, v11
	v_cmp_le_i32_e32 vcc, s16, v90
	ds_write_b32 v12, v0
	v_add_u32_e32 v0, 2, v84
	s_or_b64 s[10:11], vcc, s[10:11]
	v_cmp_lt_i32_e32 vcc, 11, v88
	s_nop 1
	v_cndmask_b32_e32 v84, v84, v0, vcc
	s_andn2_b64 exec, exec, s[10:11]
	s_cbranch_execz .LBB372_4
.LBB372_66:                             ;   Parent Loop BB372_7 Depth=1
                                        ; =>  This Loop Header: Depth=2
                                        ;       Child Loop BB372_68 Depth 3
	v_cmp_gt_i32_e32 vcc, 12, v88
	s_nop 1
	v_cndmask_b32_e64 v0, -12, 0, vcc
	v_add_u32_e32 v11, v0, v88
	v_ashrrev_i32_e32 v0, 31, v90
	v_lshrrev_b32_e32 v0, 30, v0
	v_add_u32_e32 v0, v90, v0
	v_and_b32_e32 v1, 0xffffffc, v0
	v_sub_u32_e32 v1, v90, v1
	v_lshlrev_b32_e32 v1, 4, v1
	v_cmp_le_i32_e32 vcc, v1, v10
	v_lshlrev_b32_e32 v0, 5, v0
	v_and_b32_e32 v0, 0xffffff80, v0
	v_cndmask_b32_e32 v2, 0, v1, vcc
	v_ashrrev_i32_e32 v1, 31, v0
	v_mul_lo_u32 v2, v2, s22
	v_lshl_add_u64 v[0:1], v[8:9], 0, v[0:1]
	v_ashrrev_i32_e32 v3, 31, v2
	v_lshl_add_u64 v[0:1], v[0:1], 0, v[2:3]
	v_lshlrev_b32_e32 v12, 2, v11
	;;#ASMSTART
	global_load_dwordx4 v[4:7], v[0:1], off offset:0   
	global_load_dwordx4 v[0:3], v[0:1], off offset:64  
	
	;;#ASMEND
	ds_read_b32 v13, v12 offset:55296
	v_add_u32_e32 v12, 0xd800, v12
	s_waitcnt lgkmcnt(0)
	v_cmp_ne_u32_e32 vcc, v13, v84
	s_and_saveexec_b64 s[12:13], vcc
	s_cbranch_execz .LBB372_65
; %bb.67:                               ;   in Loop: Header=BB372_66 Depth=2
	s_mov_b64 s[14:15], 0
.LBB372_68:                             ;   Parent Loop BB372_7 Depth=1
                                        ;     Parent Loop BB372_66 Depth=2
                                        ; =>    This Inner Loop Header: Depth=3
	;;#ASMSTART
	s_sleep 0
	;;#ASMEND
	ds_read_b32 v13, v12
	s_waitcnt lgkmcnt(0)
	v_cmp_eq_u32_e32 vcc, v13, v84
	s_or_b64 s[14:15], vcc, s[14:15]
	s_andn2_b64 exec, exec, s[14:15]
	s_cbranch_execnz .LBB372_68
	s_branch .LBB372_65
.LBB372_69:
	s_endpgm
	.section	.rodata,"a",@progbits
	.p2align	6, 0x0
	.amdhsa_kernel _Z19_skinny_gemm_kernelILi4ELi5ELi3ELi16ELi4EEvPKhS1_P6__halfPKfiiiiiiii
		.amdhsa_group_segment_fixed_size 55404
		.amdhsa_private_segment_fixed_size 100
		.amdhsa_kernarg_size 64
		.amdhsa_user_sgpr_count 2
		.amdhsa_user_sgpr_dispatch_ptr 0
		.amdhsa_user_sgpr_queue_ptr 0
		.amdhsa_user_sgpr_kernarg_segment_ptr 1
		.amdhsa_user_sgpr_dispatch_id 0
		.amdhsa_user_sgpr_kernarg_preload_length 0
		.amdhsa_user_sgpr_kernarg_preload_offset 0
		.amdhsa_user_sgpr_private_segment_size 0
		.amdhsa_uses_dynamic_stack 0
		.amdhsa_enable_private_segment 1
		.amdhsa_system_sgpr_workgroup_id_x 1
		.amdhsa_system_sgpr_workgroup_id_y 0
		.amdhsa_system_sgpr_workgroup_id_z 0
		.amdhsa_system_sgpr_workgroup_info 0
		.amdhsa_system_vgpr_workitem_id 0
		.amdhsa_next_free_vgpr 128
		.amdhsa_next_free_sgpr 71
		.amdhsa_accum_offset 128
		.amdhsa_reserve_vcc 1
		.amdhsa_float_round_mode_32 0
		.amdhsa_float_round_mode_16_64 0
		.amdhsa_float_denorm_mode_32 3
		.amdhsa_float_denorm_mode_16_64 3
		.amdhsa_dx10_clamp 1
		.amdhsa_ieee_mode 1
		.amdhsa_fp16_overflow 0
		.amdhsa_tg_split 0
		.amdhsa_exception_fp_ieee_invalid_op 0
		.amdhsa_exception_fp_denorm_src 0
		.amdhsa_exception_fp_ieee_div_zero 0
		.amdhsa_exception_fp_ieee_overflow 0
		.amdhsa_exception_fp_ieee_underflow 0
		.amdhsa_exception_fp_ieee_inexact 0
		.amdhsa_exception_int_div_zero 0
	.end_amdhsa_kernel
	.section	.text._Z19_skinny_gemm_kernelILi4ELi5ELi3ELi16ELi4EEvPKhS1_P6__halfPKfiiiiiiii,"axG",@progbits,_Z19_skinny_gemm_kernelILi4ELi5ELi3ELi16ELi4EEvPKhS1_P6__halfPKfiiiiiiii,comdat
.Lfunc_end372:
	.size	_Z19_skinny_gemm_kernelILi4ELi5ELi3ELi16ELi4EEvPKhS1_P6__halfPKfiiiiiiii, .Lfunc_end372-_Z19_skinny_gemm_kernelILi4ELi5ELi3ELi16ELi4EEvPKhS1_P6__halfPKfiiiiiiii
                                        ; -- End function
	.set _Z19_skinny_gemm_kernelILi4ELi5ELi3ELi16ELi4EEvPKhS1_P6__halfPKfiiiiiiii.num_vgpr, 128
	.set _Z19_skinny_gemm_kernelILi4ELi5ELi3ELi16ELi4EEvPKhS1_P6__halfPKfiiiiiiii.num_agpr, 0
	.set _Z19_skinny_gemm_kernelILi4ELi5ELi3ELi16ELi4EEvPKhS1_P6__halfPKfiiiiiiii.numbered_sgpr, 71
	.set _Z19_skinny_gemm_kernelILi4ELi5ELi3ELi16ELi4EEvPKhS1_P6__halfPKfiiiiiiii.num_named_barrier, 0
	.set _Z19_skinny_gemm_kernelILi4ELi5ELi3ELi16ELi4EEvPKhS1_P6__halfPKfiiiiiiii.private_seg_size, 100
	.set _Z19_skinny_gemm_kernelILi4ELi5ELi3ELi16ELi4EEvPKhS1_P6__halfPKfiiiiiiii.uses_vcc, 1
	.set _Z19_skinny_gemm_kernelILi4ELi5ELi3ELi16ELi4EEvPKhS1_P6__halfPKfiiiiiiii.uses_flat_scratch, 0
	.set _Z19_skinny_gemm_kernelILi4ELi5ELi3ELi16ELi4EEvPKhS1_P6__halfPKfiiiiiiii.has_dyn_sized_stack, 0
	.set _Z19_skinny_gemm_kernelILi4ELi5ELi3ELi16ELi4EEvPKhS1_P6__halfPKfiiiiiiii.has_recursion, 0
	.set _Z19_skinny_gemm_kernelILi4ELi5ELi3ELi16ELi4EEvPKhS1_P6__halfPKfiiiiiiii.has_indirect_call, 0
	.section	.AMDGPU.csdata,"",@progbits
; Kernel info:
; codeLenInByte = 10152
; TotalNumSgprs: 77
; NumVgprs: 128
; NumAgprs: 0
; TotalNumVgprs: 128
; ScratchSize: 100
; MemoryBound: 0
; FloatMode: 240
; IeeeMode: 1
; LDSByteSize: 55404 bytes/workgroup (compile time only)
; SGPRBlocks: 9
; VGPRBlocks: 15
; NumSGPRsForWavesPerEU: 77
; NumVGPRsForWavesPerEU: 128
; AccumOffset: 128
; Occupancy: 4
; WaveLimiterHint : 0
; COMPUTE_PGM_RSRC2:SCRATCH_EN: 1
; COMPUTE_PGM_RSRC2:USER_SGPR: 2
; COMPUTE_PGM_RSRC2:TRAP_HANDLER: 0
; COMPUTE_PGM_RSRC2:TGID_X_EN: 1
; COMPUTE_PGM_RSRC2:TGID_Y_EN: 0
; COMPUTE_PGM_RSRC2:TGID_Z_EN: 0
; COMPUTE_PGM_RSRC2:TIDIG_COMP_CNT: 0
; COMPUTE_PGM_RSRC3_GFX90A:ACCUM_OFFSET: 31
; COMPUTE_PGM_RSRC3_GFX90A:TG_SPLIT: 0
	.section	.text._Z19_skinny_gemm_kernelILi4ELi5ELi3ELi32ELi4EEvPKhS1_P6__halfPKfiiiiiiii,"axG",@progbits,_Z19_skinny_gemm_kernelILi4ELi5ELi3ELi32ELi4EEvPKhS1_P6__halfPKfiiiiiiii,comdat
	.protected	_Z19_skinny_gemm_kernelILi4ELi5ELi3ELi32ELi4EEvPKhS1_P6__halfPKfiiiiiiii ; -- Begin function _Z19_skinny_gemm_kernelILi4ELi5ELi3ELi32ELi4EEvPKhS1_P6__halfPKfiiiiiiii
	.globl	_Z19_skinny_gemm_kernelILi4ELi5ELi3ELi32ELi4EEvPKhS1_P6__halfPKfiiiiiiii
	.p2align	8
	.type	_Z19_skinny_gemm_kernelILi4ELi5ELi3ELi32ELi4EEvPKhS1_P6__halfPKfiiiiiiii,@function
_Z19_skinny_gemm_kernelILi4ELi5ELi3ELi32ELi4EEvPKhS1_P6__halfPKfiiiiiiii: ; @_Z19_skinny_gemm_kernelILi4ELi5ELi3ELi32ELi4EEvPKhS1_P6__halfPKfiiiiiiii
; %bb.0:
	v_cmp_gt_u32_e32 vcc, 27, v0
	s_and_saveexec_b64 s[4:5], vcc
; %bb.1:
	v_lshlrev_b32_e32 v1, 2, v0
	v_mov_b32_e32 v2, 0
	ds_write_b32 v1, v2 offset:55296
; %bb.2:
	s_or_b64 exec, exec, s[4:5]
	s_load_dwordx8 s[24:31], s[0:1], 0x20
	s_waitcnt lgkmcnt(0)
	s_barrier
	s_add_i32 s3, s24, 0x7f
	s_ashr_i32 s5, s3, 31
	s_add_i32 s4, s25, 0x9f
	s_lshr_b32 s5, s5, 25
	s_mul_hi_i32 s4, s4, 0x66666667
	s_add_i32 s3, s3, s5
	s_ashr_i32 s14, s3, 7
	s_lshr_b32 s3, s4, 31
	s_ashr_i32 s4, s4, 6
	s_add_i32 s15, s4, s3
	s_mul_i32 s3, s15, s14
	s_mul_i32 s3, s3, s28
	s_add_i32 s4, s3, 0x12f
	s_mul_hi_i32 s4, s4, 0x6bca1af3
	s_lshr_b32 s5, s4, 31
	s_ashr_i32 s4, s4, 7
	s_add_i32 s4, s4, s5
	s_add_i32 s5, s2, 1
	s_mul_i32 s5, s4, s5
	v_cvt_f64_i32_e32 v[2:3], s3
	v_cvt_f64_u32_e32 v[4:5], s5
	v_min_f64 v[2:3], v[2:3], v[4:5]
	v_cvt_i32_f64_e32 v1, v[2:3]
	s_mul_i32 s2, s4, s2
	v_cmp_ge_i32_e32 vcc, s2, v1
	scratch_store_dword off, v1, off offset:4 ; 4-byte Folded Spill
	s_cbranch_vccnz .LBB373_55
; %bb.3:
	s_load_dwordx8 s[16:23], s[0:1], 0x0
	v_lshrrev_b32_e32 v1, 6, v0
	s_add_i32 s0, s30, s29
	v_cmp_le_i32_e64 s[34:35], s0, v1
	v_mov_b32_e32 v2, s29
	v_cmp_le_i32_e64 s[36:37], s29, v1
	v_mov_b32_e32 v3, s30
	v_cndmask_b32_e64 v3, 0, v3, s[34:35]
	v_cndmask_b32_e64 v2, 0, v2, s[36:37]
	s_abs_i32 s1, s28
	v_add_u32_e32 v2, v2, v3
	v_cvt_f32_u32_e32 v3, s1
	v_sub_u32_e32 v88, v1, v2
	s_ashr_i32 s3, s26, 31
	s_lshr_b32 s3, s3, 26
	v_rcp_iflag_f32_e32 v2, v3
	s_sub_i32 s6, 0, s1
	s_add_i32 s3, s26, s3
	s_ashr_i32 s3, s3, 6
	v_mul_f32_e32 v2, 0x4f7ffffe, v2
	v_cvt_u32_f32_e32 v2, v2
	s_abs_i32 s5, s3
	s_xor_b32 s4, s3, s28
	s_ashr_i32 s4, s4, 31
	v_readfirstlane_b32 s7, v2
	s_mul_i32 s6, s6, s7
	s_mul_hi_u32 s6, s7, s6
	s_add_i32 s7, s7, s6
	s_mul_hi_u32 s6, s5, s7
	s_mul_i32 s7, s6, s1
	s_sub_i32 s5, s5, s7
	s_add_i32 s7, s6, 1
	s_sub_i32 s8, s5, s1
	s_cmp_ge_u32 s5, s1
	s_cselect_b32 s6, s7, s6
	s_cselect_b32 s5, s8, s5
	s_add_i32 s7, s6, 1
	s_cmp_ge_u32 s5, s1
	s_cselect_b32 s1, s7, s6
	s_add_i32 s0, s0, s31
	v_and_b32_e32 v85, 31, v0
	v_lshrrev_b32_e32 v2, 3, v0
	v_cmp_gt_i32_e64 s[42:43], s0, v1
	v_lshlrev_b32_e32 v1, 2, v85
	v_and_b32_e32 v3, 4, v2
	v_lshlrev_b32_e32 v2, 6, v3
	v_or_b32_e32 v4, 0x7800, v1
	v_or_b32_e32 v5, v4, v2
	scratch_store_dword off, v5, off        ; 4-byte Folded Spill
	v_and_b32_e32 v5, 1, v0
	v_or_b32_e32 v98, v1, v2
	v_lshlrev_b32_e32 v2, 1, v5
	v_sub_u32_e32 v2, v0, v2
	v_add_u32_e32 v2, 1, v2
	v_and_b32_e32 v6, 63, v2
	v_bitop3_b32 v2, v0, 1, v0 bitop3:0xc
	scratch_store_dword off, v2, off offset:32 ; 4-byte Folded Spill
	v_bitop3_b32 v2, v0, 3, 1 bitop3:0x6c
	scratch_store_dword off, v2, off offset:36 ; 4-byte Folded Spill
	v_bitop3_b32 v2, v0, 5, 1 bitop3:0x6c
	scratch_store_dword off, v2, off offset:40 ; 4-byte Folded Spill
	v_bitop3_b32 v2, v0, 7, 1 bitop3:0x6c
	scratch_store_dword off, v2, off offset:44 ; 4-byte Folded Spill
	v_bitop3_b32 v2, v0, 9, 1 bitop3:0x6c
	scratch_store_dword off, v2, off offset:48 ; 4-byte Folded Spill
	v_bitop3_b32 v2, v0, 11, 1 bitop3:0x6c
	scratch_store_dword off, v2, off offset:52 ; 4-byte Folded Spill
	v_bitop3_b32 v2, v0, 13, 1 bitop3:0x6c
	scratch_store_dword off, v2, off offset:56 ; 4-byte Folded Spill
	v_bitop3_b32 v2, v0, 15, 1 bitop3:0x6c
	scratch_store_dword off, v2, off offset:60 ; 4-byte Folded Spill
	v_or_b32_e32 v2, 32, v85
	s_add_i32 s39, s28, -1
	scratch_store_dword off, v2, off offset:64 ; 4-byte Folded Spill
	v_or_b32_e32 v2, 64, v85
	v_lshrrev_b32_e32 v7, 1, v0
	s_abs_i32 s28, s14
	scratch_store_dword off, v2, off offset:68 ; 4-byte Folded Spill
	v_or_b32_e32 v2, 0x60, v85
	v_and_b32_e32 v8, 16, v7
	v_cvt_f32_u32_e32 v7, s28
	scratch_store_dword off, v2, off offset:72 ; 4-byte Folded Spill
	v_or_b32_e32 v2, 0x80, v85
	scratch_store_dword off, v2, off offset:76 ; 4-byte Folded Spill
	v_and_b32_e32 v2, 30, v0
	v_lshlrev_b32_e32 v0, 4, v0
                                        ; implicit-def: $vgpr127 : SGPR spill to VGPR lane
	v_and_b32_e32 v0, 0x200, v0
	v_writelane_b32 v127, s14, 0
	s_xor_b32 s1, s1, s4
	v_or_b32_e32 v111, v1, v0
	v_rcp_iflag_f32_e32 v1, v7
	v_writelane_b32 v127, s15, 1
	s_sub_i32 s38, s1, s4
	s_waitcnt lgkmcnt(0)
	v_writelane_b32 v127, s16, 2
	s_mul_i32 s1, s38, s39
	s_sub_i32 s40, s3, s1
	v_writelane_b32 v127, s17, 3
	s_abs_i32 s3, s15
	v_writelane_b32 v127, s18, 4
	v_or_b32_e32 v113, v4, v0
	v_mul_f32_e32 v0, 0x4f7ffffe, v1
	v_cvt_f32_u32_e32 v1, s3
	v_writelane_b32 v127, s19, 5
	v_writelane_b32 v127, s20, 6
	;; [unrolled: 1-line block ×4, first 2 shown]
	v_cvt_u32_f32_e32 v0, v0
	v_rcp_iflag_f32_e32 v1, v1
	v_writelane_b32 v127, s23, 9
	v_cndmask_b32_e64 v95, 0, 1, s[34:35]
	v_writelane_b32 v127, s34, 10
	v_readfirstlane_b32 s1, v0
	v_mul_f32_e32 v0, 0x4f7ffffe, v1
	v_writelane_b32 v127, s35, 11
	v_writelane_b32 v127, s36, 12
	v_cvt_u32_f32_e32 v0, v0
	s_sub_i32 s0, 0, s28
	v_writelane_b32 v127, s37, 13
	v_writelane_b32 v127, s38, 14
	;; [unrolled: 1-line block ×3, first 2 shown]
	s_mul_i32 s0, s0, s1
	v_writelane_b32 v127, s40, 16
	s_mul_hi_u32 s0, s1, s0
	v_writelane_b32 v127, s42, 17
	s_ashr_i32 s41, s14, 31
	s_add_i32 s44, s1, s0
	s_sub_i32 s0, 0, s3
	v_readfirstlane_b32 s1, v0
	v_writelane_b32 v127, s43, 18
	s_mul_i32 s0, s0, s1
	v_mbcnt_lo_u32_b32 v0, -1, 0
	v_writelane_b32 v127, s41, 19
	s_ashr_i32 s45, s15, 31
	s_mul_hi_u32 s0, s1, s0
	v_mbcnt_hi_u32_b32 v0, -1, v0
	v_writelane_b32 v127, s44, 20
	v_mov_b32_e32 v97, 0
	v_mul_lo_u32 v10, s27, v85
	s_add_i32 s46, s1, s0
	v_and_or_b32 v0, v0, 64, v6
	v_writelane_b32 v127, s45, 21
	v_ashrrev_i32_e32 v11, 31, v10
	v_mov_b32_e32 v9, v97
	s_lshl_b32 s33, s27, 5
	v_mul_lo_u32 v7, s26, v85
	v_or_b32_e32 v114, v5, v3
	v_lshlrev_b32_e32 v96, 1, v2
	v_lshlrev_b32_e32 v115, 2, v0
	v_mov_b32_e32 v116, v88
	v_writelane_b32 v127, s46, 22
	scratch_store_dwordx2 off, v[10:11], off offset:80 ; 8-byte Folded Spill
	scratch_store_dwordx2 off, v[8:9], off offset:8 ; 8-byte Folded Spill
	scratch_store_dword off, v7, off offset:16 ; 4-byte Folded Spill
	scratch_store_dword off, v85, off offset:28 ; 4-byte Folded Spill
	s_branch .LBB373_7
.LBB373_4:                              ;   in Loop: Header=BB373_7 Depth=1
	s_or_b64 exec, exec, s[6:7]
.LBB373_5:                              ;   in Loop: Header=BB373_7 Depth=1
	s_or_b64 exec, exec, s[4:5]
	v_subrev_u32_e32 v116, s12, v116
.LBB373_6:                              ;   in Loop: Header=BB373_7 Depth=1
	s_or_b64 exec, exec, s[0:1]
	scratch_load_dword v0, off, off offset:4 ; 4-byte Folded Reload
	s_add_i32 s2, s2, 1
	s_waitcnt vmcnt(0)
	v_cmp_ge_i32_e32 vcc, s2, v0
	s_cbranch_vccnz .LBB373_55
.LBB373_7:                              ; =>This Loop Header: Depth=1
                                        ;     Child Loop BB373_13 Depth 2
                                        ;       Child Loop BB373_15 Depth 3
                                        ;       Child Loop BB373_18 Depth 3
	;; [unrolled: 1-line block ×6, first 2 shown]
                                        ;     Child Loop BB373_34 Depth 2
                                        ;     Child Loop BB373_42 Depth 2
                                        ;       Child Loop BB373_44 Depth 3
                                        ;     Child Loop BB373_52 Depth 2
                                        ;       Child Loop BB373_54 Depth 3
	s_abs_i32 s1, s2
	s_mul_hi_u32 s4, s1, s44
	s_mul_i32 s5, s4, s28
	s_ashr_i32 s0, s2, 31
	s_sub_i32 s1, s1, s5
	s_xor_b32 s0, s0, s41
	s_add_i32 s5, s4, 1
	s_sub_i32 s6, s1, s28
	s_cmp_ge_u32 s1, s28
	s_cselect_b32 s4, s5, s4
	s_cselect_b32 s1, s6, s1
	s_add_i32 s5, s4, 1
	s_cmp_ge_u32 s1, s28
	s_cselect_b32 s1, s5, s4
	s_xor_b32 s1, s1, s0
	s_sub_i32 s0, s1, s0
	s_abs_i32 s4, s0
	s_mul_i32 s1, s0, s14
	s_mul_hi_u32 s5, s4, s46
	s_sub_i32 s1, s2, s1
	s_mul_i32 s6, s5, s3
	s_lshl_b32 s47, s1, 7
	s_ashr_i32 s1, s0, 31
	s_sub_i32 s4, s4, s6
	s_xor_b32 s1, s1, s45
	s_add_i32 s6, s5, 1
	s_sub_i32 s7, s4, s3
	s_cmp_ge_u32 s4, s3
	s_cselect_b32 s5, s6, s5
	s_cselect_b32 s4, s7, s4
	s_add_i32 s6, s5, 1
	s_cmp_ge_u32 s4, s3
	s_cselect_b32 s4, s6, s5
	s_xor_b32 s4, s4, s1
	s_sub_i32 s1, s4, s1
	s_mul_i32 s4, s1, s38
	s_lshl_b32 s13, s4, 6
	s_cmp_eq_u32 s1, s39
	s_cselect_b32 s98, s40, s38
	s_sub_i32 s4, s47, s24
	s_addk_i32 s4, 0x80
	s_max_i32 s99, s4, 0
	s_and_saveexec_b64 s[4:5], s[36:37]
	s_xor_b64 s[48:49], exec, s[4:5]
	s_cbranch_execz .LBB373_48
; %bb.8:                                ;   in Loop: Header=BB373_7 Depth=1
	s_mul_i32 s1, s1, s15
	s_sub_i32 s0, s0, s1
	s_mulk_i32 s0, 0xa0
	s_sub_i32 s70, s0, s25
	s_addk_i32 s70, 0xa0
	v_writelane_b32 v127, s48, 23
	s_max_i32 s1, s70, 0
	s_mov_b32 s4, s13
	v_writelane_b32 v127, s49, 24
	s_sub_i32 s68, s0, s1
	s_and_saveexec_b64 s[0:1], s[34:35]
	s_xor_b64 s[0:1], exec, s[0:1]
	s_cbranch_execz .LBB373_38
; %bb.9:                                ;   in Loop: Header=BB373_7 Depth=1
	s_mov_b64 s[6:7], exec
	v_writelane_b32 v127, s6, 25
	s_nop 1
	v_writelane_b32 v127, s7, 26
	s_and_b64 s[6:7], s[6:7], s[42:43]
	s_mov_b64 exec, s[6:7]
	s_cbranch_execz .LBB373_37
; %bb.10:                               ;   in Loop: Header=BB373_7 Depth=1
	global_load_dword v117, v97, s[22:23]
	v_mov_b32_e32 v79, 0
	v_cmp_gt_i32_e32 vcc, s98, v116
	v_mov_b32_e32 v78, v79
	v_mov_b32_e32 v77, v79
	;; [unrolled: 1-line block ×79, first 2 shown]
	s_and_saveexec_b64 s[6:7], vcc
	s_cbranch_execz .LBB373_32
; %bb.11:                               ;   in Loop: Header=BB373_7 Depth=1
	v_mov_b32_e32 v0, 0
	s_mov_b64 s[8:9], 0
	v_mov_b32_e32 v1, v0
	v_mov_b32_e32 v2, v0
	;; [unrolled: 1-line block ×79, first 2 shown]
	s_branch .LBB373_13
.LBB373_12:                             ;   in Loop: Header=BB373_13 Depth=2
	s_or_b64 exec, exec, s[10:11]
	v_add_u32_e32 v81, 0x2000, v80
	ds_read2_b32 v[82:83], v81 offset1:32
	v_add_u32_e32 v116, s31, v116
	s_waitcnt lgkmcnt(0)
	v_mfma_f32_32x32x16_fp8_fp8 v[0:15], v[92:93], v[82:83], v[0:15]
	ds_read2_b32 v[82:83], v81 offset0:128 offset1:160
	s_waitcnt lgkmcnt(0)
	v_mfma_f32_32x32x16_fp8_fp8 v[0:15], v[90:91], v[82:83], v[0:15]
	v_add_u32_e32 v82, 0x2400, v80
	ds_read2_b32 v[80:81], v82 offset1:32
	ds_read2_b32 v[82:83], v82 offset0:128 offset1:160
	ds_write_b32 v119, v120 offset:55332
	s_waitcnt lgkmcnt(2)
	v_mfma_f32_32x32x16_fp8_fp8 v[0:15], v[88:89], v[80:81], v[0:15]
	v_add_u32_e32 v88, s31, v118
	v_add_u32_e32 v80, 2, v95
	v_cmp_lt_i32_e32 vcc, 2, v88
	s_nop 1
	v_cndmask_b32_e32 v95, v95, v80, vcc
	v_cmp_le_i32_e32 vcc, s98, v116
	s_waitcnt lgkmcnt(1)
	v_mfma_f32_32x32x16_fp8_fp8 v[0:15], v[86:87], v[82:83], v[0:15]
	s_or_b64 s[8:9], vcc, s[8:9]
	s_andn2_b64 exec, exec, s[8:9]
	s_cbranch_execz .LBB373_31
.LBB373_13:                             ;   Parent Loop BB373_7 Depth=1
                                        ; =>  This Loop Header: Depth=2
                                        ;       Child Loop BB373_15 Depth 3
                                        ;       Child Loop BB373_18 Depth 3
	;; [unrolled: 1-line block ×6, first 2 shown]
	v_cmp_gt_i32_e32 vcc, 3, v88
	s_nop 1
	v_cndmask_b32_e64 v80, -3, 0, vcc
	v_add_u32_e32 v118, v80, v88
	v_mul_lo_u32 v119, v118, 40
	ds_read_b32 v80, v119 offset:55296
	s_waitcnt lgkmcnt(0)
	v_cmp_ne_u32_e32 vcc, v80, v95
	s_and_saveexec_b64 s[10:11], vcc
	s_cbranch_execz .LBB373_16
; %bb.14:                               ;   in Loop: Header=BB373_13 Depth=2
	s_mov_b64 s[12:13], 0
.LBB373_15:                             ;   Parent Loop BB373_7 Depth=1
                                        ;     Parent Loop BB373_13 Depth=2
                                        ; =>    This Inner Loop Header: Depth=3
	;;#ASMSTART
	s_sleep 0
	;;#ASMEND
	ds_read_b32 v80, v119 offset:55296
	s_waitcnt lgkmcnt(0)
	v_cmp_eq_u32_e32 vcc, v80, v95
	s_or_b64 s[12:13], vcc, s[12:13]
	s_andn2_b64 exec, exec, s[12:13]
	s_cbranch_execnz .LBB373_15
.LBB373_16:                             ;   in Loop: Header=BB373_13 Depth=2
	s_or_b64 exec, exec, s[10:11]
	scratch_load_dword v80, off, off        ; 4-byte Folded Reload
	v_add_u32_e32 v120, 1, v95
	s_waitcnt vmcnt(0)
	v_lshl_add_u32 v80, v118, 11, v80
	ds_read2_b32 v[92:93], v80 offset1:32
	ds_read2_b32 v[90:91], v80 offset0:128 offset1:160
	v_add_u32_e32 v80, 0x400, v80
	ds_read2_b32 v[88:89], v80 offset1:32
	ds_read_b32 v81, v119 offset:55300
	ds_read2_b32 v[86:87], v80 offset0:128 offset1:160
	ds_write_b32 v119, v120 offset:55296
	s_waitcnt lgkmcnt(2)
	v_cmp_ne_u32_e32 vcc, v81, v95
	s_and_saveexec_b64 s[10:11], vcc
	s_cbranch_execz .LBB373_19
; %bb.17:                               ;   in Loop: Header=BB373_13 Depth=2
	s_mov_b64 s[12:13], 0
.LBB373_18:                             ;   Parent Loop BB373_7 Depth=1
                                        ;     Parent Loop BB373_13 Depth=2
                                        ; =>    This Inner Loop Header: Depth=3
	;;#ASMSTART
	s_sleep 0
	;;#ASMEND
	ds_read_b32 v80, v119 offset:55300
	s_waitcnt lgkmcnt(0)
	v_cmp_eq_u32_e32 vcc, v80, v95
	s_or_b64 s[12:13], vcc, s[12:13]
	s_andn2_b64 exec, exec, s[12:13]
	s_cbranch_execnz .LBB373_18
.LBB373_19:                             ;   in Loop: Header=BB373_13 Depth=2
	s_or_b64 exec, exec, s[10:11]
	s_movk_i32 s5, 0x2800
	v_mul_lo_u32 v80, v118, s5
	v_or_b32_e32 v81, v98, v80
	ds_read2_b32 v[82:83], v81 offset1:32
	ds_write_b32 v119, v120 offset:55300
	s_waitcnt lgkmcnt(1)
	v_mfma_f32_32x32x16_fp8_fp8 v[64:79], v[92:93], v[82:83], v[64:79]
	ds_read2_b32 v[82:83], v81 offset0:128 offset1:160
	v_add_u32_e32 v81, 0x400, v81
	s_waitcnt lgkmcnt(0)
	v_mfma_f32_32x32x16_fp8_fp8 v[64:79], v[90:91], v[82:83], v[64:79]
	ds_read2_b32 v[82:83], v81 offset1:32
	s_waitcnt lgkmcnt(0)
	v_mfma_f32_32x32x16_fp8_fp8 v[64:79], v[88:89], v[82:83], v[64:79]
	ds_read2_b32 v[82:83], v81 offset0:128 offset1:160
	ds_read_b32 v81, v119 offset:55308
	s_waitcnt lgkmcnt(0)
	v_cmp_ne_u32_e32 vcc, v81, v95
	v_mfma_f32_32x32x16_fp8_fp8 v[64:79], v[86:87], v[82:83], v[64:79]
	s_and_saveexec_b64 s[10:11], vcc
	s_cbranch_execz .LBB373_22
; %bb.20:                               ;   in Loop: Header=BB373_13 Depth=2
	s_mov_b64 s[12:13], 0
.LBB373_21:                             ;   Parent Loop BB373_7 Depth=1
                                        ;     Parent Loop BB373_13 Depth=2
                                        ; =>    This Inner Loop Header: Depth=3
	;;#ASMSTART
	s_sleep 0
	;;#ASMEND
	ds_read_b32 v81, v119 offset:55308
	s_waitcnt lgkmcnt(0)
	v_cmp_eq_u32_e32 vcc, v81, v95
	s_or_b64 s[12:13], vcc, s[12:13]
	s_andn2_b64 exec, exec, s[12:13]
	s_cbranch_execnz .LBB373_21
.LBB373_22:                             ;   in Loop: Header=BB373_13 Depth=2
	s_or_b64 exec, exec, s[10:11]
	v_add_u32_e32 v80, v98, v80
	v_add_u32_e32 v81, 0x800, v80
	ds_read2_b32 v[82:83], v81 offset1:32
	ds_write_b32 v119, v120 offset:55308
	s_waitcnt lgkmcnt(1)
	v_mfma_f32_32x32x16_fp8_fp8 v[48:63], v[92:93], v[82:83], v[48:63]
	ds_read2_b32 v[82:83], v81 offset0:128 offset1:160
	v_add_u32_e32 v81, 0xc00, v80
	s_waitcnt lgkmcnt(0)
	v_mfma_f32_32x32x16_fp8_fp8 v[48:63], v[90:91], v[82:83], v[48:63]
	ds_read2_b32 v[82:83], v81 offset1:32
	s_waitcnt lgkmcnt(0)
	v_mfma_f32_32x32x16_fp8_fp8 v[48:63], v[88:89], v[82:83], v[48:63]
	ds_read2_b32 v[82:83], v81 offset0:128 offset1:160
	ds_read_b32 v81, v119 offset:55316
	s_waitcnt lgkmcnt(0)
	v_cmp_ne_u32_e32 vcc, v81, v95
	v_mfma_f32_32x32x16_fp8_fp8 v[48:63], v[86:87], v[82:83], v[48:63]
	s_and_saveexec_b64 s[10:11], vcc
	s_cbranch_execz .LBB373_25
; %bb.23:                               ;   in Loop: Header=BB373_13 Depth=2
	s_mov_b64 s[12:13], 0
.LBB373_24:                             ;   Parent Loop BB373_7 Depth=1
                                        ;     Parent Loop BB373_13 Depth=2
                                        ; =>    This Inner Loop Header: Depth=3
	;;#ASMSTART
	s_sleep 0
	;;#ASMEND
	ds_read_b32 v81, v119 offset:55316
	s_waitcnt lgkmcnt(0)
	v_cmp_eq_u32_e32 vcc, v81, v95
	s_or_b64 s[12:13], vcc, s[12:13]
	s_andn2_b64 exec, exec, s[12:13]
	s_cbranch_execnz .LBB373_24
.LBB373_25:                             ;   in Loop: Header=BB373_13 Depth=2
	s_or_b64 exec, exec, s[10:11]
	v_add_u32_e32 v81, 0x1000, v80
	ds_read2_b32 v[82:83], v81 offset1:32
	s_waitcnt lgkmcnt(0)
	v_mfma_f32_32x32x16_fp8_fp8 v[32:47], v[92:93], v[82:83], v[32:47]
	ds_read2_b32 v[82:83], v81 offset0:128 offset1:160
	v_add_u32_e32 v81, 0x1400, v80
	s_waitcnt lgkmcnt(0)
	v_mfma_f32_32x32x16_fp8_fp8 v[32:47], v[90:91], v[82:83], v[32:47]
	ds_read2_b32 v[82:83], v81 offset1:32
	s_waitcnt lgkmcnt(0)
	v_mfma_f32_32x32x16_fp8_fp8 v[32:47], v[88:89], v[82:83], v[32:47]
	ds_read_b32 v84, v119 offset:55324
	ds_read2_b32 v[82:83], v81 offset0:128 offset1:160
	ds_write_b32 v119, v120 offset:55316
	s_waitcnt lgkmcnt(2)
	v_cmp_ne_u32_e32 vcc, v84, v95
	s_waitcnt lgkmcnt(1)
	v_mfma_f32_32x32x16_fp8_fp8 v[32:47], v[86:87], v[82:83], v[32:47]
	s_and_saveexec_b64 s[10:11], vcc
	s_cbranch_execz .LBB373_28
; %bb.26:                               ;   in Loop: Header=BB373_13 Depth=2
	s_mov_b64 s[12:13], 0
.LBB373_27:                             ;   Parent Loop BB373_7 Depth=1
                                        ;     Parent Loop BB373_13 Depth=2
                                        ; =>    This Inner Loop Header: Depth=3
	;;#ASMSTART
	s_sleep 0
	;;#ASMEND
	ds_read_b32 v81, v119 offset:55324
	s_waitcnt lgkmcnt(0)
	v_cmp_eq_u32_e32 vcc, v81, v95
	s_or_b64 s[12:13], vcc, s[12:13]
	s_andn2_b64 exec, exec, s[12:13]
	s_cbranch_execnz .LBB373_27
.LBB373_28:                             ;   in Loop: Header=BB373_13 Depth=2
	s_or_b64 exec, exec, s[10:11]
	v_add_u32_e32 v81, 0x1800, v80
	ds_read2_b32 v[82:83], v81 offset1:32
	s_waitcnt lgkmcnt(0)
	v_mfma_f32_32x32x16_fp8_fp8 v[16:31], v[92:93], v[82:83], v[16:31]
	ds_read2_b32 v[82:83], v81 offset0:128 offset1:160
	v_add_u32_e32 v81, 0x1c00, v80
	s_waitcnt lgkmcnt(0)
	v_mfma_f32_32x32x16_fp8_fp8 v[16:31], v[90:91], v[82:83], v[16:31]
	ds_read2_b32 v[82:83], v81 offset1:32
	s_waitcnt lgkmcnt(0)
	v_mfma_f32_32x32x16_fp8_fp8 v[16:31], v[88:89], v[82:83], v[16:31]
	ds_read_b32 v84, v119 offset:55332
	ds_read2_b32 v[82:83], v81 offset0:128 offset1:160
	ds_write_b32 v119, v120 offset:55324
	s_waitcnt lgkmcnt(2)
	v_cmp_ne_u32_e32 vcc, v84, v95
	s_waitcnt lgkmcnt(1)
	v_mfma_f32_32x32x16_fp8_fp8 v[16:31], v[86:87], v[82:83], v[16:31]
	s_and_saveexec_b64 s[10:11], vcc
	s_cbranch_execz .LBB373_12
; %bb.29:                               ;   in Loop: Header=BB373_13 Depth=2
	s_mov_b64 s[12:13], 0
.LBB373_30:                             ;   Parent Loop BB373_7 Depth=1
                                        ;     Parent Loop BB373_13 Depth=2
                                        ; =>    This Inner Loop Header: Depth=3
	;;#ASMSTART
	s_sleep 0
	;;#ASMEND
	ds_read_b32 v81, v119 offset:55332
	s_waitcnt lgkmcnt(0)
	v_cmp_eq_u32_e32 vcc, v81, v95
	s_or_b64 s[12:13], vcc, s[12:13]
	s_andn2_b64 exec, exec, s[12:13]
	s_cbranch_execnz .LBB373_30
	s_branch .LBB373_12
.LBB373_31:                             ;   in Loop: Header=BB373_7 Depth=1
	s_or_b64 exec, exec, s[8:9]
.LBB373_32:                             ;   in Loop: Header=BB373_7 Depth=1
	s_or_b64 exec, exec, s[6:7]
	scratch_load_dword v99, off, off offset:32 ; 4-byte Folded Reload
	scratch_load_dword v106, off, off offset:40 ; 4-byte Folded Reload
	v_cmp_le_i32_e32 vcc, s70, v85
	v_writelane_b32 v127, s47, 27
	s_mul_i32 s6, s47, s25
	s_waitcnt vmcnt(2)
	v_cndmask_b32_e32 v80, 0, v117, vcc
	v_pk_mul_f32 v[64:65], v[80:81], v[64:65] op_sel_hi:[0,1]
	v_pk_mul_f32 v[78:79], v[80:81], v[78:79] op_sel_hi:[0,1]
	;; [unrolled: 1-line block ×8, first 2 shown]
	s_ashr_i32 s7, s6, 31
	s_lshl_b64 s[6:7], s[6:7], 1
	s_add_u32 s71, s20, s6
	s_addc_u32 s72, s21, s7
	s_ashr_i32 s69, s68, 31
	s_mov_b32 s82, s68
	s_lshl_b64 s[68:69], s[68:69], 1
	v_writelane_b32 v127, s82, 28
	s_add_u32 s68, s71, s68
	s_addc_u32 s69, s72, s69
	v_writelane_b32 v127, s83, 29
	v_writelane_b32 v127, s68, 30
	scratch_store_dwordx2 off, v[96:97], off offset:20 ; 8-byte Folded Spill
	v_subrev_u32_e32 v116, s98, v116
	v_writelane_b32 v127, s69, 31
	s_mov_b32 s5, 0
	s_waitcnt vmcnt(2)
	v_cmp_eq_u32_e64 s[64:65], 1, v99
	s_nop 1
	v_cndmask_b32_e64 v80, v64, v65, s[64:65]
	v_cmp_eq_u32_e64 s[38:39], 2, v99
	v_cmp_eq_u32_e64 s[40:41], 3, v99
	v_cmp_eq_u32_e64 s[42:43], 4, v99
	v_cndmask_b32_e64 v80, v80, v66, s[38:39]
	v_cndmask_b32_e64 v80, v80, v67, s[40:41]
	v_cndmask_b32_e64 v80, v80, v68, s[42:43]
	v_cmp_eq_u32_e64 s[44:45], 5, v99
	v_cmp_eq_u32_e64 s[46:47], 6, v99
	v_cmp_eq_u32_e64 s[48:49], 7, v99
	v_cndmask_b32_e64 v80, v80, v69, s[44:45]
	v_cndmask_b32_e64 v80, v80, v70, s[46:47]
	;; [unrolled: 6-line block ×5, first 2 shown]
	ds_bpermute_b32 v80, v115, v80
	s_waitcnt vmcnt(1)
	v_cmp_eq_u32_e64 s[72:73], 8, v106
	s_waitcnt lgkmcnt(0)
	v_cndmask_b32_e64 v79, v79, v80, s[66:67]
	v_cndmask_b32_e64 v78, v78, v80, s[62:63]
	;; [unrolled: 1-line block ×16, first 2 shown]
	scratch_load_dword v80, off, off offset:36 ; 4-byte Folded Reload
	s_waitcnt vmcnt(0)
	v_cmp_eq_u32_e32 vcc, 1, v80
	s_nop 1
	v_cndmask_b32_e32 v64, v87, v90, vcc
	v_cmp_eq_u32_e64 s[6:7], 2, v80
	v_cmp_eq_u32_e64 s[8:9], 3, v80
	v_cmp_eq_u32_e64 s[10:11], 4, v80
	v_cndmask_b32_e64 v64, v64, v66, s[6:7]
	v_cndmask_b32_e64 v64, v64, v86, s[8:9]
	v_cndmask_b32_e64 v64, v64, v85, s[10:11]
	v_cmp_eq_u32_e64 s[12:13], 5, v80
	v_cmp_eq_u32_e64 s[14:15], 6, v80
	v_cmp_eq_u32_e64 s[16:17], 7, v80
	v_cndmask_b32_e64 v64, v64, v84, s[12:13]
	v_cndmask_b32_e64 v64, v64, v83, s[14:15]
	v_cndmask_b32_e64 v64, v64, v82, s[16:17]
	;; [unrolled: 6-line block ×4, first 2 shown]
	v_cmp_eq_u32_e64 s[80:81], 14, v80
	v_cmp_eq_u32_e64 s[34:35], 15, v80
	s_nop 0
	v_cndmask_b32_e64 v64, v64, v78, s[80:81]
	v_cndmask_b32_e64 v64, v64, v79, s[34:35]
	ds_bpermute_b32 v89, v115, v64
	scratch_load_dword v64, off, off offset:64 ; 4-byte Folded Reload
	s_waitcnt lgkmcnt(0)
	v_cndmask_b32_e64 v65, v79, v89, s[34:35]
	v_cndmask_b32_e64 v79, v66, v89, s[6:7]
	scratch_load_dword v66, off, off offset:72 ; 4-byte Folded Reload
	v_cndmask_b32_e64 v67, v78, v89, s[80:81]
	v_cndmask_b32_e64 v70, v75, v89, s[74:75]
	;; [unrolled: 1-line block ×8, first 2 shown]
	v_cndmask_b32_e32 v86, v90, v89, vcc
	v_cndmask_b32_e64 v68, v77, v89, s[78:79]
	v_cndmask_b32_e64 v77, v85, v89, s[10:11]
	;; [unrolled: 1-line block ×4, first 2 shown]
	s_waitcnt vmcnt(1)
	v_cmp_le_i32_e64 s[68:69], s70, v64
	s_nop 1
	v_cndmask_b32_e64 v64, 0, v117, s[68:69]
	v_pk_mul_f32 v[62:63], v[64:65], v[62:63] op_sel_hi:[0,1]
	v_pk_mul_f32 v[60:61], v[64:65], v[60:61] op_sel_hi:[0,1]
	;; [unrolled: 1-line block ×8, first 2 shown]
	scratch_load_dword v64, off, off offset:68 ; 4-byte Folded Reload
	v_cndmask_b32_e64 v81, v48, v49, s[64:65]
	v_cndmask_b32_e64 v81, v81, v50, s[38:39]
	;; [unrolled: 1-line block ×15, first 2 shown]
	ds_bpermute_b32 v122, v115, v81
	s_waitcnt vmcnt(0)
	v_cmp_le_i32_e64 s[68:69], s70, v64
	s_nop 1
	v_cndmask_b32_e64 v64, 0, v117, s[68:69]
	v_cmp_le_i32_e64 s[68:69], s70, v66
	v_pk_mul_f32 v[32:33], v[64:65], v[32:33] op_sel_hi:[0,1]
	v_pk_mul_f32 v[34:35], v[64:65], v[34:35] op_sel_hi:[0,1]
	v_cndmask_b32_e64 v66, 0, v117, s[68:69]
	v_cmp_eq_u32_e64 s[68:69], 0, v80
	scratch_load_dword v80, off, off offset:76 ; 4-byte Folded Reload
	v_pk_mul_f32 v[82:83], v[66:67], v[28:29] op_sel_hi:[0,1]
	v_cndmask_b32_e64 v28, v32, v33, s[64:65]
	v_cndmask_b32_e64 v28, v28, v34, s[38:39]
	v_pk_mul_f32 v[36:37], v[64:65], v[36:37] op_sel_hi:[0,1]
	v_cndmask_b32_e64 v28, v28, v35, s[40:41]
	v_cndmask_b32_e64 v28, v28, v36, s[42:43]
	;; [unrolled: 3-line block ×7, first 2 shown]
	v_pk_mul_f32 v[16:17], v[66:67], v[16:17] op_sel_hi:[0,1]
	v_cndmask_b32_e64 v28, v28, v47, s[66:67]
	v_pk_mul_f32 v[18:19], v[66:67], v[18:19] op_sel_hi:[0,1]
	ds_bpermute_b32 v123, v115, v28
	v_cndmask_b32_e64 v28, v16, v17, s[64:65]
	v_cndmask_b32_e64 v28, v28, v18, s[38:39]
	v_pk_mul_f32 v[20:21], v[66:67], v[20:21] op_sel_hi:[0,1]
	v_cndmask_b32_e64 v28, v28, v19, s[40:41]
	v_cndmask_b32_e64 v28, v28, v20, s[42:43]
	v_pk_mul_f32 v[22:23], v[66:67], v[22:23] op_sel_hi:[0,1]
	;; [unrolled: 3-line block ×4, first 2 shown]
	v_cndmask_b32_e64 v28, v28, v25, s[52:53]
	v_cndmask_b32_e64 v28, v28, v26, s[54:55]
	;; [unrolled: 1-line block ×4, first 2 shown]
	v_pk_mul_f32 v[30:31], v[66:67], v[30:31] op_sel_hi:[0,1]
	v_cndmask_b32_e64 v28, v28, v83, s[60:61]
	v_cndmask_b32_e64 v28, v28, v30, s[62:63]
	;; [unrolled: 1-line block ×3, first 2 shown]
	ds_bpermute_b32 v124, v115, v28
	v_cndmask_b32_e64 v87, v87, v89, s[68:69]
	s_waitcnt lgkmcnt(2)
	v_cndmask_b32_e64 v28, v63, v122, s[66:67]
	s_waitcnt lgkmcnt(1)
	v_cndmask_b32_e64 v63, v47, v123, s[66:67]
	v_cndmask_b32_e64 v29, v62, v122, s[62:63]
	s_waitcnt lgkmcnt(0)
	v_cndmask_b32_e64 v85, v31, v124, s[66:67]
	v_cndmask_b32_e64 v62, v46, v123, s[62:63]
	;; [unrolled: 1-line block ×27, first 2 shown]
	s_waitcnt vmcnt(0)
	v_cmp_le_i32_e64 s[70:71], s70, v80
	s_nop 1
	v_cndmask_b32_e64 v80, 0, v117, s[70:71]
	v_pk_mul_f32 v[0:1], v[80:81], v[0:1] op_sel_hi:[0,1]
	v_pk_mul_f32 v[96:97], v[80:81], v[8:9] op_sel_hi:[0,1]
	;; [unrolled: 1-line block ×3, first 2 shown]
	v_cndmask_b32_e64 v9, v0, v1, s[64:65]
	v_cndmask_b32_e64 v9, v9, v2, s[38:39]
	v_pk_mul_f32 v[4:5], v[80:81], v[4:5] op_sel_hi:[0,1]
	v_cndmask_b32_e64 v9, v9, v3, s[40:41]
	v_cndmask_b32_e64 v9, v9, v4, s[42:43]
	v_pk_mul_f32 v[118:119], v[80:81], v[6:7] op_sel_hi:[0,1]
	v_cndmask_b32_e64 v9, v9, v5, s[44:45]
	v_cndmask_b32_e64 v9, v9, v118, s[46:47]
	;; [unrolled: 1-line block ×4, first 2 shown]
	v_pk_mul_f32 v[10:11], v[80:81], v[10:11] op_sel_hi:[0,1]
	v_cndmask_b32_e64 v9, v9, v97, s[52:53]
	v_cndmask_b32_e64 v9, v9, v10, s[54:55]
	v_pk_mul_f32 v[12:13], v[80:81], v[12:13] op_sel_hi:[0,1]
	v_cndmask_b32_e64 v9, v9, v11, s[56:57]
	v_cndmask_b32_e64 v9, v9, v12, s[58:59]
	;; [unrolled: 3-line block ×3, first 2 shown]
	v_cndmask_b32_e64 v9, v9, v15, s[66:67]
	ds_bpermute_b32 v125, v115, v9
	v_cmp_eq_u32_e64 s[70:71], 1, v106
	v_cndmask_b32_e64 v6, v49, v122, s[64:65]
	v_cndmask_b32_e64 v7, v33, v123, s[64:65]
	;; [unrolled: 1-line block ×4, first 2 shown]
	v_cmp_eq_u32_e64 s[64:65], 2, v106
	s_waitcnt lgkmcnt(0)
	v_cndmask_b32_e64 v101, v15, v125, s[66:67]
	v_cmp_eq_u32_e64 s[66:67], 3, v106
	v_cndmask_b32_e64 v9, v64, v79, s[64:65]
	v_cndmask_b32_e64 v102, v14, v125, s[62:63]
	;; [unrolled: 1-line block ×3, first 2 shown]
	v_cmp_eq_u32_e64 s[62:63], 4, v106
	v_cndmask_b32_e64 v103, v13, v125, s[60:61]
	v_cmp_eq_u32_e64 s[60:61], 5, v106
	v_cndmask_b32_e64 v9, v9, v77, s[62:63]
	v_cndmask_b32_e64 v104, v12, v125, s[58:59]
	v_cndmask_b32_e64 v9, v9, v76, s[60:61]
	v_cmp_eq_u32_e64 s[58:59], 6, v106
	v_cndmask_b32_e64 v33, v59, v122, s[56:57]
	v_cndmask_b32_e64 v59, v27, v124, s[56:57]
	v_cndmask_b32_e64 v9, v9, v75, s[58:59]
	v_cndmask_b32_e64 v105, v11, v125, s[56:57]
	v_cmp_eq_u32_e64 s[56:57], 7, v106
	v_cndmask_b32_e64 v80, v41, v123, s[52:53]
	;; [unrolled: 5-line block ×3, first 2 shown]
	v_cndmask_b32_e64 v109, v96, v125, s[50:51]
	v_cndmask_b32_e64 v9, v9, v72, s[52:53]
	v_cmp_eq_u32_e64 s[50:51], 10, v106
	v_cndmask_b32_e64 v64, v42, v123, s[54:55]
	v_cndmask_b32_e64 v107, v10, v125, s[54:55]
	v_cndmask_b32_e64 v9, v9, v71, s[50:51]
	v_cmp_eq_u32_e64 s[54:55], 11, v106
	v_cndmask_b32_e64 v96, v23, v124, s[48:49]
	;; [unrolled: 4-line block ×3, first 2 shown]
	v_cndmask_b32_e64 v118, v53, v122, s[44:45]
	v_cndmask_b32_e64 v9, v9, v69, s[48:49]
	;; [unrolled: 1-line block ×4, first 2 shown]
	v_cmp_eq_u32_e64 s[44:45], 13, v106
	v_cndmask_b32_e64 v117, v4, v125, s[42:43]
	v_cmp_eq_u32_e64 s[42:43], 14, v106
	v_cndmask_b32_e64 v5, v9, v68, s[44:45]
	v_cndmask_b32_e64 v37, v35, v123, s[40:41]
	;; [unrolled: 1-line block ×4, first 2 shown]
	v_cmp_eq_u32_e64 s[40:41], 15, v106
	v_cndmask_b32_e64 v2, v2, v125, s[38:39]
	v_cndmask_b32_e64 v97, v22, v124, s[46:47]
	;; [unrolled: 1-line block ×3, first 2 shown]
	ds_bpermute_b32 v23, v115, v3
	v_cndmask_b32_e64 v49, v54, v122, s[46:47]
	v_cndmask_b32_e64 v54, v16, v124, s[36:37]
	s_waitcnt lgkmcnt(0)
	v_cndmask_b32_e64 v5, v68, v23, s[44:45]
	v_cndmask_b32_e64 v9, v69, v23, s[48:49]
	;; [unrolled: 1-line block ×4, first 2 shown]
	v_cmp_ne_u32_e64 s[38:39], 0, v99
	scratch_load_dword v99, off, off offset:44 ; 4-byte Folded Reload
	v_cndmask_b32_e64 v10, v70, v23, s[54:55]
	v_cndmask_b32_e64 v70, v1, v125, s[38:39]
	v_cmp_eq_u32_e64 s[38:39], 0, v106
	v_cndmask_b32_e64 v3, v65, v23, s[40:41]
	v_cndmask_b32_e64 v4, v67, v23, s[42:43]
	;; [unrolled: 1-line block ×15, first 2 shown]
	v_cndmask_b32_e32 v0, v23, v6, vcc
	v_cndmask_b32_e64 v0, v0, v68, s[6:7]
	v_cndmask_b32_e64 v0, v0, v36, s[8:9]
	v_cndmask_b32_e64 v0, v0, v66, s[10:11]
	v_cndmask_b32_e64 v0, v0, v118, s[12:13]
	v_cndmask_b32_e64 v0, v0, v49, s[14:15]
	v_cndmask_b32_e64 v0, v0, v47, s[16:17]
	v_cndmask_b32_e64 v0, v0, v46, s[18:19]
	v_cndmask_b32_e64 v0, v0, v45, s[20:21]
	v_cndmask_b32_e64 v0, v0, v44, s[22:23]
	v_cndmask_b32_e64 v0, v0, v33, s[74:75]
	v_cndmask_b32_e64 v0, v0, v31, s[76:77]
	v_cndmask_b32_e64 v0, v0, v30, s[78:79]
	v_cndmask_b32_e64 v0, v0, v29, s[80:81]
	v_cndmask_b32_e64 v0, v0, v28, s[34:35]
	ds_bpermute_b32 v122, v115, v0
	v_cndmask_b32_e32 v0, v38, v7, vcc
	v_cndmask_b32_e64 v0, v0, v69, s[6:7]
	v_cndmask_b32_e64 v0, v0, v37, s[8:9]
	v_cndmask_b32_e64 v0, v0, v84, s[10:11]
	v_cndmask_b32_e64 v0, v0, v119, s[12:13]
	v_cndmask_b32_e64 v0, v0, v83, s[14:15]
	v_cndmask_b32_e64 v0, v0, v82, s[16:17]
	v_cndmask_b32_e64 v0, v0, v81, s[18:19]
	v_cndmask_b32_e64 v0, v0, v80, s[20:21]
	v_cndmask_b32_e64 v0, v0, v64, s[22:23]
	v_cndmask_b32_e64 v0, v0, v43, s[74:75]
	v_cndmask_b32_e64 v0, v0, v60, s[76:77]
	v_cndmask_b32_e64 v0, v0, v61, s[78:79]
	v_cndmask_b32_e64 v0, v0, v62, s[80:81]
	v_cndmask_b32_e64 v0, v0, v63, s[34:35]
	ds_bpermute_b32 v123, v115, v0
	v_cndmask_b32_e32 v0, v54, v8, vcc
	v_cndmask_b32_e64 v0, v0, v18, s[6:7]
	v_cndmask_b32_e64 v0, v0, v52, s[8:9]
	v_cndmask_b32_e64 v0, v0, v100, s[10:11]
	v_cndmask_b32_e64 v0, v0, v120, s[12:13]
	v_cndmask_b32_e64 v0, v0, v97, s[14:15]
	v_cndmask_b32_e64 v0, v0, v96, s[16:17]
	v_cndmask_b32_e64 v0, v0, v94, s[18:19]
	v_cndmask_b32_e64 v0, v0, v93, s[20:21]
	v_cndmask_b32_e64 v0, v0, v92, s[22:23]
	v_cndmask_b32_e64 v0, v0, v59, s[74:75]
	v_cndmask_b32_e64 v0, v0, v91, s[76:77]
	v_cndmask_b32_e64 v0, v0, v90, s[78:79]
	v_cndmask_b32_e64 v0, v0, v89, s[80:81]
	v_cndmask_b32_e64 v0, v0, v85, s[34:35]
	ds_bpermute_b32 v124, v115, v0
	v_cndmask_b32_e32 v0, v71, v70, vcc
	v_cndmask_b32_e64 v0, v0, v2, s[6:7]
	v_cndmask_b32_e64 v0, v0, v53, s[8:9]
	v_cndmask_b32_e64 v0, v0, v117, s[10:11]
	v_cndmask_b32_e64 v0, v0, v121, s[12:13]
	v_cndmask_b32_e64 v0, v0, v112, s[14:15]
	v_cndmask_b32_e64 v0, v0, v110, s[16:17]
	v_cndmask_b32_e64 v0, v0, v109, s[18:19]
	v_cndmask_b32_e64 v0, v0, v108, s[20:21]
	v_cndmask_b32_e64 v0, v0, v107, s[22:23]
	v_cndmask_b32_e64 v0, v0, v105, s[74:75]
	v_cndmask_b32_e64 v0, v0, v104, s[76:77]
	v_cndmask_b32_e64 v0, v0, v103, s[78:79]
	v_cndmask_b32_e64 v0, v0, v102, s[80:81]
	v_cndmask_b32_e64 v0, v0, v101, s[34:35]
	ds_bpermute_b32 v125, v115, v0
	s_waitcnt lgkmcnt(2)
	v_cndmask_b32_e64 v48, v83, v123, s[14:15]
	scratch_load_dword v83, off, off offset:48 ; 4-byte Folded Reload
	s_waitcnt vmcnt(1)
	v_cmp_eq_u32_e64 s[36:37], 1, v99
	v_cndmask_b32_e64 v24, v28, v122, s[34:35]
	v_cndmask_b32_e64 v39, v63, v123, s[34:35]
	;; [unrolled: 1-line block ×3, first 2 shown]
	s_waitcnt lgkmcnt(1)
	v_cndmask_b32_e64 v55, v85, v124, s[34:35]
	s_waitcnt lgkmcnt(0)
	v_cndmask_b32_e64 v72, v101, v125, s[34:35]
	v_cmp_eq_u32_e64 s[34:35], 2, v99
	v_cmp_eq_u32_e64 s[88:89], 3, v99
	;; [unrolled: 1-line block ×3, first 2 shown]
	v_cndmask_b32_e64 v0, v0, v21, s[34:35]
	v_cndmask_b32_e64 v0, v0, v20, s[88:89]
	;; [unrolled: 1-line block ×3, first 2 shown]
	v_cmp_eq_u32_e64 s[94:95], 5, v99
	v_cmp_eq_u32_e64 s[96:97], 6, v99
	v_cndmask_b32_e64 v25, v29, v122, s[80:81]
	v_cndmask_b32_e64 v0, v0, v17, s[94:95]
	v_cndmask_b32_e64 v42, v60, v123, s[76:77]
	v_cndmask_b32_e64 v0, v0, v15, s[96:97]
	v_cndmask_b32_e64 v29, v44, v122, s[22:23]
	v_cndmask_b32_e64 v44, v64, v123, s[22:23]
	v_cndmask_b32_e64 v60, v92, v124, s[22:23]
	v_cndmask_b32_e64 v77, v107, v125, s[22:23]
	v_cmp_eq_u32_e64 s[22:23], 7, v99
	v_cndmask_b32_e64 v28, v33, v122, s[74:75]
	v_cndmask_b32_e64 v43, v43, v123, s[74:75]
	;; [unrolled: 1-line block ×5, first 2 shown]
	v_cmp_eq_u32_e64 s[74:75], 8, v99
	v_cndmask_b32_e64 v40, v62, v123, s[80:81]
	v_cndmask_b32_e64 v27, v31, v122, s[76:77]
	;; [unrolled: 1-line block ×7, first 2 shown]
	v_cmp_eq_u32_e64 s[18:19], 9, v99
	v_cndmask_b32_e64 v32, v47, v122, s[16:17]
	v_cndmask_b32_e64 v47, v82, v123, s[16:17]
	;; [unrolled: 1-line block ×5, first 2 shown]
	v_cmp_eq_u32_e64 s[16:17], 10, v99
	v_cndmask_b32_e64 v33, v49, v122, s[14:15]
	v_cndmask_b32_e64 v64, v97, v124, s[14:15]
	;; [unrolled: 1-line block ×4, first 2 shown]
	v_cmp_eq_u32_e64 s[14:15], 11, v99
	v_cndmask_b32_e64 v56, v89, v124, s[80:81]
	v_cndmask_b32_e64 v34, v118, v122, s[12:13]
	;; [unrolled: 1-line block ×6, first 2 shown]
	v_cmp_eq_u32_e64 s[12:13], 12, v99
	v_cmp_eq_u32_e64 s[84:85], 13, v99
	v_cndmask_b32_e64 v57, v90, v124, s[78:79]
	v_cndmask_b32_e64 v0, v0, v9, s[12:13]
	;; [unrolled: 1-line block ×7, first 2 shown]
	v_cmp_eq_u32_e64 s[10:11], 14, v99
	v_cndmask_b32_e64 v58, v91, v124, s[76:77]
	v_cndmask_b32_e64 v36, v36, v122, s[8:9]
	;; [unrolled: 1-line block ×6, first 2 shown]
	v_cmp_eq_u32_e64 s[8:9], 15, v99
	v_cndmask_b32_e64 v26, v30, v122, s[78:79]
	v_cndmask_b32_e64 v30, v45, v122, s[20:21]
	;; [unrolled: 1-line block ×4, first 2 shown]
	ds_bpermute_b32 v80, v115, v0
	v_cndmask_b32_e64 v92, v2, v125, s[6:7]
	v_cndmask_b32_e64 v37, v68, v122, s[6:7]
	v_cndmask_b32_e32 v53, v7, v123, vcc
	v_cndmask_b32_e64 v38, v38, v123, s[68:69]
	s_waitcnt lgkmcnt(0)
	v_cndmask_b32_e64 v2, v4, v80, s[10:11]
	v_cndmask_b32_e64 v4, v9, v80, s[12:13]
	;; [unrolled: 1-line block ×7, first 2 shown]
	v_cndmask_b32_e32 v19, v6, v122, vcc
	v_cndmask_b32_e64 v20, v23, v122, s[68:69]
	v_cndmask_b32_e64 v6, v20, v19, s[70:71]
	;; [unrolled: 1-line block ×19, first 2 shown]
	v_cndmask_b32_e32 v93, v70, v125, vcc
	v_cndmask_b32_e64 v70, v54, v124, s[68:69]
	ds_bpermute_b32 v54, v115, v6
	v_cndmask_b32_e64 v6, v38, v53, s[70:71]
	v_cndmask_b32_e64 v6, v6, v52, s[64:65]
	;; [unrolled: 1-line block ×15, first 2 shown]
	v_cndmask_b32_e32 v69, v8, v124, vcc
	v_cmp_eq_u32_e64 s[6:7], 0, v99
	v_cndmask_b32_e64 v6, v6, v39, s[40:41]
	v_cndmask_b32_e64 v0, v3, v80, s[8:9]
	;; [unrolled: 1-line block ×10, first 2 shown]
	ds_bpermute_b32 v80, v115, v6
	v_cndmask_b32_e64 v6, v70, v69, s[70:71]
	v_cndmask_b32_e64 v6, v6, v68, s[64:65]
	;; [unrolled: 1-line block ×16, first 2 shown]
	ds_bpermute_b32 v81, v115, v6
	v_cndmask_b32_e64 v6, v107, v93, s[70:71]
	v_cndmask_b32_e64 v6, v6, v92, s[64:65]
	;; [unrolled: 1-line block ×19, first 2 shown]
	ds_bpermute_b32 v82, v115, v6
	s_waitcnt vmcnt(0)
	v_cmp_eq_u32_e64 s[20:21], 1, v83
	v_cmp_eq_u32_e64 s[46:47], 2, v83
	s_waitcnt lgkmcnt(3)
	v_cndmask_b32_e64 v22, v25, v54, s[42:43]
	v_cndmask_b32_e64 v6, v1, v18, s[20:21]
	s_waitcnt lgkmcnt(0)
	v_cndmask_b32_e64 v108, v72, v82, s[40:41]
	v_cndmask_b32_e64 v6, v6, v17, s[46:47]
	;; [unrolled: 1-line block ×5, first 2 shown]
	v_cmp_eq_u32_e64 s[42:43], 3, v83
	v_cndmask_b32_e64 v21, v24, v54, s[40:41]
	v_cndmask_b32_e64 v39, v39, v80, s[40:41]
	;; [unrolled: 1-line block ×4, first 2 shown]
	v_cmp_eq_u32_e64 s[40:41], 4, v83
	v_cndmask_b32_e64 v117, v74, v82, s[44:45]
	v_cndmask_b32_e64 v24, v27, v54, s[48:49]
	;; [unrolled: 1-line block ×6, first 2 shown]
	v_cmp_eq_u32_e64 s[48:49], 5, v83
	v_cndmask_b32_e64 v25, v28, v54, s[54:55]
	v_cndmask_b32_e64 v43, v43, v80, s[54:55]
	;; [unrolled: 1-line block ×5, first 2 shown]
	v_cmp_eq_u32_e64 s[54:55], 6, v83
	scratch_load_dword v99, off, off offset:52 ; 4-byte Folded Reload
	v_cmp_eq_u32_e64 s[68:69], 7, v83
	v_cndmask_b32_e64 v6, v6, v13, s[54:55]
	v_cmp_eq_u32_e64 s[76:77], 8, v83
	v_cndmask_b32_e64 v6, v6, v12, s[68:69]
	v_cndmask_b32_e64 v121, v78, v82, s[52:53]
	;; [unrolled: 1-line block ×7, first 2 shown]
	v_cmp_eq_u32_e64 s[72:73], 9, v83
	v_cmp_eq_u32_e64 s[78:79], 10, v83
	;; [unrolled: 1-line block ×3, first 2 shown]
	v_cndmask_b32_e64 v6, v6, v10, s[72:73]
	v_cndmask_b32_e64 v6, v6, v9, s[78:79]
	;; [unrolled: 1-line block ×3, first 2 shown]
	v_cmp_eq_u32_e64 s[82:83], 12, v83
	v_cndmask_b32_e64 v23, v26, v54, s[44:45]
	v_cndmask_b32_e64 v26, v29, v54, s[50:51]
	;; [unrolled: 1-line block ×8, first 2 shown]
	v_cmp_eq_u32_e64 s[62:63], 13, v83
	v_cmp_eq_u32_e64 s[86:87], 14, v83
	;; [unrolled: 1-line block ×3, first 2 shown]
	v_cndmask_b32_e64 v6, v6, v3, s[62:63]
	v_cndmask_b32_e64 v6, v6, v2, s[86:87]
	v_cndmask_b32_e64 v6, v6, v0, s[90:91]
	v_cndmask_b32_e64 v27, v30, v54, s[52:53]
	v_cndmask_b32_e64 v30, v33, v54, s[58:59]
	v_cndmask_b32_e64 v33, v36, v54, s[66:67]
	ds_bpermute_b32 v36, v115, v6
	v_cndmask_b32_e64 v35, v19, v54, s[70:71]
	v_cndmask_b32_e64 v20, v20, v54, s[38:39]
	;; [unrolled: 1-line block ×4, first 2 shown]
	s_waitcnt lgkmcnt(0)
	v_cndmask_b32_e64 v7, v10, v36, s[72:73]
	v_cndmask_b32_e64 v10, v13, v36, s[54:55]
	;; [unrolled: 1-line block ×21, first 2 shown]
	ds_bpermute_b32 v102, v115, v16
	v_cndmask_b32_e64 v16, v54, v53, s[36:37]
	v_cndmask_b32_e64 v51, v51, v80, s[66:67]
	;; [unrolled: 1-line block ×25, first 2 shown]
	ds_bpermute_b32 v103, v115, v16
	v_cndmask_b32_e64 v16, v70, v69, s[36:37]
	v_cndmask_b32_e64 v67, v67, v81, s[66:67]
	;; [unrolled: 1-line block ×26, first 2 shown]
	ds_bpermute_b32 v104, v115, v16
	v_cndmask_b32_e64 v16, v107, v110, s[36:37]
	v_cndmask_b32_e64 v125, v91, v82, s[66:67]
	;; [unrolled: 1-line block ×19, first 2 shown]
	ds_bpermute_b32 v105, v115, v16
	v_cmp_eq_u32_e64 s[50:51], 0, v83
	v_cndmask_b32_e64 v6, v9, v36, s[78:79]
	v_cndmask_b32_e64 v9, v12, v36, s[68:69]
	v_cndmask_b32_e64 v12, v15, v36, s[40:41]
	v_cndmask_b32_e64 v15, v18, v36, s[20:21]
	v_cndmask_b32_e64 v1, v1, v36, s[50:51]
	s_waitcnt vmcnt(0)
	v_cmp_eq_u32_e32 vcc, 1, v99
	v_cndmask_b32_e64 v8, v11, v36, s[76:77]
	v_cndmask_b32_e64 v11, v14, v36, s[48:49]
	;; [unrolled: 1-line block ×3, first 2 shown]
	v_cndmask_b32_e32 v16, v1, v15, vcc
	s_waitcnt lgkmcnt(3)
	v_cndmask_b32_e64 v21, v21, v102, s[8:9]
	s_waitcnt lgkmcnt(2)
	v_cndmask_b32_e64 v55, v39, v103, s[8:9]
	s_waitcnt lgkmcnt(1)
	v_cndmask_b32_e64 v71, v71, v104, s[8:9]
	s_waitcnt lgkmcnt(0)
	v_cndmask_b32_e64 v108, v108, v105, s[8:9]
	v_cmp_eq_u32_e64 s[8:9], 2, v99
	v_cndmask_b32_e64 v0, v0, v36, s[90:91]
	v_cndmask_b32_e64 v2, v2, v36, s[86:87]
	;; [unrolled: 1-line block ×10, first 2 shown]
	v_cmp_eq_u32_e64 s[10:11], 3, v99
	v_cmp_eq_u32_e64 s[44:45], 4, v99
	;; [unrolled: 1-line block ×3, first 2 shown]
	v_cndmask_b32_e64 v16, v16, v13, s[10:11]
	v_cndmask_b32_e64 v16, v16, v12, s[44:45]
	;; [unrolled: 1-line block ×3, first 2 shown]
	v_cmp_eq_u32_e64 s[56:57], 6, v99
	v_cmp_eq_u32_e64 s[58:59], 7, v99
	;; [unrolled: 1-line block ×3, first 2 shown]
	v_cndmask_b32_e64 v16, v16, v10, s[56:57]
	v_cndmask_b32_e64 v16, v16, v9, s[58:59]
	;; [unrolled: 1-line block ×3, first 2 shown]
	v_cmp_eq_u32_e64 s[64:65], 9, v99
	v_cmp_eq_u32_e64 s[70:71], 10, v99
	v_cndmask_b32_e64 v28, v28, v102, s[74:75]
	v_cndmask_b32_e64 v16, v16, v7, s[64:65]
	;; [unrolled: 1-line block ×6, first 2 shown]
	v_cmp_eq_u32_e64 s[74:75], 11, v99
	v_cmp_eq_u32_e64 s[66:67], 12, v99
	v_cndmask_b32_e64 v37, v23, v102, s[84:85]
	v_cndmask_b32_e64 v16, v16, v5, s[74:75]
	;; [unrolled: 1-line block ×6, first 2 shown]
	v_cmp_eq_u32_e64 s[84:85], 13, v99
	v_cndmask_b32_e64 v33, v33, v102, s[88:89]
	v_cndmask_b32_e64 v51, v51, v103, s[88:89]
	;; [unrolled: 1-line block ×5, first 2 shown]
	v_cmp_eq_u32_e64 s[88:89], 14, v99
	v_cndmask_b32_e64 v32, v32, v102, s[92:93]
	v_cndmask_b32_e64 v50, v50, v103, s[92:93]
	;; [unrolled: 1-line block ×5, first 2 shown]
	v_cmp_eq_u32_e64 s[92:93], 15, v99
	v_cndmask_b32_e64 v41, v27, v102, s[18:19]
	v_cndmask_b32_e64 v58, v42, v103, s[12:13]
	;; [unrolled: 1-line block ×3, first 2 shown]
	ds_bpermute_b32 v27, v115, v16
	v_cndmask_b32_e64 v31, v31, v102, s[94:95]
	v_cndmask_b32_e64 v49, v49, v103, s[94:95]
	;; [unrolled: 1-line block ×4, first 2 shown]
	s_waitcnt lgkmcnt(0)
	v_cndmask_b32_e64 v18, v5, v27, s[74:75]
	scratch_load_dword v5, off, off offset:56 ; 4-byte Folded Reload
	v_cndmask_b32_e64 v35, v35, v102, s[36:37]
	v_cmp_eq_u32_e64 s[94:95], 0, v99
	v_cndmask_b32_e64 v42, v20, v102, s[6:7]
	v_cndmask_b32_e64 v38, v24, v102, s[12:13]
	;; [unrolled: 1-line block ×18, first 2 shown]
	v_cndmask_b32_e32 v15, v15, v27, vcc
	v_cndmask_b32_e64 v27, v1, v27, s[94:95]
	v_cndmask_b32_e64 v1, v42, v35, s[20:21]
	;; [unrolled: 1-line block ×22, first 2 shown]
	ds_bpermute_b32 v106, v115, v1
	v_cndmask_b32_e64 v1, v65, v64, s[20:21]
	v_cndmask_b32_e64 v1, v1, v52, s[46:47]
	;; [unrolled: 1-line block ×28, first 2 shown]
	ds_bpermute_b32 v99, v115, v1
	v_cndmask_b32_e64 v1, v119, v118, s[20:21]
	v_cndmask_b32_e64 v3, v102, v110, s[20:21]
	;; [unrolled: 1-line block ×37, first 2 shown]
	s_waitcnt vmcnt(0)
	v_cmp_eq_u32_e64 s[6:7], 1, v5
	v_cndmask_b32_e64 v1, v1, v71, s[90:91]
	v_cndmask_b32_e64 v3, v3, v108, s[90:91]
	ds_bpermute_b32 v1, v115, v1
	ds_bpermute_b32 v3, v115, v3
	v_cndmask_b32_e64 v4, v27, v15, s[6:7]
	v_cmp_eq_u32_e64 s[12:13], 2, v5
	v_cmp_eq_u32_e64 s[14:15], 3, v5
	;; [unrolled: 1-line block ×3, first 2 shown]
	v_cndmask_b32_e64 v4, v4, v14, s[12:13]
	v_cndmask_b32_e64 v4, v4, v13, s[14:15]
	;; [unrolled: 1-line block ×3, first 2 shown]
	v_cmp_eq_u32_e64 s[18:19], 5, v5
	v_cmp_eq_u32_e64 s[22:23], 6, v5
	s_waitcnt lgkmcnt(3)
	v_cndmask_b32_e64 v53, v40, v106, s[78:79]
	v_cndmask_b32_e64 v4, v4, v26, s[18:19]
	;; [unrolled: 1-line block ×3, first 2 shown]
	s_waitcnt lgkmcnt(2)
	v_cndmask_b32_e64 v78, v60, v99, s[78:79]
	s_waitcnt lgkmcnt(1)
	v_cndmask_b32_e64 v125, v76, v1, s[78:79]
	s_waitcnt lgkmcnt(0)
	v_cndmask_b32_e64 v80, v80, v3, s[78:79]
	v_cmp_eq_u32_e64 s[78:79], 7, v5
	v_cndmask_b32_e64 v54, v41, v106, s[72:73]
	v_cndmask_b32_e64 v61, v61, v99, s[72:73]
	;; [unrolled: 1-line block ×5, first 2 shown]
	v_cmp_eq_u32_e64 s[72:73], 8, v5
	v_cndmask_b32_e64 v66, v55, v99, s[90:91]
	v_cndmask_b32_e64 v55, v28, v106, s[76:77]
	;; [unrolled: 1-line block ×6, first 2 shown]
	v_cmp_eq_u32_e64 s[76:77], 9, v5
	v_cmp_eq_u32_e64 s[34:35], 10, v5
	;; [unrolled: 1-line block ×3, first 2 shown]
	v_cndmask_b32_e64 v4, v4, v22, s[76:77]
	v_cndmask_b32_e64 v4, v4, v19, s[34:35]
	v_cndmask_b32_e64 v4, v4, v18, s[36:37]
	v_cmp_eq_u32_e64 s[38:39], 12, v5
	v_cndmask_b32_e64 v120, v71, v1, s[90:91]
	v_cndmask_b32_e64 v121, v72, v1, s[86:87]
	v_cndmask_b32_e64 v87, v63, v99, s[68:69]
	v_cndmask_b32_e64 v4, v4, v17, s[38:39]
	v_cndmask_b32_e64 v105, v32, v106, s[40:41]
	v_cndmask_b32_e64 v63, v50, v99, s[40:41]
	v_cndmask_b32_e64 v71, v92, v1, s[40:41]
	v_cndmask_b32_e64 v72, v97, v3, s[40:41]
	v_cmp_eq_u32_e64 s[40:41], 13, v5
	v_cndmask_b32_e64 v68, v57, v99, s[62:63]
	v_cndmask_b32_e64 v123, v74, v1, s[82:83]
	v_cndmask_b32_e64 v57, v30, v106, s[54:55]
	v_cndmask_b32_e64 v4, v4, v16, s[40:41]
	v_cndmask_b32_e64 v74, v33, v106, s[42:43]
	;; [unrolled: 9-line block ×3, first 2 shown]
	v_cmp_eq_u32_e64 s[46:47], 15, v5
	v_cndmask_b32_e64 v67, v56, v99, s[86:87]
	v_cndmask_b32_e64 v104, v109, v3, s[86:87]
	;; [unrolled: 1-line block ×3, first 2 shown]
	ds_bpermute_b32 v28, v115, v8
	v_cndmask_b32_e64 v69, v58, v99, s[82:83]
	v_cndmask_b32_e64 v70, v59, v99, s[80:81]
	;; [unrolled: 1-line block ×5, first 2 shown]
	s_waitcnt lgkmcnt(0)
	v_cndmask_b32_e64 v9, v2, v28, s[42:43]
	v_cndmask_b32_e64 v10, v16, v28, s[40:41]
	;; [unrolled: 1-line block ×5, first 2 shown]
	scratch_load_dword v99, off, off offset:60 ; 4-byte Folded Reload
	v_cndmask_b32_e64 v11, v17, v28, s[38:39]
	v_cndmask_b32_e64 v20, v18, v28, s[36:37]
	;; [unrolled: 1-line block ×8, first 2 shown]
	v_cmp_eq_u32_e64 s[20:21], 0, v5
	v_cndmask_b32_e64 v43, v21, v106, s[90:91]
	v_cndmask_b32_e64 v8, v0, v28, s[46:47]
	;; [unrolled: 1-line block ×16, first 2 shown]
	v_cndmask_b32_e32 v1, v28, v12, vcc
	v_cndmask_b32_e64 v1, v1, v93, s[8:9]
	v_cndmask_b32_e64 v1, v1, v74, s[10:11]
	;; [unrolled: 1-line block ×20, first 2 shown]
	ds_bpermute_b32 v42, v115, v1
	v_cndmask_b32_e32 v1, v16, v13, vcc
	v_cndmask_b32_e64 v1, v1, v4, s[8:9]
	v_cndmask_b32_e64 v1, v1, v60, s[10:11]
	;; [unrolled: 1-line block ×14, first 2 shown]
	ds_bpermute_b32 v29, v115, v1
	v_cndmask_b32_e32 v1, v19, v14, vcc
	v_cndmask_b32_e64 v1, v1, v97, s[8:9]
	v_cndmask_b32_e64 v1, v1, v30, s[10:11]
	;; [unrolled: 1-line block ×15, first 2 shown]
	ds_bpermute_b32 v31, v115, v1
	v_cndmask_b32_e32 v1, v27, v15, vcc
	v_cndmask_b32_e64 v1, v1, v7, s[8:9]
	v_cndmask_b32_e64 v1, v1, v6, s[10:11]
	;; [unrolled: 1-line block ×20, first 2 shown]
	ds_bpermute_b32 v40, v115, v1
	s_waitcnt vmcnt(0)
	v_cmp_eq_u32_e64 s[48:49], 1, v99
	v_cmp_eq_u32_e64 s[50:51], 2, v99
	;; [unrolled: 1-line block ×3, first 2 shown]
	v_cndmask_b32_e64 v1, v0, v18, s[48:49]
	v_cndmask_b32_e64 v1, v1, v17, s[50:51]
	;; [unrolled: 1-line block ×3, first 2 shown]
	v_cmp_eq_u32_e64 s[62:63], 4, v99
	s_waitcnt lgkmcnt(3)
	v_cndmask_b32_e64 v75, v46, v42, s[66:67]
	s_waitcnt lgkmcnt(2)
	v_cndmask_b32_e64 v39, v69, v29, s[66:67]
	v_cndmask_b32_e64 v1, v1, v92, s[62:63]
	s_waitcnt lgkmcnt(1)
	v_cndmask_b32_e64 v35, v123, v31, s[66:67]
	s_waitcnt lgkmcnt(0)
	v_cndmask_b32_e64 v51, v85, v40, s[66:67]
	v_cmp_eq_u32_e64 s[66:67], 5, v99
	v_cmp_eq_u32_e64 s[68:69], 6, v99
	v_cndmask_b32_e64 v59, v43, v42, s[92:93]
	v_cndmask_b32_e64 v1, v1, v26, s[66:67]
	v_cndmask_b32_e64 v1, v1, v25, s[68:69]
	v_cndmask_b32_e64 v77, v53, v42, s[70:71]
	v_cndmask_b32_e64 v43, v78, v29, s[70:71]
	v_cndmask_b32_e64 v53, v125, v31, s[70:71]
	v_cndmask_b32_e64 v65, v80, v40, s[70:71]
	v_cmp_eq_u32_e64 s[70:71], 7, v99
	v_cndmask_b32_e64 v36, v66, v29, s[92:93]
	v_cndmask_b32_e64 v62, v44, v42, s[88:89]
	v_cndmask_b32_e64 v1, v1, v24, s[70:71]
	v_cndmask_b32_e64 v78, v54, v42, s[64:65]
	v_cndmask_b32_e64 v44, v61, v29, s[64:65]
	v_cndmask_b32_e64 v54, v126, v31, s[64:65]
	v_cndmask_b32_e64 v66, v81, v40, s[64:65]
	;; [unrolled: 8-line block ×3, first 2 shown]
	v_cmp_eq_u32_e64 s[60:61], 9, v99
	v_cndmask_b32_e64 v38, v68, v29, s[84:85]
	v_cndmask_b32_e64 v86, v56, v42, s[58:59]
	v_cndmask_b32_e64 v1, v1, v22, s[60:61]
	v_cndmask_b32_e64 v46, v87, v29, s[58:59]
	v_cndmask_b32_e64 v56, v108, v31, s[58:59]
	v_cndmask_b32_e64 v68, v83, v40, s[58:59]
	v_cmp_eq_u32_e64 s[58:59], 10, v99
	v_cndmask_b32_e64 v76, v47, v42, s[74:75]
	v_cndmask_b32_e64 v87, v57, v42, s[56:57]
	v_cndmask_b32_e64 v1, v1, v21, s[58:59]
	v_cndmask_b32_e64 v47, v89, v29, s[56:57]
	v_cndmask_b32_e64 v57, v109, v31, s[56:57]
	v_cndmask_b32_e64 v69, v96, v40, s[56:57]
	;; [unrolled: 7-line block ×3, first 2 shown]
	v_cmp_eq_u32_e64 s[52:53], 12, v99
	v_cndmask_b32_e64 v82, v105, v42, s[44:45]
	v_cndmask_b32_e64 v81, v63, v29, s[44:45]
	v_cndmask_b32_e64 v1, v1, v11, s[52:53]
	v_cndmask_b32_e64 v63, v71, v31, s[44:45]
	v_cndmask_b32_e64 v71, v72, v40, s[44:45]
	v_cmp_eq_u32_e64 s[44:45], 13, v99
	v_cndmask_b32_e64 v74, v74, v42, s[10:11]
	v_cndmask_b32_e64 v60, v60, v29, s[10:11]
	v_cndmask_b32_e64 v1, v1, v10, s[44:45]
	v_cndmask_b32_e64 v72, v30, v31, s[10:11]
	v_cndmask_b32_e64 v83, v6, v40, s[10:11]
	;; [unrolled: 6-line block ×3, first 2 shown]
	v_cndmask_b32_e64 v89, v7, v40, s[8:9]
	v_cmp_eq_u32_e64 s[8:9], 15, v99
	v_cndmask_b32_e32 v91, v12, v42, vcc
	v_cndmask_b32_e32 v93, v13, v29, vcc
	v_cndmask_b32_e64 v1, v1, v8, s[8:9]
	ds_bpermute_b32 v90, v115, v1
	v_cndmask_b32_e32 v96, v15, v40, vcc
	v_cndmask_b32_e32 v94, v14, v31, vcc
	v_cndmask_b32_e64 v16, v16, v29, s[94:95]
	v_cndmask_b32_e64 v32, v120, v31, s[92:93]
	s_waitcnt lgkmcnt(0)
	v_cndmask_b32_e64 v12, v11, v90, s[52:53]
	v_cndmask_b32_e64 v11, v20, v90, s[56:57]
	;; [unrolled: 1-line block ×20, first 2 shown]
	ds_bpermute_b32 v21, v115, v1
	v_cndmask_b32_e64 v3, v2, v90, s[54:55]
	v_cndmask_b32_e64 v2, v17, v90, s[50:51]
	;; [unrolled: 1-line block ×4, first 2 shown]
	s_waitcnt lgkmcnt(0)
	v_cndmask_b32_e64 v17, v59, v21, s[46:47]
	v_cndmask_b32_e64 v42, v78, v21, s[76:77]
	v_cndmask_b32_e64 v59, v79, v21, s[72:73]
	v_cndmask_b32_e64 v78, v91, v21, s[6:7]
	v_cndmask_b32_e64 v79, v20, v21, s[20:21]
	v_cndmask_b32_e64 v25, v77, v21, s[34:35]
	v_cndmask_b32_e64 v77, v30, v21, s[12:13]
	v_cndmask_b32_e64 v20, v79, v78, s[48:49]
	v_cndmask_b32_e64 v74, v74, v21, s[14:15]
	v_cndmask_b32_e64 v20, v20, v77, s[50:51]
	v_cndmask_b32_e64 v24, v76, v21, s[36:37]
	v_cndmask_b32_e64 v76, v82, v21, s[16:17]
	v_cndmask_b32_e64 v20, v20, v74, s[54:55]
	v_cndmask_b32_e64 v15, v8, v90, s[8:9]
	v_cndmask_b32_e64 v8, v23, v90, s[64:65]
	v_cndmask_b32_e64 v23, v75, v21, s[38:39]
	v_cndmask_b32_e64 v75, v80, v21, s[18:19]
	v_cndmask_b32_e64 v20, v20, v76, s[62:63]
	v_cndmask_b32_e64 v14, v9, v90, s[10:11]
	v_cndmask_b32_e64 v9, v22, v90, s[60:61]
	v_cndmask_b32_e64 v22, v73, v21, s[40:41]
	v_cndmask_b32_e64 v73, v87, v21, s[22:23]
	v_cndmask_b32_e64 v20, v20, v75, s[66:67]
	v_cndmask_b32_e64 v1, v18, v90, s[48:49]
	v_cndmask_b32_e64 v18, v62, v21, s[42:43]
	v_cndmask_b32_e64 v62, v86, v21, s[78:79]
	v_cndmask_b32_e64 v20, v20, v73, s[68:69]
	v_cndmask_b32_e64 v20, v20, v62, s[70:71]
	v_cndmask_b32_e64 v20, v20, v59, s[64:65]
	v_cndmask_b32_e64 v20, v20, v42, s[60:61]
	v_cndmask_b32_e64 v20, v20, v25, s[58:59]
	v_cndmask_b32_e64 v20, v20, v24, s[56:57]
	v_cndmask_b32_e64 v20, v20, v23, s[52:53]
	v_cndmask_b32_e64 v20, v20, v22, s[44:45]
	v_cndmask_b32_e64 v20, v20, v18, s[10:11]
	v_cndmask_b32_e64 v20, v20, v17, s[8:9]
	ds_bpermute_b32 v80, v115, v20
	v_cndmask_b32_e64 v33, v121, v31, s[88:89]
	v_cndmask_b32_e64 v34, v122, v31, s[84:85]
	;; [unrolled: 1-line block ×4, first 2 shown]
	s_waitcnt lgkmcnt(0)
	v_cndmask_b32_e64 v31, v17, v80, s[8:9]
	v_cndmask_b32_e64 v17, v16, v93, s[6:7]
	v_cndmask_b32_e64 v17, v17, v84, s[12:13]
	v_cndmask_b32_e64 v17, v17, v60, s[14:15]
	v_cndmask_b32_e64 v17, v17, v81, s[16:17]
	v_cndmask_b32_e64 v17, v17, v61, s[18:19]
	v_cndmask_b32_e64 v17, v17, v47, s[22:23]
	v_cndmask_b32_e64 v17, v17, v46, s[78:79]
	v_cndmask_b32_e64 v17, v17, v45, s[72:73]
	v_cndmask_b32_e64 v17, v17, v44, s[76:77]
	v_cndmask_b32_e64 v17, v17, v43, s[34:35]
	v_cndmask_b32_e64 v17, v17, v41, s[36:37]
	v_cndmask_b32_e64 v17, v17, v39, s[38:39]
	v_cndmask_b32_e64 v17, v17, v38, s[40:41]
	v_cndmask_b32_e64 v17, v17, v37, s[42:43]
	v_cndmask_b32_e64 v17, v17, v36, s[46:47]
	ds_bpermute_b32 v17, v115, v17
	v_cndmask_b32_e64 v20, v76, v80, s[62:63]
	v_cndmask_b32_e64 v21, v75, v80, s[66:67]
	;; [unrolled: 1-line block ×4, first 2 shown]
	s_waitcnt lgkmcnt(0)
	v_cndmask_b32_e64 v76, v81, v17, s[16:17]
	v_cndmask_b32_e64 v81, v84, v17, s[12:13]
	;; [unrolled: 1-line block ×38, first 2 shown]
	v_cmp_eq_u32_e32 vcc, 0, v99
	v_cndmask_b32_e64 v16, v16, v36, s[8:9]
	v_cndmask_b32_e64 v5, v26, v90, s[66:67]
	;; [unrolled: 1-line block ×3, first 2 shown]
	v_cndmask_b32_e32 v0, v0, v90, vcc
	ds_bpermute_b32 v90, v115, v16
	v_cndmask_b32_e64 v26, v25, v80, s[58:59]
	v_cndmask_b32_e64 v25, v42, v80, s[60:61]
	;; [unrolled: 1-line block ×4, first 2 shown]
	s_waitcnt lgkmcnt(0)
	v_cndmask_b32_e64 v47, v36, v90, s[8:9]
	v_cndmask_b32_e64 v36, v82, v94, s[6:7]
	;; [unrolled: 1-line block ×18, first 2 shown]
	ds_bpermute_b32 v59, v115, v36
	v_cndmask_b32_e64 v18, v77, v80, s[50:51]
	v_cndmask_b32_e64 v17, v78, v80, s[48:49]
	v_cndmask_b32_e32 v16, v79, v80, vcc
	v_cndmask_b32_e64 v46, v37, v90, s[10:11]
	s_waitcnt lgkmcnt(0)
	v_cndmask_b32_e64 v80, v94, v59, s[6:7]
	v_cndmask_b32_e64 v82, v82, v59, s[20:21]
	;; [unrolled: 1-line block ×39, first 2 shown]
	ds_bpermute_b32 v85, v115, v32
	v_cndmask_b32_e64 v35, v60, v90, s[54:55]
	v_cndmask_b32_e64 v34, v81, v90, s[50:51]
	v_cndmask_b32_e64 v33, v84, v90, s[48:49]
	v_cndmask_b32_e32 v32, v87, v90, vcc
	s_waitcnt lgkmcnt(0)
	v_cndmask_b32_e64 v59, v52, v85, s[56:57]
	v_cndmask_b32_e64 v52, v86, v96, s[6:7]
	;; [unrolled: 1-line block ×18, first 2 shown]
	ds_bpermute_b32 v73, v115, v52
	v_cndmask_b32_e64 v60, v74, v85, s[52:53]
	v_cndmask_b32_e64 v57, v54, v85, s[60:61]
	v_cndmask_b32_e64 v54, v76, v85, s[68:69]
	v_cndmask_b32_e64 v56, v55, v85, s[64:65]
	s_waitcnt lgkmcnt(0)
	v_cndmask_b32_e64 v90, v96, v73, s[6:7]
	scratch_load_dwordx2 v[96:97], off, off offset:20 ; 8-byte Folded Reload
	v_cndmask_b32_e64 v86, v86, v73, s[20:21]
	v_cndmask_b32_e64 v74, v48, v73, s[46:47]
	;; [unrolled: 1-line block ×31, first 2 shown]
	ds_bpermute_b32 v91, v115, v48
	v_readlane_b32 s6, v127, 30
	v_readlane_b32 s7, v127, 31
	v_readlane_b32 s34, v127, 10
	v_readlane_b32 s36, v127, 12
	v_readlane_b32 s42, v127, 17
	v_cndmask_b32_e64 v62, v62, v85, s[10:11]
	v_cndmask_b32_e64 v58, v53, v85, s[58:59]
	;; [unrolled: 1-line block ×7, first 2 shown]
	v_cndmask_b32_e32 v48, v82, v85, vcc
	s_waitcnt lgkmcnt(0)
	v_cndmask_b32_e64 v79, v74, v91, s[8:9]
	v_cndmask_b32_e64 v78, v75, v91, s[10:11]
	;; [unrolled: 1-line block ×15, first 2 shown]
	v_cndmask_b32_e32 v64, v86, v91, vcc
	s_mov_b32 s12, 0
	v_readlane_b32 s35, v127, 11
	v_readlane_b32 s37, v127, 13
	;; [unrolled: 1-line block ×10, first 2 shown]
                                        ; implicit-def: $sgpr8_sgpr9
	s_waitcnt vmcnt(0)
	v_lshl_add_u64 v[86:87], s[6:7], 0, v[96:97]
	s_mov_b64 s[6:7], 0
	s_branch .LBB373_34
.LBB373_33:                             ;   in Loop: Header=BB373_34 Depth=2
	s_or_b64 exec, exec, s[10:11]
	s_and_b64 s[10:11], exec, s[8:9]
	s_or_b64 s[6:7], s[10:11], s[6:7]
	s_andn2_b64 exec, exec, s[6:7]
	s_cbranch_execz .LBB373_36
.LBB373_34:                             ;   Parent Loop BB373_7 Depth=1
                                        ; =>  This Inner Loop Header: Depth=2
	s_and_b32 s10, s12, 2
	s_and_b32 s11, s5, 24
	s_or_b32 s10, s11, s10
	v_or_b32_e32 v80, s10, v114
	v_add_u32_e32 v81, s99, v80
	v_cmp_gt_u32_e32 vcc, 32, v81
	s_or_b64 s[8:9], s[8:9], exec
	s_and_saveexec_b64 s[10:11], vcc
	s_cbranch_execz .LBB373_33
; %bb.35:                               ;   in Loop: Header=BB373_34 Depth=2
	s_add_i32 s13, s12, 1
	s_set_gpr_idx_on s12, gpr_idx(SRC0)
	v_mov_b32_e32 v81, v0
	s_set_gpr_idx_off
	v_cvt_f16_f32_e32 v82, v81
	s_set_gpr_idx_on s13, gpr_idx(SRC0)
	v_mov_b32_e32 v81, v0
	s_set_gpr_idx_off
	v_cvt_f16_f32_sdwa v83, v81 dst_sel:WORD_1 dst_unused:UNUSED_PAD src0_sel:DWORD
	v_mul_lo_u32 v80, v80, s25
	v_ashrrev_i32_e32 v81, 31, v80
	v_lshl_add_u64 v[80:81], v[80:81], 1, v[86:87]
	v_or_b32_e32 v82, v83, v82
	;;#ASMSTART
	global_atomic_pk_add_f16 v[80:81], v82, off
	
	;;#ASMEND
	s_set_gpr_idx_on s12, gpr_idx(SRC0)
	v_mov_b32_e32 v82, v16
	s_set_gpr_idx_off
	v_cvt_f16_f32_e32 v84, v82
	s_set_gpr_idx_on s13, gpr_idx(SRC0)
	v_mov_b32_e32 v82, v16
	s_set_gpr_idx_off
	v_cvt_f16_f32_sdwa v85, v82 dst_sel:WORD_1 dst_unused:UNUSED_PAD src0_sel:DWORD
	v_lshl_add_u64 v[82:83], v[80:81], 0, 64
	s_mov_b64 s[14:15], 0x80
	s_add_i32 s5, s5, 4
	v_or_b32_e32 v84, v85, v84
	;;#ASMSTART
	global_atomic_pk_add_f16 v[82:83], v84, off
	
	;;#ASMEND
	s_set_gpr_idx_on s12, gpr_idx(SRC0)
	v_mov_b32_e32 v82, v32
	s_set_gpr_idx_off
	v_cvt_f16_f32_e32 v84, v82
	s_set_gpr_idx_on s13, gpr_idx(SRC0)
	v_mov_b32_e32 v82, v32
	s_set_gpr_idx_off
	v_cvt_f16_f32_sdwa v85, v82 dst_sel:WORD_1 dst_unused:UNUSED_PAD src0_sel:DWORD
	v_lshl_add_u64 v[82:83], v[80:81], 0, s[14:15]
	s_mov_b64 s[14:15], 0xc0
	v_or_b32_e32 v84, v85, v84
	;;#ASMSTART
	global_atomic_pk_add_f16 v[82:83], v84, off
	
	;;#ASMEND
	s_set_gpr_idx_on s12, gpr_idx(SRC0)
	v_mov_b32_e32 v82, v48
	s_set_gpr_idx_off
	v_cvt_f16_f32_e32 v84, v82
	s_set_gpr_idx_on s13, gpr_idx(SRC0)
	v_mov_b32_e32 v82, v48
	s_set_gpr_idx_off
	v_cvt_f16_f32_sdwa v85, v82 dst_sel:WORD_1 dst_unused:UNUSED_PAD src0_sel:DWORD
	v_lshl_add_u64 v[82:83], v[80:81], 0, s[14:15]
	s_mov_b64 s[14:15], 0x100
	v_lshl_add_u64 v[80:81], v[80:81], 0, s[14:15]
	v_or_b32_e32 v84, v85, v84
	;;#ASMSTART
	global_atomic_pk_add_f16 v[82:83], v84, off
	
	;;#ASMEND
	s_set_gpr_idx_on s12, gpr_idx(SRC0)
	v_mov_b32_e32 v82, v64
	s_set_gpr_idx_off
	v_cvt_f16_f32_e32 v82, v82
	s_set_gpr_idx_on s13, gpr_idx(SRC0)
	v_mov_b32_e32 v83, v64
	s_set_gpr_idx_off
	s_add_i32 s12, s12, 2
	v_cvt_f16_f32_sdwa v83, v83 dst_sel:WORD_1 dst_unused:UNUSED_PAD src0_sel:DWORD
	s_cmp_eq_u32 s12, 16
	s_cselect_b64 s[14:15], -1, 0
	s_andn2_b64 s[8:9], s[8:9], exec
	s_and_b64 s[14:15], s[14:15], exec
	s_or_b64 s[8:9], s[8:9], s[14:15]
	v_or_b32_e32 v82, v83, v82
	;;#ASMSTART
	global_atomic_pk_add_f16 v[80:81], v82, off
	
	;;#ASMEND
	s_branch .LBB373_33
.LBB373_36:                             ;   in Loop: Header=BB373_7 Depth=1
	s_or_b64 exec, exec, s[6:7]
	scratch_load_dword v85, off, off offset:28 ; 4-byte Folded Reload
	v_readlane_b32 s16, v127, 2
	v_readlane_b32 s14, v127, 0
	;; [unrolled: 1-line block ×13, first 2 shown]
.LBB373_37:                             ;   in Loop: Header=BB373_7 Depth=1
	v_readlane_b32 s6, v127, 25
	v_readlane_b32 s7, v127, 26
	s_or_b64 exec, exec, s[6:7]
.LBB373_38:                             ;   in Loop: Header=BB373_7 Depth=1
	s_or_saveexec_b64 s[0:1], s[0:1]
	v_readlane_b32 s48, v127, 23
	s_mov_b32 s13, s4
	v_readlane_b32 s49, v127, 24
	s_xor_b64 exec, exec, s[0:1]
	s_cbranch_execz .LBB373_47
; %bb.39:                               ;   in Loop: Header=BB373_7 Depth=1
	s_mul_i32 s12, s98, 5
	v_cmp_gt_i32_e32 vcc, s12, v116
	s_and_saveexec_b64 s[6:7], vcc
	s_cbranch_execz .LBB373_46
; %bb.40:                               ;   in Loop: Header=BB373_7 Depth=1
	scratch_load_dwordx2 v[0:1], off, off offset:80 ; 8-byte Folded Reload
	scratch_load_dwordx2 v[2:3], off, off offset:8 ; 8-byte Folded Reload
	s_mul_i32 s4, s68, s27
	s_ashr_i32 s5, s4, 31
	s_add_u32 s4, s18, s4
	s_addc_u32 s5, s19, s5
	s_ashr_i32 s8, s13, 31
	s_add_u32 s4, s4, s13
	s_addc_u32 s5, s5, s8
	s_waitcnt vmcnt(1)
	v_lshl_add_u64 v[0:1], s[4:5], 0, v[0:1]
	s_waitcnt vmcnt(0)
	v_lshl_add_u64 v[8:9], v[0:1], 0, v[2:3]
	s_mov_b64 s[4:5], 0
	s_branch .LBB373_42
.LBB373_41:                             ;   in Loop: Header=BB373_42 Depth=2
	s_or_b64 exec, exec, s[8:9]
	v_lshl_or_b32 v12, v10, 11, v111
	;;#ASMSTART
	s_waitcnt vmcnt(1)
	;;#ASMEND
	ds_write2_b32 v12, v4, v5 offset1:32
	ds_write2_b32 v12, v6, v7 offset0:64 offset1:96
	v_add_u32_e32 v4, 0x400, v12
	v_add_u32_e32 v116, s30, v116
	;;#ASMSTART
	s_waitcnt vmcnt(0)
	;;#ASMEND
	ds_write2_b32 v4, v0, v1 offset1:32
	ds_write2_b32 v4, v2, v3 offset0:64 offset1:96
	v_add_u32_e32 v0, 1, v95
	v_add_u32_e32 v88, s30, v10
	v_cmp_le_i32_e32 vcc, s12, v116
	ds_write_b32 v11, v0 offset:48
	v_add_u32_e32 v0, 2, v95
	s_or_b64 s[4:5], vcc, s[4:5]
	v_cmp_lt_i32_e32 vcc, 14, v88
	s_nop 1
	v_cndmask_b32_e32 v95, v95, v0, vcc
	s_andn2_b64 exec, exec, s[4:5]
	s_cbranch_execz .LBB373_45
.LBB373_42:                             ;   Parent Loop BB373_7 Depth=1
                                        ; =>  This Loop Header: Depth=2
                                        ;       Child Loop BB373_44 Depth 3
	v_cmp_gt_i32_e32 vcc, 15, v88
	s_mov_b32 s8, 0x66666667
	s_nop 0
	v_cndmask_b32_e64 v0, -15, 0, vcc
	v_add_u32_e32 v10, v0, v88
	v_mul_hi_i32 v0, v116, s8
	v_lshrrev_b32_e32 v1, 31, v0
	v_ashrrev_i32_e32 v0, 1, v0
	v_add_u32_e32 v0, v0, v1
	v_lshl_add_u32 v1, v0, 2, v0
	v_sub_u32_e32 v2, v116, v1
	v_lshlrev_b32_e32 v0, 6, v0
	v_ashrrev_i32_e32 v1, 31, v0
	v_mul_lo_u32 v2, s33, v2
	v_lshl_add_u64 v[0:1], v[8:9], 0, v[0:1]
	v_ashrrev_i32_e32 v3, 31, v2
	v_lshl_add_u64 v[0:1], v[0:1], 0, v[2:3]
	v_lshlrev_b32_e32 v11, 2, v10
	;;#ASMSTART
	global_load_dwordx4 v[4:7], v[0:1], off offset:0   sc0 sc1 nt  
	global_load_dwordx4 v[0:3], v[0:1], off offset:32  sc0 sc1 nt  
	
	;;#ASMEND
	ds_read_b32 v12, v11 offset:55344
	v_add_u32_e32 v11, 0xd800, v11
	s_waitcnt lgkmcnt(0)
	v_cmp_ne_u32_e32 vcc, v12, v95
	s_and_saveexec_b64 s[8:9], vcc
	s_cbranch_execz .LBB373_41
; %bb.43:                               ;   in Loop: Header=BB373_42 Depth=2
	s_mov_b64 s[10:11], 0
.LBB373_44:                             ;   Parent Loop BB373_7 Depth=1
                                        ;     Parent Loop BB373_42 Depth=2
                                        ; =>    This Inner Loop Header: Depth=3
	;;#ASMSTART
	s_sleep 0
	;;#ASMEND
	ds_read_b32 v12, v11 offset:48
	s_waitcnt lgkmcnt(0)
	v_cmp_eq_u32_e32 vcc, v12, v95
	s_or_b64 s[10:11], vcc, s[10:11]
	s_andn2_b64 exec, exec, s[10:11]
	s_cbranch_execnz .LBB373_44
	s_branch .LBB373_41
.LBB373_45:                             ;   in Loop: Header=BB373_7 Depth=1
	s_or_b64 exec, exec, s[4:5]
.LBB373_46:                             ;   in Loop: Header=BB373_7 Depth=1
	s_or_b64 exec, exec, s[6:7]
	v_subrev_u32_e32 v116, s12, v116
.LBB373_47:                             ;   in Loop: Header=BB373_7 Depth=1
	s_or_b64 exec, exec, s[0:1]
.LBB373_48:                             ;   in Loop: Header=BB373_7 Depth=1
	s_andn2_saveexec_b64 s[0:1], s[48:49]
	s_cbranch_execz .LBB373_6
; %bb.49:                               ;   in Loop: Header=BB373_7 Depth=1
	s_lshl_b32 s12, s98, 2
	v_cmp_gt_i32_e32 vcc, s12, v116
	s_and_saveexec_b64 s[4:5], vcc
	s_cbranch_execz .LBB373_5
; %bb.50:                               ;   in Loop: Header=BB373_7 Depth=1
	scratch_load_dword v0, off, off offset:16 ; 4-byte Folded Reload
	scratch_load_dwordx2 v[4:5], off, off offset:8 ; 8-byte Folded Reload
	s_mul_i32 s6, s47, s26
	s_ashr_i32 s7, s6, 31
	s_add_u32 s6, s16, s6
	s_addc_u32 s7, s17, s7
	s_ashr_i32 s8, s13, 31
	s_add_u32 s6, s6, s13
	s_addc_u32 s7, s7, s8
	s_waitcnt vmcnt(2)
	v_add_u32_e32 v2, s99, v85
	s_movk_i32 s8, 0x80
	v_cmp_gt_u32_e32 vcc, s8, v2
	v_sub_u32_e32 v10, 0x7f, v2
	s_waitcnt vmcnt(1)
	v_cndmask_b32_e32 v0, 0, v0, vcc
	v_ashrrev_i32_e32 v1, 31, v0
	v_lshl_add_u64 v[0:1], s[6:7], 0, v[0:1]
	s_waitcnt vmcnt(0)
	v_lshl_add_u64 v[8:9], v[0:1], 0, v[4:5]
	s_mov_b64 s[6:7], 0
	s_branch .LBB373_52
.LBB373_51:                             ;   in Loop: Header=BB373_52 Depth=2
	s_or_b64 exec, exec, s[8:9]
	v_lshl_add_u32 v13, v11, 11, v113
	;;#ASMSTART
	s_waitcnt vmcnt(1)
	;;#ASMEND
	ds_write2_b32 v13, v4, v5 offset1:32
	ds_write2_b32 v13, v6, v7 offset0:64 offset1:96
	v_add_u32_e32 v4, 0x400, v13
	v_add_u32_e32 v116, s29, v116
	;;#ASMSTART
	s_waitcnt vmcnt(0)
	;;#ASMEND
	ds_write2_b32 v4, v0, v1 offset1:32
	ds_write2_b32 v4, v2, v3 offset0:64 offset1:96
	v_add_u32_e32 v0, 1, v95
	v_add_u32_e32 v88, s29, v11
	v_cmp_le_i32_e32 vcc, s12, v116
	ds_write_b32 v12, v0
	v_add_u32_e32 v0, 2, v95
	s_or_b64 s[6:7], vcc, s[6:7]
	v_cmp_lt_i32_e32 vcc, 11, v88
	s_nop 1
	v_cndmask_b32_e32 v95, v95, v0, vcc
	s_andn2_b64 exec, exec, s[6:7]
	s_cbranch_execz .LBB373_4
.LBB373_52:                             ;   Parent Loop BB373_7 Depth=1
                                        ; =>  This Loop Header: Depth=2
                                        ;       Child Loop BB373_54 Depth 3
	v_cmp_gt_i32_e32 vcc, 12, v88
	s_nop 1
	v_cndmask_b32_e64 v0, -12, 0, vcc
	v_add_u32_e32 v11, v0, v88
	v_ashrrev_i32_e32 v0, 31, v116
	v_lshrrev_b32_e32 v0, 30, v0
	v_add_u32_e32 v0, v116, v0
	v_and_b32_e32 v1, 0x7fffffc, v0
	v_sub_u32_e32 v1, v116, v1
	v_lshlrev_b32_e32 v1, 5, v1
	v_cmp_le_i32_e32 vcc, v1, v10
	v_lshlrev_b32_e32 v0, 4, v0
	v_and_b32_e32 v0, 0xffffffc0, v0
	v_cndmask_b32_e32 v2, 0, v1, vcc
	v_ashrrev_i32_e32 v1, 31, v0
	v_mul_lo_u32 v2, v2, s26
	v_lshl_add_u64 v[0:1], v[8:9], 0, v[0:1]
	v_ashrrev_i32_e32 v3, 31, v2
	v_lshl_add_u64 v[0:1], v[0:1], 0, v[2:3]
	v_lshlrev_b32_e32 v12, 2, v11
	;;#ASMSTART
	global_load_dwordx4 v[4:7], v[0:1], off offset:0   
	global_load_dwordx4 v[0:3], v[0:1], off offset:32  
	
	;;#ASMEND
	ds_read_b32 v13, v12 offset:55296
	v_add_u32_e32 v12, 0xd800, v12
	s_waitcnt lgkmcnt(0)
	v_cmp_ne_u32_e32 vcc, v13, v95
	s_and_saveexec_b64 s[8:9], vcc
	s_cbranch_execz .LBB373_51
; %bb.53:                               ;   in Loop: Header=BB373_52 Depth=2
	s_mov_b64 s[10:11], 0
.LBB373_54:                             ;   Parent Loop BB373_7 Depth=1
                                        ;     Parent Loop BB373_52 Depth=2
                                        ; =>    This Inner Loop Header: Depth=3
	;;#ASMSTART
	s_sleep 0
	;;#ASMEND
	ds_read_b32 v13, v12
	s_waitcnt lgkmcnt(0)
	v_cmp_eq_u32_e32 vcc, v13, v95
	s_or_b64 s[10:11], vcc, s[10:11]
	s_andn2_b64 exec, exec, s[10:11]
	s_cbranch_execnz .LBB373_54
	s_branch .LBB373_51
.LBB373_55:
	s_endpgm
	.section	.rodata,"a",@progbits
	.p2align	6, 0x0
	.amdhsa_kernel _Z19_skinny_gemm_kernelILi4ELi5ELi3ELi32ELi4EEvPKhS1_P6__halfPKfiiiiiiii
		.amdhsa_group_segment_fixed_size 55404
		.amdhsa_private_segment_fixed_size 92
		.amdhsa_kernarg_size 64
		.amdhsa_user_sgpr_count 2
		.amdhsa_user_sgpr_dispatch_ptr 0
		.amdhsa_user_sgpr_queue_ptr 0
		.amdhsa_user_sgpr_kernarg_segment_ptr 1
		.amdhsa_user_sgpr_dispatch_id 0
		.amdhsa_user_sgpr_kernarg_preload_length 0
		.amdhsa_user_sgpr_kernarg_preload_offset 0
		.amdhsa_user_sgpr_private_segment_size 0
		.amdhsa_uses_dynamic_stack 0
		.amdhsa_enable_private_segment 1
		.amdhsa_system_sgpr_workgroup_id_x 1
		.amdhsa_system_sgpr_workgroup_id_y 0
		.amdhsa_system_sgpr_workgroup_id_z 0
		.amdhsa_system_sgpr_workgroup_info 0
		.amdhsa_system_vgpr_workitem_id 0
		.amdhsa_next_free_vgpr 128
		.amdhsa_next_free_sgpr 100
		.amdhsa_accum_offset 128
		.amdhsa_reserve_vcc 1
		.amdhsa_float_round_mode_32 0
		.amdhsa_float_round_mode_16_64 0
		.amdhsa_float_denorm_mode_32 3
		.amdhsa_float_denorm_mode_16_64 3
		.amdhsa_dx10_clamp 1
		.amdhsa_ieee_mode 1
		.amdhsa_fp16_overflow 0
		.amdhsa_tg_split 0
		.amdhsa_exception_fp_ieee_invalid_op 0
		.amdhsa_exception_fp_denorm_src 0
		.amdhsa_exception_fp_ieee_div_zero 0
		.amdhsa_exception_fp_ieee_overflow 0
		.amdhsa_exception_fp_ieee_underflow 0
		.amdhsa_exception_fp_ieee_inexact 0
		.amdhsa_exception_int_div_zero 0
	.end_amdhsa_kernel
	.section	.text._Z19_skinny_gemm_kernelILi4ELi5ELi3ELi32ELi4EEvPKhS1_P6__halfPKfiiiiiiii,"axG",@progbits,_Z19_skinny_gemm_kernelILi4ELi5ELi3ELi32ELi4EEvPKhS1_P6__halfPKfiiiiiiii,comdat
.Lfunc_end373:
	.size	_Z19_skinny_gemm_kernelILi4ELi5ELi3ELi32ELi4EEvPKhS1_P6__halfPKfiiiiiiii, .Lfunc_end373-_Z19_skinny_gemm_kernelILi4ELi5ELi3ELi32ELi4EEvPKhS1_P6__halfPKfiiiiiiii
                                        ; -- End function
	.set _Z19_skinny_gemm_kernelILi4ELi5ELi3ELi32ELi4EEvPKhS1_P6__halfPKfiiiiiiii.num_vgpr, 128
	.set _Z19_skinny_gemm_kernelILi4ELi5ELi3ELi32ELi4EEvPKhS1_P6__halfPKfiiiiiiii.num_agpr, 0
	.set _Z19_skinny_gemm_kernelILi4ELi5ELi3ELi32ELi4EEvPKhS1_P6__halfPKfiiiiiiii.numbered_sgpr, 100
	.set _Z19_skinny_gemm_kernelILi4ELi5ELi3ELi32ELi4EEvPKhS1_P6__halfPKfiiiiiiii.num_named_barrier, 0
	.set _Z19_skinny_gemm_kernelILi4ELi5ELi3ELi32ELi4EEvPKhS1_P6__halfPKfiiiiiiii.private_seg_size, 92
	.set _Z19_skinny_gemm_kernelILi4ELi5ELi3ELi32ELi4EEvPKhS1_P6__halfPKfiiiiiiii.uses_vcc, 1
	.set _Z19_skinny_gemm_kernelILi4ELi5ELi3ELi32ELi4EEvPKhS1_P6__halfPKfiiiiiiii.uses_flat_scratch, 0
	.set _Z19_skinny_gemm_kernelILi4ELi5ELi3ELi32ELi4EEvPKhS1_P6__halfPKfiiiiiiii.has_dyn_sized_stack, 0
	.set _Z19_skinny_gemm_kernelILi4ELi5ELi3ELi32ELi4EEvPKhS1_P6__halfPKfiiiiiiii.has_recursion, 0
	.set _Z19_skinny_gemm_kernelILi4ELi5ELi3ELi32ELi4EEvPKhS1_P6__halfPKfiiiiiiii.has_indirect_call, 0
	.section	.AMDGPU.csdata,"",@progbits
; Kernel info:
; codeLenInByte = 16872
; TotalNumSgprs: 106
; NumVgprs: 128
; NumAgprs: 0
; TotalNumVgprs: 128
; ScratchSize: 92
; MemoryBound: 0
; FloatMode: 240
; IeeeMode: 1
; LDSByteSize: 55404 bytes/workgroup (compile time only)
; SGPRBlocks: 13
; VGPRBlocks: 15
; NumSGPRsForWavesPerEU: 106
; NumVGPRsForWavesPerEU: 128
; AccumOffset: 128
; Occupancy: 4
; WaveLimiterHint : 0
; COMPUTE_PGM_RSRC2:SCRATCH_EN: 1
; COMPUTE_PGM_RSRC2:USER_SGPR: 2
; COMPUTE_PGM_RSRC2:TRAP_HANDLER: 0
; COMPUTE_PGM_RSRC2:TGID_X_EN: 1
; COMPUTE_PGM_RSRC2:TGID_Y_EN: 0
; COMPUTE_PGM_RSRC2:TGID_Z_EN: 0
; COMPUTE_PGM_RSRC2:TIDIG_COMP_CNT: 0
; COMPUTE_PGM_RSRC3_GFX90A:ACCUM_OFFSET: 31
; COMPUTE_PGM_RSRC3_GFX90A:TG_SPLIT: 0
	.section	.text._Z19_skinny_gemm_kernelILi4ELi6ELi1ELi16ELi4EEvPKhS1_P6__halfPKfiiiiiiii,"axG",@progbits,_Z19_skinny_gemm_kernelILi4ELi6ELi1ELi16ELi4EEvPKhS1_P6__halfPKfiiiiiiii,comdat
	.protected	_Z19_skinny_gemm_kernelILi4ELi6ELi1ELi16ELi4EEvPKhS1_P6__halfPKfiiiiiiii ; -- Begin function _Z19_skinny_gemm_kernelILi4ELi6ELi1ELi16ELi4EEvPKhS1_P6__halfPKfiiiiiiii
	.globl	_Z19_skinny_gemm_kernelILi4ELi6ELi1ELi16ELi4EEvPKhS1_P6__halfPKfiiiiiiii
	.p2align	8
	.type	_Z19_skinny_gemm_kernelILi4ELi6ELi1ELi16ELi4EEvPKhS1_P6__halfPKfiiiiiiii,@function
_Z19_skinny_gemm_kernelILi4ELi6ELi1ELi16ELi4EEvPKhS1_P6__halfPKfiiiiiiii: ; @_Z19_skinny_gemm_kernelILi4ELi6ELi1ELi16ELi4EEvPKhS1_P6__halfPKfiiiiiiii
; %bb.0:
	v_cmp_gt_u32_e32 vcc, 10, v0
	v_lshlrev_b32_e32 v1, 2, v0
	s_and_saveexec_b64 s[4:5], vcc
; %bb.1:
	v_mov_b32_e32 v2, 0
	ds_write_b32 v1, v2 offset:20480
; %bb.2:
	s_or_b64 exec, exec, s[4:5]
	s_load_dwordx8 s[20:27], s[0:1], 0x20
	s_mov_b32 s58, 0x2aaaaaab
	s_waitcnt lgkmcnt(0)
	s_barrier
	s_add_i32 s3, s20, 63
	s_ashr_i32 s5, s3, 31
	s_lshr_b32 s5, s5, 26
	s_add_i32 s4, s21, 0x5f
	s_add_i32 s3, s3, s5
	s_ashr_i32 s33, s3, 6
	s_mul_hi_i32 s3, s4, 0x2aaaaaab
	s_lshr_b32 s4, s3, 31
	s_ashr_i32 s56, s3, 4
	s_add_i32 s56, s56, s4
	s_mul_i32 s3, s56, s33
	s_mul_i32 s3, s3, s24
	s_add_i32 s4, s3, 0x12f
	s_mul_hi_i32 s4, s4, 0x6bca1af3
	s_lshr_b32 s5, s4, 31
	s_ashr_i32 s4, s4, 7
	s_add_i32 s4, s4, s5
	s_add_i32 s5, s2, 1
	s_mul_i32 s5, s4, s5
	v_cvt_f64_i32_e32 v[2:3], s3
	v_cvt_f64_u32_e32 v[4:5], s5
	v_min_f64 v[2:3], v[2:3], v[4:5]
	v_cvt_i32_f64_e32 v17, v[2:3]
	s_mul_i32 s57, s4, s2
	v_cmp_ge_i32_e32 vcc, s57, v17
	s_cbranch_vccnz .LBB374_72
; %bb.3:
	v_lshrrev_b32_e32 v3, 6, v0
	s_add_i32 s4, s26, s25
	s_load_dwordx8 s[36:43], s[0:1], 0x0
	v_cmp_le_i32_e64 s[0:1], s4, v3
	v_mov_b32_e32 v2, s25
	v_cmp_le_i32_e64 s[2:3], s25, v3
	v_mov_b32_e32 v4, s26
	v_cndmask_b32_e64 v4, 0, v4, s[0:1]
	v_cndmask_b32_e64 v2, 0, v2, s[2:3]
	s_abs_i32 s5, s24
	v_add_u32_e32 v2, v2, v4
	v_cvt_f32_u32_e32 v4, s5
	s_ashr_i32 s6, s22, 31
	s_lshr_b32 s6, s6, 25
	s_sub_i32 s9, 0, s5
	v_rcp_iflag_f32_e32 v4, v4
	s_add_i32 s6, s22, s6
	s_ashr_i32 s6, s6, 7
	s_abs_i32 s8, s6
	v_mul_f32_e32 v4, 0x4f7ffffe, v4
	v_cvt_u32_f32_e32 v4, v4
	s_xor_b32 s7, s6, s24
	s_ashr_i32 s7, s7, 31
	v_sub_u32_e32 v2, v3, v2
	v_readfirstlane_b32 s10, v4
	s_mul_i32 s9, s9, s10
	s_mul_hi_u32 s9, s10, s9
	s_add_i32 s10, s10, s9
	s_mul_hi_u32 s9, s8, s10
	s_mul_i32 s10, s9, s5
	s_sub_i32 s8, s8, s10
	s_add_i32 s10, s9, 1
	s_sub_i32 s11, s8, s5
	s_cmp_ge_u32 s8, s5
	s_cselect_b32 s9, s10, s9
	s_cselect_b32 s8, s11, s8
	s_add_i32 s10, s9, 1
	s_cmp_ge_u32 s8, s5
	s_cselect_b32 s5, s10, s9
	s_xor_b32 s5, s5, s7
	s_sub_i32 s59, s5, s7
	s_add_i32 s24, s24, -1
	s_mul_i32 s5, s59, s24
	s_add_i32 s4, s4, s27
	s_sub_i32 s60, s6, s5
	v_cmp_gt_i32_e64 s[4:5], s4, v3
	v_lshlrev_b32_e32 v3, 1, v0
	v_lshlrev_b32_e32 v4, 4, v0
	v_and_b32_e32 v1, 60, v1
	v_and_b32_e32 v3, 64, v3
	v_and_b32_e32 v5, 0x100, v4
	v_bfe_u32 v20, v0, 2, 4
	v_or3_b32 v30, v1, v3, v5
	v_and_b32_e32 v8, 14, v0
	v_and_b32_e32 v1, 1, v0
	v_lshrrev_b32_e32 v5, 2, v0
	v_bitop3_b32 v6, v0, 1, v0 bitop3:0xc
	v_and_b32_e32 v18, 48, v4
	v_mul_lo_u32 v4, s23, v20
	v_lshlrev_b32_e32 v3, 1, v1
	scratch_store_dword off, v6, off offset:100 ; 4-byte Folded Spill
	v_and_or_b32 v1, v5, 12, v1
	v_mov_b32_e32 v6, v8
	v_ashrrev_i32_e32 v5, 31, v4
	s_abs_i32 s62, s33
	scratch_store_dwordx2 off, v[6:7], off offset:116 ; 8-byte Folded Spill
	scratch_store_dword off, v1, off offset:104 ; 4-byte Folded Spill
	scratch_store_dwordx2 off, v[4:5], off offset:140 ; 8-byte Folded Spill
	v_cvt_f32_u32_e32 v4, s62
	v_sub_u32_e32 v3, v0, v3
	v_bitop3_b32 v94, v0, 3, 1 bitop3:0x6c
	v_mad_u64_u32 v[6:7], s[6:7], s21, v1, v[8:9]
	v_and_b32_e32 v1, 60, v0
	v_lshlrev_b32_e32 v5, 8, v0
	v_lshlrev_b32_e32 v0, 6, v0
	v_and_b32_e32 v5, 0x200, v5
	v_rcp_iflag_f32_e32 v4, v4
	v_and_b32_e32 v0, 64, v0
	s_abs_i32 s64, s56
	v_or3_b32 v11, v1, v5, v0
	v_cvt_f32_u32_e32 v1, s64
	v_mul_f32_e32 v0, 0x4f7ffffe, v4
	v_cvt_u32_f32_e32 v0, v0
	v_ashrrev_i32_e32 v7, 31, v6
	v_rcp_iflag_f32_e32 v1, v1
	s_lshl_b32 s6, s21, 4
	scratch_store_dwordx2 off, v[6:7], off offset:148 ; 8-byte Folded Spill
	v_add_u32_e32 v6, s6, v6
	v_ashrrev_i32_e32 v7, 31, v6
	scratch_store_dwordx2 off, v[6:7], off offset:156 ; 8-byte Folded Spill
	v_add_u32_e32 v6, s6, v6
	v_readfirstlane_b32 s7, v0
	v_mul_f32_e32 v0, 0x4f7ffffe, v1
	v_ashrrev_i32_e32 v7, 31, v6
	v_cvt_u32_f32_e32 v0, v0
	scratch_store_dwordx2 off, v[6:7], off offset:164 ; 8-byte Folded Spill
	v_add_u32_e32 v6, s6, v6
	s_sub_i32 s6, 0, s62
	s_mul_i32 s6, s6, s7
	s_mul_hi_u32 s6, s7, s6
	v_add_u32_e32 v3, 1, v3
	s_add_i32 s66, s7, s6
	s_sub_i32 s6, 0, s64
	v_readfirstlane_b32 s7, v0
	v_mbcnt_lo_u32_b32 v0, -1, 0
	v_and_b32_e32 v3, 63, v3
	s_mul_i32 s6, s6, s7
	v_mbcnt_hi_u32_b32 v0, -1, v0
	s_mul_hi_u32 s6, s7, s6
	v_and_or_b32 v0, v0, 64, v3
	v_cndmask_b32_e64 v10, 0, 1, s[0:1]
	s_movk_i32 s61, 0x3000
	s_ashr_i32 s29, s21, 31
	s_mov_b32 s28, s21
	v_ashrrev_i32_e32 v7, 31, v6
	v_mov_b32_e32 v19, 0
	s_lshl_b32 s63, s23, 4
	s_ashr_i32 s65, s33, 31
	s_ashr_i32 s67, s56, 31
	s_add_i32 s68, s7, s6
	s_mov_b64 s[30:31], 0x60
	s_mov_b64 s[34:35], 0x80
	s_mov_b64 s[44:45], 0xa0
	v_lshlrev_b32_e32 v0, 2, v0
	v_mov_b32_e32 v12, v2
	scratch_store_dwordx2 off, v[6:7], off offset:172 ; 8-byte Folded Spill
	scratch_store_dword off, v0, off offset:108 ; 4-byte Folded Spill
	scratch_store_dword off, v17, off offset:112 ; 4-byte Folded Spill
	;; [unrolled: 1-line block ×3, first 2 shown]
	scratch_store_dwordx2 off, v[18:19], off offset:128 ; 8-byte Folded Spill
	scratch_store_dword off, v20, off offset:136 ; 4-byte Folded Spill
	s_branch .LBB374_7
.LBB374_4:                              ;   in Loop: Header=BB374_7 Depth=1
	s_or_b64 exec, exec, s[10:11]
.LBB374_5:                              ;   in Loop: Header=BB374_7 Depth=1
	s_or_b64 exec, exec, s[8:9]
	v_subrev_u32_e32 v12, s16, v12
.LBB374_6:                              ;   in Loop: Header=BB374_7 Depth=1
	s_or_b64 exec, exec, s[6:7]
	s_add_i32 s57, s57, 1
	s_waitcnt vmcnt(2)
	v_cmp_ge_i32_e32 vcc, s57, v17
	s_cbranch_vccnz .LBB374_72
.LBB374_7:                              ; =>This Loop Header: Depth=1
                                        ;     Child Loop BB374_13 Depth 2
                                        ;       Child Loop BB374_15 Depth 3
                                        ;       Child Loop BB374_18 Depth 3
	;; [unrolled: 1-line block ×10, first 2 shown]
                                        ;     Child Loop BB374_59 Depth 2
                                        ;       Child Loop BB374_61 Depth 3
                                        ;     Child Loop BB374_69 Depth 2
                                        ;       Child Loop BB374_71 Depth 3
	s_abs_i32 s7, s57
	s_mul_hi_u32 s8, s7, s66
	s_mul_i32 s9, s8, s62
	s_ashr_i32 s6, s57, 31
	s_sub_i32 s7, s7, s9
	s_xor_b32 s6, s6, s65
	s_add_i32 s9, s8, 1
	s_sub_i32 s10, s7, s62
	s_cmp_ge_u32 s7, s62
	s_cselect_b32 s8, s9, s8
	s_cselect_b32 s7, s10, s7
	s_add_i32 s9, s8, 1
	s_cmp_ge_u32 s7, s62
	s_cselect_b32 s7, s9, s8
	s_xor_b32 s7, s7, s6
	s_sub_i32 s6, s7, s6
	s_abs_i32 s8, s6
	s_mul_i32 s7, s6, s33
	s_mul_hi_u32 s9, s8, s68
	s_sub_i32 s7, s57, s7
	s_mul_i32 s10, s9, s64
	s_lshl_b32 s69, s7, 6
	s_ashr_i32 s7, s6, 31
	s_sub_i32 s8, s8, s10
	s_xor_b32 s7, s7, s67
	s_add_i32 s10, s9, 1
	s_sub_i32 s11, s8, s64
	s_cmp_ge_u32 s8, s64
	s_cselect_b32 s9, s10, s9
	s_cselect_b32 s8, s11, s8
	s_add_i32 s10, s9, 1
	s_cmp_ge_u32 s8, s64
	s_cselect_b32 s8, s10, s9
	s_xor_b32 s8, s8, s7
	s_sub_i32 s7, s8, s7
	s_mul_i32 s8, s7, s59
	s_lshl_b32 s70, s8, 7
	s_cmp_eq_u32 s7, s24
	s_cselect_b32 s72, s60, s59
	s_sub_i32 s8, s69, s20
	s_add_i32 s8, s8, 64
	s_max_i32 s71, s8, 0
	s_and_saveexec_b64 s[8:9], s[2:3]
	s_xor_b64 s[46:47], exec, s[8:9]
	s_cbranch_execz .LBB374_65
; %bb.8:                                ;   in Loop: Header=BB374_7 Depth=1
	s_mul_i32 s7, s7, s56
	s_sub_i32 s6, s6, s7
	s_mulk_i32 s6, 0x60
	s_sub_i32 s49, s6, s21
	s_addk_i32 s49, 0x60
	s_max_i32 s7, s49, 0
	s_sub_i32 s48, s6, s7
	s_and_saveexec_b64 s[6:7], s[0:1]
	s_xor_b64 s[50:51], exec, s[6:7]
	s_cbranch_execz .LBB374_55
; %bb.9:                                ;   in Loop: Header=BB374_7 Depth=1
	s_and_saveexec_b64 s[52:53], s[4:5]
	s_cbranch_execz .LBB374_54
; %bb.10:                               ;   in Loop: Header=BB374_7 Depth=1
	s_waitcnt vmcnt(1) lgkmcnt(0)
	global_load_dword v0, v19, s[42:43]
	v_mov_b32_e32 v91, 0
	v_cmp_gt_i32_e32 vcc, s72, v12
	v_mov_b32_e32 v90, v91
	v_mov_b32_e32 v89, v91
	;; [unrolled: 1-line block ×75, first 2 shown]
	scratch_store_dwordx4 off, v[4:7], off  ; 16-byte Folded Spill
	s_waitcnt vmcnt(1)
	scratch_store_dword off, v0, off offset:96 ; 4-byte Folded Spill
	scratch_store_dwordx4 off, v[4:7], off offset:80 ; 16-byte Folded Spill
	scratch_store_dwordx4 off, v[4:7], off offset:64 ; 16-byte Folded Spill
	;; [unrolled: 1-line block ×5, first 2 shown]
	s_and_saveexec_b64 s[6:7], vcc
	s_cbranch_execz .LBB374_44
; %bb.11:                               ;   in Loop: Header=BB374_7 Depth=1
	v_mov_b32_e32 v16, 0
	s_mov_b64 s[8:9], 0
	v_mov_b32_e32 v17, v16
	v_mov_b32_e32 v18, v16
	;; [unrolled: 1-line block ×75, first 2 shown]
	scratch_store_dwordx4 off, v[4:7], off offset:16 ; 16-byte Folded Spill
	scratch_store_dwordx4 off, v[4:7], off offset:32 ; 16-byte Folded Spill
	;; [unrolled: 1-line block ×5, first 2 shown]
	scratch_store_dwordx4 off, v[4:7], off  ; 16-byte Folded Spill
	s_branch .LBB374_13
.LBB374_12:                             ;   in Loop: Header=BB374_13 Depth=2
	s_or_b64 exec, exec, s[10:11]
	v_add_u32_e32 v1, 0x2800, v0
	ds_read2_b32 v[6:7], v1 offset1:32
	ds_read2_b32 v[20:21], v1 offset0:128 offset1:160
	v_add_u32_e32 v8, 0x2c00, v0
	ds_read2_b32 v[22:23], v8 offset1:32
	ds_read2_b32 v[28:29], v8 offset0:128 offset1:160
	s_waitcnt lgkmcnt(3)
	v_mfma_f32_16x16x32_fp8_fp8 v[2:5], v[116:117], v[6:7], v[92:95]
	v_add_u32_e32 v12, s27, v12
	;;#ASMSTART
	s_waitcnt lgkmcnt(0)
	;;#ASMEND
	ds_write_b32 v13, v14 offset:20516
	s_waitcnt lgkmcnt(3)
	v_mfma_f32_16x16x32_fp8_fp8 v[0:3], v[112:113], v[20:21], v[2:5]
	s_waitcnt lgkmcnt(2)
	v_mfma_f32_16x16x32_fp8_fp8 v[0:3], v[114:115], v[22:23], v[0:3]
	;; [unrolled: 2-line block ×3, first 2 shown]
	v_mfma_f32_16x16x32_fp8_fp8 v[0:3], v[118:119], v[6:7], v[48:51]
	v_mfma_f32_16x16x32_fp8_fp8 v[0:3], v[120:121], v[20:21], v[0:3]
	;; [unrolled: 1-line block ×11, first 2 shown]
	s_nop 5
	v_add_u32_e32 v2, s27, v9
	v_add_u32_e32 v0, 2, v10
	v_cmp_lt_i32_e32 vcc, 0, v2
	v_mfma_f32_16x16x32_fp8_fp8 v[16:19], v[98:99], v[28:29], v[4:7]
	s_nop 0
	v_cndmask_b32_e32 v10, v10, v0, vcc
	v_cmp_le_i32_e32 vcc, s72, v12
	s_or_b64 s[8:9], vcc, s[8:9]
	s_andn2_b64 exec, exec, s[8:9]
	s_cbranch_execz .LBB374_43
.LBB374_13:                             ;   Parent Loop BB374_7 Depth=1
                                        ; =>  This Loop Header: Depth=2
                                        ;       Child Loop BB374_15 Depth 3
                                        ;       Child Loop BB374_18 Depth 3
	;; [unrolled: 1-line block ×10, first 2 shown]
	v_cmp_lt_i32_e32 vcc, 0, v2
	s_nop 1
	v_subbrev_co_u32_e32 v9, vcc, 0, v2, vcc
	v_mul_lo_u32 v13, v9, 24
	ds_read_b32 v0, v13 offset:20496
	s_waitcnt lgkmcnt(0)
	v_cmp_ne_u32_e32 vcc, v0, v10
	s_and_saveexec_b64 s[10:11], vcc
	s_cbranch_execz .LBB374_16
; %bb.14:                               ;   in Loop: Header=BB374_13 Depth=2
	s_mov_b64 s[12:13], 0
.LBB374_15:                             ;   Parent Loop BB374_7 Depth=1
                                        ;     Parent Loop BB374_13 Depth=2
                                        ; =>    This Inner Loop Header: Depth=3
	;;#ASMSTART
	s_sleep 0
	;;#ASMEND
	ds_read_b32 v0, v13 offset:20496
	s_waitcnt lgkmcnt(0)
	v_cmp_eq_u32_e32 vcc, v0, v10
	s_or_b64 s[12:13], vcc, s[12:13]
	s_andn2_b64 exec, exec, s[12:13]
	s_cbranch_execnz .LBB374_15
.LBB374_16:                             ;   in Loop: Header=BB374_13 Depth=2
	s_or_b64 exec, exec, s[10:11]
	v_mul_lo_u32 v15, v9, s61
	v_or_b32_e32 v0, v30, v15
	ds_read2_b32 v[96:97], v0 offset1:32
	ds_read2_b32 v[98:99], v0 offset0:128 offset1:160
	v_add_u32_e32 v0, 0x400, v0
	v_add_u32_e32 v14, 1, v10
	ds_read2_b32 v[2:3], v0 offset1:32
	ds_read2_b32 v[0:1], v0 offset0:128 offset1:160
	;;#ASMSTART
	s_waitcnt lgkmcnt(0)
	;;#ASMEND
	ds_write_b32 v13, v14 offset:20496
	v_lshlrev_b32_e32 v8, 4, v9
	ds_read_b32 v4, v8 offset:20480
	s_waitcnt lgkmcnt(0)
	v_cmp_ne_u32_e32 vcc, v4, v10
	s_and_saveexec_b64 s[10:11], vcc
	s_cbranch_execz .LBB374_19
; %bb.17:                               ;   in Loop: Header=BB374_13 Depth=2
	s_mov_b64 s[12:13], 0
.LBB374_18:                             ;   Parent Loop BB374_7 Depth=1
                                        ;     Parent Loop BB374_13 Depth=2
                                        ; =>    This Inner Loop Header: Depth=3
	;;#ASMSTART
	s_sleep 0
	;;#ASMEND
	ds_read_b32 v4, v8 offset:20480
	s_waitcnt lgkmcnt(0)
	v_cmp_eq_u32_e32 vcc, v4, v10
	s_or_b64 s[12:13], vcc, s[12:13]
	s_andn2_b64 exec, exec, s[12:13]
	s_cbranch_execnz .LBB374_18
.LBB374_19:                             ;   in Loop: Header=BB374_13 Depth=2
	s_or_b64 exec, exec, s[10:11]
	v_lshlrev_b32_e32 v4, 13, v9
	v_or_b32_e32 v5, 0x3000, v30
	v_add_u32_e32 v4, v5, v4
	ds_read2_b32 v[116:117], v4 offset1:32
	ds_read2_b32 v[112:113], v4 offset0:128 offset1:160
	v_add_u32_e32 v5, 0x400, v4
	ds_read2_b32 v[114:115], v5 offset1:32
	ds_read2_b32 v[110:111], v5 offset0:128 offset1:160
	s_waitcnt lgkmcnt(3)
	v_mfma_f32_16x16x32_fp8_fp8 v[88:91], v[116:117], v[96:97], v[88:91]
	ds_read_b32 v5, v8 offset:20484
	ds_write_b32 v8, v14 offset:20480
	s_waitcnt lgkmcnt(1)
	v_cmp_ne_u32_e32 vcc, v5, v10
	v_mfma_f32_16x16x32_fp8_fp8 v[88:91], v[112:113], v[98:99], v[88:91]
	v_mfma_f32_16x16x32_fp8_fp8 v[88:91], v[114:115], v[2:3], v[88:91]
	;; [unrolled: 1-line block ×3, first 2 shown]
	s_and_saveexec_b64 s[10:11], vcc
	s_cbranch_execz .LBB374_22
; %bb.20:                               ;   in Loop: Header=BB374_13 Depth=2
	s_mov_b64 s[12:13], 0
.LBB374_21:                             ;   Parent Loop BB374_7 Depth=1
                                        ;     Parent Loop BB374_13 Depth=2
                                        ; =>    This Inner Loop Header: Depth=3
	;;#ASMSTART
	s_sleep 0
	;;#ASMEND
	ds_read_b32 v5, v8 offset:20484
	s_waitcnt lgkmcnt(0)
	v_cmp_eq_u32_e32 vcc, v5, v10
	s_or_b64 s[12:13], vcc, s[12:13]
	s_andn2_b64 exec, exec, s[12:13]
	s_cbranch_execnz .LBB374_21
.LBB374_22:                             ;   in Loop: Header=BB374_13 Depth=2
	s_or_b64 exec, exec, s[10:11]
	v_add_u32_e32 v5, 0x800, v4
	ds_read2_b32 v[118:119], v5 offset1:32
	ds_read2_b32 v[120:121], v5 offset0:128 offset1:160
	v_add_u32_e32 v5, 0xc00, v4
	ds_read2_b32 v[122:123], v5 offset1:32
	ds_read2_b32 v[124:125], v5 offset0:128 offset1:160
	ds_read_b32 v5, v8 offset:20488
	s_waitcnt lgkmcnt(4)
	v_mfma_f32_16x16x32_fp8_fp8 v[68:71], v[118:119], v[96:97], v[68:71]
	ds_write_b32 v8, v14 offset:20484
	s_waitcnt lgkmcnt(1)
	v_cmp_ne_u32_e32 vcc, v5, v10
	v_mfma_f32_16x16x32_fp8_fp8 v[68:71], v[120:121], v[98:99], v[68:71]
	v_mfma_f32_16x16x32_fp8_fp8 v[68:71], v[122:123], v[2:3], v[68:71]
	;; [unrolled: 1-line block ×3, first 2 shown]
	s_and_saveexec_b64 s[10:11], vcc
	s_cbranch_execz .LBB374_25
; %bb.23:                               ;   in Loop: Header=BB374_13 Depth=2
	s_mov_b64 s[12:13], 0
.LBB374_24:                             ;   Parent Loop BB374_7 Depth=1
                                        ;     Parent Loop BB374_13 Depth=2
                                        ; =>    This Inner Loop Header: Depth=3
	;;#ASMSTART
	s_sleep 0
	;;#ASMEND
	ds_read_b32 v5, v8 offset:20488
	s_waitcnt lgkmcnt(0)
	v_cmp_eq_u32_e32 vcc, v5, v10
	s_or_b64 s[12:13], vcc, s[12:13]
	s_andn2_b64 exec, exec, s[12:13]
	s_cbranch_execnz .LBB374_24
.LBB374_25:                             ;   in Loop: Header=BB374_13 Depth=2
	s_or_b64 exec, exec, s[10:11]
	v_add_u32_e32 v5, 0x1000, v4
	ds_read2_b32 v[126:127], v5 offset1:32
	ds_read2_b32 v[104:105], v5 offset0:128 offset1:160
	v_add_u32_e32 v5, 0x1400, v4
	ds_read2_b32 v[102:103], v5 offset1:32
	ds_read2_b32 v[100:101], v5 offset0:128 offset1:160
	ds_read_b32 v5, v8 offset:20492
	s_waitcnt lgkmcnt(4)
	v_mfma_f32_16x16x32_fp8_fp8 v[44:47], v[126:127], v[96:97], v[44:47]
	ds_write_b32 v8, v14 offset:20488
	s_waitcnt lgkmcnt(1)
	v_cmp_ne_u32_e32 vcc, v5, v10
	v_mfma_f32_16x16x32_fp8_fp8 v[44:47], v[104:105], v[98:99], v[44:47]
	v_mfma_f32_16x16x32_fp8_fp8 v[44:47], v[102:103], v[2:3], v[44:47]
	;; [unrolled: 1-line block ×3, first 2 shown]
	s_and_saveexec_b64 s[10:11], vcc
	s_cbranch_execz .LBB374_28
; %bb.26:                               ;   in Loop: Header=BB374_13 Depth=2
	s_mov_b64 s[12:13], 0
.LBB374_27:                             ;   Parent Loop BB374_7 Depth=1
                                        ;     Parent Loop BB374_13 Depth=2
                                        ; =>    This Inner Loop Header: Depth=3
	;;#ASMSTART
	s_sleep 0
	;;#ASMEND
	ds_read_b32 v5, v8 offset:20492
	s_waitcnt lgkmcnt(0)
	v_cmp_eq_u32_e32 vcc, v5, v10
	s_or_b64 s[12:13], vcc, s[12:13]
	s_andn2_b64 exec, exec, s[12:13]
	s_cbranch_execnz .LBB374_27
.LBB374_28:                             ;   in Loop: Header=BB374_13 Depth=2
	s_or_b64 exec, exec, s[10:11]
	v_add_u32_e32 v5, 0x1800, v4
	ds_read2_b32 v[108:109], v5 offset1:32
	ds_read2_b32 v[106:107], v5 offset0:128 offset1:160
	v_add_u32_e32 v20, 0x1c00, v4
	scratch_load_dwordx4 v[4:7], off, off offset:80 ; 16-byte Folded Reload
	ds_write_b32 v8, v14 offset:20492
	s_waitcnt vmcnt(0) lgkmcnt(2)
	v_mfma_f32_16x16x32_fp8_fp8 v[4:7], v[108:109], v[96:97], v[4:7]
	ds_read2_b32 v[96:97], v20 offset1:32
	s_waitcnt lgkmcnt(2)
	v_mfma_f32_16x16x32_fp8_fp8 v[4:7], v[106:107], v[98:99], v[4:7]
	ds_read2_b32 v[98:99], v20 offset0:128 offset1:160
	s_waitcnt lgkmcnt(1)
	v_mfma_f32_16x16x32_fp8_fp8 v[2:5], v[96:97], v[2:3], v[4:7]
	s_nop 4
	ds_read_b32 v6, v13 offset:20500
	s_waitcnt lgkmcnt(1)
	v_mfma_f32_16x16x32_fp8_fp8 v[0:3], v[98:99], v[0:1], v[2:5]
	s_waitcnt lgkmcnt(0)
	v_cmp_ne_u32_e32 vcc, v6, v10
	s_nop 5
	scratch_store_dwordx4 off, v[0:3], off offset:80 ; 16-byte Folded Spill
	s_and_saveexec_b64 s[10:11], vcc
	s_cbranch_execz .LBB374_31
; %bb.29:                               ;   in Loop: Header=BB374_13 Depth=2
	s_mov_b64 s[12:13], 0
.LBB374_30:                             ;   Parent Loop BB374_7 Depth=1
                                        ;     Parent Loop BB374_13 Depth=2
                                        ; =>    This Inner Loop Header: Depth=3
	;;#ASMSTART
	s_sleep 0
	;;#ASMEND
	ds_read_b32 v0, v13 offset:20500
	s_waitcnt lgkmcnt(0)
	v_cmp_eq_u32_e32 vcc, v0, v10
	s_or_b64 s[12:13], vcc, s[12:13]
	s_andn2_b64 exec, exec, s[12:13]
	s_cbranch_execnz .LBB374_30
.LBB374_31:                             ;   in Loop: Header=BB374_13 Depth=2
	s_or_b64 exec, exec, s[10:11]
	v_add_u32_e32 v0, v30, v15
	v_add_u32_e32 v1, 0x800, v0
	ds_read2_b32 v[6:7], v1 offset1:32
	ds_read2_b32 v[20:21], v1 offset0:128 offset1:160
	v_add_u32_e32 v1, 0xc00, v0
	ds_read2_b32 v[22:23], v1 offset1:32
	ds_read2_b32 v[28:29], v1 offset0:128 offset1:160
	s_waitcnt lgkmcnt(3)
	v_mfma_f32_16x16x32_fp8_fp8 v[2:5], v[116:117], v[6:7], v[84:87]
	s_waitcnt lgkmcnt(2)
	v_mfma_f32_16x16x32_fp8_fp8 v[2:5], v[112:113], v[20:21], v[2:5]
	v_mfma_f32_16x16x32_fp8_fp8 v[64:67], v[118:119], v[6:7], v[64:67]
	s_waitcnt lgkmcnt(1)
	v_mfma_f32_16x16x32_fp8_fp8 v[2:5], v[114:115], v[22:23], v[2:5]
	s_waitcnt lgkmcnt(0)
	v_mfma_f32_16x16x32_fp8_fp8 v[84:87], v[110:111], v[28:29], v[2:5]
	v_mfma_f32_16x16x32_fp8_fp8 v[2:5], v[120:121], v[20:21], v[64:67]
	v_mfma_f32_16x16x32_fp8_fp8 v[2:5], v[122:123], v[22:23], v[2:5]
	v_mfma_f32_16x16x32_fp8_fp8 v[64:67], v[124:125], v[28:29], v[2:5]
	v_mfma_f32_16x16x32_fp8_fp8 v[2:5], v[126:127], v[6:7], v[40:43]
	v_mfma_f32_16x16x32_fp8_fp8 v[2:5], v[104:105], v[20:21], v[2:5]
	v_mfma_f32_16x16x32_fp8_fp8 v[2:5], v[102:103], v[22:23], v[2:5]
	v_mfma_f32_16x16x32_fp8_fp8 v[40:43], v[100:101], v[28:29], v[2:5]
	s_nop 6
	scratch_load_dwordx4 v[2:5], off, off offset:64 ; 16-byte Folded Reload
	;;#ASMSTART
	s_waitcnt lgkmcnt(0)
	;;#ASMEND
	ds_read_b32 v1, v13 offset:20504
	ds_write_b32 v13, v14 offset:20500
	s_waitcnt vmcnt(0)
	v_mfma_f32_16x16x32_fp8_fp8 v[2:5], v[108:109], v[6:7], v[2:5]
	s_waitcnt lgkmcnt(1)
	v_cmp_ne_u32_e32 vcc, v1, v10
	v_mfma_f32_16x16x32_fp8_fp8 v[2:5], v[106:107], v[20:21], v[2:5]
	v_mfma_f32_16x16x32_fp8_fp8 v[2:5], v[96:97], v[22:23], v[2:5]
	v_mfma_f32_16x16x32_fp8_fp8 v[2:5], v[98:99], v[28:29], v[2:5]
	s_nop 7
	scratch_store_dwordx4 off, v[2:5], off offset:64 ; 16-byte Folded Spill
	s_and_saveexec_b64 s[10:11], vcc
	s_cbranch_execz .LBB374_34
; %bb.32:                               ;   in Loop: Header=BB374_13 Depth=2
	s_mov_b64 s[12:13], 0
.LBB374_33:                             ;   Parent Loop BB374_7 Depth=1
                                        ;     Parent Loop BB374_13 Depth=2
                                        ; =>    This Inner Loop Header: Depth=3
	;;#ASMSTART
	s_sleep 0
	;;#ASMEND
	ds_read_b32 v1, v13 offset:20504
	s_waitcnt lgkmcnt(0)
	v_cmp_eq_u32_e32 vcc, v1, v10
	s_or_b64 s[12:13], vcc, s[12:13]
	s_andn2_b64 exec, exec, s[12:13]
	s_cbranch_execnz .LBB374_33
.LBB374_34:                             ;   in Loop: Header=BB374_13 Depth=2
	s_or_b64 exec, exec, s[10:11]
	v_add_u32_e32 v1, 0x1000, v0
	ds_read2_b32 v[6:7], v1 offset1:32
	ds_read2_b32 v[20:21], v1 offset0:128 offset1:160
	v_add_u32_e32 v1, 0x1400, v0
	ds_read2_b32 v[22:23], v1 offset1:32
	ds_read2_b32 v[28:29], v1 offset0:128 offset1:160
	s_waitcnt lgkmcnt(3)
	v_mfma_f32_16x16x32_fp8_fp8 v[2:5], v[116:117], v[6:7], v[80:83]
	s_waitcnt lgkmcnt(2)
	v_mfma_f32_16x16x32_fp8_fp8 v[2:5], v[112:113], v[20:21], v[2:5]
	s_waitcnt lgkmcnt(1)
	v_mfma_f32_16x16x32_fp8_fp8 v[2:5], v[114:115], v[22:23], v[2:5]
	s_waitcnt lgkmcnt(0)
	v_mfma_f32_16x16x32_fp8_fp8 v[80:83], v[110:111], v[28:29], v[2:5]
	v_mfma_f32_16x16x32_fp8_fp8 v[2:5], v[118:119], v[6:7], v[60:63]
	v_mfma_f32_16x16x32_fp8_fp8 v[2:5], v[120:121], v[20:21], v[2:5]
	v_mfma_f32_16x16x32_fp8_fp8 v[2:5], v[122:123], v[22:23], v[2:5]
	v_mfma_f32_16x16x32_fp8_fp8 v[60:63], v[124:125], v[28:29], v[2:5]
	v_mfma_f32_16x16x32_fp8_fp8 v[2:5], v[126:127], v[6:7], v[36:39]
	v_mfma_f32_16x16x32_fp8_fp8 v[2:5], v[104:105], v[20:21], v[2:5]
	v_mfma_f32_16x16x32_fp8_fp8 v[2:5], v[102:103], v[22:23], v[2:5]
	v_mfma_f32_16x16x32_fp8_fp8 v[36:39], v[100:101], v[28:29], v[2:5]
	s_nop 6
	scratch_load_dwordx4 v[2:5], off, off offset:48 ; 16-byte Folded Reload
	;;#ASMSTART
	s_waitcnt lgkmcnt(0)
	;;#ASMEND
	ds_read_b32 v1, v13 offset:20508
	ds_write_b32 v13, v14 offset:20504
	s_waitcnt vmcnt(0)
	v_mfma_f32_16x16x32_fp8_fp8 v[2:5], v[108:109], v[6:7], v[2:5]
	s_waitcnt lgkmcnt(1)
	v_cmp_ne_u32_e32 vcc, v1, v10
	v_mfma_f32_16x16x32_fp8_fp8 v[2:5], v[106:107], v[20:21], v[2:5]
	v_mfma_f32_16x16x32_fp8_fp8 v[2:5], v[96:97], v[22:23], v[2:5]
	v_mfma_f32_16x16x32_fp8_fp8 v[2:5], v[98:99], v[28:29], v[2:5]
	s_nop 7
	scratch_store_dwordx4 off, v[2:5], off offset:48 ; 16-byte Folded Spill
	s_and_saveexec_b64 s[10:11], vcc
	s_cbranch_execz .LBB374_37
; %bb.35:                               ;   in Loop: Header=BB374_13 Depth=2
	s_mov_b64 s[12:13], 0
.LBB374_36:                             ;   Parent Loop BB374_7 Depth=1
                                        ;     Parent Loop BB374_13 Depth=2
                                        ; =>    This Inner Loop Header: Depth=3
	;;#ASMSTART
	s_sleep 0
	;;#ASMEND
	ds_read_b32 v1, v13 offset:20508
	s_waitcnt lgkmcnt(0)
	v_cmp_eq_u32_e32 vcc, v1, v10
	s_or_b64 s[12:13], vcc, s[12:13]
	s_andn2_b64 exec, exec, s[12:13]
	s_cbranch_execnz .LBB374_36
.LBB374_37:                             ;   in Loop: Header=BB374_13 Depth=2
	s_or_b64 exec, exec, s[10:11]
	v_add_u32_e32 v1, 0x1800, v0
	ds_read2_b32 v[6:7], v1 offset1:32
	ds_read2_b32 v[20:21], v1 offset0:128 offset1:160
	v_add_u32_e32 v1, 0x1c00, v0
	ds_read2_b32 v[22:23], v1 offset1:32
	ds_read2_b32 v[28:29], v1 offset0:128 offset1:160
	s_waitcnt lgkmcnt(3)
	v_mfma_f32_16x16x32_fp8_fp8 v[2:5], v[116:117], v[6:7], v[76:79]
	s_waitcnt lgkmcnt(2)
	v_mfma_f32_16x16x32_fp8_fp8 v[2:5], v[112:113], v[20:21], v[2:5]
	s_waitcnt lgkmcnt(1)
	v_mfma_f32_16x16x32_fp8_fp8 v[2:5], v[114:115], v[22:23], v[2:5]
	s_waitcnt lgkmcnt(0)
	v_mfma_f32_16x16x32_fp8_fp8 v[76:79], v[110:111], v[28:29], v[2:5]
	;; [unrolled: 56-line block ×3, first 2 shown]
	v_mfma_f32_16x16x32_fp8_fp8 v[2:5], v[118:119], v[6:7], v[52:55]
	v_mfma_f32_16x16x32_fp8_fp8 v[2:5], v[120:121], v[20:21], v[2:5]
	;; [unrolled: 1-line block ×4, first 2 shown]
	s_nop 6
	scratch_load_dwordx4 v[2:5], off, off   ; 16-byte Folded Reload
	s_waitcnt vmcnt(0)
	v_mfma_f32_16x16x32_fp8_fp8 v[2:5], v[126:127], v[6:7], v[2:5]
	v_mfma_f32_16x16x32_fp8_fp8 v[2:5], v[104:105], v[20:21], v[2:5]
	;; [unrolled: 1-line block ×4, first 2 shown]
	s_nop 7
	scratch_store_dwordx4 off, v[2:5], off  ; 16-byte Folded Spill
	scratch_load_dwordx4 v[2:5], off, off offset:16 ; 16-byte Folded Reload
	;;#ASMSTART
	s_waitcnt lgkmcnt(0)
	;;#ASMEND
	ds_read_b32 v1, v13 offset:20516
	ds_write_b32 v13, v14 offset:20512
	s_waitcnt vmcnt(0)
	v_mfma_f32_16x16x32_fp8_fp8 v[2:5], v[108:109], v[6:7], v[2:5]
	s_waitcnt lgkmcnt(1)
	v_cmp_ne_u32_e32 vcc, v1, v10
	v_mfma_f32_16x16x32_fp8_fp8 v[2:5], v[106:107], v[20:21], v[2:5]
	v_mfma_f32_16x16x32_fp8_fp8 v[2:5], v[96:97], v[22:23], v[2:5]
	;; [unrolled: 1-line block ×3, first 2 shown]
	s_nop 7
	scratch_store_dwordx4 off, v[2:5], off offset:16 ; 16-byte Folded Spill
	s_and_saveexec_b64 s[10:11], vcc
	s_cbranch_execz .LBB374_12
; %bb.41:                               ;   in Loop: Header=BB374_13 Depth=2
	s_mov_b64 s[12:13], 0
.LBB374_42:                             ;   Parent Loop BB374_7 Depth=1
                                        ;     Parent Loop BB374_13 Depth=2
                                        ; =>    This Inner Loop Header: Depth=3
	;;#ASMSTART
	s_sleep 0
	;;#ASMEND
	ds_read_b32 v1, v13 offset:20516
	s_waitcnt lgkmcnt(0)
	v_cmp_eq_u32_e32 vcc, v1, v10
	s_or_b64 s[12:13], vcc, s[12:13]
	s_andn2_b64 exec, exec, s[12:13]
	s_cbranch_execnz .LBB374_42
	s_branch .LBB374_12
.LBB374_43:                             ;   in Loop: Header=BB374_7 Depth=1
	s_or_b64 exec, exec, s[8:9]
.LBB374_44:                             ;   in Loop: Header=BB374_7 Depth=1
	s_or_b64 exec, exec, s[6:7]
	v_mov_b32_e32 v98, v30
	scratch_load_dwordx2 v[30:31], off, off offset:116 ; 8-byte Folded Reload
	scratch_load_dword v100, off, off offset:96 ; 4-byte Folded Reload
	scratch_load_dword v31, off, off offset:100 ; 4-byte Folded Reload
	;; [unrolled: 1-line block ×3, first 2 shown]
	s_waitcnt vmcnt(3)
	v_cmp_le_i32_e32 vcc, s49, v30
	s_waitcnt vmcnt(2)
	s_nop 0
	v_cndmask_b32_e32 v110, 0, v100, vcc
	v_pk_mul_f32 v[0:1], v[110:111], v[90:91] op_sel_hi:[0,1]
	scratch_load_dword v90, off, off offset:124 ; 4-byte Folded Reload
	v_pk_mul_f32 v[6:7], v[110:111], v[88:89] op_sel_hi:[0,1]
	s_waitcnt vmcnt(2)
	v_cmp_eq_u32_e64 s[12:13], 1, v31
	v_cmp_eq_u32_e32 vcc, 2, v31
	v_cmp_eq_u32_e64 s[6:7], 3, v31
	v_cndmask_b32_e64 v3, v6, v7, s[12:13]
	v_cndmask_b32_e32 v3, v3, v0, vcc
	v_cndmask_b32_e64 v3, v3, v1, s[6:7]
	s_waitcnt vmcnt(1)
	ds_bpermute_b32 v5, v99, v3
	v_cmp_eq_u32_e64 s[8:9], 0, v31
	s_waitcnt lgkmcnt(0)
	v_cndmask_b32_e64 v3, v1, v5, s[6:7]
	v_cndmask_b32_e64 v1, v6, v5, s[8:9]
	v_or_b32_e32 v6, 16, v30
	v_cmp_le_i32_e64 s[14:15], s49, v6
	v_cndmask_b32_e32 v4, v0, v5, vcc
	v_cndmask_b32_e64 v0, v7, v5, s[12:13]
	v_cndmask_b32_e64 v88, 0, v100, s[14:15]
	v_pk_mul_f32 v[14:15], v[88:89], v[84:85] op_sel_hi:[0,1]
	v_pk_mul_f32 v[8:9], v[88:89], v[86:87] op_sel_hi:[0,1]
	v_cndmask_b32_e64 v6, v14, v15, s[12:13]
	v_cndmask_b32_e32 v6, v6, v8, vcc
	v_cndmask_b32_e64 v6, v6, v9, s[6:7]
	ds_bpermute_b32 v13, v99, v6
	s_waitcnt lgkmcnt(0)
	v_cndmask_b32_e32 v7, v8, v13, vcc
	v_or_b32_e32 v8, 32, v30
	v_cmp_le_i32_e64 s[18:19], s49, v8
	v_cndmask_b32_e64 v85, v15, v13, s[12:13]
	v_cndmask_b32_e64 v86, v14, v13, s[8:9]
	;; [unrolled: 1-line block ×3, first 2 shown]
	v_pk_mul_f32 v[20:21], v[84:85], v[80:81] op_sel_hi:[0,1]
	v_pk_mul_f32 v[14:15], v[84:85], v[82:83] op_sel_hi:[0,1]
	v_cndmask_b32_e64 v8, v20, v21, s[12:13]
	v_cndmask_b32_e32 v8, v8, v14, vcc
	v_cndmask_b32_e64 v8, v8, v15, s[6:7]
	ds_bpermute_b32 v22, v99, v8
	v_cndmask_b32_e64 v6, v9, v13, s[6:7]
	s_waitcnt lgkmcnt(0)
	v_cndmask_b32_e32 v13, v14, v22, vcc
	v_or_b32_e32 v14, 48, v30
	v_cmp_le_i32_e64 s[18:19], s49, v14
	v_cndmask_b32_e64 v81, v21, v22, s[12:13]
	v_cndmask_b32_e64 v9, v15, v22, s[6:7]
	;; [unrolled: 1-line block ×4, first 2 shown]
	v_pk_mul_f32 v[22:23], v[80:81], v[76:77] op_sel_hi:[0,1]
	v_pk_mul_f32 v[20:21], v[80:81], v[78:79] op_sel_hi:[0,1]
	v_cndmask_b32_e64 v14, v22, v23, s[12:13]
	v_cndmask_b32_e32 v14, v14, v20, vcc
	v_cndmask_b32_e64 v14, v14, v21, s[6:7]
	ds_bpermute_b32 v28, v99, v14
	s_waitcnt lgkmcnt(0)
	v_cndmask_b32_e32 v78, v20, v28, vcc
	v_or_b32_e32 v20, 64, v30
	v_cmp_le_i32_e64 s[18:19], s49, v20
	v_cndmask_b32_e64 v77, v23, v28, s[12:13]
	v_cndmask_b32_e64 v91, v22, v28, s[8:9]
	;; [unrolled: 1-line block ×3, first 2 shown]
	v_pk_mul_f32 v[22:23], v[76:77], v[72:73] op_sel_hi:[0,1]
	v_cndmask_b32_e64 v15, v21, v28, s[6:7]
	v_pk_mul_f32 v[20:21], v[76:77], v[74:75] op_sel_hi:[0,1]
	v_cndmask_b32_e64 v28, v22, v23, s[12:13]
	v_cndmask_b32_e32 v28, v28, v20, vcc
	v_cndmask_b32_e64 v28, v28, v21, s[6:7]
	ds_bpermute_b32 v28, v99, v28
	s_waitcnt lgkmcnt(0)
	v_cndmask_b32_e32 v79, v20, v28, vcc
	v_or_b32_e32 v20, 0x50, v30
	v_cmp_le_i32_e64 s[18:19], s49, v20
	v_cndmask_b32_e64 v96, v23, v28, s[12:13]
	v_cndmask_b32_e64 v97, v22, v28, s[8:9]
	;; [unrolled: 1-line block ×3, first 2 shown]
	v_pk_mul_f32 v[22:23], v[72:73], v[92:93] op_sel_hi:[0,1]
	v_cndmask_b32_e64 v75, v21, v28, s[6:7]
	v_pk_mul_f32 v[20:21], v[72:73], v[94:95] op_sel_hi:[0,1]
	v_cndmask_b32_e64 v28, v22, v23, s[12:13]
	v_cndmask_b32_e32 v28, v28, v20, vcc
	v_cndmask_b32_e64 v28, v28, v21, s[6:7]
	ds_bpermute_b32 v28, v99, v28
	s_waitcnt vmcnt(0)
	v_cmp_eq_u32_e64 s[10:11], 1, v90
	v_cmp_eq_u32_e64 s[14:15], 2, v90
	;; [unrolled: 1-line block ×3, first 2 shown]
	v_mov_b32_e32 v94, v90
	s_waitcnt lgkmcnt(0)
	v_cndmask_b32_e32 v87, v20, v28, vcc
	v_cmp_ne_u32_e32 vcc, 0, v31
	v_cndmask_b32_e64 v93, v22, v28, s[8:9]
	v_cndmask_b32_e64 v83, v21, v28, s[6:7]
	v_cndmask_b32_e32 v92, v23, v28, vcc
	v_cndmask_b32_e64 v20, v93, v92, s[10:11]
	v_cndmask_b32_e64 v20, v20, v87, s[14:15]
	;; [unrolled: 1-line block ×3, first 2 shown]
	ds_bpermute_b32 v90, v99, v20
	scratch_load_dword v20, off, off offset:104 ; 4-byte Folded Reload
	v_cndmask_b32_e64 v29, v91, v77, s[10:11]
	v_cndmask_b32_e64 v29, v29, v78, s[14:15]
	;; [unrolled: 1-line block ×6, first 2 shown]
	ds_bpermute_b32 v74, v99, v29
	v_cndmask_b32_e64 v29, v97, v96, s[10:11]
	v_cndmask_b32_e64 v5, v5, v4, s[14:15]
	;; [unrolled: 1-line block ×9, first 2 shown]
	ds_bpermute_b32 v5, v99, v5
	ds_bpermute_b32 v8, v99, v8
	;; [unrolled: 1-line block ×4, first 2 shown]
	s_waitcnt vmcnt(0)
	v_add_u32_e32 v73, s71, v20
	v_cmp_gt_u32_e32 vcc, 64, v73
	s_and_saveexec_b64 s[18:19], vcc
	s_cbranch_execz .LBB374_53
; %bb.45:                               ;   in Loop: Header=BB374_7 Depth=1
	v_cmp_eq_u32_e64 s[8:9], 1, v94
	v_cmp_eq_u32_e64 s[10:11], 0, v94
	v_cmp_eq_u32_e32 vcc, 3, v94
	s_waitcnt lgkmcnt(3)
	v_cndmask_b32_e64 v0, v0, v5, s[8:9]
	v_cndmask_b32_e64 v1, v1, v5, s[10:11]
	s_waitcnt lgkmcnt(2)
	v_cndmask_b32_e64 v20, v85, v8, s[8:9]
	v_cndmask_b32_e64 v21, v86, v8, s[10:11]
	v_cvt_f16_f32_e32 v85, v1
	v_cvt_f16_f32_sdwa v86, v0 dst_sel:WORD_1 dst_unused:UNUSED_PAD src0_sel:DWORD
	scratch_load_dwordx2 v[0:1], off, off offset:148 ; 8-byte Folded Reload
	s_waitcnt lgkmcnt(1)
	v_cndmask_b32_e64 v22, v81, v14, s[8:9]
	v_cndmask_b32_e64 v28, v77, v74, s[8:9]
	s_waitcnt lgkmcnt(0)
	v_cndmask_b32_e64 v30, v96, v82, s[8:9]
	v_cndmask_b32_e64 v77, v92, v90, s[8:9]
	s_mul_i32 s8, s69, s21
	s_ashr_i32 s9, s8, 31
	s_lshl_b64 s[8:9], s[8:9], 1
	v_cndmask_b32_e64 v23, v89, v14, s[10:11]
	v_cndmask_b32_e64 v29, v91, v74, s[10:11]
	;; [unrolled: 1-line block ×4, first 2 shown]
	s_add_u32 s10, s40, s8
	s_addc_u32 s11, s41, s9
	s_ashr_i32 s49, s48, 31
	s_lshl_b64 s[8:9], s[48:49], 1
	v_cvt_f16_f32_e32 v23, v23
	v_cvt_f16_f32_sdwa v22, v22 dst_sel:WORD_1 dst_unused:UNUSED_PAD src0_sel:DWORD
	s_add_u32 s54, s10, s8
	v_cvt_f16_f32_e32 v89, v21
	v_cvt_f16_f32_sdwa v91, v20 dst_sel:WORD_1 dst_unused:UNUSED_PAD src0_sel:DWORD
	v_cvt_f16_f32_e32 v29, v29
	v_cvt_f16_f32_sdwa v28, v28 dst_sel:WORD_1 dst_unused:UNUSED_PAD src0_sel:DWORD
	s_addc_u32 s55, s11, s9
	v_or_b32_e32 v20, v86, v85
	v_or_b32_e32 v22, v22, v23
	;; [unrolled: 1-line block ×3, first 2 shown]
	v_cvt_f16_f32_sdwa v23, v30 dst_sel:WORD_1 dst_unused:UNUSED_PAD src0_sel:DWORD
	v_cmp_eq_u32_e64 s[6:7], 2, v94
	v_cmp_gt_u32_e64 s[8:9], 62, v73
	s_waitcnt vmcnt(0)
	v_lshl_add_u64 v[0:1], v[0:1], 1, s[54:55]
	;;#ASMSTART
	global_atomic_pk_add_f16 v[0:1], v20, off
	
	;;#ASMEND
	v_lshl_add_u64 v[20:21], v[0:1], 0, 32
	;;#ASMSTART
	global_atomic_pk_add_f16 v[20:21], v85, off
	
	;;#ASMEND
	;; [unrolled: 5-line block ×3, first 2 shown]
	v_or_b32_e32 v22, v28, v29
	v_lshl_add_u64 v[20:21], v[0:1], 0, s[30:31]
	;;#ASMSTART
	global_atomic_pk_add_f16 v[20:21], v22, off
	
	;;#ASMEND
	v_cvt_f16_f32_e32 v22, v31
	v_cvt_f16_f32_e32 v28, v81
	v_cvt_f16_f32_sdwa v29, v77 dst_sel:WORD_1 dst_unused:UNUSED_PAD src0_sel:DWORD
	v_lshl_add_u64 v[20:21], v[0:1], 0, s[34:35]
	v_or_b32_e32 v22, v23, v22
	;;#ASMSTART
	global_atomic_pk_add_f16 v[20:21], v22, off
	
	;;#ASMEND
	v_lshl_add_u64 v[20:21], v[0:1], 0, s[44:45]
	v_or_b32_e32 v22, v29, v28
	;;#ASMSTART
	global_atomic_pk_add_f16 v[20:21], v22, off
	
	;;#ASMEND
	s_and_b64 exec, exec, s[8:9]
	s_cbranch_execz .LBB374_53
; %bb.46:                               ;   in Loop: Header=BB374_7 Depth=1
	v_cndmask_b32_e32 v3, v3, v5, vcc
	v_cndmask_b32_e64 v4, v4, v5, s[6:7]
	v_cvt_f16_f32_e32 v4, v4
	v_cvt_f16_f32_sdwa v3, v3 dst_sel:WORD_1 dst_unused:UNUSED_PAD src0_sel:DWORD
	v_cndmask_b32_e32 v5, v6, v8, vcc
	v_cndmask_b32_e64 v6, v7, v8, s[6:7]
	v_lshl_add_u64 v[0:1], s[28:29], 2, v[0:1]
	v_or_b32_e32 v3, v3, v4
	;;#ASMSTART
	global_atomic_pk_add_f16 v[0:1], v3, off
	
	;;#ASMEND
	v_cvt_f16_f32_e32 v3, v6
	v_cvt_f16_f32_sdwa v6, v5 dst_sel:WORD_1 dst_unused:UNUSED_PAD src0_sel:DWORD
	v_cndmask_b32_e32 v7, v9, v14, vcc
	v_cndmask_b32_e64 v8, v13, v14, s[6:7]
	v_lshl_add_u64 v[4:5], v[0:1], 0, 32
	v_or_b32_e32 v3, v6, v3
	;;#ASMSTART
	global_atomic_pk_add_f16 v[4:5], v3, off
	
	;;#ASMEND
	;; [unrolled: 10-line block ×5, first 2 shown]
	v_cvt_f16_f32_e32 v3, v21
	v_cvt_f16_f32_sdwa v4, v20 dst_sel:WORD_1 dst_unused:UNUSED_PAD src0_sel:DWORD
	v_lshl_add_u64 v[0:1], v[0:1], 0, s[44:45]
	v_mov_b32_e32 v111, v110
	v_cmp_eq_u32_e64 s[12:13], 1, v94
	v_or_b32_e32 v3, v4, v3
	;;#ASMSTART
	global_atomic_pk_add_f16 v[0:1], v3, off
	
	;;#ASMEND
	scratch_load_dword v29, off, off offset:100 ; 4-byte Folded Reload
	scratch_load_dword v30, off, off offset:108 ; 4-byte Folded Reload
	v_mov_b32_e32 v0, v110
	v_mov_b32_e32 v1, v110
	v_pk_mul_f32 v[4:5], v[110:111], v[68:69]
	v_pk_mul_f32 v[0:1], v[0:1], v[70:71]
	v_cmp_eq_u32_e64 s[14:15], 2, v94
	v_cmp_eq_u32_e64 s[16:17], 3, v94
	v_mov_b32_e32 v89, v88
	v_pk_mul_f32 v[14:15], v[88:89], v[64:65]
	v_mov_b32_e32 v85, v84
	v_mov_b32_e32 v20, v84
	;; [unrolled: 1-line block ×3, first 2 shown]
	v_pk_mul_f32 v[22:23], v[84:85], v[60:61]
	v_pk_mul_f32 v[20:21], v[20:21], v[62:63]
	v_mov_b32_e32 v81, v80
	v_mov_b32_e32 v77, v76
	;; [unrolled: 1-line block ×3, first 2 shown]
	s_waitcnt vmcnt(1)
	v_cmp_eq_u32_e64 s[8:9], 1, v29
	s_nop 1
	v_cndmask_b32_e64 v3, v4, v5, s[8:9]
	v_cmp_eq_u32_e32 vcc, 2, v29
	v_cmp_eq_u32_e64 s[6:7], 3, v29
	v_cmp_eq_u32_e64 s[10:11], 0, v29
	v_cndmask_b32_e32 v3, v3, v0, vcc
	v_cndmask_b32_e64 v3, v3, v1, s[6:7]
	s_waitcnt vmcnt(0)
	ds_bpermute_b32 v6, v30, v3
	s_waitcnt lgkmcnt(0)
	v_cndmask_b32_e64 v3, v1, v6, s[6:7]
	v_cndmask_b32_e32 v8, v0, v6, vcc
	v_cndmask_b32_e64 v0, v5, v6, s[8:9]
	v_cndmask_b32_e64 v1, v4, v6, s[10:11]
	;; [unrolled: 1-line block ×5, first 2 shown]
	ds_bpermute_b32 v9, v30, v4
	v_mov_b32_e32 v4, v88
	v_mov_b32_e32 v5, v88
	v_pk_mul_f32 v[6:7], v[4:5], v[66:67]
	v_cndmask_b32_e64 v4, v14, v15, s[8:9]
	v_cndmask_b32_e32 v4, v4, v6, vcc
	v_cndmask_b32_e64 v4, v4, v7, s[6:7]
	ds_bpermute_b32 v13, v30, v4
	s_waitcnt lgkmcnt(0)
	v_cndmask_b32_e64 v4, v7, v13, s[6:7]
	v_cndmask_b32_e64 v7, v22, v23, s[8:9]
	v_cndmask_b32_e32 v7, v7, v20, vcc
	v_cndmask_b32_e64 v7, v7, v21, s[6:7]
	v_cndmask_b32_e64 v64, v14, v13, s[10:11]
	ds_bpermute_b32 v14, v30, v7
	v_cndmask_b32_e32 v5, v6, v13, vcc
	v_cndmask_b32_e64 v15, v15, v13, s[8:9]
	v_cndmask_b32_e64 v6, v64, v15, s[12:13]
	;; [unrolled: 1-line block ×3, first 2 shown]
	s_waitcnt lgkmcnt(0)
	v_cndmask_b32_e64 v7, v21, v14, s[6:7]
	v_cndmask_b32_e32 v13, v20, v14, vcc
	v_cndmask_b32_e64 v60, v23, v14, s[8:9]
	v_cndmask_b32_e64 v61, v22, v14, s[10:11]
	v_mov_b32_e32 v20, v80
	v_mov_b32_e32 v21, v80
	v_pk_mul_f32 v[22:23], v[80:81], v[56:57]
	v_pk_mul_f32 v[20:21], v[20:21], v[58:59]
	v_cndmask_b32_e64 v28, v22, v23, s[8:9]
	v_cndmask_b32_e32 v28, v28, v20, vcc
	v_cndmask_b32_e64 v28, v28, v21, s[6:7]
	ds_bpermute_b32 v28, v30, v28
	v_cndmask_b32_e64 v14, v61, v60, s[12:13]
	v_cndmask_b32_e64 v14, v14, v13, s[14:15]
	;; [unrolled: 1-line block ×4, first 2 shown]
	s_waitcnt lgkmcnt(0)
	v_cndmask_b32_e64 v59, v23, v28, s[8:9]
	v_cndmask_b32_e64 v62, v22, v28, s[10:11]
	v_cndmask_b32_e32 v57, v20, v28, vcc
	v_cndmask_b32_e64 v20, v62, v59, s[12:13]
	v_cndmask_b32_e64 v56, v21, v28, s[6:7]
	;; [unrolled: 1-line block ×4, first 2 shown]
	ds_bpermute_b32 v58, v30, v20
	v_mov_b32_e32 v20, v76
	v_mov_b32_e32 v21, v76
	v_pk_mul_f32 v[22:23], v[76:77], v[52:53]
	v_pk_mul_f32 v[20:21], v[20:21], v[54:55]
	v_cndmask_b32_e64 v28, v22, v23, s[8:9]
	v_cndmask_b32_e32 v28, v28, v20, vcc
	v_cndmask_b32_e64 v28, v28, v21, s[6:7]
	ds_bpermute_b32 v28, v30, v28
	ds_bpermute_b32 v6, v30, v6
	;; [unrolled: 1-line block ×3, first 2 shown]
	s_waitcnt lgkmcnt(2)
	v_cndmask_b32_e64 v55, v23, v28, s[8:9]
	v_cndmask_b32_e64 v63, v22, v28, s[10:11]
	v_cndmask_b32_e32 v53, v20, v28, vcc
	v_cndmask_b32_e64 v20, v63, v55, s[12:13]
	v_cndmask_b32_e64 v52, v21, v28, s[6:7]
	;; [unrolled: 1-line block ×4, first 2 shown]
	ds_bpermute_b32 v54, v30, v20
	v_mov_b32_e32 v20, v72
	v_mov_b32_e32 v21, v72
	v_pk_mul_f32 v[22:23], v[72:73], v[48:49]
	v_pk_mul_f32 v[20:21], v[20:21], v[50:51]
	v_cndmask_b32_e64 v28, v22, v23, s[8:9]
	v_cndmask_b32_e32 v28, v28, v20, vcc
	v_cndmask_b32_e64 v28, v28, v21, s[6:7]
	ds_bpermute_b32 v28, v30, v28
	s_waitcnt lgkmcnt(0)
	v_cndmask_b32_e32 v49, v20, v28, vcc
	v_cmp_ne_u32_e32 vcc, 0, v29
	v_cndmask_b32_e64 v66, v22, v28, s[10:11]
	v_cndmask_b32_e64 v48, v21, v28, s[6:7]
	v_cndmask_b32_e32 v65, v23, v28, vcc
	v_cndmask_b32_e64 v20, v66, v65, s[12:13]
	v_cndmask_b32_e64 v20, v20, v49, s[14:15]
	;; [unrolled: 1-line block ×3, first 2 shown]
	ds_bpermute_b32 v50, v30, v20
	scratch_load_dword v20, off, off offset:104 ; 4-byte Folded Reload
	s_waitcnt vmcnt(0)
	v_or_b32_e32 v20, 16, v20
	v_add_u32_e32 v51, s71, v20
	v_cmp_gt_u32_e32 vcc, 64, v51
	s_and_b64 exec, exec, vcc
	s_cbranch_execz .LBB374_53
; %bb.47:                               ;   in Loop: Header=BB374_7 Depth=1
	v_cmp_eq_u32_e64 s[8:9], 1, v94
	v_cmp_eq_u32_e64 s[10:11], 0, v94
	v_cmp_eq_u32_e32 vcc, 3, v94
	v_cndmask_b32_e64 v0, v0, v9, s[8:9]
	v_cndmask_b32_e64 v1, v1, v9, s[10:11]
	v_cndmask_b32_e64 v22, v60, v14, s[8:9]
	v_cvt_f16_f32_e32 v21, v1
	v_cvt_f16_f32_sdwa v60, v0 dst_sel:WORD_1 dst_unused:UNUSED_PAD src0_sel:DWORD
	scratch_load_dwordx2 v[0:1], off, off offset:156 ; 8-byte Folded Reload
	v_cndmask_b32_e64 v15, v15, v6, s[8:9]
	v_cndmask_b32_e64 v20, v64, v6, s[10:11]
	;; [unrolled: 1-line block ×3, first 2 shown]
	v_cvt_f16_f32_e32 v61, v20
	v_cvt_f16_f32_sdwa v15, v15 dst_sel:WORD_1 dst_unused:UNUSED_PAD src0_sel:DWORD
	v_or_b32_e32 v20, v60, v21
	v_cndmask_b32_e64 v28, v59, v58, s[8:9]
	v_cndmask_b32_e64 v29, v62, v58, s[10:11]
	v_or_b32_e32 v15, v15, v61
	v_cvt_f16_f32_sdwa v22, v22 dst_sel:WORD_1 dst_unused:UNUSED_PAD src0_sel:DWORD
	v_cvt_f16_f32_sdwa v28, v28 dst_sel:WORD_1 dst_unused:UNUSED_PAD src0_sel:DWORD
	v_cndmask_b32_e64 v30, v55, v54, s[8:9]
	v_cndmask_b32_e64 v31, v63, v54, s[10:11]
	s_waitcnt lgkmcnt(0)
	v_cndmask_b32_e64 v55, v65, v50, s[8:9]
	v_cndmask_b32_e64 v59, v66, v50, s[10:11]
	v_cmp_eq_u32_e64 s[6:7], 2, v94
	v_cmp_gt_u32_e64 s[8:9], 62, v51
	s_waitcnt vmcnt(0)
	v_lshl_add_u64 v[0:1], v[0:1], 1, s[54:55]
	;;#ASMSTART
	global_atomic_pk_add_f16 v[0:1], v20, off
	
	;;#ASMEND
	v_lshl_add_u64 v[20:21], v[0:1], 0, 32
	;;#ASMSTART
	global_atomic_pk_add_f16 v[20:21], v15, off
	
	;;#ASMEND
	v_cvt_f16_f32_e32 v15, v23
	v_cvt_f16_f32_e32 v23, v29
	v_lshl_add_u64 v[20:21], v[0:1], 0, 64
	v_or_b32_e32 v15, v22, v15
	;;#ASMSTART
	global_atomic_pk_add_f16 v[20:21], v15, off
	
	;;#ASMEND
	v_or_b32_e32 v15, v28, v23
	v_lshl_add_u64 v[20:21], v[0:1], 0, s[30:31]
	;;#ASMSTART
	global_atomic_pk_add_f16 v[20:21], v15, off
	
	;;#ASMEND
	v_cvt_f16_f32_e32 v15, v31
	v_cvt_f16_f32_sdwa v22, v30 dst_sel:WORD_1 dst_unused:UNUSED_PAD src0_sel:DWORD
	v_cvt_f16_f32_e32 v23, v59
	v_cvt_f16_f32_sdwa v28, v55 dst_sel:WORD_1 dst_unused:UNUSED_PAD src0_sel:DWORD
	v_lshl_add_u64 v[20:21], v[0:1], 0, s[34:35]
	v_or_b32_e32 v15, v22, v15
	;;#ASMSTART
	global_atomic_pk_add_f16 v[20:21], v15, off
	
	;;#ASMEND
	v_lshl_add_u64 v[20:21], v[0:1], 0, s[44:45]
	v_or_b32_e32 v15, v28, v23
	;;#ASMSTART
	global_atomic_pk_add_f16 v[20:21], v15, off
	
	;;#ASMEND
	s_and_b64 exec, exec, s[8:9]
	s_cbranch_execz .LBB374_53
; %bb.48:                               ;   in Loop: Header=BB374_7 Depth=1
	v_cndmask_b32_e32 v3, v3, v9, vcc
	v_cndmask_b32_e64 v8, v8, v9, s[6:7]
	v_cvt_f16_f32_e32 v8, v8
	v_cvt_f16_f32_sdwa v3, v3 dst_sel:WORD_1 dst_unused:UNUSED_PAD src0_sel:DWORD
	v_cndmask_b32_e32 v4, v4, v6, vcc
	v_cndmask_b32_e64 v5, v5, v6, s[6:7]
	v_cndmask_b32_e32 v6, v7, v14, vcc
	v_or_b32_e32 v3, v3, v8
	v_cndmask_b32_e64 v7, v13, v14, s[6:7]
	v_lshl_add_u64 v[0:1], s[28:29], 2, v[0:1]
	;;#ASMSTART
	global_atomic_pk_add_f16 v[0:1], v3, off
	
	;;#ASMEND
	v_cvt_f16_f32_e32 v3, v5
	v_cvt_f16_f32_sdwa v8, v4 dst_sel:WORD_1 dst_unused:UNUSED_PAD src0_sel:DWORD
	v_cvt_f16_f32_e32 v7, v7
	v_cvt_f16_f32_sdwa v6, v6 dst_sel:WORD_1 dst_unused:UNUSED_PAD src0_sel:DWORD
	v_cndmask_b32_e32 v9, v56, v58, vcc
	v_or_b32_e32 v3, v8, v3
	v_cndmask_b32_e64 v13, v57, v58, s[6:7]
	v_lshl_add_u64 v[4:5], v[0:1], 0, 32
	;;#ASMSTART
	global_atomic_pk_add_f16 v[4:5], v3, off
	
	;;#ASMEND
	v_or_b32_e32 v3, v6, v7
	v_cndmask_b32_e32 v14, v52, v54, vcc
	v_cndmask_b32_e64 v15, v53, v54, s[6:7]
	v_lshl_add_u64 v[4:5], v[0:1], 0, 64
	;;#ASMSTART
	global_atomic_pk_add_f16 v[4:5], v3, off
	
	;;#ASMEND
	v_cvt_f16_f32_e32 v3, v13
	v_cvt_f16_f32_sdwa v6, v9 dst_sel:WORD_1 dst_unused:UNUSED_PAD src0_sel:DWORD
	v_cvt_f16_f32_e32 v7, v15
	v_cvt_f16_f32_sdwa v8, v14 dst_sel:WORD_1 dst_unused:UNUSED_PAD src0_sel:DWORD
	v_lshl_add_u64 v[4:5], v[0:1], 0, s[30:31]
	v_or_b32_e32 v3, v6, v3
	;;#ASMSTART
	global_atomic_pk_add_f16 v[4:5], v3, off
	
	;;#ASMEND
	v_or_b32_e32 v3, v8, v7
	v_pk_mul_f32 v[8:9], v[110:111], v[44:45]
	scratch_load_dword v44, off, off offset:100 ; 4-byte Folded Reload
	v_mov_b32_e32 v6, v110
	v_mov_b32_e32 v7, v110
	v_pk_mul_f32 v[6:7], v[6:7], v[46:47]
	scratch_load_dword v46, off, off offset:108 ; 4-byte Folded Reload
	v_cndmask_b32_e32 v20, v48, v50, vcc
	v_cndmask_b32_e64 v21, v49, v50, s[6:7]
	v_lshl_add_u64 v[4:5], v[0:1], 0, s[34:35]
	;;#ASMSTART
	global_atomic_pk_add_f16 v[4:5], v3, off
	
	;;#ASMEND
	scratch_load_dwordx4 v[48:51], off, off ; 16-byte Folded Reload
	v_cvt_f16_f32_e32 v31, v21
	v_cvt_f16_f32_sdwa v45, v20 dst_sel:WORD_1 dst_unused:UNUSED_PAD src0_sel:DWORD
	v_pk_mul_f32 v[20:21], v[88:89], v[40:41]
	v_pk_mul_f32 v[22:23], v[84:85], v[36:37]
	v_cmp_eq_u32_e64 s[12:13], 1, v94
	v_cmp_eq_u32_e64 s[14:15], 2, v94
	;; [unrolled: 1-line block ×3, first 2 shown]
	v_lshl_add_u64 v[0:1], v[0:1], 0, s[44:45]
	s_waitcnt vmcnt(2)
	v_cmp_eq_u32_e64 s[8:9], 1, v44
	s_nop 1
	v_cndmask_b32_e64 v13, v8, v9, s[8:9]
	v_cmp_eq_u32_e32 vcc, 2, v44
	v_cmp_eq_u32_e64 s[6:7], 3, v44
	v_cmp_eq_u32_e64 s[10:11], 0, v44
	v_cndmask_b32_e32 v13, v13, v6, vcc
	v_cndmask_b32_e64 v13, v13, v7, s[6:7]
	s_waitcnt vmcnt(1)
	ds_bpermute_b32 v13, v46, v13
	s_waitcnt lgkmcnt(0)
	v_cndmask_b32_e64 v3, v7, v13, s[6:7]
	v_cndmask_b32_e32 v4, v6, v13, vcc
	v_mov_b32_e32 v6, v88
	v_mov_b32_e32 v7, v88
	v_cndmask_b32_e64 v14, v9, v13, s[8:9]
	v_cndmask_b32_e64 v15, v8, v13, s[10:11]
	v_pk_mul_f32 v[8:9], v[6:7], v[42:43]
	v_cndmask_b32_e64 v6, v20, v21, s[8:9]
	v_cndmask_b32_e32 v6, v6, v8, vcc
	v_cndmask_b32_e64 v6, v6, v9, s[6:7]
	ds_bpermute_b32 v13, v46, v6
	v_cndmask_b32_e64 v5, v15, v14, s[12:13]
	v_cndmask_b32_e64 v5, v5, v4, s[14:15]
	;; [unrolled: 1-line block ×3, first 2 shown]
	ds_bpermute_b32 v5, v46, v5
	s_waitcnt lgkmcnt(1)
	v_cndmask_b32_e64 v6, v9, v13, s[6:7]
	v_cndmask_b32_e32 v7, v8, v13, vcc
	v_mov_b32_e32 v8, v84
	v_mov_b32_e32 v9, v84
	v_cndmask_b32_e64 v40, v21, v13, s[8:9]
	v_cndmask_b32_e64 v41, v20, v13, s[10:11]
	v_pk_mul_f32 v[20:21], v[8:9], v[38:39]
	v_cndmask_b32_e64 v8, v22, v23, s[8:9]
	v_cndmask_b32_e32 v8, v8, v20, vcc
	v_cndmask_b32_e64 v8, v8, v21, s[6:7]
	ds_bpermute_b32 v28, v46, v8
	v_cndmask_b32_e64 v8, v41, v40, s[12:13]
	v_cndmask_b32_e64 v8, v8, v7, s[14:15]
	;; [unrolled: 1-line block ×3, first 2 shown]
	ds_bpermute_b32 v8, v46, v8
	s_waitcnt lgkmcnt(1)
	v_cndmask_b32_e64 v9, v21, v28, s[6:7]
	v_cndmask_b32_e32 v13, v20, v28, vcc
	v_cndmask_b32_e64 v36, v23, v28, s[8:9]
	v_cndmask_b32_e64 v37, v22, v28, s[10:11]
	v_mov_b32_e32 v20, v80
	v_mov_b32_e32 v21, v80
	v_pk_mul_f32 v[22:23], v[80:81], v[32:33]
	v_pk_mul_f32 v[20:21], v[20:21], v[34:35]
	v_cndmask_b32_e64 v28, v22, v23, s[8:9]
	v_cndmask_b32_e32 v28, v28, v20, vcc
	v_cndmask_b32_e64 v28, v28, v21, s[6:7]
	ds_bpermute_b32 v28, v46, v28
	v_cndmask_b32_e64 v29, v37, v36, s[12:13]
	v_cndmask_b32_e64 v29, v29, v13, s[14:15]
	;; [unrolled: 1-line block ×3, first 2 shown]
	ds_bpermute_b32 v32, v46, v29
	s_waitcnt lgkmcnt(1)
	v_cndmask_b32_e64 v33, v21, v28, s[6:7]
	v_cndmask_b32_e32 v34, v20, v28, vcc
	v_cndmask_b32_e64 v35, v23, v28, s[8:9]
	v_cndmask_b32_e64 v38, v22, v28, s[10:11]
	v_mov_b32_e32 v20, v76
	v_mov_b32_e32 v21, v76
	s_waitcnt vmcnt(0)
	v_pk_mul_f32 v[22:23], v[76:77], v[48:49]
	v_pk_mul_f32 v[20:21], v[20:21], v[50:51]
	v_cndmask_b32_e64 v28, v22, v23, s[8:9]
	v_cndmask_b32_e32 v28, v28, v20, vcc
	v_cndmask_b32_e64 v28, v28, v21, s[6:7]
	ds_bpermute_b32 v42, v46, v28
	v_cndmask_b32_e64 v28, v38, v35, s[12:13]
	v_cndmask_b32_e64 v28, v28, v34, s[14:15]
	;; [unrolled: 1-line block ×3, first 2 shown]
	ds_bpermute_b32 v28, v46, v28
	s_waitcnt lgkmcnt(1)
	v_cndmask_b32_e64 v29, v21, v42, s[6:7]
	v_cndmask_b32_e32 v30, v20, v42, vcc
	v_cndmask_b32_e64 v39, v23, v42, s[8:9]
	v_cndmask_b32_e64 v42, v22, v42, s[10:11]
	v_mov_b32_e32 v20, v72
	v_mov_b32_e32 v21, v72
	v_pk_mul_f32 v[22:23], v[72:73], v[24:25]
	v_pk_mul_f32 v[20:21], v[20:21], v[26:27]
	v_cndmask_b32_e64 v24, v22, v23, s[8:9]
	v_cndmask_b32_e32 v24, v24, v20, vcc
	v_cndmask_b32_e64 v24, v24, v21, s[6:7]
	ds_bpermute_b32 v27, v46, v24
	v_cndmask_b32_e64 v24, v42, v39, s[12:13]
	v_cndmask_b32_e64 v24, v24, v30, s[14:15]
	;; [unrolled: 1-line block ×3, first 2 shown]
	ds_bpermute_b32 v26, v46, v24
	s_waitcnt lgkmcnt(1)
	v_cndmask_b32_e32 v25, v20, v27, vcc
	v_cmp_ne_u32_e32 vcc, 0, v44
	v_cndmask_b32_e64 v44, v22, v27, s[10:11]
	v_cndmask_b32_e64 v24, v21, v27, s[6:7]
	v_cndmask_b32_e32 v43, v23, v27, vcc
	v_cndmask_b32_e64 v20, v44, v43, s[12:13]
	v_cndmask_b32_e64 v20, v20, v25, s[14:15]
	;; [unrolled: 1-line block ×3, first 2 shown]
	ds_bpermute_b32 v27, v46, v20
	v_or_b32_e32 v20, v45, v31
	;;#ASMSTART
	global_atomic_pk_add_f16 v[0:1], v20, off
	
	;;#ASMEND
	scratch_load_dword v0, off, off offset:104 ; 4-byte Folded Reload
	s_waitcnt vmcnt(0)
	v_or_b32_e32 v0, 32, v0
	v_add_u32_e32 v31, s71, v0
	v_cmp_gt_u32_e32 vcc, 64, v31
	s_and_b64 exec, exec, vcc
	s_cbranch_execz .LBB374_53
; %bb.49:                               ;   in Loop: Header=BB374_7 Depth=1
	v_cmp_eq_u32_e64 s[8:9], 1, v94
	v_cmp_eq_u32_e64 s[10:11], 0, v94
	v_cmp_eq_u32_e32 vcc, 3, v94
	v_cndmask_b32_e64 v0, v14, v5, s[8:9]
	v_cndmask_b32_e64 v1, v15, v5, s[10:11]
	;; [unrolled: 1-line block ×4, first 2 shown]
	s_waitcnt lgkmcnt(1)
	v_cndmask_b32_e64 v35, v39, v26, s[8:9]
	v_cvt_f16_f32_e32 v39, v1
	v_cvt_f16_f32_sdwa v40, v0 dst_sel:WORD_1 dst_unused:UNUSED_PAD src0_sel:DWORD
	scratch_load_dwordx2 v[0:1], off, off offset:164 ; 8-byte Folded Reload
	v_cndmask_b32_e64 v20, v36, v32, s[8:9]
	v_cndmask_b32_e64 v21, v37, v32, s[10:11]
	;; [unrolled: 1-line block ×4, first 2 shown]
	v_cvt_f16_f32_e32 v21, v21
	v_cvt_f16_f32_sdwa v20, v20 dst_sel:WORD_1 dst_unused:UNUSED_PAD src0_sel:DWORD
	v_cndmask_b32_e64 v36, v42, v26, s[10:11]
	v_cvt_f16_f32_e32 v41, v15
	v_cvt_f16_f32_sdwa v42, v14 dst_sel:WORD_1 dst_unused:UNUSED_PAD src0_sel:DWORD
	v_cvt_f16_f32_e32 v23, v23
	v_cvt_f16_f32_sdwa v22, v22 dst_sel:WORD_1 dst_unused:UNUSED_PAD src0_sel:DWORD
	v_or_b32_e32 v14, v40, v39
	v_or_b32_e32 v20, v20, v21
	;; [unrolled: 1-line block ×3, first 2 shown]
	s_waitcnt lgkmcnt(0)
	v_cndmask_b32_e64 v37, v43, v27, s[8:9]
	v_cndmask_b32_e64 v38, v44, v27, s[10:11]
	v_cvt_f16_f32_sdwa v21, v35 dst_sel:WORD_1 dst_unused:UNUSED_PAD src0_sel:DWORD
	v_cmp_eq_u32_e64 s[6:7], 2, v94
	v_cmp_gt_u32_e64 s[8:9], 62, v31
	s_waitcnt vmcnt(0)
	v_lshl_add_u64 v[0:1], v[0:1], 1, s[54:55]
	;;#ASMSTART
	global_atomic_pk_add_f16 v[0:1], v14, off
	
	;;#ASMEND
	v_lshl_add_u64 v[14:15], v[0:1], 0, 32
	;;#ASMSTART
	global_atomic_pk_add_f16 v[14:15], v39, off
	
	;;#ASMEND
	;; [unrolled: 5-line block ×3, first 2 shown]
	v_or_b32_e32 v20, v22, v23
	v_lshl_add_u64 v[14:15], v[0:1], 0, s[30:31]
	;;#ASMSTART
	global_atomic_pk_add_f16 v[14:15], v20, off
	
	;;#ASMEND
	v_cvt_f16_f32_e32 v20, v36
	v_cvt_f16_f32_e32 v22, v38
	v_cvt_f16_f32_sdwa v23, v37 dst_sel:WORD_1 dst_unused:UNUSED_PAD src0_sel:DWORD
	v_lshl_add_u64 v[14:15], v[0:1], 0, s[34:35]
	v_or_b32_e32 v20, v21, v20
	;;#ASMSTART
	global_atomic_pk_add_f16 v[14:15], v20, off
	
	;;#ASMEND
	v_lshl_add_u64 v[14:15], v[0:1], 0, s[44:45]
	v_or_b32_e32 v20, v23, v22
	;;#ASMSTART
	global_atomic_pk_add_f16 v[14:15], v20, off
	
	;;#ASMEND
	s_and_b64 exec, exec, s[8:9]
	s_cbranch_execz .LBB374_53
; %bb.50:                               ;   in Loop: Header=BB374_7 Depth=1
	v_cndmask_b32_e32 v3, v3, v5, vcc
	v_cndmask_b32_e64 v4, v4, v5, s[6:7]
	v_cvt_f16_f32_e32 v4, v4
	v_cvt_f16_f32_sdwa v3, v3 dst_sel:WORD_1 dst_unused:UNUSED_PAD src0_sel:DWORD
	v_cndmask_b32_e32 v5, v6, v8, vcc
	v_cndmask_b32_e64 v6, v7, v8, s[6:7]
	v_cndmask_b32_e32 v7, v9, v32, vcc
	v_or_b32_e32 v3, v3, v4
	v_cndmask_b32_e64 v8, v13, v32, s[6:7]
	v_lshl_add_u64 v[0:1], s[28:29], 2, v[0:1]
	;;#ASMSTART
	global_atomic_pk_add_f16 v[0:1], v3, off
	
	;;#ASMEND
	v_cvt_f16_f32_e32 v3, v6
	v_cvt_f16_f32_sdwa v6, v5 dst_sel:WORD_1 dst_unused:UNUSED_PAD src0_sel:DWORD
	v_cvt_f16_f32_e32 v8, v8
	v_cvt_f16_f32_sdwa v7, v7 dst_sel:WORD_1 dst_unused:UNUSED_PAD src0_sel:DWORD
	v_cndmask_b32_e32 v9, v33, v28, vcc
	v_or_b32_e32 v3, v6, v3
	v_cndmask_b32_e64 v13, v34, v28, s[6:7]
	v_lshl_add_u64 v[4:5], v[0:1], 0, 32
	;;#ASMSTART
	global_atomic_pk_add_f16 v[4:5], v3, off
	
	;;#ASMEND
	v_or_b32_e32 v3, v7, v8
	v_lshl_add_u64 v[4:5], v[0:1], 0, 64
	;;#ASMSTART
	global_atomic_pk_add_f16 v[4:5], v3, off
	
	;;#ASMEND
	v_cvt_f16_f32_e32 v3, v13
	v_cvt_f16_f32_sdwa v6, v9 dst_sel:WORD_1 dst_unused:UNUSED_PAD src0_sel:DWORD
	v_cndmask_b32_e32 v20, v24, v27, vcc
	v_cndmask_b32_e64 v21, v25, v27, s[6:7]
	v_lshl_add_u64 v[4:5], v[0:1], 0, s[30:31]
	v_or_b32_e32 v3, v6, v3
	;;#ASMSTART
	global_atomic_pk_add_f16 v[4:5], v3, off
	
	;;#ASMEND
	scratch_load_dwordx4 v[22:25], off, off offset:80 ; 16-byte Folded Reload
	scratch_load_dword v40, off, off offset:100 ; 4-byte Folded Reload
	scratch_load_dword v41, off, off offset:108 ; 4-byte Folded Reload
	v_cndmask_b32_e32 v14, v29, v26, vcc
	v_cndmask_b32_e64 v15, v30, v26, s[6:7]
	v_cvt_f16_f32_e32 v7, v15
	v_cvt_f16_f32_sdwa v8, v14 dst_sel:WORD_1 dst_unused:UNUSED_PAD src0_sel:DWORD
	v_lshl_add_u64 v[4:5], v[0:1], 0, s[34:35]
	v_cvt_f16_f32_e32 v38, v21
	v_cvt_f16_f32_sdwa v39, v20 dst_sel:WORD_1 dst_unused:UNUSED_PAD src0_sel:DWORD
	v_or_b32_e32 v3, v8, v7
	;;#ASMSTART
	global_atomic_pk_add_f16 v[4:5], v3, off
	
	;;#ASMEND
	scratch_load_dwordx4 v[30:33], off, off offset:32 ; 16-byte Folded Reload
	scratch_load_dwordx4 v[34:37], off, off offset:16 ; 16-byte Folded Reload
	v_mov_b32_e32 v6, v110
	v_mov_b32_e32 v7, v110
	v_lshl_add_u64 v[0:1], v[0:1], 0, s[44:45]
	v_cmp_eq_u32_e64 s[12:13], 1, v94
	v_cmp_eq_u32_e64 s[14:15], 2, v94
	;; [unrolled: 1-line block ×3, first 2 shown]
	scratch_load_dwordx4 v[26:29], off, off offset:48 ; 16-byte Folded Reload
	s_waitcnt vmcnt(5)
	v_pk_mul_f32 v[8:9], v[110:111], v[22:23]
	scratch_load_dwordx4 v[20:23], off, off offset:64 ; 16-byte Folded Reload
	s_waitcnt vmcnt(5)
	v_cmp_eq_u32_e64 s[8:9], 1, v40
	v_pk_mul_f32 v[6:7], v[6:7], v[24:25]
	v_cmp_eq_u32_e32 vcc, 2, v40
	v_cndmask_b32_e64 v13, v8, v9, s[8:9]
	v_cmp_eq_u32_e64 s[6:7], 3, v40
	v_cndmask_b32_e32 v13, v13, v6, vcc
	v_cmp_eq_u32_e64 s[10:11], 0, v40
	v_cndmask_b32_e64 v13, v13, v7, s[6:7]
	s_waitcnt vmcnt(4)
	ds_bpermute_b32 v13, v41, v13
	s_waitcnt vmcnt(2)
	v_pk_mul_f32 v[34:35], v[76:77], v[34:35]
	s_waitcnt lgkmcnt(0)
	v_cndmask_b32_e64 v3, v7, v13, s[6:7]
	v_cndmask_b32_e32 v4, v6, v13, vcc
	v_mov_b32_e32 v6, v88
	v_mov_b32_e32 v7, v88
	v_cndmask_b32_e64 v14, v9, v13, s[8:9]
	v_cndmask_b32_e64 v15, v8, v13, s[10:11]
	;; [unrolled: 1-line block ×5, first 2 shown]
	ds_bpermute_b32 v5, v41, v5
	s_waitcnt vmcnt(1)
	v_pk_mul_f32 v[26:27], v[84:85], v[26:27]
	s_waitcnt vmcnt(0)
	v_pk_mul_f32 v[20:21], v[88:89], v[20:21]
	v_pk_mul_f32 v[8:9], v[6:7], v[22:23]
	v_cndmask_b32_e64 v6, v20, v21, s[8:9]
	v_cndmask_b32_e32 v6, v6, v8, vcc
	v_cndmask_b32_e64 v6, v6, v9, s[6:7]
	ds_bpermute_b32 v13, v41, v6
	s_waitcnt lgkmcnt(0)
	v_cndmask_b32_e64 v6, v9, v13, s[6:7]
	v_cndmask_b32_e32 v7, v8, v13, vcc
	v_mov_b32_e32 v8, v84
	v_mov_b32_e32 v9, v84
	v_cndmask_b32_e64 v23, v21, v13, s[8:9]
	v_cndmask_b32_e64 v24, v20, v13, s[10:11]
	v_pk_mul_f32 v[20:21], v[8:9], v[28:29]
	v_cndmask_b32_e64 v8, v26, v27, s[8:9]
	v_cndmask_b32_e32 v8, v8, v20, vcc
	v_cndmask_b32_e64 v8, v8, v21, s[6:7]
	ds_bpermute_b32 v22, v41, v8
	v_cndmask_b32_e64 v8, v24, v23, s[12:13]
	v_cndmask_b32_e64 v8, v8, v7, s[14:15]
	;; [unrolled: 1-line block ×3, first 2 shown]
	ds_bpermute_b32 v8, v41, v8
	s_waitcnt lgkmcnt(1)
	v_cndmask_b32_e64 v9, v21, v22, s[6:7]
	v_cndmask_b32_e32 v13, v20, v22, vcc
	v_mov_b32_e32 v20, v80
	v_mov_b32_e32 v21, v80
	v_cndmask_b32_e64 v28, v27, v22, s[8:9]
	v_cndmask_b32_e64 v29, v26, v22, s[10:11]
	v_pk_mul_f32 v[26:27], v[20:21], v[32:33]
	v_pk_mul_f32 v[32:33], v[80:81], v[30:31]
	s_nop 0
	v_cndmask_b32_e64 v20, v32, v33, s[8:9]
	v_cndmask_b32_e32 v20, v20, v26, vcc
	v_cndmask_b32_e64 v20, v20, v27, s[6:7]
	ds_bpermute_b32 v25, v41, v20
	v_cndmask_b32_e64 v20, v29, v28, s[12:13]
	v_cndmask_b32_e64 v20, v20, v13, s[14:15]
	v_cndmask_b32_e64 v20, v20, v9, s[16:17]
	ds_bpermute_b32 v20, v41, v20
	s_waitcnt lgkmcnt(1)
	v_cndmask_b32_e64 v21, v27, v25, s[6:7]
	v_cndmask_b32_e32 v22, v26, v25, vcc
	v_mov_b32_e32 v26, v76
	v_mov_b32_e32 v27, v76
	v_cndmask_b32_e64 v30, v33, v25, s[8:9]
	v_cndmask_b32_e64 v31, v32, v25, s[10:11]
	v_pk_mul_f32 v[32:33], v[26:27], v[36:37]
	v_cndmask_b32_e64 v25, v34, v35, s[8:9]
	v_cndmask_b32_e32 v25, v25, v32, vcc
	v_cndmask_b32_e64 v25, v25, v33, s[6:7]
	ds_bpermute_b32 v36, v41, v25
	v_mov_b32_e32 v37, v72
	v_cndmask_b32_e64 v25, v31, v30, s[12:13]
	v_cndmask_b32_e64 v25, v25, v22, s[14:15]
	;; [unrolled: 1-line block ×3, first 2 shown]
	s_waitcnt lgkmcnt(0)
	v_cndmask_b32_e64 v26, v33, v36, s[6:7]
	v_cndmask_b32_e32 v27, v32, v36, vcc
	v_cndmask_b32_e64 v33, v35, v36, s[8:9]
	v_cndmask_b32_e64 v34, v34, v36, s[10:11]
	v_mov_b32_e32 v36, v72
	v_pk_mul_f32 v[18:19], v[36:37], v[18:19]
	v_pk_mul_f32 v[36:37], v[72:73], v[16:17]
	ds_bpermute_b32 v25, v41, v25
	v_cndmask_b32_e64 v16, v36, v37, s[8:9]
	v_cndmask_b32_e32 v16, v16, v18, vcc
	v_cndmask_b32_e64 v16, v16, v19, s[6:7]
	ds_bpermute_b32 v32, v41, v16
	v_cndmask_b32_e64 v16, v34, v33, s[12:13]
	v_cndmask_b32_e64 v16, v16, v27, s[14:15]
	;; [unrolled: 1-line block ×3, first 2 shown]
	ds_bpermute_b32 v16, v41, v16
	s_waitcnt lgkmcnt(1)
	v_cndmask_b32_e32 v18, v18, v32, vcc
	v_cmp_ne_u32_e32 vcc, 0, v40
	v_cndmask_b32_e64 v17, v19, v32, s[6:7]
	v_cndmask_b32_e64 v36, v36, v32, s[10:11]
	v_cndmask_b32_e32 v35, v37, v32, vcc
	v_or_b32_e32 v32, v39, v38
	;;#ASMSTART
	global_atomic_pk_add_f16 v[0:1], v32, off
	
	;;#ASMEND
	scratch_load_dword v0, off, off offset:104 ; 4-byte Folded Reload
	v_cndmask_b32_e64 v19, v36, v35, s[12:13]
	v_cndmask_b32_e64 v19, v19, v18, s[14:15]
	;; [unrolled: 1-line block ×3, first 2 shown]
	ds_bpermute_b32 v19, v41, v19
	s_waitcnt vmcnt(0)
	v_or_b32_e32 v0, 48, v0
	v_add_u32_e32 v32, s71, v0
	v_cmp_gt_u32_e32 vcc, 64, v32
	s_and_b64 exec, exec, vcc
	s_cbranch_execz .LBB374_53
; %bb.51:                               ;   in Loop: Header=BB374_7 Depth=1
	v_cmp_eq_u32_e64 s[8:9], 1, v94
	v_cmp_eq_u32_e64 s[10:11], 0, v94
	v_cmp_eq_u32_e32 vcc, 3, v94
	v_cndmask_b32_e64 v0, v14, v5, s[8:9]
	v_cndmask_b32_e64 v1, v15, v5, s[10:11]
	;; [unrolled: 1-line block ×8, first 2 shown]
	s_waitcnt lgkmcnt(1)
	v_cndmask_b32_e64 v30, v33, v16, s[8:9]
	v_cndmask_b32_e64 v31, v34, v16, s[10:11]
	s_waitcnt lgkmcnt(0)
	v_cndmask_b32_e64 v33, v35, v19, s[8:9]
	v_cndmask_b32_e64 v34, v36, v19, s[10:11]
	v_cvt_f16_f32_e32 v35, v1
	v_cvt_f16_f32_sdwa v36, v0 dst_sel:WORD_1 dst_unused:UNUSED_PAD src0_sel:DWORD
	scratch_load_dwordx2 v[0:1], off, off offset:172 ; 8-byte Folded Reload
	v_cvt_f16_f32_e32 v24, v24
	v_cvt_f16_f32_sdwa v23, v23 dst_sel:WORD_1 dst_unused:UNUSED_PAD src0_sel:DWORD
	v_cvt_f16_f32_e32 v37, v15
	v_cvt_f16_f32_sdwa v38, v14 dst_sel:WORD_1 dst_unused:UNUSED_PAD src0_sel:DWORD
	;; [unrolled: 2-line block ×3, first 2 shown]
	v_or_b32_e32 v14, v36, v35
	v_or_b32_e32 v23, v23, v24
	;; [unrolled: 1-line block ×3, first 2 shown]
	v_cvt_f16_f32_sdwa v24, v30 dst_sel:WORD_1 dst_unused:UNUSED_PAD src0_sel:DWORD
	v_cmp_eq_u32_e64 s[6:7], 2, v94
	v_cmp_gt_u32_e64 s[8:9], 62, v32
	s_waitcnt vmcnt(0)
	v_lshl_add_u64 v[0:1], v[0:1], 1, s[54:55]
	;;#ASMSTART
	global_atomic_pk_add_f16 v[0:1], v14, off
	
	;;#ASMEND
	v_lshl_add_u64 v[14:15], v[0:1], 0, 32
	;;#ASMSTART
	global_atomic_pk_add_f16 v[14:15], v35, off
	
	;;#ASMEND
	;; [unrolled: 5-line block ×3, first 2 shown]
	v_or_b32_e32 v23, v28, v29
	v_lshl_add_u64 v[14:15], v[0:1], 0, s[30:31]
	;;#ASMSTART
	global_atomic_pk_add_f16 v[14:15], v23, off
	
	;;#ASMEND
	v_cvt_f16_f32_e32 v23, v31
	v_cvt_f16_f32_e32 v28, v34
	v_cvt_f16_f32_sdwa v29, v33 dst_sel:WORD_1 dst_unused:UNUSED_PAD src0_sel:DWORD
	v_lshl_add_u64 v[14:15], v[0:1], 0, s[34:35]
	v_or_b32_e32 v23, v24, v23
	;;#ASMSTART
	global_atomic_pk_add_f16 v[14:15], v23, off
	
	;;#ASMEND
	v_lshl_add_u64 v[14:15], v[0:1], 0, s[44:45]
	v_or_b32_e32 v23, v29, v28
	;;#ASMSTART
	global_atomic_pk_add_f16 v[14:15], v23, off
	
	;;#ASMEND
	s_and_b64 exec, exec, s[8:9]
	s_cbranch_execz .LBB374_53
; %bb.52:                               ;   in Loop: Header=BB374_7 Depth=1
	v_cndmask_b32_e32 v3, v3, v5, vcc
	v_cndmask_b32_e64 v4, v4, v5, s[6:7]
	v_cndmask_b32_e32 v5, v6, v8, vcc
	v_cndmask_b32_e64 v6, v7, v8, s[6:7]
	v_cvt_f16_f32_e32 v4, v4
	v_cvt_f16_f32_sdwa v3, v3 dst_sel:WORD_1 dst_unused:UNUSED_PAD src0_sel:DWORD
	v_cndmask_b32_e32 v14, v26, v16, vcc
	v_cndmask_b32_e64 v15, v27, v16, s[6:7]
	v_cndmask_b32_e32 v16, v17, v19, vcc
	v_cndmask_b32_e64 v17, v18, v19, s[6:7]
	v_cvt_f16_f32_e32 v6, v6
	v_cvt_f16_f32_sdwa v18, v5 dst_sel:WORD_1 dst_unused:UNUSED_PAD src0_sel:DWORD
	v_or_b32_e32 v3, v3, v4
	v_cndmask_b32_e32 v7, v9, v20, vcc
	v_cndmask_b32_e64 v8, v13, v20, s[6:7]
	v_lshl_add_u64 v[0:1], s[28:29], 2, v[0:1]
	;;#ASMSTART
	global_atomic_pk_add_f16 v[0:1], v3, off
	
	;;#ASMEND
	v_or_b32_e32 v3, v18, v6
	v_cndmask_b32_e32 v9, v21, v25, vcc
	v_cndmask_b32_e64 v13, v22, v25, s[6:7]
	v_lshl_add_u64 v[4:5], v[0:1], 0, 32
	;;#ASMSTART
	global_atomic_pk_add_f16 v[4:5], v3, off
	
	;;#ASMEND
	v_cvt_f16_f32_e32 v3, v8
	v_cvt_f16_f32_sdwa v6, v7 dst_sel:WORD_1 dst_unused:UNUSED_PAD src0_sel:DWORD
	v_cvt_f16_f32_e32 v7, v13
	v_cvt_f16_f32_sdwa v8, v9 dst_sel:WORD_1 dst_unused:UNUSED_PAD src0_sel:DWORD
	v_lshl_add_u64 v[4:5], v[0:1], 0, 64
	v_or_b32_e32 v3, v6, v3
	;;#ASMSTART
	global_atomic_pk_add_f16 v[4:5], v3, off
	
	;;#ASMEND
	v_or_b32_e32 v3, v8, v7
	v_lshl_add_u64 v[4:5], v[0:1], 0, s[30:31]
	;;#ASMSTART
	global_atomic_pk_add_f16 v[4:5], v3, off
	
	;;#ASMEND
	v_cvt_f16_f32_e32 v3, v15
	v_cvt_f16_f32_sdwa v6, v14 dst_sel:WORD_1 dst_unused:UNUSED_PAD src0_sel:DWORD
	v_cvt_f16_f32_e32 v7, v17
	v_cvt_f16_f32_sdwa v8, v16 dst_sel:WORD_1 dst_unused:UNUSED_PAD src0_sel:DWORD
	v_lshl_add_u64 v[4:5], v[0:1], 0, s[34:35]
	v_or_b32_e32 v3, v6, v3
	;;#ASMSTART
	global_atomic_pk_add_f16 v[4:5], v3, off
	
	;;#ASMEND
	v_lshl_add_u64 v[0:1], v[0:1], 0, s[44:45]
	v_or_b32_e32 v3, v8, v7
	;;#ASMSTART
	global_atomic_pk_add_f16 v[0:1], v3, off
	
	;;#ASMEND
.LBB374_53:                             ;   in Loop: Header=BB374_7 Depth=1
	s_or_b64 exec, exec, s[18:19]
	scratch_load_dword v17, off, off offset:112 ; 4-byte Folded Reload
	s_waitcnt lgkmcnt(0)
	scratch_load_dwordx2 v[18:19], off, off offset:128 ; 8-byte Folded Reload
	scratch_load_dword v20, off, off offset:136 ; 4-byte Folded Reload
	v_subrev_u32_e32 v12, s72, v12
	v_mov_b32_e32 v30, v98
.LBB374_54:                             ;   in Loop: Header=BB374_7 Depth=1
	s_or_b64 exec, exec, s[52:53]
.LBB374_55:                             ;   in Loop: Header=BB374_7 Depth=1
	s_andn2_saveexec_b64 s[6:7], s[50:51]
	s_cbranch_execz .LBB374_64
; %bb.56:                               ;   in Loop: Header=BB374_7 Depth=1
	s_mul_i32 s16, s72, 6
	v_cmp_gt_i32_e32 vcc, s16, v12
	s_and_saveexec_b64 s[8:9], vcc
	s_cbranch_execz .LBB374_63
; %bb.57:                               ;   in Loop: Header=BB374_7 Depth=1
	scratch_load_dwordx2 v[0:1], off, off offset:140 ; 8-byte Folded Reload
	s_mul_i32 s10, s48, s23
	s_ashr_i32 s11, s10, 31
	s_waitcnt lgkmcnt(0)
	s_add_u32 s10, s38, s10
	s_addc_u32 s11, s39, s11
	s_ashr_i32 s12, s70, 31
	s_add_u32 s10, s10, s70
	s_addc_u32 s11, s11, s12
	s_waitcnt vmcnt(0)
	v_lshl_add_u64 v[0:1], s[10:11], 0, v[0:1]
	v_lshl_add_u64 v[8:9], v[0:1], 0, v[18:19]
	s_mov_b64 s[10:11], 0
	s_branch .LBB374_59
.LBB374_58:                             ;   in Loop: Header=BB374_59 Depth=2
	s_or_b64 exec, exec, s[12:13]
	v_lshl_or_b32 v15, v13, 11, v11
	;;#ASMSTART
	s_waitcnt vmcnt(1)
	;;#ASMEND
	ds_write2_b32 v15, v4, v5 offset1:32
	ds_write2_b32 v15, v6, v7 offset0:64 offset1:96
	v_add_u32_e32 v4, 0x400, v15
	v_add_u32_e32 v12, s26, v12
	;;#ASMSTART
	s_waitcnt vmcnt(0)
	;;#ASMEND
	ds_write2_b32 v4, v0, v1 offset1:32
	ds_write2_b32 v4, v2, v3 offset0:64 offset1:96
	v_add_u32_e32 v0, 1, v10
	v_add_u32_e32 v2, s26, v13
	v_cmp_le_i32_e32 vcc, s16, v12
	ds_write_b32 v14, v0 offset:16
	v_add_u32_e32 v0, 2, v10
	s_or_b64 s[10:11], vcc, s[10:11]
	v_cmp_lt_i32_e32 vcc, 5, v2
	s_nop 1
	v_cndmask_b32_e32 v10, v10, v0, vcc
	s_andn2_b64 exec, exec, s[10:11]
	s_cbranch_execz .LBB374_62
.LBB374_59:                             ;   Parent Loop BB374_7 Depth=1
                                        ; =>  This Loop Header: Depth=2
                                        ;       Child Loop BB374_61 Depth 3
	v_cmp_gt_i32_e32 vcc, 6, v2
	s_nop 1
	v_cndmask_b32_e64 v0, -6, 0, vcc
	v_add_u32_e32 v13, v0, v2
	v_mul_hi_i32 v0, v12, s58
	v_lshrrev_b32_e32 v1, 31, v0
	v_add_u32_e32 v0, v0, v1
	v_mul_lo_u32 v1, v0, 6
	v_sub_u32_e32 v2, v12, v1
	v_lshlrev_b32_e32 v0, 7, v0
	v_ashrrev_i32_e32 v1, 31, v0
	v_mul_lo_u32 v2, s63, v2
	v_lshl_add_u64 v[0:1], v[8:9], 0, v[0:1]
	v_ashrrev_i32_e32 v3, 31, v2
	v_lshl_add_u64 v[0:1], v[0:1], 0, v[2:3]
	v_lshlrev_b32_e32 v14, 2, v13
	;;#ASMSTART
	global_load_dwordx4 v[4:7], v[0:1], off offset:0   sc0 sc1 nt  
	global_load_dwordx4 v[0:3], v[0:1], off offset:64  sc0 sc1 nt  
	
	;;#ASMEND
	ds_read_b32 v15, v14 offset:20496
	v_add_u32_e32 v14, 0x5000, v14
	s_waitcnt lgkmcnt(0)
	v_cmp_ne_u32_e32 vcc, v15, v10
	s_and_saveexec_b64 s[12:13], vcc
	s_cbranch_execz .LBB374_58
; %bb.60:                               ;   in Loop: Header=BB374_59 Depth=2
	s_mov_b64 s[14:15], 0
.LBB374_61:                             ;   Parent Loop BB374_7 Depth=1
                                        ;     Parent Loop BB374_59 Depth=2
                                        ; =>    This Inner Loop Header: Depth=3
	;;#ASMSTART
	s_sleep 0
	;;#ASMEND
	ds_read_b32 v15, v14 offset:16
	s_waitcnt lgkmcnt(0)
	v_cmp_eq_u32_e32 vcc, v15, v10
	s_or_b64 s[14:15], vcc, s[14:15]
	s_andn2_b64 exec, exec, s[14:15]
	s_cbranch_execnz .LBB374_61
	s_branch .LBB374_58
.LBB374_62:                             ;   in Loop: Header=BB374_7 Depth=1
	s_or_b64 exec, exec, s[10:11]
.LBB374_63:                             ;   in Loop: Header=BB374_7 Depth=1
	s_or_b64 exec, exec, s[8:9]
	v_subrev_u32_e32 v12, s16, v12
.LBB374_64:                             ;   in Loop: Header=BB374_7 Depth=1
	s_or_b64 exec, exec, s[6:7]
.LBB374_65:                             ;   in Loop: Header=BB374_7 Depth=1
	s_andn2_saveexec_b64 s[6:7], s[46:47]
	s_cbranch_execz .LBB374_6
; %bb.66:                               ;   in Loop: Header=BB374_7 Depth=1
	s_lshl_b32 s16, s72, 2
	v_cmp_gt_i32_e32 vcc, s16, v12
	s_and_saveexec_b64 s[8:9], vcc
	s_cbranch_execz .LBB374_5
; %bb.67:                               ;   in Loop: Header=BB374_7 Depth=1
	s_mul_i32 s69, s69, s22
	s_ashr_i32 s10, s69, 31
	s_waitcnt lgkmcnt(0)
	s_add_u32 s11, s36, s69
	s_waitcnt vmcnt(0)
	v_add_u32_e32 v3, s71, v20
	s_addc_u32 s12, s37, s10
	s_ashr_i32 s13, s70, 31
	v_mul_lo_u32 v0, s22, v20
	v_cmp_gt_u32_e32 vcc, 64, v3
	s_add_u32 s10, s11, s70
	s_addc_u32 s11, s12, s13
	v_cndmask_b32_e32 v0, 0, v0, vcc
	v_ashrrev_i32_e32 v1, 31, v0
	v_lshl_add_u64 v[0:1], s[10:11], 0, v[0:1]
	v_lshl_add_u64 v[8:9], v[0:1], 0, v[18:19]
	v_sub_u32_e32 v13, 63, v3
	s_mov_b64 s[10:11], 0
	s_branch .LBB374_69
.LBB374_68:                             ;   in Loop: Header=BB374_69 Depth=2
	s_or_b64 exec, exec, s[12:13]
	v_or_b32_e32 v16, 0x3000, v11
	v_lshl_add_u32 v16, v14, 11, v16
	;;#ASMSTART
	s_waitcnt vmcnt(1)
	;;#ASMEND
	ds_write2_b32 v16, v4, v5 offset1:32
	ds_write2_b32 v16, v6, v7 offset0:64 offset1:96
	v_add_u32_e32 v4, 0x400, v16
	v_add_u32_e32 v12, s25, v12
	;;#ASMSTART
	s_waitcnt vmcnt(0)
	;;#ASMEND
	ds_write2_b32 v4, v0, v1 offset1:32
	ds_write2_b32 v4, v2, v3 offset0:64 offset1:96
	v_add_u32_e32 v0, 1, v10
	v_add_u32_e32 v2, s25, v14
	v_cmp_le_i32_e32 vcc, s16, v12
	ds_write_b32 v15, v0
	v_add_u32_e32 v0, 2, v10
	s_or_b64 s[10:11], vcc, s[10:11]
	v_cmp_lt_i32_e32 vcc, 3, v2
	s_nop 1
	v_cndmask_b32_e32 v10, v10, v0, vcc
	s_andn2_b64 exec, exec, s[10:11]
	s_cbranch_execz .LBB374_4
.LBB374_69:                             ;   Parent Loop BB374_7 Depth=1
                                        ; =>  This Loop Header: Depth=2
                                        ;       Child Loop BB374_71 Depth 3
	v_cmp_gt_i32_e32 vcc, 4, v2
	s_nop 1
	v_cndmask_b32_e64 v0, -4, 0, vcc
	v_add_u32_e32 v14, v0, v2
	v_ashrrev_i32_e32 v0, 31, v12
	v_lshrrev_b32_e32 v0, 30, v0
	v_add_u32_e32 v0, v12, v0
	v_and_b32_e32 v1, 0xffffffc, v0
	v_sub_u32_e32 v1, v12, v1
	v_lshlrev_b32_e32 v1, 4, v1
	v_cmp_le_i32_e32 vcc, v1, v13
	v_lshlrev_b32_e32 v0, 5, v0
	v_and_b32_e32 v0, 0xffffff80, v0
	v_cndmask_b32_e32 v2, 0, v1, vcc
	v_ashrrev_i32_e32 v1, 31, v0
	v_mul_lo_u32 v2, v2, s22
	v_lshl_add_u64 v[0:1], v[8:9], 0, v[0:1]
	v_ashrrev_i32_e32 v3, 31, v2
	v_lshl_add_u64 v[0:1], v[0:1], 0, v[2:3]
	v_lshlrev_b32_e32 v15, 2, v14
	;;#ASMSTART
	global_load_dwordx4 v[4:7], v[0:1], off offset:0   
	global_load_dwordx4 v[0:3], v[0:1], off offset:64  
	
	;;#ASMEND
	ds_read_b32 v16, v15 offset:20480
	v_add_u32_e32 v15, 0x5000, v15
	s_waitcnt lgkmcnt(0)
	v_cmp_ne_u32_e32 vcc, v16, v10
	s_and_saveexec_b64 s[12:13], vcc
	s_cbranch_execz .LBB374_68
; %bb.70:                               ;   in Loop: Header=BB374_69 Depth=2
	s_mov_b64 s[14:15], 0
.LBB374_71:                             ;   Parent Loop BB374_7 Depth=1
                                        ;     Parent Loop BB374_69 Depth=2
                                        ; =>    This Inner Loop Header: Depth=3
	;;#ASMSTART
	s_sleep 0
	;;#ASMEND
	ds_read_b32 v16, v15
	s_waitcnt lgkmcnt(0)
	v_cmp_eq_u32_e32 vcc, v16, v10
	s_or_b64 s[14:15], vcc, s[14:15]
	s_andn2_b64 exec, exec, s[14:15]
	s_cbranch_execnz .LBB374_71
	s_branch .LBB374_68
.LBB374_72:
	s_endpgm
	.section	.rodata,"a",@progbits
	.p2align	6, 0x0
	.amdhsa_kernel _Z19_skinny_gemm_kernelILi4ELi6ELi1ELi16ELi4EEvPKhS1_P6__halfPKfiiiiiiii
		.amdhsa_group_segment_fixed_size 20520
		.amdhsa_private_segment_fixed_size 184
		.amdhsa_kernarg_size 64
		.amdhsa_user_sgpr_count 2
		.amdhsa_user_sgpr_dispatch_ptr 0
		.amdhsa_user_sgpr_queue_ptr 0
		.amdhsa_user_sgpr_kernarg_segment_ptr 1
		.amdhsa_user_sgpr_dispatch_id 0
		.amdhsa_user_sgpr_kernarg_preload_length 0
		.amdhsa_user_sgpr_kernarg_preload_offset 0
		.amdhsa_user_sgpr_private_segment_size 0
		.amdhsa_uses_dynamic_stack 0
		.amdhsa_enable_private_segment 1
		.amdhsa_system_sgpr_workgroup_id_x 1
		.amdhsa_system_sgpr_workgroup_id_y 0
		.amdhsa_system_sgpr_workgroup_id_z 0
		.amdhsa_system_sgpr_workgroup_info 0
		.amdhsa_system_vgpr_workitem_id 0
		.amdhsa_next_free_vgpr 128
		.amdhsa_next_free_sgpr 73
		.amdhsa_accum_offset 128
		.amdhsa_reserve_vcc 1
		.amdhsa_float_round_mode_32 0
		.amdhsa_float_round_mode_16_64 0
		.amdhsa_float_denorm_mode_32 3
		.amdhsa_float_denorm_mode_16_64 3
		.amdhsa_dx10_clamp 1
		.amdhsa_ieee_mode 1
		.amdhsa_fp16_overflow 0
		.amdhsa_tg_split 0
		.amdhsa_exception_fp_ieee_invalid_op 0
		.amdhsa_exception_fp_denorm_src 0
		.amdhsa_exception_fp_ieee_div_zero 0
		.amdhsa_exception_fp_ieee_overflow 0
		.amdhsa_exception_fp_ieee_underflow 0
		.amdhsa_exception_fp_ieee_inexact 0
		.amdhsa_exception_int_div_zero 0
	.end_amdhsa_kernel
	.section	.text._Z19_skinny_gemm_kernelILi4ELi6ELi1ELi16ELi4EEvPKhS1_P6__halfPKfiiiiiiii,"axG",@progbits,_Z19_skinny_gemm_kernelILi4ELi6ELi1ELi16ELi4EEvPKhS1_P6__halfPKfiiiiiiii,comdat
.Lfunc_end374:
	.size	_Z19_skinny_gemm_kernelILi4ELi6ELi1ELi16ELi4EEvPKhS1_P6__halfPKfiiiiiiii, .Lfunc_end374-_Z19_skinny_gemm_kernelILi4ELi6ELi1ELi16ELi4EEvPKhS1_P6__halfPKfiiiiiiii
                                        ; -- End function
	.set _Z19_skinny_gemm_kernelILi4ELi6ELi1ELi16ELi4EEvPKhS1_P6__halfPKfiiiiiiii.num_vgpr, 128
	.set _Z19_skinny_gemm_kernelILi4ELi6ELi1ELi16ELi4EEvPKhS1_P6__halfPKfiiiiiiii.num_agpr, 0
	.set _Z19_skinny_gemm_kernelILi4ELi6ELi1ELi16ELi4EEvPKhS1_P6__halfPKfiiiiiiii.numbered_sgpr, 73
	.set _Z19_skinny_gemm_kernelILi4ELi6ELi1ELi16ELi4EEvPKhS1_P6__halfPKfiiiiiiii.num_named_barrier, 0
	.set _Z19_skinny_gemm_kernelILi4ELi6ELi1ELi16ELi4EEvPKhS1_P6__halfPKfiiiiiiii.private_seg_size, 184
	.set _Z19_skinny_gemm_kernelILi4ELi6ELi1ELi16ELi4EEvPKhS1_P6__halfPKfiiiiiiii.uses_vcc, 1
	.set _Z19_skinny_gemm_kernelILi4ELi6ELi1ELi16ELi4EEvPKhS1_P6__halfPKfiiiiiiii.uses_flat_scratch, 0
	.set _Z19_skinny_gemm_kernelILi4ELi6ELi1ELi16ELi4EEvPKhS1_P6__halfPKfiiiiiiii.has_dyn_sized_stack, 0
	.set _Z19_skinny_gemm_kernelILi4ELi6ELi1ELi16ELi4EEvPKhS1_P6__halfPKfiiiiiiii.has_recursion, 0
	.set _Z19_skinny_gemm_kernelILi4ELi6ELi1ELi16ELi4EEvPKhS1_P6__halfPKfiiiiiiii.has_indirect_call, 0
	.section	.AMDGPU.csdata,"",@progbits
; Kernel info:
; codeLenInByte = 11708
; TotalNumSgprs: 79
; NumVgprs: 128
; NumAgprs: 0
; TotalNumVgprs: 128
; ScratchSize: 184
; MemoryBound: 0
; FloatMode: 240
; IeeeMode: 1
; LDSByteSize: 20520 bytes/workgroup (compile time only)
; SGPRBlocks: 9
; VGPRBlocks: 15
; NumSGPRsForWavesPerEU: 79
; NumVGPRsForWavesPerEU: 128
; AccumOffset: 128
; Occupancy: 4
; WaveLimiterHint : 0
; COMPUTE_PGM_RSRC2:SCRATCH_EN: 1
; COMPUTE_PGM_RSRC2:USER_SGPR: 2
; COMPUTE_PGM_RSRC2:TRAP_HANDLER: 0
; COMPUTE_PGM_RSRC2:TGID_X_EN: 1
; COMPUTE_PGM_RSRC2:TGID_Y_EN: 0
; COMPUTE_PGM_RSRC2:TGID_Z_EN: 0
; COMPUTE_PGM_RSRC2:TIDIG_COMP_CNT: 0
; COMPUTE_PGM_RSRC3_GFX90A:ACCUM_OFFSET: 31
; COMPUTE_PGM_RSRC3_GFX90A:TG_SPLIT: 0
	.section	.text._Z19_skinny_gemm_kernelILi4ELi6ELi1ELi16ELi8EEvPKhS1_P6__halfPKfiiiiiiii,"axG",@progbits,_Z19_skinny_gemm_kernelILi4ELi6ELi1ELi16ELi8EEvPKhS1_P6__halfPKfiiiiiiii,comdat
	.protected	_Z19_skinny_gemm_kernelILi4ELi6ELi1ELi16ELi8EEvPKhS1_P6__halfPKfiiiiiiii ; -- Begin function _Z19_skinny_gemm_kernelILi4ELi6ELi1ELi16ELi8EEvPKhS1_P6__halfPKfiiiiiiii
	.globl	_Z19_skinny_gemm_kernelILi4ELi6ELi1ELi16ELi8EEvPKhS1_P6__halfPKfiiiiiiii
	.p2align	8
	.type	_Z19_skinny_gemm_kernelILi4ELi6ELi1ELi16ELi8EEvPKhS1_P6__halfPKfiiiiiiii,@function
_Z19_skinny_gemm_kernelILi4ELi6ELi1ELi16ELi8EEvPKhS1_P6__halfPKfiiiiiiii: ; @_Z19_skinny_gemm_kernelILi4ELi6ELi1ELi16ELi8EEvPKhS1_P6__halfPKfiiiiiiii
; %bb.0:
	v_cmp_gt_u32_e32 vcc, 10, v0
	v_lshlrev_b32_e32 v1, 2, v0
	s_and_saveexec_b64 s[4:5], vcc
; %bb.1:
	v_mov_b32_e32 v2, 0
	ds_write_b32 v1, v2 offset:40960
; %bb.2:
	s_or_b64 exec, exec, s[4:5]
	s_load_dwordx8 s[20:27], s[0:1], 0x20
	s_mov_b32 s58, 0x2aaaaaab
	s_waitcnt lgkmcnt(0)
	s_barrier
	s_add_i32 s3, s20, 63
	s_ashr_i32 s5, s3, 31
	s_lshr_b32 s5, s5, 26
	s_add_i32 s4, s21, 0x5f
	s_add_i32 s3, s3, s5
	s_ashr_i32 s33, s3, 6
	s_mul_hi_i32 s3, s4, 0x2aaaaaab
	s_lshr_b32 s4, s3, 31
	s_ashr_i32 s56, s3, 4
	s_add_i32 s56, s56, s4
	s_mul_i32 s3, s56, s33
	s_mul_i32 s3, s3, s24
	s_add_i32 s4, s3, 0x12f
	s_mul_hi_i32 s4, s4, 0x6bca1af3
	s_lshr_b32 s5, s4, 31
	s_ashr_i32 s4, s4, 7
	s_add_i32 s4, s4, s5
	s_add_i32 s5, s2, 1
	s_mul_i32 s5, s4, s5
	v_cvt_f64_i32_e32 v[2:3], s3
	v_cvt_f64_u32_e32 v[4:5], s5
	v_min_f64 v[2:3], v[2:3], v[4:5]
	v_cvt_i32_f64_e32 v44, v[2:3]
	s_mul_i32 s57, s4, s2
	v_cmp_ge_i32_e32 vcc, s57, v44
	s_cbranch_vccnz .LBB375_72
; %bb.3:
	v_lshrrev_b32_e32 v3, 6, v0
	s_add_i32 s4, s26, s25
	s_load_dwordx8 s[36:43], s[0:1], 0x0
	v_cmp_le_i32_e64 s[0:1], s4, v3
	v_mov_b32_e32 v2, s25
	v_cmp_le_i32_e64 s[2:3], s25, v3
	v_mov_b32_e32 v4, s26
	v_cndmask_b32_e64 v4, 0, v4, s[0:1]
	v_cndmask_b32_e64 v2, 0, v2, s[2:3]
	s_abs_i32 s5, s24
	v_add_u32_e32 v2, v2, v4
	v_cvt_f32_u32_e32 v4, s5
	s_ashr_i32 s6, s22, 31
	s_lshr_b32 s6, s6, 24
	s_sub_i32 s9, 0, s5
	v_rcp_iflag_f32_e32 v4, v4
	s_add_i32 s6, s22, s6
	s_ashr_i32 s6, s6, 8
	s_abs_i32 s8, s6
	v_mul_f32_e32 v4, 0x4f7ffffe, v4
	v_cvt_u32_f32_e32 v4, v4
	s_xor_b32 s7, s6, s24
	s_ashr_i32 s7, s7, 31
	v_sub_u32_e32 v2, v3, v2
	v_readfirstlane_b32 s10, v4
	s_mul_i32 s9, s9, s10
	s_mul_hi_u32 s9, s10, s9
	s_add_i32 s10, s10, s9
	s_mul_hi_u32 s9, s8, s10
	s_mul_i32 s10, s9, s5
	s_sub_i32 s8, s8, s10
	s_add_i32 s10, s9, 1
	s_sub_i32 s11, s8, s5
	s_cmp_ge_u32 s8, s5
	s_cselect_b32 s9, s10, s9
	s_cselect_b32 s8, s11, s8
	s_add_i32 s10, s9, 1
	s_cmp_ge_u32 s8, s5
	s_cselect_b32 s5, s10, s9
	s_xor_b32 s5, s5, s7
	s_sub_i32 s59, s5, s7
	s_add_i32 s24, s24, -1
	s_mul_i32 s5, s59, s24
	s_add_i32 s4, s4, s27
	s_sub_i32 s60, s6, s5
	v_cmp_gt_i32_e64 s[4:5], s4, v3
	v_lshlrev_b32_e32 v3, 1, v0
	v_lshlrev_b32_e32 v4, 4, v0
	v_and_b32_e32 v1, 60, v1
	v_and_b32_e32 v3, 64, v3
	;; [unrolled: 1-line block ×3, first 2 shown]
	v_bfe_u32 v47, v0, 2, 4
	v_or3_b32 v60, v1, v3, v5
	v_and_b32_e32 v1, 1, v0
	v_lshrrev_b32_e32 v5, 2, v0
	v_and_b32_e32 v56, 48, v4
	v_mul_lo_u32 v4, s23, v47
	v_and_or_b32 v46, v5, 12, v1
	v_ashrrev_i32_e32 v5, 31, v4
	s_abs_i32 s62, s33
	scratch_store_dwordx2 off, v[4:5], off offset:256 ; 8-byte Folded Spill
	v_cvt_f32_u32_e32 v4, s62
	v_lshlrev_b32_e32 v3, 1, v1
	v_and_b32_e32 v86, 14, v0
	v_sub_u32_e32 v3, v0, v3
	v_bitop3_b32 v87, v0, 1, v0 bitop3:0xc
	v_bitop3_b32 v45, v0, 3, 1 bitop3:0x6c
	v_and_b32_e32 v1, 60, v0
	v_lshlrev_b32_e32 v5, 8, v0
	v_lshlrev_b32_e32 v0, 6, v0
	v_and_b32_e32 v5, 0x200, v5
	v_rcp_iflag_f32_e32 v4, v4
	v_and_b32_e32 v0, 64, v0
	s_abs_i32 s64, s56
	v_or3_b32 v54, v1, v5, v0
	v_cvt_f32_u32_e32 v1, s64
	v_mul_f32_e32 v0, 0x4f7ffffe, v4
	v_mad_u64_u32 v[6:7], s[6:7], s21, v46, v[86:87]
	v_cvt_u32_f32_e32 v0, v0
	v_rcp_iflag_f32_e32 v1, v1
	v_ashrrev_i32_e32 v7, 31, v6
	s_lshl_b32 s6, s21, 4
	scratch_store_dwordx2 off, v[6:7], off offset:272 ; 8-byte Folded Spill
	v_add_u32_e32 v6, s6, v6
	v_ashrrev_i32_e32 v7, 31, v6
	scratch_store_dwordx2 off, v[6:7], off offset:300 ; 8-byte Folded Spill
	v_add_u32_e32 v6, s6, v6
	v_readfirstlane_b32 s7, v0
	v_mul_f32_e32 v0, 0x4f7ffffe, v1
	v_ashrrev_i32_e32 v7, 31, v6
	v_cvt_u32_f32_e32 v0, v0
	scratch_store_dwordx2 off, v[6:7], off offset:308 ; 8-byte Folded Spill
	v_add_u32_e32 v6, s6, v6
	s_sub_i32 s6, 0, s62
	s_mul_i32 s6, s6, s7
	s_mul_hi_u32 s6, s7, s6
	v_add_u32_e32 v3, 1, v3
	s_add_i32 s66, s7, s6
	s_sub_i32 s6, 0, s64
	v_readfirstlane_b32 s7, v0
	v_mbcnt_lo_u32_b32 v0, -1, 0
	v_and_b32_e32 v3, 63, v3
	s_mul_i32 s6, s6, s7
	v_mbcnt_hi_u32_b32 v0, -1, v0
	s_mul_hi_u32 s6, s7, s6
	v_and_or_b32 v0, v0, 64, v3
	v_cndmask_b32_e64 v52, 0, 1, s[0:1]
	s_movk_i32 s61, 0x6000
	s_ashr_i32 s29, s21, 31
	s_mov_b32 s28, s21
	v_ashrrev_i32_e32 v7, 31, v6
	v_mov_b32_e32 v57, 0
	s_lshl_b32 s63, s23, 4
	s_ashr_i32 s65, s33, 31
	s_ashr_i32 s67, s56, 31
	s_add_i32 s68, s7, s6
	s_mov_b64 s[30:31], 0x60
	s_mov_b64 s[34:35], 0x80
	;; [unrolled: 1-line block ×3, first 2 shown]
	v_lshlrev_b32_e32 v53, 2, v0
	v_mov_b32_e32 v55, v2
	scratch_store_dwordx2 off, v[6:7], off offset:316 ; 8-byte Folded Spill
	scratch_store_dword off, v44, off offset:264 ; 4-byte Folded Spill
	scratch_store_dword off, v46, off offset:268 ; 4-byte Folded Spill
	scratch_store_dwordx2 off, v[56:57], off offset:280 ; 8-byte Folded Spill
	scratch_store_dword off, v47, off offset:288 ; 4-byte Folded Spill
	scratch_store_dword off, v53, off offset:292 ; 4-byte Folded Spill
	;; [unrolled: 1-line block ×3, first 2 shown]
	s_branch .LBB375_7
.LBB375_4:                              ;   in Loop: Header=BB375_7 Depth=1
	s_or_b64 exec, exec, s[10:11]
.LBB375_5:                              ;   in Loop: Header=BB375_7 Depth=1
	s_or_b64 exec, exec, s[8:9]
	v_subrev_u32_e32 v55, s16, v55
.LBB375_6:                              ;   in Loop: Header=BB375_7 Depth=1
	s_or_b64 exec, exec, s[6:7]
	s_add_i32 s57, s57, 1
	v_cmp_ge_i32_e32 vcc, s57, v44
	s_cbranch_vccnz .LBB375_72
.LBB375_7:                              ; =>This Loop Header: Depth=1
                                        ;     Child Loop BB375_13 Depth 2
                                        ;       Child Loop BB375_15 Depth 3
                                        ;       Child Loop BB375_18 Depth 3
	;; [unrolled: 1-line block ×10, first 2 shown]
                                        ;     Child Loop BB375_59 Depth 2
                                        ;       Child Loop BB375_61 Depth 3
                                        ;     Child Loop BB375_69 Depth 2
                                        ;       Child Loop BB375_71 Depth 3
	s_abs_i32 s7, s57
	s_mul_hi_u32 s8, s7, s66
	s_mul_i32 s9, s8, s62
	s_ashr_i32 s6, s57, 31
	s_sub_i32 s7, s7, s9
	s_xor_b32 s6, s6, s65
	s_add_i32 s9, s8, 1
	s_sub_i32 s10, s7, s62
	s_cmp_ge_u32 s7, s62
	s_cselect_b32 s8, s9, s8
	s_cselect_b32 s7, s10, s7
	s_add_i32 s9, s8, 1
	s_cmp_ge_u32 s7, s62
	s_cselect_b32 s7, s9, s8
	s_xor_b32 s7, s7, s6
	s_sub_i32 s6, s7, s6
	s_abs_i32 s8, s6
	s_mul_i32 s7, s6, s33
	s_mul_hi_u32 s9, s8, s68
	s_sub_i32 s7, s57, s7
	s_mul_i32 s10, s9, s64
	s_lshl_b32 s69, s7, 6
	s_ashr_i32 s7, s6, 31
	s_sub_i32 s8, s8, s10
	s_xor_b32 s7, s7, s67
	s_add_i32 s10, s9, 1
	s_sub_i32 s11, s8, s64
	s_cmp_ge_u32 s8, s64
	s_cselect_b32 s9, s10, s9
	s_cselect_b32 s8, s11, s8
	s_add_i32 s10, s9, 1
	s_cmp_ge_u32 s8, s64
	s_cselect_b32 s8, s10, s9
	s_xor_b32 s8, s8, s7
	s_sub_i32 s7, s8, s7
	s_mul_i32 s8, s7, s59
	s_lshl_b32 s70, s8, 8
	s_cmp_eq_u32 s7, s24
	s_cselect_b32 s72, s60, s59
	s_sub_i32 s8, s69, s20
	s_add_i32 s8, s8, 64
	s_max_i32 s71, s8, 0
	s_and_saveexec_b64 s[8:9], s[2:3]
	s_xor_b64 s[46:47], exec, s[8:9]
	s_cbranch_execz .LBB375_65
; %bb.8:                                ;   in Loop: Header=BB375_7 Depth=1
	s_mul_i32 s7, s7, s56
	s_sub_i32 s6, s6, s7
	s_mulk_i32 s6, 0x60
	s_sub_i32 s49, s6, s21
	s_addk_i32 s49, 0x60
	s_max_i32 s7, s49, 0
	s_sub_i32 s48, s6, s7
	s_and_saveexec_b64 s[6:7], s[0:1]
	s_xor_b64 s[50:51], exec, s[6:7]
	s_cbranch_execz .LBB375_55
; %bb.9:                                ;   in Loop: Header=BB375_7 Depth=1
	s_and_saveexec_b64 s[52:53], s[4:5]
	s_cbranch_execz .LBB375_54
; %bb.10:                               ;   in Loop: Header=BB375_7 Depth=1
	v_mov_b32_e32 v95, 0
	v_mov_b32_e32 v7, v95
	;; [unrolled: 1-line block ×5, first 2 shown]
	scratch_store_dwordx4 off, v[4:7], off offset:48 ; 16-byte Folded Spill
	scratch_store_dwordx4 off, v[4:7], off offset:32 ; 16-byte Folded Spill
	;; [unrolled: 1-line block ×3, first 2 shown]
	s_waitcnt lgkmcnt(0)
	global_load_dword v73, v57, s[42:43]
	v_cmp_gt_i32_e32 vcc, s72, v55
	v_mov_b32_e32 v94, v95
	v_mov_b32_e32 v93, v95
	;; [unrolled: 1-line block ×31, first 2 shown]
	scratch_store_dwordx4 off, v[4:7], off  ; 16-byte Folded Spill
	scratch_store_dwordx4 off, v[4:7], off offset:112 ; 16-byte Folded Spill
	scratch_store_dwordx4 off, v[4:7], off offset:96 ; 16-byte Folded Spill
	;; [unrolled: 1-line block ×12, first 2 shown]
	s_and_saveexec_b64 s[6:7], vcc
	s_cbranch_execz .LBB375_44
; %bb.11:                               ;   in Loop: Header=BB375_7 Depth=1
	v_mov_b32_e32 v16, 0
	s_mov_b64 s[8:9], 0
	v_mov_b32_e32 v17, v16
	v_mov_b32_e32 v18, v16
	;; [unrolled: 1-line block ×35, first 2 shown]
	scratch_store_dwordx4 off, v[4:7], off offset:192 ; 16-byte Folded Spill
	scratch_store_dwordx4 off, v[4:7], off offset:208 ; 16-byte Folded Spill
	;; [unrolled: 1-line block ×12, first 2 shown]
	scratch_store_dwordx4 off, v[4:7], off  ; 16-byte Folded Spill
	scratch_store_dwordx4 off, v[4:7], off offset:16 ; 16-byte Folded Spill
	scratch_store_dwordx4 off, v[4:7], off offset:32 ; 16-byte Folded Spill
	;; [unrolled: 1-line block ×3, first 2 shown]
	s_branch .LBB375_13
.LBB375_12:                             ;   in Loop: Header=BB375_13 Depth=2
	s_or_b64 exec, exec, s[10:11]
	v_add_u32_e32 v44, 0x5000, v58
	ds_read2_b32 v[46:47], v44 offset1:32
	ds_read2_b32 v[60:61], v44 offset0:128 offset1:160
	v_add_u32_e32 v44, 0x5400, v58
	ds_read2_b32 v[62:63], v44 offset1:32
	ds_read2_b32 v[64:65], v44 offset0:128 offset1:160
	s_waitcnt lgkmcnt(3)
	v_mfma_f32_16x16x32_fp8_fp8 v[40:43], v[124:125], v[46:47], v[88:91]
	v_add_u32_e32 v44, 0x5800, v58
	ds_read2_b32 v[66:67], v44 offset1:32
	ds_read2_b32 v[68:69], v44 offset0:128 offset1:160
	v_mfma_f32_16x16x32_fp8_fp8 v[24:27], v[0:1], v[46:47], v[24:27]
	v_add_u32_e32 v70, 0x5c00, v58
	ds_read2_b32 v[58:59], v70 offset1:32
	v_add_u32_e32 v55, s27, v55
	s_waitcnt lgkmcnt(5)
	v_mfma_f32_16x16x32_fp8_fp8 v[40:43], v[120:121], v[60:61], v[40:43]
	v_mfma_f32_16x16x32_fp8_fp8 v[0:3], v[2:3], v[60:61], v[24:27]
	s_waitcnt lgkmcnt(4)
	v_mfma_f32_16x16x32_fp8_fp8 v[40:43], v[122:123], v[62:63], v[40:43]
	v_mfma_f32_16x16x32_fp8_fp8 v[0:3], v[4:5], v[62:63], v[0:3]
	;; [unrolled: 3-line block ×5, first 2 shown]
	s_waitcnt lgkmcnt(0)
	v_mfma_f32_16x16x32_fp8_fp8 v[42:45], v[114:115], v[58:59], v[40:43]
	s_nop 4
	ds_read2_b32 v[40:41], v70 offset0:128 offset1:160
	v_mfma_f32_16x16x32_fp8_fp8 v[0:3], v[12:13], v[58:59], v[0:3]
	;;#ASMSTART
	s_waitcnt lgkmcnt(0)
	;;#ASMEND
	ds_write_b32 v56, v57 offset:40996
	s_waitcnt lgkmcnt(1)
	v_mfma_f32_16x16x32_fp8_fp8 v[88:91], v[110:111], v[40:41], v[42:45]
	v_mfma_f32_16x16x32_fp8_fp8 v[42:45], v[126:127], v[46:47], v[48:51]
	;; [unrolled: 1-line block ×6, first 2 shown]
	v_mov_b32_e32 v60, v72
	v_mfma_f32_16x16x32_fp8_fp8 v[42:45], v[102:103], v[62:63], v[42:45]
	v_mfma_f32_16x16x32_fp8_fp8 v[0:3], v[32:33], v[62:63], v[0:3]
	;; [unrolled: 1-line block ×4, first 2 shown]
	v_mov_b64_e32 v[62:63], v[74:75]
	v_mov_b64_e32 v[64:65], v[76:77]
	v_mfma_f32_16x16x32_fp8_fp8 v[42:45], v[98:99], v[66:67], v[42:45]
	v_mfma_f32_16x16x32_fp8_fp8 v[0:3], v[36:37], v[66:67], v[0:3]
	v_mfma_f32_16x16x32_fp8_fp8 v[42:45], v[108:109], v[68:69], v[42:45]
	v_mfma_f32_16x16x32_fp8_fp8 v[4:7], v[38:39], v[68:69], v[0:3]
	v_mov_b64_e32 v[66:67], v[78:79]
	v_mov_b64_e32 v[68:69], v[80:81]
	v_mfma_f32_16x16x32_fp8_fp8 v[42:45], v[106:107], v[58:59], v[42:45]
	s_nop 2
	v_add_u32_e32 v2, s27, v53
	v_add_u32_e32 v0, 2, v52
	v_cmp_lt_i32_e32 vcc, 0, v2
	v_mfma_f32_16x16x32_fp8_fp8 v[4:7], v[30:31], v[58:59], v[4:7]
	s_nop 0
	v_cndmask_b32_e32 v52, v52, v0, vcc
	v_cmp_le_i32_e32 vcc, s72, v55
	v_mfma_f32_16x16x32_fp8_fp8 v[48:51], v[96:97], v[40:41], v[42:45]
	s_or_b64 s[8:9], vcc, s[8:9]
	v_mfma_f32_16x16x32_fp8_fp8 v[16:19], v[20:21], v[40:41], v[4:7]
	s_andn2_b64 exec, exec, s[8:9]
	s_cbranch_execz .LBB375_43
.LBB375_13:                             ;   Parent Loop BB375_7 Depth=1
                                        ; =>  This Loop Header: Depth=2
                                        ;       Child Loop BB375_15 Depth 3
                                        ;       Child Loop BB375_18 Depth 3
	;; [unrolled: 1-line block ×10, first 2 shown]
	v_cmp_lt_i32_e32 vcc, 0, v2
	s_nop 1
	v_subbrev_co_u32_e32 v53, vcc, 0, v2, vcc
	v_mul_lo_u32 v56, v53, 24
	ds_read_b32 v0, v56 offset:40976
	s_waitcnt lgkmcnt(0)
	v_cmp_ne_u32_e32 vcc, v0, v52
	s_and_saveexec_b64 s[10:11], vcc
	s_cbranch_execz .LBB375_16
; %bb.14:                               ;   in Loop: Header=BB375_13 Depth=2
	s_mov_b64 s[12:13], 0
.LBB375_15:                             ;   Parent Loop BB375_7 Depth=1
                                        ;     Parent Loop BB375_13 Depth=2
                                        ; =>    This Inner Loop Header: Depth=3
	;;#ASMSTART
	s_sleep 0
	;;#ASMEND
	ds_read_b32 v0, v56 offset:40976
	s_waitcnt lgkmcnt(0)
	v_cmp_eq_u32_e32 vcc, v0, v52
	s_or_b64 s[12:13], vcc, s[12:13]
	s_andn2_b64 exec, exec, s[12:13]
	s_cbranch_execnz .LBB375_15
.LBB375_16:                             ;   in Loop: Header=BB375_13 Depth=2
	s_or_b64 exec, exec, s[10:11]
	v_mul_lo_u32 v0, v53, s61
	v_or_b32_e32 v58, v60, v0
	v_add_u32_e32 v0, 0x400, v58
	ds_read2_b32 v[20:21], v58 offset1:32
	ds_read2_b32 v[30:31], v58 offset0:128 offset1:160
	ds_read2_b32 v[36:37], v0 offset1:32
	ds_read2_b32 v[38:39], v0 offset0:128 offset1:160
	v_add_u32_e32 v0, 0x800, v58
	ds_read2_b32 v[40:41], v0 offset1:32
	ds_read2_b32 v[42:43], v0 offset0:128 offset1:160
	v_add_u32_e32 v0, 0xc00, v58
	v_add_u32_e32 v57, 1, v52
	ds_read2_b32 v[46:47], v0 offset1:32
	ds_read2_b32 v[44:45], v0 offset0:128 offset1:160
	;;#ASMSTART
	s_waitcnt lgkmcnt(0)
	;;#ASMEND
	ds_write_b32 v56, v57 offset:40976
	v_lshlrev_b32_e32 v59, 4, v53
	ds_read_b32 v0, v59 offset:40960
	s_waitcnt lgkmcnt(0)
	v_cmp_ne_u32_e32 vcc, v0, v52
	s_and_saveexec_b64 s[10:11], vcc
	s_cbranch_execz .LBB375_19
; %bb.17:                               ;   in Loop: Header=BB375_13 Depth=2
	s_mov_b64 s[12:13], 0
.LBB375_18:                             ;   Parent Loop BB375_7 Depth=1
                                        ;     Parent Loop BB375_13 Depth=2
                                        ; =>    This Inner Loop Header: Depth=3
	;;#ASMSTART
	s_sleep 0
	;;#ASMEND
	ds_read_b32 v0, v59 offset:40960
	s_waitcnt lgkmcnt(0)
	v_cmp_eq_u32_e32 vcc, v0, v52
	s_or_b64 s[12:13], vcc, s[12:13]
	s_andn2_b64 exec, exec, s[12:13]
	s_cbranch_execnz .LBB375_18
.LBB375_19:                             ;   in Loop: Header=BB375_13 Depth=2
	s_or_b64 exec, exec, s[10:11]
	v_or_b32_e32 v0, 0x6000, v60
	v_mov_b32_e32 v72, v60
	v_lshl_add_u32 v60, v53, 14, v0
	ds_read2_b32 v[124:125], v60 offset1:32
	ds_read2_b32 v[120:121], v60 offset0:128 offset1:160
	v_add_u32_e32 v0, 0x400, v60
	ds_read2_b32 v[122:123], v0 offset1:32
	ds_read2_b32 v[116:117], v0 offset0:128 offset1:160
	v_add_u32_e32 v0, 0x800, v60
	;; [unrolled: 3-line block ×3, first 2 shown]
	ds_read2_b32 v[114:115], v0 offset1:32
	ds_read2_b32 v[110:111], v0 offset0:128 offset1:160
	s_waitcnt lgkmcnt(7)
	v_mfma_f32_16x16x32_fp8_fp8 v[0:3], v[124:125], v[20:21], v[92:95]
	ds_write_b32 v59, v57 offset:40960
	s_waitcnt lgkmcnt(7)
	v_mfma_f32_16x16x32_fp8_fp8 v[0:3], v[120:121], v[30:31], v[0:3]
	s_waitcnt lgkmcnt(6)
	v_mfma_f32_16x16x32_fp8_fp8 v[0:3], v[122:123], v[36:37], v[0:3]
	;; [unrolled: 2-line block ×7, first 2 shown]
	s_nop 5
	ds_read_b32 v0, v59 offset:40964
	s_waitcnt lgkmcnt(0)
	v_cmp_ne_u32_e32 vcc, v0, v52
	s_and_saveexec_b64 s[10:11], vcc
	s_cbranch_execz .LBB375_22
; %bb.20:                               ;   in Loop: Header=BB375_13 Depth=2
	s_mov_b64 s[12:13], 0
.LBB375_21:                             ;   Parent Loop BB375_7 Depth=1
                                        ;     Parent Loop BB375_13 Depth=2
                                        ; =>    This Inner Loop Header: Depth=3
	;;#ASMSTART
	s_sleep 0
	;;#ASMEND
	ds_read_b32 v0, v59 offset:40964
	s_waitcnt lgkmcnt(0)
	v_cmp_eq_u32_e32 vcc, v0, v52
	s_or_b64 s[12:13], vcc, s[12:13]
	s_andn2_b64 exec, exec, s[12:13]
	s_cbranch_execnz .LBB375_21
.LBB375_22:                             ;   in Loop: Header=BB375_13 Depth=2
	s_or_b64 exec, exec, s[10:11]
	v_add_u32_e32 v0, 0x1000, v60
	ds_read2_b32 v[126:127], v0 offset1:32
	ds_read2_b32 v[104:105], v0 offset0:128 offset1:160
	v_add_u32_e32 v0, 0x1400, v60
	ds_read2_b32 v[102:103], v0 offset1:32
	ds_read2_b32 v[100:101], v0 offset0:128 offset1:160
	;; [unrolled: 3-line block ×4, first 2 shown]
	s_waitcnt lgkmcnt(7)
	v_mfma_f32_16x16x32_fp8_fp8 v[0:3], v[126:127], v[20:21], v[82:85]
	ds_write_b32 v59, v57 offset:40964
	s_waitcnt lgkmcnt(7)
	v_mfma_f32_16x16x32_fp8_fp8 v[0:3], v[104:105], v[30:31], v[0:3]
	s_waitcnt lgkmcnt(6)
	v_mfma_f32_16x16x32_fp8_fp8 v[0:3], v[102:103], v[36:37], v[0:3]
	;; [unrolled: 2-line block ×7, first 2 shown]
	s_nop 5
	ds_read_b32 v0, v59 offset:40968
	s_waitcnt lgkmcnt(0)
	v_cmp_ne_u32_e32 vcc, v0, v52
	s_and_saveexec_b64 s[10:11], vcc
	s_cbranch_execz .LBB375_25
; %bb.23:                               ;   in Loop: Header=BB375_13 Depth=2
	s_mov_b64 s[12:13], 0
.LBB375_24:                             ;   Parent Loop BB375_7 Depth=1
                                        ;     Parent Loop BB375_13 Depth=2
                                        ; =>    This Inner Loop Header: Depth=3
	;;#ASMSTART
	s_sleep 0
	;;#ASMEND
	ds_read_b32 v0, v59 offset:40968
	s_waitcnt lgkmcnt(0)
	v_cmp_eq_u32_e32 vcc, v0, v52
	s_or_b64 s[12:13], vcc, s[12:13]
	s_andn2_b64 exec, exec, s[12:13]
	s_cbranch_execnz .LBB375_24
.LBB375_25:                             ;   in Loop: Header=BB375_13 Depth=2
	s_or_b64 exec, exec, s[10:11]
	v_add_u32_e32 v2, 0x2000, v60
	ds_read2_b32 v[0:1], v2 offset1:32
	ds_read2_b32 v[2:3], v2 offset0:128 offset1:160
	v_add_u32_e32 v6, 0x2400, v60
	ds_read2_b32 v[4:5], v6 offset1:32
	ds_read2_b32 v[6:7], v6 offset0:128 offset1:160
	v_add_u32_e32 v10, 0x2800, v60
	s_waitcnt lgkmcnt(3)
	v_mfma_f32_16x16x32_fp8_fp8 v[32:35], v[0:1], v[20:21], v[66:69]
	ds_read2_b32 v[8:9], v10 offset1:32
	ds_read2_b32 v[10:11], v10 offset0:128 offset1:160
	v_add_u32_e32 v14, 0x2c00, v60
	ds_read2_b32 v[12:13], v14 offset1:32
	ds_read2_b32 v[14:15], v14 offset0:128 offset1:160
	s_waitcnt lgkmcnt(6)
	v_mfma_f32_16x16x32_fp8_fp8 v[32:35], v[2:3], v[30:31], v[32:35]
	ds_read_b32 v22, v59 offset:40972
	ds_write_b32 v59, v57 offset:40968
	s_waitcnt lgkmcnt(1)
	v_cmp_ne_u32_e32 vcc, v22, v52
	v_mfma_f32_16x16x32_fp8_fp8 v[32:35], v[4:5], v[36:37], v[32:35]
	v_mfma_f32_16x16x32_fp8_fp8 v[32:35], v[6:7], v[38:39], v[32:35]
	;; [unrolled: 1-line block ×6, first 2 shown]
	s_and_saveexec_b64 s[10:11], vcc
	s_cbranch_execz .LBB375_28
; %bb.26:                               ;   in Loop: Header=BB375_13 Depth=2
	s_mov_b64 s[12:13], 0
.LBB375_27:                             ;   Parent Loop BB375_7 Depth=1
                                        ;     Parent Loop BB375_13 Depth=2
                                        ; =>    This Inner Loop Header: Depth=3
	;;#ASMSTART
	s_sleep 0
	;;#ASMEND
	ds_read_b32 v22, v59 offset:40972
	s_waitcnt lgkmcnt(0)
	v_cmp_eq_u32_e32 vcc, v22, v52
	s_or_b64 s[12:13], vcc, s[12:13]
	s_andn2_b64 exec, exec, s[12:13]
	s_cbranch_execnz .LBB375_27
.LBB375_28:                             ;   in Loop: Header=BB375_13 Depth=2
	s_or_b64 exec, exec, s[10:11]
	v_add_u32_e32 v28, 0x3000, v60
	ds_read2_b32 v[22:23], v28 offset1:32
	ds_read2_b32 v[28:29], v28 offset0:128 offset1:160
	v_add_u32_e32 v34, 0x3400, v60
	ds_read2_b32 v[32:33], v34 offset1:32
	ds_read2_b32 v[34:35], v34 offset0:128 offset1:160
	s_waitcnt lgkmcnt(3)
	v_mfma_f32_16x16x32_fp8_fp8 v[62:65], v[22:23], v[20:21], v[62:65]
	v_add_u32_e32 v20, 0x3800, v60
	ds_write_b32 v59, v57 offset:40972
	s_waitcnt lgkmcnt(3)
	v_mfma_f32_16x16x32_fp8_fp8 v[62:65], v[28:29], v[30:31], v[62:65]
	s_waitcnt lgkmcnt(2)
	v_mfma_f32_16x16x32_fp8_fp8 v[62:65], v[32:33], v[36:37], v[62:65]
	ds_read2_b32 v[36:37], v20 offset1:32
	s_waitcnt lgkmcnt(2)
	v_mfma_f32_16x16x32_fp8_fp8 v[62:65], v[34:35], v[38:39], v[62:65]
	ds_read2_b32 v[38:39], v20 offset0:128 offset1:160
	v_add_u32_e32 v20, 0x3c00, v60
	ds_read2_b32 v[30:31], v20 offset1:32
	ds_read2_b32 v[20:21], v20 offset0:128 offset1:160
	s_waitcnt lgkmcnt(3)
	v_mfma_f32_16x16x32_fp8_fp8 v[60:63], v[36:37], v[40:41], v[62:65]
	s_waitcnt lgkmcnt(2)
	v_mfma_f32_16x16x32_fp8_fp8 v[40:43], v[38:39], v[42:43], v[60:63]
	;; [unrolled: 2-line block ×3, first 2 shown]
	ds_read_b32 v46, v56 offset:40980
	s_waitcnt lgkmcnt(0)
	v_cmp_ne_u32_e32 vcc, v46, v52
	v_mfma_f32_16x16x32_fp8_fp8 v[74:77], v[20:21], v[44:45], v[40:43]
	s_and_saveexec_b64 s[10:11], vcc
	s_cbranch_execz .LBB375_31
; %bb.29:                               ;   in Loop: Header=BB375_13 Depth=2
	s_mov_b64 s[12:13], 0
.LBB375_30:                             ;   Parent Loop BB375_7 Depth=1
                                        ;     Parent Loop BB375_13 Depth=2
                                        ; =>    This Inner Loop Header: Depth=3
	;;#ASMSTART
	s_sleep 0
	;;#ASMEND
	s_nop 0
	ds_read_b32 v40, v56 offset:40980
	s_waitcnt lgkmcnt(0)
	v_cmp_eq_u32_e32 vcc, v40, v52
	s_or_b64 s[12:13], vcc, s[12:13]
	s_andn2_b64 exec, exec, s[12:13]
	s_cbranch_execnz .LBB375_30
.LBB375_31:                             ;   in Loop: Header=BB375_13 Depth=2
	s_or_b64 exec, exec, s[10:11]
	scratch_load_dwordx4 v[40:43], off, off offset:48 ; 16-byte Folded Reload
	v_add_u32_e32 v46, 0x1000, v58
	ds_read2_b32 v[44:45], v46 offset1:32
	ds_read2_b32 v[46:47], v46 offset0:128 offset1:160
	v_add_u32_e32 v59, 0x1400, v58
	ds_read2_b32 v[60:61], v59 offset1:32
	ds_read2_b32 v[62:63], v59 offset0:128 offset1:160
	;; [unrolled: 3-line block ×4, first 2 shown]
	s_waitcnt vmcnt(0) lgkmcnt(7)
	v_mfma_f32_16x16x32_fp8_fp8 v[40:43], v[124:125], v[44:45], v[40:43]
	s_waitcnt lgkmcnt(6)
	v_mfma_f32_16x16x32_fp8_fp8 v[40:43], v[120:121], v[46:47], v[40:43]
	s_waitcnt lgkmcnt(5)
	;; [unrolled: 2-line block ×7, first 2 shown]
	v_mfma_f32_16x16x32_fp8_fp8 v[40:43], v[110:111], v[70:71], v[40:43]
	s_nop 7
	scratch_store_dwordx4 off, v[40:43], off offset:48 ; 16-byte Folded Spill
	scratch_load_dwordx4 v[40:43], off, off offset:112 ; 16-byte Folded Reload
	s_waitcnt vmcnt(0)
	v_mfma_f32_16x16x32_fp8_fp8 v[40:43], v[126:127], v[44:45], v[40:43]
	v_mfma_f32_16x16x32_fp8_fp8 v[40:43], v[104:105], v[46:47], v[40:43]
	;; [unrolled: 1-line block ×8, first 2 shown]
	s_nop 7
	scratch_store_dwordx4 off, v[40:43], off offset:112 ; 16-byte Folded Spill
	scratch_load_dwordx4 v[40:43], off, off offset:176 ; 16-byte Folded Reload
	s_waitcnt vmcnt(0)
	v_mfma_f32_16x16x32_fp8_fp8 v[40:43], v[0:1], v[44:45], v[40:43]
	v_mfma_f32_16x16x32_fp8_fp8 v[40:43], v[2:3], v[46:47], v[40:43]
	v_mfma_f32_16x16x32_fp8_fp8 v[40:43], v[4:5], v[60:61], v[40:43]
	v_mfma_f32_16x16x32_fp8_fp8 v[40:43], v[6:7], v[62:63], v[40:43]
	v_mfma_f32_16x16x32_fp8_fp8 v[40:43], v[8:9], v[64:65], v[40:43]
	v_mfma_f32_16x16x32_fp8_fp8 v[40:43], v[10:11], v[66:67], v[40:43]
	v_mfma_f32_16x16x32_fp8_fp8 v[40:43], v[12:13], v[68:69], v[40:43]
	v_mfma_f32_16x16x32_fp8_fp8 v[40:43], v[14:15], v[70:71], v[40:43]
	s_nop 7
	scratch_store_dwordx4 off, v[40:43], off offset:176 ; 16-byte Folded Spill
	scratch_load_dwordx4 v[40:43], off, off offset:240 ; 16-byte Folded Reload
	;;#ASMSTART
	s_waitcnt lgkmcnt(0)
	;;#ASMEND
	ds_write_b32 v56, v57 offset:40980
	s_waitcnt vmcnt(0)
	v_mfma_f32_16x16x32_fp8_fp8 v[40:43], v[22:23], v[44:45], v[40:43]
	ds_read_b32 v44, v56 offset:40984
	s_waitcnt lgkmcnt(0)
	v_cmp_ne_u32_e32 vcc, v44, v52
	v_mfma_f32_16x16x32_fp8_fp8 v[40:43], v[28:29], v[46:47], v[40:43]
	v_mfma_f32_16x16x32_fp8_fp8 v[40:43], v[32:33], v[60:61], v[40:43]
	;; [unrolled: 1-line block ×7, first 2 shown]
	s_nop 7
	scratch_store_dwordx4 off, v[40:43], off offset:240 ; 16-byte Folded Spill
	s_and_saveexec_b64 s[10:11], vcc
	s_cbranch_execz .LBB375_34
; %bb.32:                               ;   in Loop: Header=BB375_13 Depth=2
	s_mov_b64 s[12:13], 0
.LBB375_33:                             ;   Parent Loop BB375_7 Depth=1
                                        ;     Parent Loop BB375_13 Depth=2
                                        ; =>    This Inner Loop Header: Depth=3
	;;#ASMSTART
	s_sleep 0
	;;#ASMEND
	ds_read_b32 v40, v56 offset:40984
	s_waitcnt lgkmcnt(0)
	v_cmp_eq_u32_e32 vcc, v40, v52
	s_or_b64 s[12:13], vcc, s[12:13]
	s_andn2_b64 exec, exec, s[12:13]
	s_cbranch_execnz .LBB375_33
.LBB375_34:                             ;   in Loop: Header=BB375_13 Depth=2
	s_or_b64 exec, exec, s[10:11]
	scratch_load_dwordx4 v[40:43], off, off offset:32 ; 16-byte Folded Reload
	v_add_u32_e32 v46, 0x2000, v58
	ds_read2_b32 v[44:45], v46 offset1:32
	ds_read2_b32 v[46:47], v46 offset0:128 offset1:160
	v_add_u32_e32 v59, 0x2400, v58
	ds_read2_b32 v[60:61], v59 offset1:32
	ds_read2_b32 v[62:63], v59 offset0:128 offset1:160
	;; [unrolled: 3-line block ×4, first 2 shown]
	s_waitcnt vmcnt(0) lgkmcnt(7)
	v_mfma_f32_16x16x32_fp8_fp8 v[40:43], v[124:125], v[44:45], v[40:43]
	s_waitcnt lgkmcnt(6)
	v_mfma_f32_16x16x32_fp8_fp8 v[40:43], v[120:121], v[46:47], v[40:43]
	s_waitcnt lgkmcnt(5)
	;; [unrolled: 2-line block ×7, first 2 shown]
	v_mfma_f32_16x16x32_fp8_fp8 v[40:43], v[110:111], v[70:71], v[40:43]
	s_nop 7
	scratch_store_dwordx4 off, v[40:43], off offset:32 ; 16-byte Folded Spill
	scratch_load_dwordx4 v[40:43], off, off offset:96 ; 16-byte Folded Reload
	s_waitcnt vmcnt(0)
	v_mfma_f32_16x16x32_fp8_fp8 v[40:43], v[126:127], v[44:45], v[40:43]
	v_mfma_f32_16x16x32_fp8_fp8 v[40:43], v[104:105], v[46:47], v[40:43]
	;; [unrolled: 1-line block ×8, first 2 shown]
	s_nop 7
	scratch_store_dwordx4 off, v[40:43], off offset:96 ; 16-byte Folded Spill
	scratch_load_dwordx4 v[40:43], off, off offset:160 ; 16-byte Folded Reload
	s_waitcnt vmcnt(0)
	v_mfma_f32_16x16x32_fp8_fp8 v[40:43], v[0:1], v[44:45], v[40:43]
	v_mfma_f32_16x16x32_fp8_fp8 v[40:43], v[2:3], v[46:47], v[40:43]
	;; [unrolled: 1-line block ×8, first 2 shown]
	s_nop 7
	scratch_store_dwordx4 off, v[40:43], off offset:160 ; 16-byte Folded Spill
	scratch_load_dwordx4 v[40:43], off, off offset:224 ; 16-byte Folded Reload
	;;#ASMSTART
	s_waitcnt lgkmcnt(0)
	;;#ASMEND
	ds_write_b32 v56, v57 offset:40984
	s_waitcnt vmcnt(0)
	v_mfma_f32_16x16x32_fp8_fp8 v[40:43], v[22:23], v[44:45], v[40:43]
	ds_read_b32 v44, v56 offset:40988
	s_waitcnt lgkmcnt(0)
	v_cmp_ne_u32_e32 vcc, v44, v52
	v_mfma_f32_16x16x32_fp8_fp8 v[40:43], v[28:29], v[46:47], v[40:43]
	v_mfma_f32_16x16x32_fp8_fp8 v[40:43], v[32:33], v[60:61], v[40:43]
	;; [unrolled: 1-line block ×7, first 2 shown]
	s_nop 7
	scratch_store_dwordx4 off, v[40:43], off offset:224 ; 16-byte Folded Spill
	s_and_saveexec_b64 s[10:11], vcc
	s_cbranch_execz .LBB375_37
; %bb.35:                               ;   in Loop: Header=BB375_13 Depth=2
	s_mov_b64 s[12:13], 0
.LBB375_36:                             ;   Parent Loop BB375_7 Depth=1
                                        ;     Parent Loop BB375_13 Depth=2
                                        ; =>    This Inner Loop Header: Depth=3
	;;#ASMSTART
	s_sleep 0
	;;#ASMEND
	ds_read_b32 v40, v56 offset:40988
	s_waitcnt lgkmcnt(0)
	v_cmp_eq_u32_e32 vcc, v40, v52
	s_or_b64 s[12:13], vcc, s[12:13]
	s_andn2_b64 exec, exec, s[12:13]
	s_cbranch_execnz .LBB375_36
.LBB375_37:                             ;   in Loop: Header=BB375_13 Depth=2
	s_or_b64 exec, exec, s[10:11]
	scratch_load_dwordx4 v[40:43], off, off offset:16 ; 16-byte Folded Reload
	v_add_u32_e32 v46, 0x3000, v58
	ds_read2_b32 v[44:45], v46 offset1:32
	ds_read2_b32 v[46:47], v46 offset0:128 offset1:160
	v_add_u32_e32 v59, 0x3400, v58
	ds_read2_b32 v[60:61], v59 offset1:32
	ds_read2_b32 v[62:63], v59 offset0:128 offset1:160
	;; [unrolled: 3-line block ×4, first 2 shown]
	s_waitcnt vmcnt(0) lgkmcnt(7)
	v_mfma_f32_16x16x32_fp8_fp8 v[40:43], v[124:125], v[44:45], v[40:43]
	s_waitcnt lgkmcnt(6)
	v_mfma_f32_16x16x32_fp8_fp8 v[40:43], v[120:121], v[46:47], v[40:43]
	s_waitcnt lgkmcnt(5)
	;; [unrolled: 2-line block ×7, first 2 shown]
	v_mfma_f32_16x16x32_fp8_fp8 v[40:43], v[110:111], v[70:71], v[40:43]
	s_nop 7
	scratch_store_dwordx4 off, v[40:43], off offset:16 ; 16-byte Folded Spill
	scratch_load_dwordx4 v[40:43], off, off offset:80 ; 16-byte Folded Reload
	s_waitcnt vmcnt(0)
	v_mfma_f32_16x16x32_fp8_fp8 v[40:43], v[126:127], v[44:45], v[40:43]
	v_mfma_f32_16x16x32_fp8_fp8 v[40:43], v[104:105], v[46:47], v[40:43]
	;; [unrolled: 1-line block ×8, first 2 shown]
	s_nop 7
	scratch_store_dwordx4 off, v[40:43], off offset:80 ; 16-byte Folded Spill
	scratch_load_dwordx4 v[40:43], off, off offset:144 ; 16-byte Folded Reload
	s_waitcnt vmcnt(0)
	v_mfma_f32_16x16x32_fp8_fp8 v[40:43], v[0:1], v[44:45], v[40:43]
	v_mfma_f32_16x16x32_fp8_fp8 v[40:43], v[2:3], v[46:47], v[40:43]
	;; [unrolled: 1-line block ×8, first 2 shown]
	s_nop 7
	scratch_store_dwordx4 off, v[40:43], off offset:144 ; 16-byte Folded Spill
	scratch_load_dwordx4 v[40:43], off, off offset:208 ; 16-byte Folded Reload
	;;#ASMSTART
	s_waitcnt lgkmcnt(0)
	;;#ASMEND
	ds_write_b32 v56, v57 offset:40988
	s_waitcnt vmcnt(0)
	v_mfma_f32_16x16x32_fp8_fp8 v[40:43], v[22:23], v[44:45], v[40:43]
	ds_read_b32 v44, v56 offset:40992
	s_waitcnt lgkmcnt(0)
	v_cmp_ne_u32_e32 vcc, v44, v52
	v_mfma_f32_16x16x32_fp8_fp8 v[40:43], v[28:29], v[46:47], v[40:43]
	v_mfma_f32_16x16x32_fp8_fp8 v[40:43], v[32:33], v[60:61], v[40:43]
	;; [unrolled: 1-line block ×7, first 2 shown]
	s_nop 7
	scratch_store_dwordx4 off, v[40:43], off offset:208 ; 16-byte Folded Spill
	s_and_saveexec_b64 s[10:11], vcc
	s_cbranch_execz .LBB375_40
; %bb.38:                               ;   in Loop: Header=BB375_13 Depth=2
	s_mov_b64 s[12:13], 0
.LBB375_39:                             ;   Parent Loop BB375_7 Depth=1
                                        ;     Parent Loop BB375_13 Depth=2
                                        ; =>    This Inner Loop Header: Depth=3
	;;#ASMSTART
	s_sleep 0
	;;#ASMEND
	ds_read_b32 v40, v56 offset:40992
	s_waitcnt lgkmcnt(0)
	v_cmp_eq_u32_e32 vcc, v40, v52
	s_or_b64 s[12:13], vcc, s[12:13]
	s_andn2_b64 exec, exec, s[12:13]
	s_cbranch_execnz .LBB375_39
.LBB375_40:                             ;   in Loop: Header=BB375_13 Depth=2
	s_or_b64 exec, exec, s[10:11]
	scratch_load_dwordx4 v[40:43], off, off ; 16-byte Folded Reload
	v_add_u32_e32 v46, 0x4000, v58
	ds_read2_b32 v[44:45], v46 offset1:32
	ds_read2_b32 v[46:47], v46 offset0:128 offset1:160
	v_add_u32_e32 v59, 0x4400, v58
	ds_read2_b32 v[60:61], v59 offset1:32
	ds_read2_b32 v[62:63], v59 offset0:128 offset1:160
	;; [unrolled: 3-line block ×4, first 2 shown]
	s_waitcnt vmcnt(0) lgkmcnt(7)
	v_mfma_f32_16x16x32_fp8_fp8 v[40:43], v[124:125], v[44:45], v[40:43]
	s_waitcnt lgkmcnt(6)
	v_mfma_f32_16x16x32_fp8_fp8 v[40:43], v[120:121], v[46:47], v[40:43]
	s_waitcnt lgkmcnt(5)
	;; [unrolled: 2-line block ×7, first 2 shown]
	v_mfma_f32_16x16x32_fp8_fp8 v[40:43], v[110:111], v[70:71], v[40:43]
	s_nop 7
	scratch_store_dwordx4 off, v[40:43], off ; 16-byte Folded Spill
	scratch_load_dwordx4 v[40:43], off, off offset:64 ; 16-byte Folded Reload
	s_waitcnt vmcnt(0)
	v_mfma_f32_16x16x32_fp8_fp8 v[40:43], v[126:127], v[44:45], v[40:43]
	v_mfma_f32_16x16x32_fp8_fp8 v[40:43], v[104:105], v[46:47], v[40:43]
	v_mfma_f32_16x16x32_fp8_fp8 v[40:43], v[102:103], v[60:61], v[40:43]
	v_mfma_f32_16x16x32_fp8_fp8 v[40:43], v[100:101], v[62:63], v[40:43]
	v_mfma_f32_16x16x32_fp8_fp8 v[40:43], v[98:99], v[64:65], v[40:43]
	v_mfma_f32_16x16x32_fp8_fp8 v[40:43], v[108:109], v[66:67], v[40:43]
	v_mfma_f32_16x16x32_fp8_fp8 v[40:43], v[106:107], v[68:69], v[40:43]
	v_mfma_f32_16x16x32_fp8_fp8 v[40:43], v[96:97], v[70:71], v[40:43]
	s_nop 7
	scratch_store_dwordx4 off, v[40:43], off offset:64 ; 16-byte Folded Spill
	scratch_load_dwordx4 v[40:43], off, off offset:128 ; 16-byte Folded Reload
	s_waitcnt vmcnt(0)
	v_mfma_f32_16x16x32_fp8_fp8 v[40:43], v[0:1], v[44:45], v[40:43]
	v_mfma_f32_16x16x32_fp8_fp8 v[40:43], v[2:3], v[46:47], v[40:43]
	;; [unrolled: 1-line block ×8, first 2 shown]
	s_nop 7
	scratch_store_dwordx4 off, v[40:43], off offset:128 ; 16-byte Folded Spill
	scratch_load_dwordx4 v[40:43], off, off offset:192 ; 16-byte Folded Reload
	;;#ASMSTART
	s_waitcnt lgkmcnt(0)
	;;#ASMEND
	ds_write_b32 v56, v57 offset:40992
	s_waitcnt vmcnt(0)
	v_mfma_f32_16x16x32_fp8_fp8 v[40:43], v[22:23], v[44:45], v[40:43]
	ds_read_b32 v44, v56 offset:40996
	s_waitcnt lgkmcnt(0)
	v_cmp_ne_u32_e32 vcc, v44, v52
	v_mfma_f32_16x16x32_fp8_fp8 v[40:43], v[28:29], v[46:47], v[40:43]
	v_mfma_f32_16x16x32_fp8_fp8 v[40:43], v[32:33], v[60:61], v[40:43]
	;; [unrolled: 1-line block ×7, first 2 shown]
	s_nop 7
	scratch_store_dwordx4 off, v[40:43], off offset:192 ; 16-byte Folded Spill
	s_and_saveexec_b64 s[10:11], vcc
	s_cbranch_execz .LBB375_12
; %bb.41:                               ;   in Loop: Header=BB375_13 Depth=2
	s_mov_b64 s[12:13], 0
.LBB375_42:                             ;   Parent Loop BB375_7 Depth=1
                                        ;     Parent Loop BB375_13 Depth=2
                                        ; =>    This Inner Loop Header: Depth=3
	;;#ASMSTART
	s_sleep 0
	;;#ASMEND
	ds_read_b32 v40, v56 offset:40996
	s_waitcnt lgkmcnt(0)
	v_cmp_eq_u32_e32 vcc, v40, v52
	s_or_b64 s[12:13], vcc, s[12:13]
	s_andn2_b64 exec, exec, s[12:13]
	s_cbranch_execnz .LBB375_42
	s_branch .LBB375_12
.LBB375_43:                             ;   in Loop: Header=BB375_7 Depth=1
	s_or_b64 exec, exec, s[8:9]
	scratch_load_dword v44, off, off offset:264 ; 4-byte Folded Reload
	scratch_load_dword v45, off, off offset:296 ; 4-byte Folded Reload
	;; [unrolled: 1-line block ×3, first 2 shown]
	scratch_load_dwordx2 v[56:57], off, off offset:280 ; 8-byte Folded Reload
	scratch_load_dword v47, off, off offset:288 ; 4-byte Folded Reload
	scratch_load_dword v53, off, off offset:292 ; 4-byte Folded Reload
.LBB375_44:                             ;   in Loop: Header=BB375_7 Depth=1
	s_or_b64 exec, exec, s[6:7]
	v_cmp_le_i32_e32 vcc, s49, v86
	v_cmp_eq_u32_e64 s[12:13], 1, v87
	v_cmp_eq_u32_e64 s[6:7], 3, v87
	s_waitcnt vmcnt(13)
	v_cndmask_b32_e32 v110, 0, v73, vcc
	v_pk_mul_f32 v[6:7], v[110:111], v[92:93] op_sel_hi:[0,1]
	v_pk_mul_f32 v[0:1], v[110:111], v[94:95] op_sel_hi:[0,1]
	v_cndmask_b32_e64 v3, v6, v7, s[12:13]
	v_cmp_eq_u32_e32 vcc, 2, v87
	v_cmp_eq_u32_e64 s[8:9], 0, v87
	v_mov_b64_e32 v[98:99], v[84:85]
	v_cndmask_b32_e32 v3, v3, v0, vcc
	v_cndmask_b32_e64 v3, v3, v1, s[6:7]
	s_waitcnt vmcnt(0)
	ds_bpermute_b32 v5, v53, v3
	v_mov_b64_e32 v[96:97], v[82:83]
	v_cmp_eq_u32_e64 s[10:11], 1, v45
	v_cmp_eq_u32_e64 s[16:17], 3, v45
	v_add_u32_e32 v35, s71, v46
	s_waitcnt lgkmcnt(0)
	v_cndmask_b32_e64 v3, v1, v5, s[6:7]
	v_cndmask_b32_e64 v1, v6, v5, s[8:9]
	v_or_b32_e32 v6, 16, v86
	v_cndmask_b32_e32 v4, v0, v5, vcc
	v_cndmask_b32_e64 v0, v7, v5, s[12:13]
	v_cmp_le_i32_e64 s[14:15], s49, v6
	scratch_load_dwordx4 v[6:9], off, off offset:48 ; 16-byte Folded Reload
	v_cndmask_b32_e64 v5, v1, v0, s[10:11]
	v_cndmask_b32_e64 v92, 0, v73, s[14:15]
	v_cmp_eq_u32_e64 s[14:15], 2, v45
	scratch_load_dwordx4 v[36:39], off, off ; 16-byte Folded Reload
	s_waitcnt vmcnt(1)
	v_pk_mul_f32 v[10:11], v[92:93], v[6:7] op_sel_hi:[0,1]
	v_pk_mul_f32 v[8:9], v[92:93], v[8:9] op_sel_hi:[0,1]
	v_cndmask_b32_e64 v6, v10, v11, s[12:13]
	v_cndmask_b32_e32 v6, v6, v8, vcc
	v_cndmask_b32_e64 v6, v6, v9, s[6:7]
	ds_bpermute_b32 v12, v53, v6
	v_cndmask_b32_e64 v5, v5, v4, s[14:15]
	v_cndmask_b32_e64 v5, v5, v3, s[16:17]
	ds_bpermute_b32 v5, v53, v5
	s_waitcnt lgkmcnt(1)
	v_cndmask_b32_e32 v7, v8, v12, vcc
	v_or_b32_e32 v8, 32, v86
	v_cndmask_b32_e64 v6, v9, v12, s[6:7]
	v_cndmask_b32_e64 v21, v11, v12, s[12:13]
	;; [unrolled: 1-line block ×3, first 2 shown]
	v_cmp_le_i32_e64 s[18:19], s49, v8
	scratch_load_dwordx4 v[8:11], off, off offset:32 ; 16-byte Folded Reload
	s_nop 0
	v_cndmask_b32_e64 v84, 0, v73, s[18:19]
	s_waitcnt vmcnt(0)
	v_pk_mul_f32 v[12:13], v[84:85], v[8:9] op_sel_hi:[0,1]
	v_pk_mul_f32 v[10:11], v[84:85], v[10:11] op_sel_hi:[0,1]
	v_cndmask_b32_e64 v8, v12, v13, s[12:13]
	v_cndmask_b32_e32 v8, v8, v10, vcc
	v_cndmask_b32_e64 v8, v8, v11, s[6:7]
	ds_bpermute_b32 v14, v53, v8
	v_cndmask_b32_e64 v8, v22, v21, s[10:11]
	v_cndmask_b32_e64 v8, v8, v7, s[14:15]
	;; [unrolled: 1-line block ×3, first 2 shown]
	ds_bpermute_b32 v8, v53, v8
	s_waitcnt lgkmcnt(1)
	v_cndmask_b32_e64 v9, v11, v14, s[6:7]
	v_cndmask_b32_e32 v10, v10, v14, vcc
	v_cndmask_b32_e64 v31, v13, v14, s[12:13]
	v_cndmask_b32_e64 v32, v12, v14, s[8:9]
	scratch_load_dwordx4 v[12:15], off, off offset:16 ; 16-byte Folded Reload
	v_or_b32_e32 v11, 48, v86
	v_cmp_le_i32_e64 s[18:19], s49, v11
	s_nop 1
	v_cndmask_b32_e64 v80, 0, v73, s[18:19]
	s_waitcnt vmcnt(0)
	v_pk_mul_f32 v[28:29], v[80:81], v[12:13] op_sel_hi:[0,1]
	v_pk_mul_f32 v[14:15], v[80:81], v[14:15] op_sel_hi:[0,1]
	v_cndmask_b32_e64 v11, v28, v29, s[12:13]
	v_cndmask_b32_e32 v11, v11, v14, vcc
	v_cndmask_b32_e64 v11, v11, v15, s[6:7]
	ds_bpermute_b32 v20, v53, v11
	v_cndmask_b32_e64 v11, v32, v31, s[10:11]
	v_cndmask_b32_e64 v11, v11, v10, s[14:15]
	;; [unrolled: 1-line block ×3, first 2 shown]
	ds_bpermute_b32 v11, v53, v11
	s_waitcnt lgkmcnt(1)
	v_cndmask_b32_e32 v13, v14, v20, vcc
	v_or_b32_e32 v14, 64, v86
	v_cmp_le_i32_e64 s[18:19], s49, v14
	v_cndmask_b32_e64 v33, v29, v20, s[12:13]
	v_cndmask_b32_e64 v34, v28, v20, s[8:9]
	;; [unrolled: 1-line block ×3, first 2 shown]
	v_pk_mul_f32 v[28:29], v[76:77], v[38:39] op_sel_hi:[0,1]
	v_pk_mul_f32 v[38:39], v[76:77], v[36:37] op_sel_hi:[0,1]
	v_cndmask_b32_e64 v14, v38, v39, s[12:13]
	v_cndmask_b32_e32 v14, v14, v28, vcc
	v_cndmask_b32_e64 v14, v14, v29, s[6:7]
	ds_bpermute_b32 v23, v53, v14
	v_cndmask_b32_e64 v12, v15, v20, s[6:7]
	v_cndmask_b32_e64 v14, v34, v33, s[10:11]
	;; [unrolled: 1-line block ×4, first 2 shown]
	s_waitcnt lgkmcnt(0)
	v_cndmask_b32_e64 v15, v29, v23, s[6:7]
	v_cndmask_b32_e32 v20, v28, v23, vcc
	v_cndmask_b32_e64 v36, v39, v23, s[12:13]
	v_cndmask_b32_e64 v37, v38, v23, s[8:9]
	v_or_b32_e32 v23, 0x50, v86
	v_cmp_le_i32_e64 s[18:19], s49, v23
	ds_bpermute_b32 v14, v53, v14
	s_nop 0
	v_cndmask_b32_e64 v72, 0, v73, s[18:19]
	v_pk_mul_f32 v[40:41], v[72:73], v[88:89] op_sel_hi:[0,1]
	v_pk_mul_f32 v[38:39], v[72:73], v[90:91] op_sel_hi:[0,1]
	v_cndmask_b32_e64 v23, v40, v41, s[12:13]
	v_cndmask_b32_e32 v23, v23, v38, vcc
	v_cndmask_b32_e64 v23, v23, v39, s[6:7]
	ds_bpermute_b32 v30, v53, v23
	v_cndmask_b32_e64 v23, v37, v36, s[10:11]
	v_cndmask_b32_e64 v23, v23, v20, s[14:15]
	;; [unrolled: 1-line block ×3, first 2 shown]
	ds_bpermute_b32 v23, v53, v23
	s_waitcnt lgkmcnt(1)
	v_cndmask_b32_e32 v29, v38, v30, vcc
	v_cmp_ne_u32_e32 vcc, 0, v87
	v_cndmask_b32_e64 v28, v39, v30, s[6:7]
	v_cndmask_b32_e64 v39, v40, v30, s[8:9]
	v_cndmask_b32_e32 v38, v41, v30, vcc
	v_cndmask_b32_e64 v30, v39, v38, s[10:11]
	v_cndmask_b32_e64 v30, v30, v29, s[14:15]
	;; [unrolled: 1-line block ×3, first 2 shown]
	ds_bpermute_b32 v30, v53, v30
	v_cmp_gt_u32_e32 vcc, 64, v35
	s_and_saveexec_b64 s[18:19], vcc
	s_cbranch_execz .LBB375_53
; %bb.45:                               ;   in Loop: Header=BB375_7 Depth=1
	v_cmp_eq_u32_e64 s[8:9], 1, v45
	v_cmp_eq_u32_e64 s[10:11], 0, v45
	v_cmp_eq_u32_e32 vcc, 3, v45
	v_cndmask_b32_e64 v0, v0, v5, s[8:9]
	v_cndmask_b32_e64 v1, v1, v5, s[10:11]
	;; [unrolled: 1-line block ×4, first 2 shown]
	v_cvt_f16_f32_e32 v32, v1
	v_cvt_f16_f32_sdwa v33, v0 dst_sel:WORD_1 dst_unused:UNUSED_PAD src0_sel:DWORD
	scratch_load_dwordx2 v[0:1], off, off offset:272 ; 8-byte Folded Reload
	v_cndmask_b32_e64 v21, v21, v8, s[8:9]
	v_cndmask_b32_e64 v31, v31, v11, s[8:9]
	s_waitcnt lgkmcnt(1)
	v_cndmask_b32_e64 v36, v36, v23, s[8:9]
	s_waitcnt lgkmcnt(0)
	v_cndmask_b32_e64 v38, v38, v30, s[8:9]
	s_mul_i32 s8, s69, s21
	s_ashr_i32 s9, s8, 31
	s_lshl_b64 s[8:9], s[8:9], 1
	v_cndmask_b32_e64 v22, v22, v8, s[10:11]
	v_cndmask_b32_e64 v34, v34, v14, s[10:11]
	;; [unrolled: 1-line block ×4, first 2 shown]
	s_add_u32 s10, s40, s8
	s_addc_u32 s11, s41, s9
	s_ashr_i32 s49, s48, 31
	v_cvt_f16_f32_e32 v22, v22
	v_cvt_f16_f32_sdwa v21, v21 dst_sel:WORD_1 dst_unused:UNUSED_PAD src0_sel:DWORD
	s_lshl_b64 s[8:9], s[48:49], 1
	s_add_u32 s54, s10, s8
	s_addc_u32 s55, s11, s9
	v_or_b32_e32 v32, v33, v32
	v_or_b32_e32 v21, v21, v22
	v_cvt_f16_f32_sdwa v22, v31 dst_sel:WORD_1 dst_unused:UNUSED_PAD src0_sel:DWORD
	v_cvt_f16_f32_e32 v31, v34
	v_cvt_f16_f32_sdwa v34, v41 dst_sel:WORD_1 dst_unused:UNUSED_PAD src0_sel:DWORD
	v_cmp_eq_u32_e64 s[6:7], 2, v45
	v_cmp_gt_u32_e64 s[8:9], 62, v35
	s_waitcnt vmcnt(0)
	v_lshl_add_u64 v[0:1], v[0:1], 1, s[54:55]
	;;#ASMSTART
	global_atomic_pk_add_f16 v[0:1], v32, off
	
	;;#ASMEND
	v_lshl_add_u64 v[32:33], v[0:1], 0, 32
	;;#ASMSTART
	global_atomic_pk_add_f16 v[32:33], v21, off
	
	;;#ASMEND
	v_cvt_f16_f32_e32 v21, v40
	v_lshl_add_u64 v[32:33], v[0:1], 0, 64
	v_or_b32_e32 v21, v22, v21
	;;#ASMSTART
	global_atomic_pk_add_f16 v[32:33], v21, off
	
	;;#ASMEND
	v_or_b32_e32 v21, v34, v31
	v_lshl_add_u64 v[32:33], v[0:1], 0, s[30:31]
	;;#ASMSTART
	global_atomic_pk_add_f16 v[32:33], v21, off
	
	;;#ASMEND
	v_cvt_f16_f32_e32 v21, v37
	v_cvt_f16_f32_sdwa v22, v36 dst_sel:WORD_1 dst_unused:UNUSED_PAD src0_sel:DWORD
	v_cvt_f16_f32_e32 v31, v39
	v_cvt_f16_f32_sdwa v34, v38 dst_sel:WORD_1 dst_unused:UNUSED_PAD src0_sel:DWORD
	v_lshl_add_u64 v[32:33], v[0:1], 0, s[34:35]
	v_or_b32_e32 v21, v22, v21
	;;#ASMSTART
	global_atomic_pk_add_f16 v[32:33], v21, off
	
	;;#ASMEND
	v_lshl_add_u64 v[32:33], v[0:1], 0, s[44:45]
	v_or_b32_e32 v21, v34, v31
	;;#ASMSTART
	global_atomic_pk_add_f16 v[32:33], v21, off
	
	;;#ASMEND
	s_and_b64 exec, exec, s[8:9]
	s_cbranch_execz .LBB375_53
; %bb.46:                               ;   in Loop: Header=BB375_7 Depth=1
	v_cndmask_b32_e32 v3, v3, v5, vcc
	v_cndmask_b32_e64 v4, v4, v5, s[6:7]
	v_cvt_f16_f32_e32 v4, v4
	v_cvt_f16_f32_sdwa v3, v3 dst_sel:WORD_1 dst_unused:UNUSED_PAD src0_sel:DWORD
	v_cndmask_b32_e32 v5, v6, v8, vcc
	v_cndmask_b32_e64 v6, v7, v8, s[6:7]
	v_lshl_add_u64 v[0:1], s[28:29], 2, v[0:1]
	v_or_b32_e32 v3, v3, v4
	;;#ASMSTART
	global_atomic_pk_add_f16 v[0:1], v3, off
	
	;;#ASMEND
	v_cvt_f16_f32_e32 v3, v6
	v_cvt_f16_f32_sdwa v6, v5 dst_sel:WORD_1 dst_unused:UNUSED_PAD src0_sel:DWORD
	v_cndmask_b32_e32 v7, v9, v11, vcc
	v_cndmask_b32_e64 v8, v10, v11, s[6:7]
	v_lshl_add_u64 v[4:5], v[0:1], 0, 32
	v_or_b32_e32 v3, v6, v3
	;;#ASMSTART
	global_atomic_pk_add_f16 v[4:5], v3, off
	
	;;#ASMEND
	;; [unrolled: 10-line block ×5, first 2 shown]
	v_cvt_f16_f32_e32 v3, v14
	v_cvt_f16_f32_sdwa v4, v13 dst_sel:WORD_1 dst_unused:UNUSED_PAD src0_sel:DWORD
	v_lshl_add_u64 v[0:1], v[0:1], 0, s[44:45]
	v_mov_b32_e32 v111, v110
	v_pk_mul_f32 v[6:7], v[110:111], v[96:97]
	v_or_b32_e32 v3, v4, v3
	;;#ASMSTART
	global_atomic_pk_add_f16 v[0:1], v3, off
	
	;;#ASMEND
	scratch_load_dwordx4 v[10:13], off, off offset:112 ; 16-byte Folded Reload
	scratch_load_dwordx4 v[20:23], off, off offset:96 ; 16-byte Folded Reload
	;; [unrolled: 1-line block ×3, first 2 shown]
	v_mov_b32_e32 v0, v110
	v_mov_b32_e32 v1, v110
	v_cmp_eq_u32_e64 s[8:9], 1, v87
	v_pk_mul_f32 v[0:1], v[0:1], v[98:99]
	v_cmp_eq_u32_e32 vcc, 2, v87
	v_cndmask_b32_e64 v3, v6, v7, s[8:9]
	v_cmp_eq_u32_e64 s[6:7], 3, v87
	v_cndmask_b32_e32 v3, v3, v0, vcc
	v_mov_b32_e32 v93, v92
	v_cndmask_b32_e64 v3, v3, v1, s[6:7]
	ds_bpermute_b32 v5, v53, v3
	v_cmp_eq_u32_e64 s[10:11], 0, v87
	v_mov_b32_e32 v85, v84
	v_mov_b32_e32 v81, v80
	;; [unrolled: 1-line block ×3, first 2 shown]
	s_waitcnt lgkmcnt(0)
	v_cndmask_b32_e64 v3, v1, v5, s[6:7]
	v_cndmask_b32_e32 v4, v0, v5, vcc
	v_cndmask_b32_e64 v0, v7, v5, s[8:9]
	v_cndmask_b32_e64 v1, v6, v5, s[10:11]
	v_mov_b32_e32 v6, v92
	v_mov_b32_e32 v7, v92
	;; [unrolled: 1-line block ×3, first 2 shown]
	v_pk_mul_f32 v[40:41], v[72:73], v[48:49]
	v_cmp_eq_u32_e64 s[12:13], 1, v45
	v_cmp_eq_u32_e64 s[14:15], 2, v45
	;; [unrolled: 1-line block ×3, first 2 shown]
	v_cndmask_b32_e64 v5, v1, v0, s[12:13]
	v_cndmask_b32_e64 v5, v5, v4, s[14:15]
	;; [unrolled: 1-line block ×3, first 2 shown]
	ds_bpermute_b32 v5, v53, v5
	v_or_b32_e32 v37, 16, v46
	v_add_u32_e32 v37, s71, v37
	s_waitcnt vmcnt(2)
	v_pk_mul_f32 v[10:11], v[92:93], v[10:11]
	v_pk_mul_f32 v[8:9], v[6:7], v[12:13]
	v_cndmask_b32_e64 v6, v10, v11, s[8:9]
	v_cndmask_b32_e32 v6, v6, v8, vcc
	v_cndmask_b32_e64 v6, v6, v9, s[6:7]
	ds_bpermute_b32 v13, v53, v6
	s_waitcnt vmcnt(1)
	v_pk_mul_f32 v[14:15], v[84:85], v[20:21]
	s_waitcnt lgkmcnt(0)
	v_cndmask_b32_e64 v6, v9, v13, s[6:7]
	v_cndmask_b32_e32 v7, v8, v13, vcc
	v_cndmask_b32_e64 v12, v11, v13, s[8:9]
	v_cndmask_b32_e64 v13, v10, v13, s[10:11]
	v_mov_b32_e32 v10, v84
	v_mov_b32_e32 v11, v84
	v_pk_mul_f32 v[10:11], v[10:11], v[22:23]
	v_cndmask_b32_e64 v9, v14, v15, s[8:9]
	v_cndmask_b32_e32 v9, v9, v10, vcc
	v_cndmask_b32_e64 v9, v9, v11, s[6:7]
	ds_bpermute_b32 v20, v53, v9
	v_cndmask_b32_e64 v8, v13, v12, s[12:13]
	v_cndmask_b32_e64 v8, v8, v7, s[14:15]
	;; [unrolled: 1-line block ×3, first 2 shown]
	ds_bpermute_b32 v8, v53, v8
	s_waitcnt lgkmcnt(1)
	v_cndmask_b32_e64 v21, v15, v20, s[8:9]
	v_cndmask_b32_e64 v22, v14, v20, s[10:11]
	v_mov_b32_e32 v14, v80
	v_mov_b32_e32 v15, v80
	s_waitcnt vmcnt(0)
	v_pk_mul_f32 v[28:29], v[14:15], v[32:33]
	v_pk_mul_f32 v[32:33], v[80:81], v[30:31]
	v_cndmask_b32_e64 v9, v11, v20, s[6:7]
	v_cndmask_b32_e64 v14, v32, v33, s[8:9]
	v_cndmask_b32_e32 v14, v14, v28, vcc
	v_cndmask_b32_e64 v14, v14, v29, s[6:7]
	v_cndmask_b32_e32 v10, v10, v20, vcc
	ds_bpermute_b32 v20, v53, v14
	v_cndmask_b32_e64 v11, v22, v21, s[12:13]
	v_cndmask_b32_e64 v11, v11, v10, s[14:15]
	;; [unrolled: 1-line block ×3, first 2 shown]
	ds_bpermute_b32 v11, v53, v11
	s_waitcnt lgkmcnt(1)
	v_cndmask_b32_e64 v30, v33, v20, s[8:9]
	v_cndmask_b32_e64 v31, v32, v20, s[10:11]
	scratch_load_dwordx4 v[32:35], off, off offset:64 ; 16-byte Folded Reload
	v_cndmask_b32_e64 v14, v29, v20, s[6:7]
	v_cndmask_b32_e32 v15, v28, v20, vcc
	v_mov_b32_e32 v28, v76
	v_mov_b32_e32 v29, v76
	v_cndmask_b32_e64 v20, v31, v30, s[12:13]
	v_cndmask_b32_e64 v20, v20, v15, s[14:15]
	;; [unrolled: 1-line block ×3, first 2 shown]
	ds_bpermute_b32 v20, v53, v20
	s_waitcnt vmcnt(0)
	v_pk_mul_f32 v[32:33], v[76:77], v[32:33]
	v_pk_mul_f32 v[28:29], v[28:29], v[34:35]
	v_cndmask_b32_e64 v23, v32, v33, s[8:9]
	v_cndmask_b32_e32 v23, v23, v28, vcc
	v_cndmask_b32_e64 v23, v23, v29, s[6:7]
	ds_bpermute_b32 v34, v53, v23
	s_waitcnt lgkmcnt(0)
	v_cndmask_b32_e64 v35, v33, v34, s[8:9]
	v_cndmask_b32_e64 v36, v32, v34, s[10:11]
	v_mov_b32_e32 v32, v72
	v_mov_b32_e32 v33, v72
	v_pk_mul_f32 v[38:39], v[32:33], v[50:51]
	v_cndmask_b32_e64 v32, v40, v41, s[8:9]
	v_cndmask_b32_e32 v32, v32, v38, vcc
	v_cndmask_b32_e64 v32, v32, v39, s[6:7]
	v_cndmask_b32_e64 v23, v29, v34, s[6:7]
	v_cndmask_b32_e32 v28, v28, v34, vcc
	ds_bpermute_b32 v34, v53, v32
	v_cndmask_b32_e64 v29, v36, v35, s[12:13]
	v_cndmask_b32_e64 v29, v29, v28, s[14:15]
	;; [unrolled: 1-line block ×3, first 2 shown]
	ds_bpermute_b32 v29, v53, v29
	s_waitcnt lgkmcnt(1)
	v_cndmask_b32_e32 v33, v38, v34, vcc
	v_cmp_ne_u32_e32 vcc, 0, v87
	v_cndmask_b32_e64 v32, v39, v34, s[6:7]
	v_cndmask_b32_e64 v39, v40, v34, s[10:11]
	v_cndmask_b32_e32 v38, v41, v34, vcc
	v_cndmask_b32_e64 v34, v39, v38, s[12:13]
	v_cndmask_b32_e64 v34, v34, v33, s[14:15]
	;; [unrolled: 1-line block ×3, first 2 shown]
	ds_bpermute_b32 v34, v53, v34
	v_cmp_gt_u32_e32 vcc, 64, v37
	s_and_b64 exec, exec, vcc
	s_cbranch_execz .LBB375_53
; %bb.47:                               ;   in Loop: Header=BB375_7 Depth=1
	v_cmp_eq_u32_e64 s[8:9], 1, v45
	v_cmp_eq_u32_e64 s[10:11], 0, v45
	v_cmp_eq_u32_e32 vcc, 3, v45
	v_cndmask_b32_e64 v0, v0, v5, s[8:9]
	v_cndmask_b32_e64 v1, v1, v5, s[10:11]
	v_cvt_f16_f32_e32 v40, v1
	v_cvt_f16_f32_sdwa v41, v0 dst_sel:WORD_1 dst_unused:UNUSED_PAD src0_sel:DWORD
	scratch_load_dwordx2 v[0:1], off, off offset:300 ; 8-byte Folded Reload
	v_cndmask_b32_e64 v21, v21, v11, s[8:9]
	v_cndmask_b32_e64 v22, v22, v11, s[10:11]
	;; [unrolled: 1-line block ×6, first 2 shown]
	v_cvt_f16_f32_e32 v22, v22
	v_cvt_f16_f32_sdwa v21, v21 dst_sel:WORD_1 dst_unused:UNUSED_PAD src0_sel:DWORD
	v_cvt_f16_f32_e32 v42, v13
	v_cvt_f16_f32_sdwa v43, v12 dst_sel:WORD_1 dst_unused:UNUSED_PAD src0_sel:DWORD
	;; [unrolled: 2-line block ×3, first 2 shown]
	v_or_b32_e32 v12, v41, v40
	v_or_b32_e32 v21, v21, v22
	s_waitcnt lgkmcnt(1)
	v_cndmask_b32_e64 v35, v35, v29, s[8:9]
	v_cndmask_b32_e64 v36, v36, v29, s[10:11]
	v_or_b32_e32 v40, v43, v42
	s_waitcnt lgkmcnt(0)
	v_cndmask_b32_e64 v38, v38, v34, s[8:9]
	v_cndmask_b32_e64 v39, v39, v34, s[10:11]
	v_cvt_f16_f32_sdwa v22, v35 dst_sel:WORD_1 dst_unused:UNUSED_PAD src0_sel:DWORD
	v_cmp_eq_u32_e64 s[6:7], 2, v45
	v_cmp_gt_u32_e64 s[8:9], 62, v37
	s_waitcnt vmcnt(0)
	v_lshl_add_u64 v[0:1], v[0:1], 1, s[54:55]
	;;#ASMSTART
	global_atomic_pk_add_f16 v[0:1], v12, off
	
	;;#ASMEND
	v_lshl_add_u64 v[12:13], v[0:1], 0, 32
	;;#ASMSTART
	global_atomic_pk_add_f16 v[12:13], v40, off
	
	;;#ASMEND
	;; [unrolled: 5-line block ×3, first 2 shown]
	v_or_b32_e32 v21, v30, v31
	v_lshl_add_u64 v[12:13], v[0:1], 0, s[30:31]
	;;#ASMSTART
	global_atomic_pk_add_f16 v[12:13], v21, off
	
	;;#ASMEND
	v_cvt_f16_f32_e32 v21, v36
	v_cvt_f16_f32_e32 v30, v39
	v_cvt_f16_f32_sdwa v31, v38 dst_sel:WORD_1 dst_unused:UNUSED_PAD src0_sel:DWORD
	v_lshl_add_u64 v[12:13], v[0:1], 0, s[34:35]
	v_or_b32_e32 v21, v22, v21
	;;#ASMSTART
	global_atomic_pk_add_f16 v[12:13], v21, off
	
	;;#ASMEND
	v_lshl_add_u64 v[12:13], v[0:1], 0, s[44:45]
	v_or_b32_e32 v21, v31, v30
	;;#ASMSTART
	global_atomic_pk_add_f16 v[12:13], v21, off
	
	;;#ASMEND
	s_and_b64 exec, exec, s[8:9]
	s_cbranch_execz .LBB375_53
; %bb.48:                               ;   in Loop: Header=BB375_7 Depth=1
	v_cndmask_b32_e32 v3, v3, v5, vcc
	v_cndmask_b32_e64 v4, v4, v5, s[6:7]
	v_cvt_f16_f32_e32 v4, v4
	v_cvt_f16_f32_sdwa v3, v3 dst_sel:WORD_1 dst_unused:UNUSED_PAD src0_sel:DWORD
	v_cndmask_b32_e32 v5, v6, v8, vcc
	v_cndmask_b32_e64 v6, v7, v8, s[6:7]
	v_cndmask_b32_e32 v7, v9, v11, vcc
	v_or_b32_e32 v3, v3, v4
	v_cndmask_b32_e64 v8, v10, v11, s[6:7]
	v_lshl_add_u64 v[0:1], s[28:29], 2, v[0:1]
	;;#ASMSTART
	global_atomic_pk_add_f16 v[0:1], v3, off
	
	;;#ASMEND
	v_cvt_f16_f32_e32 v3, v6
	v_cvt_f16_f32_sdwa v6, v5 dst_sel:WORD_1 dst_unused:UNUSED_PAD src0_sel:DWORD
	v_cvt_f16_f32_e32 v8, v8
	v_cvt_f16_f32_sdwa v7, v7 dst_sel:WORD_1 dst_unused:UNUSED_PAD src0_sel:DWORD
	v_cndmask_b32_e32 v9, v14, v20, vcc
	v_or_b32_e32 v3, v6, v3
	v_cndmask_b32_e64 v10, v15, v20, s[6:7]
	v_lshl_add_u64 v[4:5], v[0:1], 0, 32
	;;#ASMSTART
	global_atomic_pk_add_f16 v[4:5], v3, off
	
	;;#ASMEND
	v_or_b32_e32 v3, v7, v8
	v_cndmask_b32_e32 v11, v23, v29, vcc
	v_cndmask_b32_e64 v12, v28, v29, s[6:7]
	v_lshl_add_u64 v[4:5], v[0:1], 0, 64
	;;#ASMSTART
	global_atomic_pk_add_f16 v[4:5], v3, off
	
	;;#ASMEND
	v_cvt_f16_f32_e32 v3, v10
	v_cvt_f16_f32_sdwa v6, v9 dst_sel:WORD_1 dst_unused:UNUSED_PAD src0_sel:DWORD
	v_cvt_f16_f32_e32 v7, v12
	v_cvt_f16_f32_sdwa v8, v11 dst_sel:WORD_1 dst_unused:UNUSED_PAD src0_sel:DWORD
	v_lshl_add_u64 v[4:5], v[0:1], 0, s[30:31]
	v_or_b32_e32 v3, v6, v3
	;;#ASMSTART
	global_atomic_pk_add_f16 v[4:5], v3, off
	
	;;#ASMEND
	v_lshl_add_u64 v[4:5], v[0:1], 0, s[34:35]
	v_or_b32_e32 v3, v8, v7
	;;#ASMSTART
	global_atomic_pk_add_f16 v[4:5], v3, off
	
	;;#ASMEND
	scratch_load_dwordx4 v[20:23], off, off offset:176 ; 16-byte Folded Reload
	scratch_load_dwordx4 v[28:31], off, off offset:160 ; 16-byte Folded Reload
	v_cndmask_b32_e32 v13, v32, v34, vcc
	v_cndmask_b32_e64 v14, v33, v34, s[6:7]
	scratch_load_dwordx4 v[32:35], off, off offset:144 ; 16-byte Folded Reload
	scratch_load_dwordx4 v[36:39], off, off offset:128 ; 16-byte Folded Reload
	v_mov_b32_e32 v6, v110
	v_mov_b32_e32 v7, v110
	v_pk_mul_f32 v[8:9], v[110:111], v[66:67]
	v_cmp_eq_u32_e64 s[8:9], 1, v87
	v_pk_mul_f32 v[6:7], v[6:7], v[68:69]
	v_cmp_eq_u32_e32 vcc, 2, v87
	v_cndmask_b32_e64 v10, v8, v9, s[8:9]
	v_cmp_eq_u32_e64 s[6:7], 3, v87
	v_cndmask_b32_e32 v10, v10, v6, vcc
	v_cvt_f16_f32_e32 v40, v14
	v_cndmask_b32_e64 v10, v10, v7, s[6:7]
	ds_bpermute_b32 v10, v53, v10
	v_cmp_eq_u32_e64 s[10:11], 0, v87
	v_cvt_f16_f32_sdwa v41, v13 dst_sel:WORD_1 dst_unused:UNUSED_PAD src0_sel:DWORD
	v_cmp_eq_u32_e64 s[12:13], 1, v45
	v_cmp_eq_u32_e64 s[14:15], 2, v45
	s_waitcnt lgkmcnt(0)
	v_cndmask_b32_e64 v3, v7, v10, s[6:7]
	v_cndmask_b32_e32 v4, v6, v10, vcc
	v_mov_b32_e32 v6, v92
	v_mov_b32_e32 v7, v92
	v_cndmask_b32_e64 v11, v9, v10, s[8:9]
	v_cndmask_b32_e64 v12, v8, v10, s[10:11]
	v_cmp_eq_u32_e64 s[16:17], 3, v45
	v_cndmask_b32_e64 v5, v12, v11, s[12:13]
	v_cndmask_b32_e64 v5, v5, v4, s[14:15]
	;; [unrolled: 1-line block ×3, first 2 shown]
	ds_bpermute_b32 v5, v53, v5
	v_lshl_add_u64 v[0:1], v[0:1], 0, s[44:45]
	s_waitcnt vmcnt(3)
	v_pk_mul_f32 v[14:15], v[92:93], v[20:21]
	v_pk_mul_f32 v[8:9], v[6:7], v[22:23]
	v_cndmask_b32_e64 v6, v14, v15, s[8:9]
	v_cndmask_b32_e32 v6, v6, v8, vcc
	v_cndmask_b32_e64 v6, v6, v9, s[6:7]
	ds_bpermute_b32 v10, v53, v6
	s_waitcnt vmcnt(2)
	v_pk_mul_f32 v[22:23], v[84:85], v[28:29]
	s_waitcnt vmcnt(1)
	v_pk_mul_f32 v[32:33], v[80:81], v[32:33]
	;; [unrolled: 2-line block ×3, first 2 shown]
	s_waitcnt lgkmcnt(0)
	v_cndmask_b32_e64 v6, v9, v10, s[6:7]
	v_cndmask_b32_e32 v7, v8, v10, vcc
	v_mov_b32_e32 v8, v84
	v_mov_b32_e32 v9, v84
	v_cndmask_b32_e64 v20, v15, v10, s[8:9]
	v_cndmask_b32_e64 v21, v14, v10, s[10:11]
	v_pk_mul_f32 v[14:15], v[8:9], v[30:31]
	v_cndmask_b32_e64 v8, v22, v23, s[8:9]
	v_cndmask_b32_e32 v8, v8, v14, vcc
	v_cndmask_b32_e64 v8, v8, v15, s[6:7]
	ds_bpermute_b32 v13, v53, v8
	v_cndmask_b32_e64 v8, v21, v20, s[12:13]
	v_cndmask_b32_e64 v8, v8, v7, s[14:15]
	v_cndmask_b32_e64 v8, v8, v6, s[16:17]
	ds_bpermute_b32 v8, v53, v8
	s_waitcnt lgkmcnt(1)
	v_cndmask_b32_e64 v9, v15, v13, s[6:7]
	v_cndmask_b32_e32 v10, v14, v13, vcc
	v_mov_b32_e32 v14, v80
	v_mov_b32_e32 v15, v80
	v_cndmask_b32_e64 v29, v23, v13, s[8:9]
	v_cndmask_b32_e64 v30, v22, v13, s[10:11]
	v_pk_mul_f32 v[22:23], v[14:15], v[34:35]
	v_cndmask_b32_e64 v13, v32, v33, s[8:9]
	v_cndmask_b32_e32 v13, v13, v22, vcc
	v_cndmask_b32_e64 v13, v13, v23, s[6:7]
	ds_bpermute_b32 v28, v53, v13
	v_cndmask_b32_e64 v13, v30, v29, s[12:13]
	v_cndmask_b32_e64 v13, v13, v10, s[14:15]
	;; [unrolled: 1-line block ×3, first 2 shown]
	ds_bpermute_b32 v13, v53, v13
	s_waitcnt lgkmcnt(1)
	v_cndmask_b32_e64 v14, v23, v28, s[6:7]
	v_cndmask_b32_e32 v15, v22, v28, vcc
	v_mov_b32_e32 v22, v76
	v_mov_b32_e32 v23, v76
	v_pk_mul_f32 v[34:35], v[22:23], v[38:39]
	v_cndmask_b32_e64 v22, v36, v37, s[8:9]
	v_cndmask_b32_e32 v22, v22, v34, vcc
	v_cndmask_b32_e64 v22, v22, v35, s[6:7]
	v_cndmask_b32_e64 v31, v33, v28, s[8:9]
	ds_bpermute_b32 v33, v53, v22
	v_cndmask_b32_e64 v32, v32, v28, s[10:11]
	v_pk_mul_f32 v[38:39], v[72:73], v[24:25]
	v_cndmask_b32_e64 v22, v32, v31, s[12:13]
	v_cndmask_b32_e64 v24, v38, v39, s[8:9]
	s_waitcnt lgkmcnt(0)
	v_cndmask_b32_e64 v23, v35, v33, s[6:7]
	v_cndmask_b32_e32 v28, v34, v33, vcc
	v_cndmask_b32_e64 v34, v37, v33, s[8:9]
	v_cndmask_b32_e64 v35, v36, v33, s[10:11]
	v_mov_b32_e32 v36, v72
	v_mov_b32_e32 v37, v72
	v_pk_mul_f32 v[36:37], v[36:37], v[26:27]
	v_cndmask_b32_e64 v22, v22, v15, s[14:15]
	v_cndmask_b32_e32 v24, v24, v36, vcc
	v_cndmask_b32_e64 v24, v24, v37, s[6:7]
	ds_bpermute_b32 v27, v53, v24
	v_cndmask_b32_e64 v24, v35, v34, s[12:13]
	v_cndmask_b32_e64 v24, v24, v28, s[14:15]
	;; [unrolled: 1-line block ×3, first 2 shown]
	ds_bpermute_b32 v26, v53, v24
	s_waitcnt lgkmcnt(1)
	v_cndmask_b32_e32 v25, v36, v27, vcc
	v_cmp_ne_u32_e32 vcc, 0, v87
	v_cndmask_b32_e64 v24, v37, v27, s[6:7]
	v_cndmask_b32_e64 v37, v38, v27, s[10:11]
	v_cndmask_b32_e32 v36, v39, v27, vcc
	v_cndmask_b32_e64 v27, v37, v36, s[12:13]
	v_cndmask_b32_e64 v27, v27, v25, s[14:15]
	;; [unrolled: 1-line block ×4, first 2 shown]
	ds_bpermute_b32 v22, v53, v22
	ds_bpermute_b32 v27, v53, v27
	v_or_b32_e32 v33, v41, v40
	;;#ASMSTART
	global_atomic_pk_add_f16 v[0:1], v33, off
	
	;;#ASMEND
	v_or_b32_e32 v0, 32, v46
	v_add_u32_e32 v33, s71, v0
	v_cmp_gt_u32_e32 vcc, 64, v33
	s_and_b64 exec, exec, vcc
	s_cbranch_execz .LBB375_53
; %bb.49:                               ;   in Loop: Header=BB375_7 Depth=1
	v_cmp_eq_u32_e64 s[8:9], 1, v45
	v_cmp_eq_u32_e64 s[10:11], 0, v45
	v_cmp_eq_u32_e32 vcc, 3, v45
	v_cndmask_b32_e64 v0, v11, v5, s[8:9]
	v_cndmask_b32_e64 v1, v12, v5, s[10:11]
	;; [unrolled: 1-line block ×4, first 2 shown]
	v_cvt_f16_f32_e32 v20, v1
	v_cvt_f16_f32_sdwa v21, v0 dst_sel:WORD_1 dst_unused:UNUSED_PAD src0_sel:DWORD
	scratch_load_dwordx2 v[0:1], off, off offset:308 ; 8-byte Folded Reload
	v_cvt_f16_f32_e32 v12, v12
	v_cvt_f16_f32_sdwa v11, v11 dst_sel:WORD_1 dst_unused:UNUSED_PAD src0_sel:DWORD
	v_cndmask_b32_e64 v29, v29, v13, s[8:9]
	v_cndmask_b32_e64 v30, v30, v13, s[10:11]
	v_or_b32_e32 v20, v21, v20
	v_or_b32_e32 v11, v11, v12
	s_waitcnt lgkmcnt(1)
	v_cndmask_b32_e64 v31, v31, v22, s[8:9]
	v_cndmask_b32_e64 v32, v32, v22, s[10:11]
	v_cvt_f16_f32_sdwa v12, v29 dst_sel:WORD_1 dst_unused:UNUSED_PAD src0_sel:DWORD
	v_cvt_f16_f32_e32 v29, v32
	v_cndmask_b32_e64 v34, v34, v26, s[8:9]
	v_cndmask_b32_e64 v35, v35, v26, s[10:11]
	s_waitcnt lgkmcnt(0)
	v_cndmask_b32_e64 v36, v36, v27, s[8:9]
	v_cndmask_b32_e64 v37, v37, v27, s[10:11]
	v_cmp_eq_u32_e64 s[6:7], 2, v45
	v_cmp_gt_u32_e64 s[8:9], 62, v33
	s_waitcnt vmcnt(0)
	v_lshl_add_u64 v[0:1], v[0:1], 1, s[54:55]
	;;#ASMSTART
	global_atomic_pk_add_f16 v[0:1], v20, off
	
	;;#ASMEND
	v_lshl_add_u64 v[20:21], v[0:1], 0, 32
	;;#ASMSTART
	global_atomic_pk_add_f16 v[20:21], v11, off
	
	;;#ASMEND
	v_cvt_f16_f32_e32 v11, v30
	v_cvt_f16_f32_sdwa v30, v31 dst_sel:WORD_1 dst_unused:UNUSED_PAD src0_sel:DWORD
	v_lshl_add_u64 v[20:21], v[0:1], 0, 64
	v_or_b32_e32 v11, v12, v11
	;;#ASMSTART
	global_atomic_pk_add_f16 v[20:21], v11, off
	
	;;#ASMEND
	v_or_b32_e32 v11, v30, v29
	v_lshl_add_u64 v[20:21], v[0:1], 0, s[30:31]
	;;#ASMSTART
	global_atomic_pk_add_f16 v[20:21], v11, off
	
	;;#ASMEND
	v_cvt_f16_f32_e32 v11, v35
	v_cvt_f16_f32_sdwa v12, v34 dst_sel:WORD_1 dst_unused:UNUSED_PAD src0_sel:DWORD
	v_cvt_f16_f32_e32 v29, v37
	v_cvt_f16_f32_sdwa v30, v36 dst_sel:WORD_1 dst_unused:UNUSED_PAD src0_sel:DWORD
	v_lshl_add_u64 v[20:21], v[0:1], 0, s[34:35]
	v_or_b32_e32 v11, v12, v11
	;;#ASMSTART
	global_atomic_pk_add_f16 v[20:21], v11, off
	
	;;#ASMEND
	v_lshl_add_u64 v[20:21], v[0:1], 0, s[44:45]
	v_or_b32_e32 v11, v30, v29
	;;#ASMSTART
	global_atomic_pk_add_f16 v[20:21], v11, off
	
	;;#ASMEND
	s_and_b64 exec, exec, s[8:9]
	s_cbranch_execz .LBB375_53
; %bb.50:                               ;   in Loop: Header=BB375_7 Depth=1
	v_cndmask_b32_e32 v3, v3, v5, vcc
	v_cndmask_b32_e64 v4, v4, v5, s[6:7]
	v_cvt_f16_f32_e32 v4, v4
	v_cvt_f16_f32_sdwa v3, v3 dst_sel:WORD_1 dst_unused:UNUSED_PAD src0_sel:DWORD
	v_cndmask_b32_e32 v5, v6, v8, vcc
	v_cndmask_b32_e64 v6, v7, v8, s[6:7]
	v_cndmask_b32_e32 v7, v9, v13, vcc
	v_or_b32_e32 v3, v3, v4
	v_cndmask_b32_e64 v8, v10, v13, s[6:7]
	v_lshl_add_u64 v[0:1], s[28:29], 2, v[0:1]
	;;#ASMSTART
	global_atomic_pk_add_f16 v[0:1], v3, off
	
	;;#ASMEND
	v_cvt_f16_f32_e32 v3, v6
	v_cvt_f16_f32_sdwa v6, v5 dst_sel:WORD_1 dst_unused:UNUSED_PAD src0_sel:DWORD
	v_cvt_f16_f32_e32 v8, v8
	v_cvt_f16_f32_sdwa v7, v7 dst_sel:WORD_1 dst_unused:UNUSED_PAD src0_sel:DWORD
	v_cndmask_b32_e32 v9, v14, v22, vcc
	v_or_b32_e32 v3, v6, v3
	v_cndmask_b32_e64 v10, v15, v22, s[6:7]
	v_lshl_add_u64 v[4:5], v[0:1], 0, 32
	;;#ASMSTART
	global_atomic_pk_add_f16 v[4:5], v3, off
	
	;;#ASMEND
	v_or_b32_e32 v3, v7, v8
	v_cndmask_b32_e32 v11, v23, v26, vcc
	v_cndmask_b32_e64 v12, v28, v26, s[6:7]
	v_lshl_add_u64 v[4:5], v[0:1], 0, 64
	;;#ASMSTART
	global_atomic_pk_add_f16 v[4:5], v3, off
	
	;;#ASMEND
	v_cvt_f16_f32_e32 v3, v10
	v_cvt_f16_f32_sdwa v6, v9 dst_sel:WORD_1 dst_unused:UNUSED_PAD src0_sel:DWORD
	v_cvt_f16_f32_e32 v7, v12
	v_cvt_f16_f32_sdwa v8, v11 dst_sel:WORD_1 dst_unused:UNUSED_PAD src0_sel:DWORD
	v_lshl_add_u64 v[4:5], v[0:1], 0, s[30:31]
	v_or_b32_e32 v3, v6, v3
	;;#ASMSTART
	global_atomic_pk_add_f16 v[4:5], v3, off
	
	;;#ASMEND
	v_lshl_add_u64 v[4:5], v[0:1], 0, s[34:35]
	v_or_b32_e32 v3, v8, v7
	;;#ASMSTART
	global_atomic_pk_add_f16 v[4:5], v3, off
	
	;;#ASMEND
	scratch_load_dwordx4 v[20:23], off, off offset:240 ; 16-byte Folded Reload
	v_mov_b32_e32 v6, v110
	v_mov_b32_e32 v7, v110
	v_pk_mul_f32 v[8:9], v[110:111], v[62:63]
	v_cmp_eq_u32_e64 s[8:9], 1, v87
	v_cndmask_b32_e32 v13, v24, v27, vcc
	v_pk_mul_f32 v[6:7], v[6:7], v[64:65]
	v_cndmask_b32_e64 v10, v8, v9, s[8:9]
	v_cmp_eq_u32_e32 vcc, 2, v87
	v_cndmask_b32_e64 v14, v25, v27, s[6:7]
	v_cmp_eq_u32_e64 s[6:7], 3, v87
	v_cndmask_b32_e32 v10, v10, v6, vcc
	v_cmp_eq_u32_e64 s[10:11], 0, v87
	v_cndmask_b32_e64 v10, v10, v7, s[6:7]
	ds_bpermute_b32 v10, v53, v10
	scratch_load_dwordx4 v[28:31], off, off offset:208 ; 16-byte Folded Reload
	scratch_load_dwordx4 v[32:35], off, off offset:192 ; 16-byte Folded Reload
	v_cvt_f16_f32_e32 v36, v14
	v_cvt_f16_f32_sdwa v37, v13 dst_sel:WORD_1 dst_unused:UNUSED_PAD src0_sel:DWORD
	s_waitcnt lgkmcnt(0)
	v_cndmask_b32_e64 v3, v7, v10, s[6:7]
	v_cndmask_b32_e32 v4, v6, v10, vcc
	v_mov_b32_e32 v6, v92
	v_mov_b32_e32 v7, v92
	v_cndmask_b32_e64 v11, v9, v10, s[8:9]
	v_cndmask_b32_e64 v12, v8, v10, s[10:11]
	v_cmp_eq_u32_e64 s[12:13], 1, v45
	v_cmp_eq_u32_e64 s[14:15], 2, v45
	;; [unrolled: 1-line block ×3, first 2 shown]
	v_cndmask_b32_e64 v5, v12, v11, s[12:13]
	v_cndmask_b32_e64 v5, v5, v4, s[14:15]
	;; [unrolled: 1-line block ×3, first 2 shown]
	ds_bpermute_b32 v5, v53, v5
	v_lshl_add_u64 v[0:1], v[0:1], 0, s[44:45]
	s_waitcnt vmcnt(2)
	v_pk_mul_f32 v[8:9], v[6:7], v[22:23]
	scratch_load_dwordx4 v[22:25], off, off offset:224 ; 16-byte Folded Reload
	v_pk_mul_f32 v[14:15], v[92:93], v[20:21]
	s_waitcnt vmcnt(2)
	v_pk_mul_f32 v[28:29], v[80:81], v[28:29]
	v_cndmask_b32_e64 v6, v14, v15, s[8:9]
	v_cndmask_b32_e32 v6, v6, v8, vcc
	v_cndmask_b32_e64 v6, v6, v9, s[6:7]
	ds_bpermute_b32 v10, v53, v6
	s_waitcnt vmcnt(1)
	v_pk_mul_f32 v[32:33], v[76:77], v[32:33]
	s_waitcnt lgkmcnt(0)
	v_cndmask_b32_e64 v6, v9, v10, s[6:7]
	v_cndmask_b32_e32 v7, v8, v10, vcc
	v_mov_b32_e32 v8, v84
	v_mov_b32_e32 v9, v84
	v_cndmask_b32_e64 v20, v15, v10, s[8:9]
	v_cndmask_b32_e64 v21, v14, v10, s[10:11]
	s_waitcnt vmcnt(0)
	v_pk_mul_f32 v[22:23], v[84:85], v[22:23]
	v_pk_mul_f32 v[14:15], v[8:9], v[24:25]
	v_cndmask_b32_e64 v8, v22, v23, s[8:9]
	v_cndmask_b32_e32 v8, v8, v14, vcc
	v_cndmask_b32_e64 v8, v8, v15, s[6:7]
	ds_bpermute_b32 v13, v53, v8
	v_cndmask_b32_e64 v8, v21, v20, s[12:13]
	v_cndmask_b32_e64 v8, v8, v7, s[14:15]
	;; [unrolled: 1-line block ×3, first 2 shown]
	ds_bpermute_b32 v8, v53, v8
	s_waitcnt lgkmcnt(1)
	v_cndmask_b32_e64 v9, v15, v13, s[6:7]
	v_cndmask_b32_e32 v10, v14, v13, vcc
	v_mov_b32_e32 v14, v80
	v_mov_b32_e32 v15, v80
	v_cndmask_b32_e64 v25, v23, v13, s[8:9]
	v_cndmask_b32_e64 v26, v22, v13, s[10:11]
	v_pk_mul_f32 v[22:23], v[14:15], v[30:31]
	v_cndmask_b32_e64 v13, v28, v29, s[8:9]
	v_cndmask_b32_e32 v13, v13, v22, vcc
	v_cndmask_b32_e64 v13, v13, v23, s[6:7]
	ds_bpermute_b32 v24, v53, v13
	v_cndmask_b32_e64 v13, v26, v25, s[12:13]
	v_cndmask_b32_e64 v13, v13, v10, s[14:15]
	;; [unrolled: 1-line block ×3, first 2 shown]
	ds_bpermute_b32 v13, v53, v13
	s_waitcnt lgkmcnt(1)
	v_cndmask_b32_e64 v14, v23, v24, s[6:7]
	v_cndmask_b32_e32 v15, v22, v24, vcc
	v_mov_b32_e32 v22, v76
	v_mov_b32_e32 v23, v76
	v_pk_mul_f32 v[30:31], v[22:23], v[34:35]
	v_cndmask_b32_e64 v22, v32, v33, s[8:9]
	v_cndmask_b32_e32 v22, v22, v30, vcc
	v_cndmask_b32_e64 v22, v22, v31, s[6:7]
	v_cndmask_b32_e64 v27, v29, v24, s[8:9]
	ds_bpermute_b32 v29, v53, v22
	v_cndmask_b32_e64 v28, v28, v24, s[10:11]
	v_pk_mul_f32 v[34:35], v[72:73], v[16:17]
	v_cndmask_b32_e64 v22, v28, v27, s[12:13]
	v_cndmask_b32_e64 v16, v34, v35, s[8:9]
	s_waitcnt lgkmcnt(0)
	v_cndmask_b32_e64 v23, v31, v29, s[6:7]
	v_cndmask_b32_e32 v24, v30, v29, vcc
	v_cndmask_b32_e64 v30, v33, v29, s[8:9]
	v_cndmask_b32_e64 v31, v32, v29, s[10:11]
	v_mov_b32_e32 v32, v72
	v_mov_b32_e32 v33, v72
	v_pk_mul_f32 v[18:19], v[32:33], v[18:19]
	v_cndmask_b32_e64 v22, v22, v15, s[14:15]
	v_cndmask_b32_e32 v16, v16, v18, vcc
	v_cndmask_b32_e64 v16, v16, v19, s[6:7]
	ds_bpermute_b32 v29, v53, v16
	v_cndmask_b32_e64 v16, v31, v30, s[12:13]
	v_cndmask_b32_e64 v16, v16, v24, s[14:15]
	;; [unrolled: 1-line block ×4, first 2 shown]
	s_waitcnt lgkmcnt(0)
	v_cndmask_b32_e32 v18, v18, v29, vcc
	v_cmp_ne_u32_e32 vcc, 0, v87
	v_cndmask_b32_e64 v33, v34, v29, s[10:11]
	v_cndmask_b32_e64 v17, v19, v29, s[6:7]
	v_cndmask_b32_e32 v32, v35, v29, vcc
	v_cndmask_b32_e64 v19, v33, v32, s[12:13]
	v_cndmask_b32_e64 v19, v19, v18, s[14:15]
	;; [unrolled: 1-line block ×3, first 2 shown]
	ds_bpermute_b32 v22, v53, v22
	ds_bpermute_b32 v16, v53, v16
	;; [unrolled: 1-line block ×3, first 2 shown]
	v_or_b32_e32 v29, v37, v36
	;;#ASMSTART
	global_atomic_pk_add_f16 v[0:1], v29, off
	
	;;#ASMEND
	v_or_b32_e32 v0, 48, v46
	v_add_u32_e32 v29, s71, v0
	v_cmp_gt_u32_e32 vcc, 64, v29
	s_and_b64 exec, exec, vcc
	s_cbranch_execz .LBB375_53
; %bb.51:                               ;   in Loop: Header=BB375_7 Depth=1
	v_cmp_eq_u32_e64 s[8:9], 1, v45
	v_cmp_eq_u32_e64 s[10:11], 0, v45
	v_cmp_eq_u32_e32 vcc, 3, v45
	v_cndmask_b32_e64 v0, v11, v5, s[8:9]
	v_cndmask_b32_e64 v1, v12, v5, s[10:11]
	;; [unrolled: 1-line block ×4, first 2 shown]
	v_cvt_f16_f32_e32 v20, v1
	v_cvt_f16_f32_sdwa v21, v0 dst_sel:WORD_1 dst_unused:UNUSED_PAD src0_sel:DWORD
	scratch_load_dwordx2 v[0:1], off, off offset:316 ; 8-byte Folded Reload
	v_cvt_f16_f32_e32 v12, v12
	v_cvt_f16_f32_sdwa v11, v11 dst_sel:WORD_1 dst_unused:UNUSED_PAD src0_sel:DWORD
	v_cndmask_b32_e64 v25, v25, v13, s[8:9]
	v_cndmask_b32_e64 v26, v26, v13, s[10:11]
	v_or_b32_e32 v20, v21, v20
	v_or_b32_e32 v11, v11, v12
	s_waitcnt lgkmcnt(2)
	v_cndmask_b32_e64 v27, v27, v22, s[8:9]
	v_cndmask_b32_e64 v28, v28, v22, s[10:11]
	v_cvt_f16_f32_sdwa v12, v25 dst_sel:WORD_1 dst_unused:UNUSED_PAD src0_sel:DWORD
	v_cvt_f16_f32_e32 v25, v28
	s_waitcnt lgkmcnt(1)
	v_cndmask_b32_e64 v30, v30, v16, s[8:9]
	v_cndmask_b32_e64 v31, v31, v16, s[10:11]
	s_waitcnt lgkmcnt(0)
	v_cndmask_b32_e64 v32, v32, v19, s[8:9]
	v_cndmask_b32_e64 v33, v33, v19, s[10:11]
	v_cmp_eq_u32_e64 s[6:7], 2, v45
	v_cmp_gt_u32_e64 s[8:9], 62, v29
	s_waitcnt vmcnt(0)
	v_lshl_add_u64 v[0:1], v[0:1], 1, s[54:55]
	;;#ASMSTART
	global_atomic_pk_add_f16 v[0:1], v20, off
	
	;;#ASMEND
	v_lshl_add_u64 v[20:21], v[0:1], 0, 32
	;;#ASMSTART
	global_atomic_pk_add_f16 v[20:21], v11, off
	
	;;#ASMEND
	v_cvt_f16_f32_e32 v11, v26
	v_cvt_f16_f32_sdwa v26, v27 dst_sel:WORD_1 dst_unused:UNUSED_PAD src0_sel:DWORD
	v_lshl_add_u64 v[20:21], v[0:1], 0, 64
	v_or_b32_e32 v11, v12, v11
	;;#ASMSTART
	global_atomic_pk_add_f16 v[20:21], v11, off
	
	;;#ASMEND
	v_or_b32_e32 v11, v26, v25
	v_lshl_add_u64 v[20:21], v[0:1], 0, s[30:31]
	;;#ASMSTART
	global_atomic_pk_add_f16 v[20:21], v11, off
	
	;;#ASMEND
	v_cvt_f16_f32_e32 v11, v31
	v_cvt_f16_f32_sdwa v12, v30 dst_sel:WORD_1 dst_unused:UNUSED_PAD src0_sel:DWORD
	v_cvt_f16_f32_e32 v25, v33
	v_cvt_f16_f32_sdwa v26, v32 dst_sel:WORD_1 dst_unused:UNUSED_PAD src0_sel:DWORD
	v_lshl_add_u64 v[20:21], v[0:1], 0, s[34:35]
	v_or_b32_e32 v11, v12, v11
	;;#ASMSTART
	global_atomic_pk_add_f16 v[20:21], v11, off
	
	;;#ASMEND
	v_lshl_add_u64 v[20:21], v[0:1], 0, s[44:45]
	v_or_b32_e32 v11, v26, v25
	;;#ASMSTART
	global_atomic_pk_add_f16 v[20:21], v11, off
	
	;;#ASMEND
	s_and_b64 exec, exec, s[8:9]
	s_cbranch_execz .LBB375_53
; %bb.52:                               ;   in Loop: Header=BB375_7 Depth=1
	v_cndmask_b32_e32 v3, v3, v5, vcc
	v_cndmask_b32_e64 v4, v4, v5, s[6:7]
	v_cndmask_b32_e32 v5, v6, v8, vcc
	v_cndmask_b32_e64 v6, v7, v8, s[6:7]
	v_cvt_f16_f32_e32 v4, v4
	v_cvt_f16_f32_sdwa v3, v3 dst_sel:WORD_1 dst_unused:UNUSED_PAD src0_sel:DWORD
	v_cndmask_b32_e64 v8, v10, v13, s[6:7]
	v_cndmask_b32_e64 v10, v15, v22, s[6:7]
	v_cvt_f16_f32_e32 v6, v6
	v_cvt_f16_f32_sdwa v15, v5 dst_sel:WORD_1 dst_unused:UNUSED_PAD src0_sel:DWORD
	v_or_b32_e32 v3, v3, v4
	v_cndmask_b32_e32 v7, v9, v13, vcc
	v_lshl_add_u64 v[0:1], s[28:29], 2, v[0:1]
	;;#ASMSTART
	global_atomic_pk_add_f16 v[0:1], v3, off
	
	;;#ASMEND
	v_or_b32_e32 v3, v15, v6
	v_cndmask_b32_e32 v9, v14, v22, vcc
	v_lshl_add_u64 v[4:5], v[0:1], 0, 32
	;;#ASMSTART
	global_atomic_pk_add_f16 v[4:5], v3, off
	
	;;#ASMEND
	v_cvt_f16_f32_e32 v3, v8
	v_cvt_f16_f32_sdwa v6, v7 dst_sel:WORD_1 dst_unused:UNUSED_PAD src0_sel:DWORD
	v_cvt_f16_f32_e32 v7, v10
	v_cvt_f16_f32_sdwa v8, v9 dst_sel:WORD_1 dst_unused:UNUSED_PAD src0_sel:DWORD
	v_cndmask_b32_e32 v11, v23, v16, vcc
	v_or_b32_e32 v3, v6, v3
	v_cndmask_b32_e64 v12, v24, v16, s[6:7]
	v_lshl_add_u64 v[4:5], v[0:1], 0, 64
	;;#ASMSTART
	global_atomic_pk_add_f16 v[4:5], v3, off
	
	;;#ASMEND
	v_or_b32_e32 v3, v8, v7
	v_cndmask_b32_e32 v13, v17, v19, vcc
	v_cndmask_b32_e64 v14, v18, v19, s[6:7]
	v_lshl_add_u64 v[4:5], v[0:1], 0, s[30:31]
	;;#ASMSTART
	global_atomic_pk_add_f16 v[4:5], v3, off
	
	;;#ASMEND
	v_cvt_f16_f32_e32 v3, v12
	v_cvt_f16_f32_sdwa v6, v11 dst_sel:WORD_1 dst_unused:UNUSED_PAD src0_sel:DWORD
	v_cvt_f16_f32_e32 v7, v14
	v_cvt_f16_f32_sdwa v8, v13 dst_sel:WORD_1 dst_unused:UNUSED_PAD src0_sel:DWORD
	v_lshl_add_u64 v[4:5], v[0:1], 0, s[34:35]
	v_or_b32_e32 v3, v6, v3
	;;#ASMSTART
	global_atomic_pk_add_f16 v[4:5], v3, off
	
	;;#ASMEND
	v_lshl_add_u64 v[0:1], v[0:1], 0, s[44:45]
	v_or_b32_e32 v3, v8, v7
	;;#ASMSTART
	global_atomic_pk_add_f16 v[0:1], v3, off
	
	;;#ASMEND
.LBB375_53:                             ;   in Loop: Header=BB375_7 Depth=1
	s_or_b64 exec, exec, s[18:19]
	v_subrev_u32_e32 v55, s72, v55
.LBB375_54:                             ;   in Loop: Header=BB375_7 Depth=1
	s_or_b64 exec, exec, s[52:53]
.LBB375_55:                             ;   in Loop: Header=BB375_7 Depth=1
	s_andn2_saveexec_b64 s[6:7], s[50:51]
	s_cbranch_execz .LBB375_64
; %bb.56:                               ;   in Loop: Header=BB375_7 Depth=1
	s_mul_i32 s16, s72, 6
	v_cmp_gt_i32_e32 vcc, s16, v55
	s_and_saveexec_b64 s[8:9], vcc
	s_cbranch_execz .LBB375_63
; %bb.57:                               ;   in Loop: Header=BB375_7 Depth=1
	scratch_load_dwordx2 v[0:1], off, off offset:256 ; 8-byte Folded Reload
	s_mul_i32 s10, s48, s23
	s_ashr_i32 s11, s10, 31
	s_waitcnt lgkmcnt(0)
	s_add_u32 s10, s38, s10
	s_addc_u32 s11, s39, s11
	s_ashr_i32 s12, s70, 31
	s_add_u32 s10, s10, s70
	s_addc_u32 s11, s11, s12
	s_waitcnt vmcnt(0)
	v_lshl_add_u64 v[0:1], s[10:11], 0, v[0:1]
	v_lshl_add_u64 v[16:17], v[0:1], 0, v[56:57]
	s_mov_b64 s[10:11], 0
	s_branch .LBB375_59
.LBB375_58:                             ;   in Loop: Header=BB375_59 Depth=2
	s_or_b64 exec, exec, s[12:13]
	v_lshl_or_b32 v20, v18, 12, v54
	;;#ASMSTART
	s_waitcnt vmcnt(3)
	;;#ASMEND
	ds_write2_b32 v20, v12, v13 offset1:32
	ds_write2_b32 v20, v14, v15 offset0:64 offset1:96
	v_add_u32_e32 v12, 0x400, v20
	;;#ASMSTART
	s_waitcnt vmcnt(2)
	;;#ASMEND
	ds_write2_b32 v12, v8, v9 offset1:32
	ds_write2_b32 v12, v10, v11 offset0:64 offset1:96
	v_add_u32_e32 v8, 0x800, v20
	;; [unrolled: 6-line block ×3, first 2 shown]
	v_add_u32_e32 v55, s26, v55
	;;#ASMSTART
	s_waitcnt vmcnt(0)
	;;#ASMEND
	ds_write2_b32 v4, v0, v1 offset1:32
	ds_write2_b32 v4, v2, v3 offset0:64 offset1:96
	v_add_u32_e32 v0, 1, v52
	v_add_u32_e32 v2, s26, v18
	v_cmp_le_i32_e32 vcc, s16, v55
	ds_write_b32 v19, v0 offset:16
	v_add_u32_e32 v0, 2, v52
	s_or_b64 s[10:11], vcc, s[10:11]
	v_cmp_lt_i32_e32 vcc, 5, v2
	s_nop 1
	v_cndmask_b32_e32 v52, v52, v0, vcc
	s_andn2_b64 exec, exec, s[10:11]
	s_cbranch_execz .LBB375_62
.LBB375_59:                             ;   Parent Loop BB375_7 Depth=1
                                        ; =>  This Loop Header: Depth=2
                                        ;       Child Loop BB375_61 Depth 3
	v_cmp_gt_i32_e32 vcc, 6, v2
	s_nop 1
	v_cndmask_b32_e64 v0, -6, 0, vcc
	v_add_u32_e32 v18, v0, v2
	v_mul_hi_i32 v0, v55, s58
	v_lshrrev_b32_e32 v1, 31, v0
	v_add_u32_e32 v0, v0, v1
	v_mul_lo_u32 v1, v0, 6
	v_sub_u32_e32 v2, v55, v1
	v_lshlrev_b32_e32 v0, 8, v0
	v_ashrrev_i32_e32 v1, 31, v0
	v_mul_lo_u32 v2, s63, v2
	v_lshl_add_u64 v[0:1], v[16:17], 0, v[0:1]
	v_ashrrev_i32_e32 v3, 31, v2
	v_lshl_add_u64 v[0:1], v[0:1], 0, v[2:3]
	v_lshlrev_b32_e32 v19, 2, v18
	;;#ASMSTART
	global_load_dwordx4 v[12:15], v[0:1], off offset:0    sc0 sc1 nt  
	global_load_dwordx4 v[8:11], v[0:1], off offset:64   sc0 sc1 nt  
	global_load_dwordx4 v[4:7], v[0:1], off offset:128  sc0 sc1 nt  
	global_load_dwordx4 v[0:3], v[0:1], off offset:192  sc0 sc1 nt  
	
	;;#ASMEND
	ds_read_b32 v20, v19 offset:40976
	v_add_u32_e32 v19, 0xa000, v19
	s_waitcnt lgkmcnt(0)
	v_cmp_ne_u32_e32 vcc, v20, v52
	s_and_saveexec_b64 s[12:13], vcc
	s_cbranch_execz .LBB375_58
; %bb.60:                               ;   in Loop: Header=BB375_59 Depth=2
	s_mov_b64 s[14:15], 0
.LBB375_61:                             ;   Parent Loop BB375_7 Depth=1
                                        ;     Parent Loop BB375_59 Depth=2
                                        ; =>    This Inner Loop Header: Depth=3
	;;#ASMSTART
	s_sleep 0
	;;#ASMEND
	ds_read_b32 v20, v19 offset:16
	s_waitcnt lgkmcnt(0)
	v_cmp_eq_u32_e32 vcc, v20, v52
	s_or_b64 s[14:15], vcc, s[14:15]
	s_andn2_b64 exec, exec, s[14:15]
	s_cbranch_execnz .LBB375_61
	s_branch .LBB375_58
.LBB375_62:                             ;   in Loop: Header=BB375_7 Depth=1
	s_or_b64 exec, exec, s[10:11]
.LBB375_63:                             ;   in Loop: Header=BB375_7 Depth=1
	s_or_b64 exec, exec, s[8:9]
	v_subrev_u32_e32 v55, s16, v55
.LBB375_64:                             ;   in Loop: Header=BB375_7 Depth=1
	s_or_b64 exec, exec, s[6:7]
.LBB375_65:                             ;   in Loop: Header=BB375_7 Depth=1
	s_andn2_saveexec_b64 s[6:7], s[46:47]
	s_cbranch_execz .LBB375_6
; %bb.66:                               ;   in Loop: Header=BB375_7 Depth=1
	s_lshl_b32 s16, s72, 2
	v_cmp_gt_i32_e32 vcc, s16, v55
	s_and_saveexec_b64 s[8:9], vcc
	s_cbranch_execz .LBB375_5
; %bb.67:                               ;   in Loop: Header=BB375_7 Depth=1
	s_mul_i32 s69, s69, s22
	s_ashr_i32 s10, s69, 31
	s_waitcnt lgkmcnt(0)
	s_add_u32 s11, s36, s69
	v_add_u32_e32 v3, s71, v47
	s_addc_u32 s12, s37, s10
	s_ashr_i32 s13, s70, 31
	v_mul_lo_u32 v0, s22, v47
	v_cmp_gt_u32_e32 vcc, 64, v3
	s_add_u32 s10, s11, s70
	s_addc_u32 s11, s12, s13
	v_cndmask_b32_e32 v0, 0, v0, vcc
	v_ashrrev_i32_e32 v1, 31, v0
	v_lshl_add_u64 v[0:1], s[10:11], 0, v[0:1]
	v_lshl_add_u64 v[16:17], v[0:1], 0, v[56:57]
	v_sub_u32_e32 v18, 63, v3
	s_mov_b64 s[10:11], 0
	s_branch .LBB375_69
.LBB375_68:                             ;   in Loop: Header=BB375_69 Depth=2
	s_or_b64 exec, exec, s[12:13]
	v_or_b32_e32 v21, 0x6000, v54
	v_lshl_add_u32 v21, v19, 12, v21
	;;#ASMSTART
	s_waitcnt vmcnt(3)
	;;#ASMEND
	ds_write2_b32 v21, v12, v13 offset1:32
	ds_write2_b32 v21, v14, v15 offset0:64 offset1:96
	v_add_u32_e32 v12, 0x400, v21
	;;#ASMSTART
	s_waitcnt vmcnt(2)
	;;#ASMEND
	ds_write2_b32 v12, v8, v9 offset1:32
	ds_write2_b32 v12, v10, v11 offset0:64 offset1:96
	v_add_u32_e32 v8, 0x800, v21
	;; [unrolled: 6-line block ×3, first 2 shown]
	v_add_u32_e32 v55, s25, v55
	;;#ASMSTART
	s_waitcnt vmcnt(0)
	;;#ASMEND
	ds_write2_b32 v4, v0, v1 offset1:32
	ds_write2_b32 v4, v2, v3 offset0:64 offset1:96
	v_add_u32_e32 v0, 1, v52
	v_add_u32_e32 v2, s25, v19
	v_cmp_le_i32_e32 vcc, s16, v55
	ds_write_b32 v20, v0
	v_add_u32_e32 v0, 2, v52
	s_or_b64 s[10:11], vcc, s[10:11]
	v_cmp_lt_i32_e32 vcc, 3, v2
	s_nop 1
	v_cndmask_b32_e32 v52, v52, v0, vcc
	s_andn2_b64 exec, exec, s[10:11]
	s_cbranch_execz .LBB375_4
.LBB375_69:                             ;   Parent Loop BB375_7 Depth=1
                                        ; =>  This Loop Header: Depth=2
                                        ;       Child Loop BB375_71 Depth 3
	v_cmp_gt_i32_e32 vcc, 4, v2
	s_nop 1
	v_cndmask_b32_e64 v0, -4, 0, vcc
	v_add_u32_e32 v19, v0, v2
	v_ashrrev_i32_e32 v0, 31, v55
	v_lshrrev_b32_e32 v0, 30, v0
	v_add_u32_e32 v0, v55, v0
	v_and_b32_e32 v1, 0xffffffc, v0
	v_sub_u32_e32 v1, v55, v1
	v_lshlrev_b32_e32 v1, 4, v1
	v_cmp_le_i32_e32 vcc, v1, v18
	v_lshlrev_b32_e32 v0, 6, v0
	v_and_b32_e32 v0, 0xffffff00, v0
	v_cndmask_b32_e32 v2, 0, v1, vcc
	v_ashrrev_i32_e32 v1, 31, v0
	v_mul_lo_u32 v2, v2, s22
	v_lshl_add_u64 v[0:1], v[16:17], 0, v[0:1]
	v_ashrrev_i32_e32 v3, 31, v2
	v_lshl_add_u64 v[0:1], v[0:1], 0, v[2:3]
	v_lshlrev_b32_e32 v20, 2, v19
	;;#ASMSTART
	global_load_dwordx4 v[12:15], v[0:1], off offset:0    
	global_load_dwordx4 v[8:11], v[0:1], off offset:64   
	;; [unrolled: 1-line block ×4, first 2 shown]
	
	;;#ASMEND
	ds_read_b32 v21, v20 offset:40960
	v_add_u32_e32 v20, 0xa000, v20
	s_waitcnt lgkmcnt(0)
	v_cmp_ne_u32_e32 vcc, v21, v52
	s_and_saveexec_b64 s[12:13], vcc
	s_cbranch_execz .LBB375_68
; %bb.70:                               ;   in Loop: Header=BB375_69 Depth=2
	s_mov_b64 s[14:15], 0
.LBB375_71:                             ;   Parent Loop BB375_7 Depth=1
                                        ;     Parent Loop BB375_69 Depth=2
                                        ; =>    This Inner Loop Header: Depth=3
	;;#ASMSTART
	s_sleep 0
	;;#ASMEND
	ds_read_b32 v21, v20
	s_waitcnt lgkmcnt(0)
	v_cmp_eq_u32_e32 vcc, v21, v52
	s_or_b64 s[14:15], vcc, s[14:15]
	s_andn2_b64 exec, exec, s[14:15]
	s_cbranch_execnz .LBB375_71
	s_branch .LBB375_68
.LBB375_72:
	s_endpgm
	.section	.rodata,"a",@progbits
	.p2align	6, 0x0
	.amdhsa_kernel _Z19_skinny_gemm_kernelILi4ELi6ELi1ELi16ELi8EEvPKhS1_P6__halfPKfiiiiiiii
		.amdhsa_group_segment_fixed_size 41000
		.amdhsa_private_segment_fixed_size 328
		.amdhsa_kernarg_size 64
		.amdhsa_user_sgpr_count 2
		.amdhsa_user_sgpr_dispatch_ptr 0
		.amdhsa_user_sgpr_queue_ptr 0
		.amdhsa_user_sgpr_kernarg_segment_ptr 1
		.amdhsa_user_sgpr_dispatch_id 0
		.amdhsa_user_sgpr_kernarg_preload_length 0
		.amdhsa_user_sgpr_kernarg_preload_offset 0
		.amdhsa_user_sgpr_private_segment_size 0
		.amdhsa_uses_dynamic_stack 0
		.amdhsa_enable_private_segment 1
		.amdhsa_system_sgpr_workgroup_id_x 1
		.amdhsa_system_sgpr_workgroup_id_y 0
		.amdhsa_system_sgpr_workgroup_id_z 0
		.amdhsa_system_sgpr_workgroup_info 0
		.amdhsa_system_vgpr_workitem_id 0
		.amdhsa_next_free_vgpr 128
		.amdhsa_next_free_sgpr 73
		.amdhsa_accum_offset 128
		.amdhsa_reserve_vcc 1
		.amdhsa_float_round_mode_32 0
		.amdhsa_float_round_mode_16_64 0
		.amdhsa_float_denorm_mode_32 3
		.amdhsa_float_denorm_mode_16_64 3
		.amdhsa_dx10_clamp 1
		.amdhsa_ieee_mode 1
		.amdhsa_fp16_overflow 0
		.amdhsa_tg_split 0
		.amdhsa_exception_fp_ieee_invalid_op 0
		.amdhsa_exception_fp_denorm_src 0
		.amdhsa_exception_fp_ieee_div_zero 0
		.amdhsa_exception_fp_ieee_overflow 0
		.amdhsa_exception_fp_ieee_underflow 0
		.amdhsa_exception_fp_ieee_inexact 0
		.amdhsa_exception_int_div_zero 0
	.end_amdhsa_kernel
	.section	.text._Z19_skinny_gemm_kernelILi4ELi6ELi1ELi16ELi8EEvPKhS1_P6__halfPKfiiiiiiii,"axG",@progbits,_Z19_skinny_gemm_kernelILi4ELi6ELi1ELi16ELi8EEvPKhS1_P6__halfPKfiiiiiiii,comdat
.Lfunc_end375:
	.size	_Z19_skinny_gemm_kernelILi4ELi6ELi1ELi16ELi8EEvPKhS1_P6__halfPKfiiiiiiii, .Lfunc_end375-_Z19_skinny_gemm_kernelILi4ELi6ELi1ELi16ELi8EEvPKhS1_P6__halfPKfiiiiiiii
                                        ; -- End function
	.set _Z19_skinny_gemm_kernelILi4ELi6ELi1ELi16ELi8EEvPKhS1_P6__halfPKfiiiiiiii.num_vgpr, 128
	.set _Z19_skinny_gemm_kernelILi4ELi6ELi1ELi16ELi8EEvPKhS1_P6__halfPKfiiiiiiii.num_agpr, 0
	.set _Z19_skinny_gemm_kernelILi4ELi6ELi1ELi16ELi8EEvPKhS1_P6__halfPKfiiiiiiii.numbered_sgpr, 73
	.set _Z19_skinny_gemm_kernelILi4ELi6ELi1ELi16ELi8EEvPKhS1_P6__halfPKfiiiiiiii.num_named_barrier, 0
	.set _Z19_skinny_gemm_kernelILi4ELi6ELi1ELi16ELi8EEvPKhS1_P6__halfPKfiiiiiiii.private_seg_size, 328
	.set _Z19_skinny_gemm_kernelILi4ELi6ELi1ELi16ELi8EEvPKhS1_P6__halfPKfiiiiiiii.uses_vcc, 1
	.set _Z19_skinny_gemm_kernelILi4ELi6ELi1ELi16ELi8EEvPKhS1_P6__halfPKfiiiiiiii.uses_flat_scratch, 0
	.set _Z19_skinny_gemm_kernelILi4ELi6ELi1ELi16ELi8EEvPKhS1_P6__halfPKfiiiiiiii.has_dyn_sized_stack, 0
	.set _Z19_skinny_gemm_kernelILi4ELi6ELi1ELi16ELi8EEvPKhS1_P6__halfPKfiiiiiiii.has_recursion, 0
	.set _Z19_skinny_gemm_kernelILi4ELi6ELi1ELi16ELi8EEvPKhS1_P6__halfPKfiiiiiiii.has_indirect_call, 0
	.section	.AMDGPU.csdata,"",@progbits
; Kernel info:
; codeLenInByte = 13336
; TotalNumSgprs: 79
; NumVgprs: 128
; NumAgprs: 0
; TotalNumVgprs: 128
; ScratchSize: 328
; MemoryBound: 0
; FloatMode: 240
; IeeeMode: 1
; LDSByteSize: 41000 bytes/workgroup (compile time only)
; SGPRBlocks: 9
; VGPRBlocks: 15
; NumSGPRsForWavesPerEU: 79
; NumVGPRsForWavesPerEU: 128
; AccumOffset: 128
; Occupancy: 4
; WaveLimiterHint : 0
; COMPUTE_PGM_RSRC2:SCRATCH_EN: 1
; COMPUTE_PGM_RSRC2:USER_SGPR: 2
; COMPUTE_PGM_RSRC2:TRAP_HANDLER: 0
; COMPUTE_PGM_RSRC2:TGID_X_EN: 1
; COMPUTE_PGM_RSRC2:TGID_Y_EN: 0
; COMPUTE_PGM_RSRC2:TGID_Z_EN: 0
; COMPUTE_PGM_RSRC2:TIDIG_COMP_CNT: 0
; COMPUTE_PGM_RSRC3_GFX90A:ACCUM_OFFSET: 31
; COMPUTE_PGM_RSRC3_GFX90A:TG_SPLIT: 0
	.section	.text._Z19_skinny_gemm_kernelILi4ELi6ELi1ELi32ELi4EEvPKhS1_P6__halfPKfiiiiiiii,"axG",@progbits,_Z19_skinny_gemm_kernelILi4ELi6ELi1ELi32ELi4EEvPKhS1_P6__halfPKfiiiiiiii,comdat
	.protected	_Z19_skinny_gemm_kernelILi4ELi6ELi1ELi32ELi4EEvPKhS1_P6__halfPKfiiiiiiii ; -- Begin function _Z19_skinny_gemm_kernelILi4ELi6ELi1ELi32ELi4EEvPKhS1_P6__halfPKfiiiiiiii
	.globl	_Z19_skinny_gemm_kernelILi4ELi6ELi1ELi32ELi4EEvPKhS1_P6__halfPKfiiiiiiii
	.p2align	8
	.type	_Z19_skinny_gemm_kernelILi4ELi6ELi1ELi32ELi4EEvPKhS1_P6__halfPKfiiiiiiii,@function
_Z19_skinny_gemm_kernelILi4ELi6ELi1ELi32ELi4EEvPKhS1_P6__halfPKfiiiiiiii: ; @_Z19_skinny_gemm_kernelILi4ELi6ELi1ELi32ELi4EEvPKhS1_P6__halfPKfiiiiiiii
; %bb.0:
	v_cmp_gt_u32_e32 vcc, 10, v0
	s_and_saveexec_b64 s[4:5], vcc
; %bb.1:
	v_lshlrev_b32_e32 v1, 2, v0
	v_mov_b32_e32 v2, 0
	ds_write_b32 v1, v2 offset:20480
; %bb.2:
	s_or_b64 exec, exec, s[4:5]
	s_load_dwordx8 s[52:59], s[0:1], 0x20
	s_waitcnt lgkmcnt(0)
	s_barrier
	s_add_i32 s3, s52, 0x7f
	s_ashr_i32 s5, s3, 31
	s_add_i32 s4, s53, 0xbf
	s_lshr_b32 s5, s5, 25
	s_mul_hi_i32 s4, s4, 0x2aaaaaab
	s_add_i32 s3, s3, s5
	s_ashr_i32 s11, s3, 7
	s_lshr_b32 s3, s4, 31
	s_ashr_i32 s4, s4, 5
	s_add_i32 s12, s4, s3
	s_mul_i32 s3, s12, s11
	s_mul_i32 s3, s3, s56
	s_add_i32 s4, s3, 0x12f
	s_mul_hi_i32 s4, s4, 0x6bca1af3
	s_lshr_b32 s5, s4, 31
	s_ashr_i32 s4, s4, 7
	s_add_i32 s4, s4, s5
	s_add_i32 s5, s2, 1
	s_mul_i32 s5, s4, s5
	v_cvt_f64_i32_e32 v[2:3], s3
	v_cvt_f64_u32_e32 v[4:5], s5
	v_min_f64 v[2:3], v[2:3], v[4:5]
	v_cvt_i32_f64_e32 v14, v[2:3]
	s_mul_i32 s33, s4, s2
	v_cmp_ge_i32_e32 vcc, s33, v14
	s_cbranch_vccnz .LBB376_58
; %bb.3:
	s_load_dwordx8 s[16:23], s[0:1], 0x0
	v_lshrrev_b32_e32 v1, 6, v0
	s_add_i32 s0, s58, s57
	v_cmp_le_i32_e64 s[14:15], s0, v1
	v_mov_b32_e32 v2, s57
	v_cmp_le_i32_e64 s[24:25], s57, v1
	v_mov_b32_e32 v3, s58
	v_cndmask_b32_e64 v3, 0, v3, s[14:15]
	v_cndmask_b32_e64 v2, 0, v2, s[24:25]
	s_abs_i32 s1, s56
	v_add_u32_e32 v2, v2, v3
	v_cvt_f32_u32_e32 v3, s1
	v_sub_u32_e32 v104, v1, v2
	s_ashr_i32 s2, s54, 31
	s_lshr_b32 s2, s2, 26
	v_rcp_iflag_f32_e32 v2, v3
	s_sub_i32 s5, 0, s1
	s_add_i32 s2, s54, s2
	s_ashr_i32 s2, s2, 6
	v_mul_f32_e32 v2, 0x4f7ffffe, v2
	v_cvt_u32_f32_e32 v2, v2
	s_abs_i32 s4, s2
	s_xor_b32 s3, s2, s56
	s_ashr_i32 s3, s3, 31
	v_readfirstlane_b32 s6, v2
	s_mul_i32 s5, s5, s6
	s_mul_hi_u32 s5, s6, s5
	s_add_i32 s6, s6, s5
	s_mul_hi_u32 s5, s4, s6
	s_mul_i32 s6, s5, s1
	s_sub_i32 s4, s4, s6
	s_add_i32 s6, s5, 1
	s_sub_i32 s7, s4, s1
	s_cmp_ge_u32 s4, s1
	s_cselect_b32 s5, s6, s5
	s_cselect_b32 s4, s7, s4
	s_add_i32 s6, s5, 1
	s_cmp_ge_u32 s4, s1
	s_cselect_b32 s1, s6, s5
	s_add_i32 s0, s0, s59
	v_and_b32_e32 v100, 31, v0
	v_lshrrev_b32_e32 v2, 3, v0
	v_cmp_gt_i32_e64 s[28:29], s0, v1
	v_lshlrev_b32_e32 v1, 2, v100
	v_and_b32_e32 v3, 4, v2
	v_lshlrev_b32_e32 v2, 6, v3
	v_or_b32_e32 v4, 0x3000, v1
	v_and_b32_e32 v5, 1, v0
	v_or_b32_e32 v116, v4, v2
	v_or_b32_e32 v117, v1, v2
	v_lshlrev_b32_e32 v2, 1, v5
	v_sub_u32_e32 v2, v0, v2
	v_add_u32_e32 v2, 1, v2
	v_and_b32_e32 v6, 63, v2
	v_bitop3_b32 v2, v0, 1, v0 bitop3:0xc
	scratch_store_dword off, v2, off offset:48 ; 4-byte Folded Spill
	v_bitop3_b32 v2, v0, 3, 1 bitop3:0x6c
	scratch_store_dword off, v2, off offset:52 ; 4-byte Folded Spill
	v_bitop3_b32 v2, v0, 5, 1 bitop3:0x6c
	scratch_store_dword off, v2, off offset:56 ; 4-byte Folded Spill
	v_bitop3_b32 v2, v0, 7, 1 bitop3:0x6c
	scratch_store_dword off, v2, off offset:60 ; 4-byte Folded Spill
	v_bitop3_b32 v2, v0, 9, 1 bitop3:0x6c
	scratch_store_dword off, v2, off offset:64 ; 4-byte Folded Spill
	v_bitop3_b32 v2, v0, 11, 1 bitop3:0x6c
	v_lshrrev_b32_e32 v7, 1, v0
	s_abs_i32 s30, s11
                                        ; implicit-def: $vgpr126 : SGPR spill to VGPR lane
	scratch_store_dword off, v2, off offset:68 ; 4-byte Folded Spill
	v_bitop3_b32 v2, v0, 13, 1 bitop3:0x6c
	v_and_b32_e32 v16, 16, v7
	v_cvt_f32_u32_e32 v7, s30
	v_writelane_b32 v126, s11, 0
	scratch_store_dword off, v2, off offset:72 ; 4-byte Folded Spill
	v_bitop3_b32 v2, v0, 15, 1 bitop3:0x6c
	v_writelane_b32 v126, s12, 1
	scratch_store_dword off, v2, off offset:76 ; 4-byte Folded Spill
	v_and_b32_e32 v2, 30, v0
	v_lshlrev_b32_e32 v0, 4, v0
	s_waitcnt lgkmcnt(0)
	v_writelane_b32 v126, s16, 2
	v_and_b32_e32 v0, 0x200, v0
	v_or_b32_e32 v15, v1, v0
	v_writelane_b32 v126, s17, 3
	v_rcp_iflag_f32_e32 v1, v7
	v_writelane_b32 v126, s18, 4
	v_writelane_b32 v126, s19, 5
	v_writelane_b32 v126, s20, 6
	s_abs_i32 s34, s12
	v_writelane_b32 v126, s21, 7
	v_or_b32_e32 v124, v4, v0
	v_mul_f32_e32 v0, 0x4f7ffffe, v1
	v_cvt_f32_u32_e32 v1, s34
	v_writelane_b32 v126, s22, 8
	v_writelane_b32 v126, s23, 9
	v_cndmask_b32_e64 v111, 0, 1, s[14:15]
	v_writelane_b32 v126, s14, 10
	s_xor_b32 s1, s1, s3
	v_cvt_u32_f32_e32 v0, v0
	v_writelane_b32 v126, s15, 11
	v_rcp_iflag_f32_e32 v1, v1
	v_writelane_b32 v126, s24, 12
	s_sub_i32 s13, s1, s3
	s_add_i32 s26, s56, -1
	v_writelane_b32 v126, s25, 13
	s_mul_i32 s1, s13, s26
	v_writelane_b32 v126, s13, 14
	s_sub_i32 s27, s2, s1
	v_writelane_b32 v126, s26, 15
	v_readfirstlane_b32 s1, v0
	v_mul_f32_e32 v0, 0x4f7ffffe, v1
	v_writelane_b32 v126, s27, 16
	v_cvt_u32_f32_e32 v0, v0
	v_writelane_b32 v126, s28, 17
	s_sub_i32 s0, 0, s30
	s_lshl_b32 s31, s55, 5
	v_writelane_b32 v126, s29, 18
	s_mul_i32 s0, s0, s1
	v_writelane_b32 v126, s30, 19
	s_mul_hi_u32 s0, s1, s0
	v_writelane_b32 v126, s31, 20
	s_ashr_i32 s35, s11, 31
	s_add_i32 s36, s1, s0
	s_sub_i32 s0, 0, s34
	v_readfirstlane_b32 s1, v0
	v_writelane_b32 v126, s34, 21
	s_mul_i32 s0, s0, s1
	v_writelane_b32 v126, s35, 22
	s_ashr_i32 s37, s12, 31
	s_mul_hi_u32 s0, s1, s0
	v_writelane_b32 v126, s36, 23
	s_add_i32 s38, s1, s0
	v_writelane_b32 v126, s37, 24
	v_writelane_b32 v126, s38, 25
	v_mul_lo_u32 v8, s55, v100
	v_writelane_b32 v126, s52, 26
	v_mbcnt_lo_u32_b32 v0, -1, 0
	v_mbcnt_hi_u32_b32 v0, -1, v0
	v_writelane_b32 v126, s53, 27
	v_writelane_b32 v126, s54, 28
	;; [unrolled: 1-line block ×5, first 2 shown]
	v_mov_b32_e32 v119, 0
	v_and_or_b32 v0, v0, 64, v6
	v_writelane_b32 v126, s58, 32
	v_ashrrev_i32_e32 v9, 31, v8
	v_mov_b32_e32 v17, v119
	v_lshlrev_b32_e32 v118, 1, v2
	v_lshlrev_b32_e32 v120, 2, v0
	v_mov_b32_e32 v101, v104
	v_writelane_b32 v126, s59, 33
	scratch_store_dwordx2 off, v[8:9], off offset:88 ; 8-byte Folded Spill
	v_or_b32_e32 v121, v5, v3
	scratch_store_dword off, v14, off offset:32 ; 4-byte Folded Spill
	scratch_store_dword off, v100, off offset:36 ; 4-byte Folded Spill
	;; [unrolled: 1-line block ×4, first 2 shown]
	scratch_store_dwordx2 off, v[16:17], off offset:80 ; 8-byte Folded Spill
	scratch_store_dword off, v15, off offset:96 ; 4-byte Folded Spill
	scratch_store_dword off, v121, off offset:100 ; 4-byte Folded Spill
	s_branch .LBB376_7
.LBB376_4:                              ;   in Loop: Header=BB376_7 Depth=1
	s_or_b64 exec, exec, s[4:5]
.LBB376_5:                              ;   in Loop: Header=BB376_7 Depth=1
	s_or_b64 exec, exec, s[2:3]
	v_subrev_u32_e32 v101, s10, v101
.LBB376_6:                              ;   in Loop: Header=BB376_7 Depth=1
	s_or_b64 exec, exec, s[0:1]
	s_add_i32 s33, s33, 1
	s_waitcnt vmcnt(3)
	v_cmp_ge_i32_e32 vcc, s33, v14
	s_cbranch_vccnz .LBB376_58
.LBB376_7:                              ; =>This Loop Header: Depth=1
                                        ;     Child Loop BB376_13 Depth 2
                                        ;       Child Loop BB376_15 Depth 3
                                        ;       Child Loop BB376_18 Depth 3
	;; [unrolled: 1-line block ×7, first 2 shown]
                                        ;     Child Loop BB376_37 Depth 2
                                        ;     Child Loop BB376_45 Depth 2
                                        ;       Child Loop BB376_47 Depth 3
                                        ;     Child Loop BB376_55 Depth 2
                                        ;       Child Loop BB376_57 Depth 3
	s_abs_i32 s1, s33
	s_mul_hi_u32 s2, s1, s36
	s_mul_i32 s3, s2, s30
	s_ashr_i32 s0, s33, 31
	s_sub_i32 s1, s1, s3
	s_xor_b32 s0, s0, s35
	s_add_i32 s3, s2, 1
	s_sub_i32 s4, s1, s30
	s_cmp_ge_u32 s1, s30
	s_cselect_b32 s2, s3, s2
	s_cselect_b32 s1, s4, s1
	s_add_i32 s3, s2, 1
	s_cmp_ge_u32 s1, s30
	s_cselect_b32 s1, s3, s2
	s_xor_b32 s1, s1, s0
	s_sub_i32 s0, s1, s0
	s_abs_i32 s2, s0
	s_mul_i32 s1, s0, s11
	s_mul_hi_u32 s3, s2, s38
	s_sub_i32 s1, s33, s1
	s_mul_i32 s4, s3, s34
	s_lshl_b32 s39, s1, 7
	s_ashr_i32 s1, s0, 31
	s_sub_i32 s2, s2, s4
	s_xor_b32 s1, s1, s37
	s_add_i32 s4, s3, 1
	s_sub_i32 s5, s2, s34
	s_cmp_ge_u32 s2, s34
	s_cselect_b32 s3, s4, s3
	s_cselect_b32 s2, s5, s2
	s_add_i32 s4, s3, 1
	s_cmp_ge_u32 s2, s34
	s_cselect_b32 s2, s4, s3
	s_xor_b32 s2, s2, s1
	s_sub_i32 s1, s2, s1
	s_mul_i32 s2, s1, s13
	s_lshl_b32 s40, s2, 6
	s_cmp_eq_u32 s1, s26
	s_cselect_b32 s41, s27, s13
	s_sub_i32 s2, s39, s52
	s_addk_i32 s2, 0x80
	s_max_i32 s92, s2, 0
	s_and_saveexec_b64 s[2:3], s[24:25]
	s_xor_b64 s[42:43], exec, s[2:3]
	s_cbranch_execz .LBB376_51
; %bb.8:                                ;   in Loop: Header=BB376_7 Depth=1
	s_mul_i32 s1, s1, s12
	s_sub_i32 s0, s0, s1
	s_mulk_i32 s0, 0xc0
	s_sub_i32 s8, s0, s53
	s_addk_i32 s8, 0xc0
	s_max_i32 s1, s8, 0
	s_sub_i32 s44, s0, s1
	s_and_saveexec_b64 s[0:1], s[14:15]
	s_xor_b64 s[46:47], exec, s[0:1]
	s_cbranch_execz .LBB376_41
; %bb.9:                                ;   in Loop: Header=BB376_7 Depth=1
	s_and_saveexec_b64 s[48:49], s[28:29]
	s_cbranch_execz .LBB376_40
; %bb.10:                               ;   in Loop: Header=BB376_7 Depth=1
	global_load_dword v96, v119, s[22:23]
	v_mov_b32_e32 v95, 0
	v_cmp_gt_i32_e32 vcc, s41, v101
	v_mov_b32_e32 v94, v95
	v_mov_b32_e32 v93, v95
	;; [unrolled: 1-line block ×77, first 2 shown]
	s_waitcnt vmcnt(2)
	v_mov_b32_e32 v17, v95
	v_mov_b32_e32 v16, v95
	s_waitcnt vmcnt(1)
	v_mov_b32_e32 v15, v95
	v_mov_b32_e32 v14, v95
	;; [unrolled: 1-line block ×16, first 2 shown]
	s_and_saveexec_b64 s[0:1], vcc
	s_cbranch_execz .LBB376_35
; %bb.11:                               ;   in Loop: Header=BB376_7 Depth=1
	v_mov_b32_e32 v0, 0
	s_mov_b64 s[2:3], 0
	v_mov_b32_e32 v1, v0
	v_mov_b32_e32 v2, v0
	;; [unrolled: 1-line block ×95, first 2 shown]
	s_branch .LBB376_13
.LBB376_12:                             ;   in Loop: Header=BB376_13 Depth=2
	s_or_b64 exec, exec, s[4:5]
	v_add_u32_e32 v114, 0x2800, v110
	ds_read2_b32 v[112:113], v114 offset1:32
	v_add_u32_e32 v101, s59, v101
	s_waitcnt lgkmcnt(0)
	v_mfma_f32_32x32x16_fp8_fp8 v[0:15], v[108:109], v[112:113], v[0:15]
	ds_read2_b32 v[108:109], v114 offset0:128 offset1:160
	s_waitcnt lgkmcnt(0)
	v_mfma_f32_32x32x16_fp8_fp8 v[0:15], v[106:107], v[108:109], v[0:15]
	v_add_u32_e32 v108, 0x2c00, v110
	ds_read2_b32 v[106:107], v108 offset1:32
	ds_read2_b32 v[108:109], v108 offset0:128 offset1:160
	ds_write_b32 v98, v99 offset:20524
	s_waitcnt lgkmcnt(2)
	v_mfma_f32_32x32x16_fp8_fp8 v[0:15], v[104:105], v[106:107], v[0:15]
	v_add_u32_e32 v104, s59, v97
	v_add_u32_e32 v97, 2, v111
	v_cmp_lt_i32_e32 vcc, 0, v104
	s_nop 1
	v_cndmask_b32_e32 v111, v111, v97, vcc
	v_cmp_le_i32_e32 vcc, s41, v101
	s_waitcnt lgkmcnt(1)
	v_mfma_f32_32x32x16_fp8_fp8 v[0:15], v[102:103], v[108:109], v[0:15]
	s_or_b64 s[2:3], vcc, s[2:3]
	s_andn2_b64 exec, exec, s[2:3]
	s_cbranch_execz .LBB376_34
.LBB376_13:                             ;   Parent Loop BB376_7 Depth=1
                                        ; =>  This Loop Header: Depth=2
                                        ;       Child Loop BB376_15 Depth 3
                                        ;       Child Loop BB376_18 Depth 3
	;; [unrolled: 1-line block ×7, first 2 shown]
	v_cmp_lt_i32_e32 vcc, 0, v104
	s_nop 1
	v_subbrev_co_u32_e32 v97, vcc, 0, v104, vcc
	v_mul_lo_u32 v98, v97, 48
	ds_read_b32 v99, v98 offset:20480
	s_waitcnt lgkmcnt(0)
	v_cmp_ne_u32_e32 vcc, v99, v111
	s_and_saveexec_b64 s[4:5], vcc
	s_cbranch_execz .LBB376_16
; %bb.14:                               ;   in Loop: Header=BB376_13 Depth=2
	s_mov_b64 s[6:7], 0
.LBB376_15:                             ;   Parent Loop BB376_7 Depth=1
                                        ;     Parent Loop BB376_13 Depth=2
                                        ; =>    This Inner Loop Header: Depth=3
	;;#ASMSTART
	s_sleep 0
	;;#ASMEND
	ds_read_b32 v99, v98 offset:20480
	s_waitcnt lgkmcnt(0)
	v_cmp_eq_u32_e32 vcc, v99, v111
	s_or_b64 s[6:7], vcc, s[6:7]
	s_andn2_b64 exec, exec, s[6:7]
	s_cbranch_execnz .LBB376_15
.LBB376_16:                             ;   in Loop: Header=BB376_13 Depth=2
	s_or_b64 exec, exec, s[4:5]
	v_lshl_add_u32 v99, v97, 11, v116
	ds_read2_b32 v[108:109], v99 offset1:32
	ds_read2_b32 v[106:107], v99 offset0:128 offset1:160
	v_add_u32_e32 v99, 0x400, v99
	ds_read2_b32 v[104:105], v99 offset1:32
	ds_read_b32 v110, v98 offset:20484
	ds_read2_b32 v[102:103], v99 offset0:128 offset1:160
	v_add_u32_e32 v99, 1, v111
	ds_write_b32 v98, v99 offset:20480
	s_waitcnt lgkmcnt(2)
	v_cmp_ne_u32_e32 vcc, v110, v111
	s_and_saveexec_b64 s[4:5], vcc
	s_cbranch_execz .LBB376_19
; %bb.17:                               ;   in Loop: Header=BB376_13 Depth=2
	s_mov_b64 s[6:7], 0
.LBB376_18:                             ;   Parent Loop BB376_7 Depth=1
                                        ;     Parent Loop BB376_13 Depth=2
                                        ; =>    This Inner Loop Header: Depth=3
	;;#ASMSTART
	s_sleep 0
	;;#ASMEND
	ds_read_b32 v110, v98 offset:20484
	s_waitcnt lgkmcnt(0)
	v_cmp_eq_u32_e32 vcc, v110, v111
	s_or_b64 s[6:7], vcc, s[6:7]
	s_andn2_b64 exec, exec, s[6:7]
	s_cbranch_execnz .LBB376_18
.LBB376_19:                             ;   in Loop: Header=BB376_13 Depth=2
	s_or_b64 exec, exec, s[4:5]
	s_movk_i32 s4, 0x3000
	v_mul_lo_u32 v110, v97, s4
	v_or_b32_e32 v114, v117, v110
	ds_read2_b32 v[112:113], v114 offset1:32
	ds_write_b32 v98, v99 offset:20484
	s_waitcnt lgkmcnt(1)
	v_mfma_f32_32x32x16_fp8_fp8 v[80:95], v[108:109], v[112:113], v[80:95]
	ds_read2_b32 v[112:113], v114 offset0:128 offset1:160
	v_add_u32_e32 v114, 0x400, v114
	s_waitcnt lgkmcnt(0)
	v_mfma_f32_32x32x16_fp8_fp8 v[80:95], v[106:107], v[112:113], v[80:95]
	ds_read2_b32 v[112:113], v114 offset1:32
	s_waitcnt lgkmcnt(0)
	v_mfma_f32_32x32x16_fp8_fp8 v[80:95], v[104:105], v[112:113], v[80:95]
	ds_read2_b32 v[112:113], v114 offset0:128 offset1:160
	ds_read_b32 v114, v98 offset:20492
	s_waitcnt lgkmcnt(0)
	v_cmp_ne_u32_e32 vcc, v114, v111
	v_mfma_f32_32x32x16_fp8_fp8 v[80:95], v[102:103], v[112:113], v[80:95]
	s_and_saveexec_b64 s[4:5], vcc
	s_cbranch_execz .LBB376_22
; %bb.20:                               ;   in Loop: Header=BB376_13 Depth=2
	s_mov_b64 s[6:7], 0
.LBB376_21:                             ;   Parent Loop BB376_7 Depth=1
                                        ;     Parent Loop BB376_13 Depth=2
                                        ; =>    This Inner Loop Header: Depth=3
	;;#ASMSTART
	s_sleep 0
	;;#ASMEND
	ds_read_b32 v112, v98 offset:20492
	s_waitcnt lgkmcnt(0)
	v_cmp_eq_u32_e32 vcc, v112, v111
	s_or_b64 s[6:7], vcc, s[6:7]
	s_andn2_b64 exec, exec, s[6:7]
	s_cbranch_execnz .LBB376_21
.LBB376_22:                             ;   in Loop: Header=BB376_13 Depth=2
	s_or_b64 exec, exec, s[4:5]
	v_add_u32_e32 v110, v117, v110
	v_add_u32_e32 v114, 0x800, v110
	ds_read2_b32 v[112:113], v114 offset1:32
	ds_write_b32 v98, v99 offset:20492
	s_waitcnt lgkmcnt(1)
	v_mfma_f32_32x32x16_fp8_fp8 v[64:79], v[108:109], v[112:113], v[64:79]
	ds_read2_b32 v[112:113], v114 offset0:128 offset1:160
	v_add_u32_e32 v114, 0xc00, v110
	s_waitcnt lgkmcnt(0)
	v_mfma_f32_32x32x16_fp8_fp8 v[64:79], v[106:107], v[112:113], v[64:79]
	ds_read2_b32 v[112:113], v114 offset1:32
	s_waitcnt lgkmcnt(0)
	v_mfma_f32_32x32x16_fp8_fp8 v[64:79], v[104:105], v[112:113], v[64:79]
	ds_read2_b32 v[112:113], v114 offset0:128 offset1:160
	ds_read_b32 v114, v98 offset:20500
	s_waitcnt lgkmcnt(0)
	v_cmp_ne_u32_e32 vcc, v114, v111
	v_mfma_f32_32x32x16_fp8_fp8 v[64:79], v[102:103], v[112:113], v[64:79]
	s_and_saveexec_b64 s[4:5], vcc
	s_cbranch_execz .LBB376_25
; %bb.23:                               ;   in Loop: Header=BB376_13 Depth=2
	s_mov_b64 s[6:7], 0
.LBB376_24:                             ;   Parent Loop BB376_7 Depth=1
                                        ;     Parent Loop BB376_13 Depth=2
                                        ; =>    This Inner Loop Header: Depth=3
	;;#ASMSTART
	s_sleep 0
	;;#ASMEND
	ds_read_b32 v112, v98 offset:20500
	s_waitcnt lgkmcnt(0)
	v_cmp_eq_u32_e32 vcc, v112, v111
	s_or_b64 s[6:7], vcc, s[6:7]
	s_andn2_b64 exec, exec, s[6:7]
	s_cbranch_execnz .LBB376_24
.LBB376_25:                             ;   in Loop: Header=BB376_13 Depth=2
	s_or_b64 exec, exec, s[4:5]
	v_add_u32_e32 v114, 0x1000, v110
	ds_read2_b32 v[112:113], v114 offset1:32
	s_waitcnt lgkmcnt(0)
	v_mfma_f32_32x32x16_fp8_fp8 v[48:63], v[108:109], v[112:113], v[48:63]
	ds_read2_b32 v[112:113], v114 offset0:128 offset1:160
	v_add_u32_e32 v114, 0x1400, v110
	s_waitcnt lgkmcnt(0)
	v_mfma_f32_32x32x16_fp8_fp8 v[48:63], v[106:107], v[112:113], v[48:63]
	ds_read2_b32 v[112:113], v114 offset1:32
	s_waitcnt lgkmcnt(0)
	v_mfma_f32_32x32x16_fp8_fp8 v[48:63], v[104:105], v[112:113], v[48:63]
	ds_read_b32 v115, v98 offset:20508
	ds_read2_b32 v[112:113], v114 offset0:128 offset1:160
	ds_write_b32 v98, v99 offset:20500
	s_waitcnt lgkmcnt(2)
	v_cmp_ne_u32_e32 vcc, v115, v111
	s_waitcnt lgkmcnt(1)
	v_mfma_f32_32x32x16_fp8_fp8 v[48:63], v[102:103], v[112:113], v[48:63]
	s_and_saveexec_b64 s[4:5], vcc
	s_cbranch_execz .LBB376_28
; %bb.26:                               ;   in Loop: Header=BB376_13 Depth=2
	s_mov_b64 s[6:7], 0
.LBB376_27:                             ;   Parent Loop BB376_7 Depth=1
                                        ;     Parent Loop BB376_13 Depth=2
                                        ; =>    This Inner Loop Header: Depth=3
	;;#ASMSTART
	s_sleep 0
	;;#ASMEND
	ds_read_b32 v112, v98 offset:20508
	s_waitcnt lgkmcnt(0)
	v_cmp_eq_u32_e32 vcc, v112, v111
	s_or_b64 s[6:7], vcc, s[6:7]
	s_andn2_b64 exec, exec, s[6:7]
	s_cbranch_execnz .LBB376_27
.LBB376_28:                             ;   in Loop: Header=BB376_13 Depth=2
	s_or_b64 exec, exec, s[4:5]
	v_add_u32_e32 v114, 0x1800, v110
	ds_read2_b32 v[112:113], v114 offset1:32
	s_waitcnt lgkmcnt(0)
	v_mfma_f32_32x32x16_fp8_fp8 v[32:47], v[108:109], v[112:113], v[32:47]
	ds_read2_b32 v[112:113], v114 offset0:128 offset1:160
	v_add_u32_e32 v114, 0x1c00, v110
	s_waitcnt lgkmcnt(0)
	v_mfma_f32_32x32x16_fp8_fp8 v[32:47], v[106:107], v[112:113], v[32:47]
	ds_read2_b32 v[112:113], v114 offset1:32
	s_waitcnt lgkmcnt(0)
	v_mfma_f32_32x32x16_fp8_fp8 v[32:47], v[104:105], v[112:113], v[32:47]
	ds_read_b32 v115, v98 offset:20516
	ds_read2_b32 v[112:113], v114 offset0:128 offset1:160
	ds_write_b32 v98, v99 offset:20508
	s_waitcnt lgkmcnt(2)
	v_cmp_ne_u32_e32 vcc, v115, v111
	s_waitcnt lgkmcnt(1)
	;; [unrolled: 36-line block ×3, first 2 shown]
	v_mfma_f32_32x32x16_fp8_fp8 v[16:31], v[102:103], v[112:113], v[16:31]
	s_and_saveexec_b64 s[4:5], vcc
	s_cbranch_execz .LBB376_12
; %bb.32:                               ;   in Loop: Header=BB376_13 Depth=2
	s_mov_b64 s[6:7], 0
.LBB376_33:                             ;   Parent Loop BB376_7 Depth=1
                                        ;     Parent Loop BB376_13 Depth=2
                                        ; =>    This Inner Loop Header: Depth=3
	;;#ASMSTART
	s_sleep 0
	;;#ASMEND
	ds_read_b32 v112, v98 offset:20524
	s_waitcnt lgkmcnt(0)
	v_cmp_eq_u32_e32 vcc, v112, v111
	s_or_b64 s[6:7], vcc, s[6:7]
	s_andn2_b64 exec, exec, s[6:7]
	s_cbranch_execnz .LBB376_33
	s_branch .LBB376_12
.LBB376_34:                             ;   in Loop: Header=BB376_7 Depth=1
	s_or_b64 exec, exec, s[2:3]
.LBB376_35:                             ;   in Loop: Header=BB376_7 Depth=1
	v_writelane_b32 v126, s48, 34
	s_nop 1
	v_writelane_b32 v126, s49, 35
	v_writelane_b32 v126, s46, 36
	s_nop 1
	v_writelane_b32 v126, s47, 37
	;; [unrolled: 3-line block ×4, first 2 shown]
	v_writelane_b32 v126, s41, 42
	v_writelane_b32 v126, s40, 43
	;; [unrolled: 1-line block ×3, first 2 shown]
	s_or_b64 exec, exec, s[0:1]
	v_cmp_le_i32_e32 vcc, s8, v100
	v_or_b32_e32 v97, 32, v100
	scratch_store_dwordx2 off, v[118:119], off ; 8-byte Folded Spill
	s_waitcnt vmcnt(1)
	v_cndmask_b32_e32 v98, 0, v96, vcc
	v_cmp_le_i32_e32 vcc, s8, v97
	v_or_b32_e32 v97, 64, v100
	v_pk_mul_f32 v[112:113], v[98:99], v[94:95] op_sel_hi:[0,1]
	v_pk_mul_f32 v[92:93], v[98:99], v[92:93] op_sel_hi:[0,1]
	;; [unrolled: 1-line block ×8, first 2 shown]
	v_cndmask_b32_e32 v98, 0, v96, vcc
	v_cmp_le_i32_e32 vcc, s8, v97
	v_or_b32_e32 v97, 0x60, v100
	v_pk_mul_f32 v[102:103], v[98:99], v[66:67] op_sel_hi:[0,1]
	v_cndmask_b32_e32 v66, 0, v96, vcc
	v_cmp_le_i32_e32 vcc, s8, v97
	v_or_b32_e32 v97, 0x80, v100
	v_pk_mul_f32 v[116:117], v[66:67], v[48:49] op_sel_hi:[0,1]
	v_cndmask_b32_e32 v48, 0, v96, vcc
	v_cmp_le_i32_e32 vcc, s8, v97
	v_or_b32_e32 v97, 0xa0, v100
	scratch_load_dword v100, off, off offset:48 ; 4-byte Folded Reload
	scratch_load_dword v118, off, off offset:56 ; 4-byte Folded Reload
	v_pk_mul_f32 v[46:47], v[48:49], v[46:47] op_sel_hi:[0,1]
	v_pk_mul_f32 v[44:45], v[48:49], v[44:45] op_sel_hi:[0,1]
	;; [unrolled: 1-line block ×8, first 2 shown]
	v_cndmask_b32_e32 v48, 0, v96, vcc
	v_cmp_le_i32_e32 vcc, s8, v97
	v_pk_mul_f32 v[30:31], v[48:49], v[30:31] op_sel_hi:[0,1]
	v_pk_mul_f32 v[28:29], v[48:49], v[28:29] op_sel_hi:[0,1]
	;; [unrolled: 1-line block ×8, first 2 shown]
	v_cndmask_b32_e32 v48, 0, v96, vcc
	v_pk_mul_f32 v[14:15], v[48:49], v[14:15] op_sel_hi:[0,1]
	v_pk_mul_f32 v[12:13], v[48:49], v[12:13] op_sel_hi:[0,1]
	;; [unrolled: 1-line block ×22, first 2 shown]
                                        ; implicit-def: $vgpr127 : SGPR spill to VGPR lane
	s_waitcnt vmcnt(1)
	v_cmp_eq_u32_e64 s[6:7], 1, v100
	s_nop 1
	v_cndmask_b32_e64 v48, v80, v81, s[6:7]
	v_cmp_eq_u32_e64 s[40:41], 2, v100
	v_cmp_eq_u32_e64 s[42:43], 3, v100
	v_cmp_eq_u32_e32 vcc, 4, v100
	v_cndmask_b32_e64 v48, v48, v82, s[40:41]
	v_cndmask_b32_e64 v48, v48, v83, s[42:43]
	v_cndmask_b32_e32 v48, v48, v84, vcc
	v_cmp_eq_u32_e64 s[0:1], 5, v100
	v_cmp_eq_u32_e64 s[2:3], 6, v100
	v_cmp_eq_u32_e64 s[30:31], 7, v100
	v_cndmask_b32_e64 v48, v48, v85, s[0:1]
	v_cndmask_b32_e64 v48, v48, v86, s[2:3]
	v_cndmask_b32_e64 v48, v48, v87, s[30:31]
	v_cmp_eq_u32_e64 s[26:27], 8, v100
	v_cmp_eq_u32_e64 s[24:25], 9, v100
	v_cmp_eq_u32_e64 s[22:23], 10, v100
	v_cndmask_b32_e64 v48, v48, v88, s[26:27]
	v_cndmask_b32_e64 v48, v48, v89, s[24:25]
	v_cndmask_b32_e64 v48, v48, v90, s[22:23]
	;; [unrolled: 6-line block ×3, first 2 shown]
	v_cmp_eq_u32_e64 s[12:13], 14, v100
	v_cmp_eq_u32_e64 s[10:11], 15, v100
	v_cmp_eq_u32_e64 s[46:47], 0, v100
	v_cndmask_b32_e64 v48, v48, v112, s[12:13]
	v_cndmask_b32_e64 v48, v48, v113, s[10:11]
	ds_bpermute_b32 v48, v120, v48
	s_waitcnt vmcnt(0)
	v_cmp_eq_u32_e64 s[44:45], 1, v118
	v_cmp_eq_u32_e64 s[8:9], 3, v118
	s_waitcnt lgkmcnt(0)
	v_cndmask_b32_e64 v75, v87, v48, s[30:31]
	scratch_load_dword v87, off, off offset:52 ; 4-byte Folded Reload
	v_cndmask_b32_e64 v81, v81, v48, s[6:7]
	v_cndmask_b32_e64 v80, v80, v48, s[46:47]
	v_cndmask_b32_e64 v49, v113, v48, s[10:11]
	v_cndmask_b32_e64 v50, v112, v48, s[12:13]
	v_cndmask_b32_e64 v51, v93, v48, s[14:15]
	v_cndmask_b32_e64 v66, v92, v48, s[18:19]
	v_cndmask_b32_e64 v67, v91, v48, s[20:21]
	v_cndmask_b32_e64 v68, v90, v48, s[22:23]
	v_cndmask_b32_e64 v69, v89, v48, s[24:25]
	v_cndmask_b32_e64 v74, v88, v48, s[26:27]
	v_cndmask_b32_e64 v77, v86, v48, s[2:3]
	v_cndmask_b32_e64 v85, v85, v48, s[0:1]
	v_cndmask_b32_e32 v84, v84, v48, vcc
	v_cndmask_b32_e64 v83, v83, v48, s[42:43]
	v_cndmask_b32_e64 v82, v82, v48, s[40:41]
	s_waitcnt vmcnt(0)
	v_cmp_eq_u32_e64 s[4:5], 1, v87
	s_nop 1
	v_cndmask_b32_e64 v48, v80, v81, s[4:5]
	v_cmp_eq_u32_e64 s[28:29], 2, v87
	v_cmp_eq_u32_e64 s[34:35], 3, v87
	v_cmp_eq_u32_e64 s[36:37], 4, v87
	v_cndmask_b32_e64 v48, v48, v82, s[28:29]
	v_cndmask_b32_e64 v48, v48, v83, s[34:35]
	v_cndmask_b32_e64 v48, v48, v84, s[36:37]
	v_cmp_eq_u32_e64 s[38:39], 5, v87
	v_cmp_eq_u32_e64 s[48:49], 6, v87
	v_cmp_eq_u32_e64 s[52:53], 7, v87
	v_cndmask_b32_e64 v48, v48, v85, s[38:39]
	v_cndmask_b32_e64 v48, v48, v77, s[48:49]
	v_cndmask_b32_e64 v48, v48, v75, s[52:53]
	v_cmp_eq_u32_e64 s[56:57], 8, v87
	v_cmp_eq_u32_e64 s[60:61], 9, v87
	v_cmp_eq_u32_e64 s[64:65], 10, v87
	v_cndmask_b32_e64 v48, v48, v74, s[56:57]
	v_cndmask_b32_e64 v48, v48, v69, s[60:61]
	v_cndmask_b32_e64 v48, v48, v68, s[64:65]
	v_cmp_eq_u32_e64 s[68:69], 11, v87
	v_cmp_eq_u32_e64 s[72:73], 12, v87
	v_cmp_eq_u32_e64 s[76:77], 13, v87
	v_cndmask_b32_e64 v48, v48, v67, s[68:69]
	v_cndmask_b32_e64 v48, v48, v66, s[72:73]
	v_cndmask_b32_e64 v48, v48, v51, s[76:77]
	v_cmp_eq_u32_e64 s[80:81], 14, v87
	v_cmp_eq_u32_e64 s[84:85], 15, v87
	v_cmp_eq_u32_e64 s[16:17], 0, v87
	v_cndmask_b32_e64 v48, v48, v50, s[80:81]
	v_cndmask_b32_e64 v48, v48, v49, s[84:85]
	ds_bpermute_b32 v86, v120, v48
	s_waitcnt lgkmcnt(0)
	v_cndmask_b32_e64 v121, v50, v86, s[80:81]
	v_cndmask_b32_e64 v50, v94, v95, s[6:7]
	;; [unrolled: 1-line block ×4, first 2 shown]
	v_cndmask_b32_e32 v50, v50, v114, vcc
	v_cndmask_b32_e64 v50, v50, v115, s[0:1]
	v_cndmask_b32_e64 v50, v50, v70, s[2:3]
	;; [unrolled: 1-line block ×13, first 2 shown]
	ds_bpermute_b32 v82, v120, v50
	v_cndmask_b32_e64 v76, v74, v86, s[56:57]
	v_cndmask_b32_e64 v74, v75, v86, s[52:53]
	;; [unrolled: 1-line block ×4, first 2 shown]
	s_waitcnt lgkmcnt(0)
	v_cndmask_b32_e64 v112, v70, v82, s[2:3]
	v_cndmask_b32_e64 v70, v116, v117, s[6:7]
	;; [unrolled: 1-line block ×4, first 2 shown]
	v_cndmask_b32_e32 v70, v70, v52, vcc
	v_cndmask_b32_e64 v70, v70, v53, s[0:1]
	v_cndmask_b32_e64 v70, v70, v54, s[2:3]
	;; [unrolled: 1-line block ×11, first 2 shown]
	ds_bpermute_b32 v70, v120, v70
	v_cndmask_b32_e64 v77, v107, v82, s[14:15]
	v_cndmask_b32_e64 v107, v108, v82, s[22:23]
	;; [unrolled: 1-line block ×4, first 2 shown]
	s_waitcnt lgkmcnt(0)
	v_cndmask_b32_e32 v96, v52, v70, vcc
	v_cndmask_b32_e64 v52, v32, v33, s[6:7]
	v_cndmask_b32_e64 v52, v52, v34, s[40:41]
	;; [unrolled: 1-line block ×3, first 2 shown]
	v_cndmask_b32_e32 v52, v52, v36, vcc
	v_cndmask_b32_e64 v52, v52, v37, s[0:1]
	v_cndmask_b32_e64 v52, v52, v38, s[2:3]
	;; [unrolled: 1-line block ×12, first 2 shown]
	ds_bpermute_b32 v59, v120, v52
	v_cndmask_b32_e64 v125, v67, v86, s[68:69]
	v_cndmask_b32_e64 v66, v68, v86, s[64:65]
	;; [unrolled: 1-line block ×4, first 2 shown]
	s_waitcnt lgkmcnt(0)
	v_cndmask_b32_e64 v73, v33, v59, s[6:7]
	scratch_load_dword v33, off, off offset:60 ; 4-byte Folded Reload
	v_cndmask_b32_e64 v69, v84, v86, s[36:37]
	v_cndmask_b32_e64 v48, v83, v86, s[34:35]
	;; [unrolled: 1-line block ×11, first 2 shown]
	v_cndmask_b32_e32 v114, v114, v82, vcc
	v_cndmask_b32_e64 v85, v103, v82, s[42:43]
	v_cndmask_b32_e64 v86, v102, v82, s[40:41]
	;; [unrolled: 1-line block ×8, first 2 shown]
	v_cndmask_b32_e32 v35, v35, v20, vcc
	v_cndmask_b32_e64 v35, v35, v21, s[0:1]
	v_cndmask_b32_e64 v35, v35, v22, s[2:3]
	;; [unrolled: 1-line block ×11, first 2 shown]
	ds_bpermute_b32 v35, v120, v35
	v_cndmask_b32_e64 v102, v117, v70, s[6:7]
	v_cndmask_b32_e64 v72, v32, v59, s[46:47]
	;; [unrolled: 1-line block ×4, first 2 shown]
	s_waitcnt lgkmcnt(0)
	v_cndmask_b32_e64 v80, v16, v35, s[46:47]
	v_cndmask_b32_e64 v16, v0, v1, s[6:7]
	;; [unrolled: 1-line block ×4, first 2 shown]
	v_cndmask_b32_e32 v16, v16, v4, vcc
	v_cndmask_b32_e64 v16, v16, v5, s[0:1]
	v_cndmask_b32_e64 v16, v16, v6, s[2:3]
	v_cndmask_b32_e64 v16, v16, v7, s[30:31]
	v_cndmask_b32_e64 v16, v16, v8, s[26:27]
	v_cndmask_b32_e64 v16, v16, v9, s[24:25]
	v_cndmask_b32_e64 v16, v16, v10, s[22:23]
	v_cndmask_b32_e64 v16, v16, v11, s[20:21]
	v_cndmask_b32_e64 v16, v16, v12, s[18:19]
	v_cndmask_b32_e64 v16, v16, v13, s[14:15]
	v_cndmask_b32_e64 v16, v16, v14, s[12:13]
	v_cndmask_b32_e64 v16, v16, v15, s[10:11]
	ds_bpermute_b32 v16, v120, v16
	v_cndmask_b32_e64 v17, v17, v35, s[6:7]
	v_cmp_eq_u32_e64 s[6:7], 2, v118
	scratch_store_dword off, v17, off offset:28 ; 4-byte Folded Spill
	v_cndmask_b32_e64 v47, v47, v59, s[10:11]
	v_cndmask_b32_e64 v17, v32, v49, s[6:7]
	;; [unrolled: 1-line block ×4, first 2 shown]
	s_waitcnt lgkmcnt(0)
	v_cndmask_b32_e64 v15, v15, v16, s[10:11]
	v_cmp_eq_u32_e64 s[10:11], 4, v118
	v_cndmask_b32_e64 v90, v62, v70, s[12:13]
	v_cndmask_b32_e64 v46, v46, v59, s[12:13]
	;; [unrolled: 1-line block ×6, first 2 shown]
	v_cmp_eq_u32_e64 s[12:13], 5, v118
	v_cndmask_b32_e64 v91, v61, v70, s[14:15]
	v_cndmask_b32_e64 v45, v45, v59, s[14:15]
	scratch_store_dword off, v37, off offset:8 ; 4-byte Folded Spill
	v_cndmask_b32_e64 v37, v29, v35, s[14:15]
	v_cndmask_b32_e64 v17, v17, v68, s[12:13]
	;; [unrolled: 1-line block ×3, first 2 shown]
	v_cmp_eq_u32_e64 s[14:15], 6, v118
	v_cndmask_b32_e64 v92, v60, v70, s[18:19]
	v_cndmask_b32_e64 v99, v64, v70, s[40:41]
	;; [unrolled: 1-line block ×7, first 2 shown]
	v_cmp_eq_u32_e64 s[18:19], 7, v118
	v_cndmask_b32_e64 v95, v57, v70, s[24:25]
	v_cndmask_b32_e64 v57, v43, v59, s[20:21]
	;; [unrolled: 1-line block ×5, first 2 shown]
	v_cmp_eq_u32_e64 s[20:21], 8, v118
	v_cndmask_b32_e64 v94, v58, v70, s[22:23]
	v_cndmask_b32_e64 v58, v42, v59, s[22:23]
	;; [unrolled: 1-line block ×5, first 2 shown]
	v_cmp_eq_u32_e64 s[22:23], 9, v118
	v_cndmask_b32_e64 v52, v41, v59, s[24:25]
	v_cndmask_b32_e64 v60, v40, v59, s[26:27]
	;; [unrolled: 1-line block ×3, first 2 shown]
	v_cndmask_b32_e32 v36, v36, v59, vcc
	v_cndmask_b32_e64 v81, v34, v59, s[40:41]
	v_cndmask_b32_e64 v59, v25, v35, s[24:25]
	v_cndmask_b32_e64 v10, v11, v67, s[22:23]
	v_cndmask_b32_e64 v29, v9, v16, s[24:25]
	v_cmp_eq_u32_e64 s[24:25], 10, v118
	v_cndmask_b32_e64 v56, v56, v70, s[26:27]
	v_cndmask_b32_e64 v61, v24, v35, s[26:27]
	;; [unrolled: 1-line block ×4, first 2 shown]
	v_cmp_eq_u32_e64 s[26:27], 11, v118
	v_cndmask_b32_e64 v55, v55, v70, s[30:31]
	v_cndmask_b32_e64 v103, v116, v70, s[46:47]
	;; [unrolled: 1-line block ×5, first 2 shown]
	v_cmp_eq_u32_e64 s[30:31], 12, v118
	v_cndmask_b32_e64 v54, v54, v70, s[2:3]
	v_cndmask_b32_e64 v63, v22, v35, s[2:3]
	;; [unrolled: 1-line block ×4, first 2 shown]
	v_cmp_eq_u32_e64 s[2:3], 13, v118
	v_cndmask_b32_e64 v53, v53, v70, s[0:1]
	v_cndmask_b32_e64 v97, v65, v70, s[42:43]
	;; [unrolled: 1-line block ×5, first 2 shown]
	v_cmp_eq_u32_e64 s[0:1], 14, v118
	v_cndmask_b32_e32 v20, v20, v35, vcc
	v_cndmask_b32_e32 v4, v4, v16, vcc
	v_cndmask_b32_e64 v6, v6, v121, s[0:1]
	v_cmp_eq_u32_e32 vcc, 15, v118
	v_cndmask_b32_e64 v19, v19, v35, s[42:43]
	v_cndmask_b32_e64 v18, v18, v35, s[40:41]
	v_cndmask_b32_e32 v6, v6, v98, vcc
	ds_bpermute_b32 v7, v120, v6
	v_cndmask_b32_e64 v6, v3, v16, s[42:43]
	v_cmp_eq_u32_e64 s[42:43], 0, v118
	s_waitcnt vmcnt(2)
	v_cmp_eq_u32_e64 s[58:59], 1, v33
	v_cndmask_b32_e64 v71, v0, v16, s[46:47]
	s_waitcnt lgkmcnt(0)
	v_cndmask_b32_e32 v8, v98, v7, vcc
	v_cndmask_b32_e64 v27, v51, v7, s[44:45]
	v_writelane_b32 v126, s42, 45
	v_cndmask_b32_e64 v98, v2, v16, s[40:41]
	v_cmp_ne_u32_e64 s[40:41], 0, v100
	v_cndmask_b32_e64 v32, v50, v7, s[42:43]
	v_cndmask_b32_e64 v26, v49, v7, s[6:7]
	;; [unrolled: 1-line block ×4, first 2 shown]
	v_cmp_eq_u32_e64 s[40:41], 2, v33
	v_cndmask_b32_e64 v25, v48, v7, s[8:9]
	v_cmp_eq_u32_e64 s[46:47], 3, v33
	v_cndmask_b32_e64 v0, v1, v26, s[40:41]
	v_cndmask_b32_e64 v24, v69, v7, s[10:11]
	;; [unrolled: 1-line block ×3, first 2 shown]
	v_cmp_eq_u32_e64 s[50:51], 4, v33
	v_cndmask_b32_e64 v23, v68, v7, s[12:13]
	v_cmp_eq_u32_e64 s[54:55], 5, v33
	v_cndmask_b32_e64 v0, v0, v24, s[50:51]
	v_cndmask_b32_e64 v22, v75, v7, s[14:15]
	;; [unrolled: 1-line block ×3, first 2 shown]
	v_cmp_eq_u32_e64 s[62:63], 6, v33
	v_cndmask_b32_e64 v21, v74, v7, s[18:19]
	v_cmp_eq_u32_e64 s[66:67], 7, v33
	v_cndmask_b32_e64 v0, v0, v22, s[62:63]
	scratch_store_dword off, v20, off offset:16 ; 4-byte Folded Spill
	v_cndmask_b32_e64 v20, v76, v7, s[20:21]
	v_cndmask_b32_e64 v0, v0, v21, s[66:67]
	v_cmp_eq_u32_e64 s[70:71], 8, v33
	scratch_store_dword off, v19, off offset:20 ; 4-byte Folded Spill
	v_cndmask_b32_e64 v19, v67, v7, s[22:23]
	v_cndmask_b32_e64 v0, v0, v20, s[70:71]
	v_cmp_eq_u32_e64 s[74:75], 9, v33
	;; [unrolled: 4-line block ×3, first 2 shown]
	v_cndmask_b32_e64 v17, v125, v7, s[26:27]
	v_cmp_eq_u32_e64 s[82:83], 11, v33
	v_cndmask_b32_e64 v0, v0, v18, s[78:79]
	v_cndmask_b32_e64 v11, v123, v7, s[30:31]
	;; [unrolled: 1-line block ×3, first 2 shown]
	v_cmp_eq_u32_e64 s[86:87], 12, v33
	v_cndmask_b32_e64 v10, v122, v7, s[2:3]
	s_mov_b64 s[96:97], s[40:41]
	v_cndmask_b32_e64 v0, v0, v11, s[86:87]
	v_cmp_eq_u32_e64 s[40:41], 13, v33
	v_cndmask_b32_e64 v9, v121, v7, s[0:1]
	v_writelane_b32 v126, s43, 46
	v_cndmask_b32_e64 v0, v0, v10, s[40:41]
	v_cmp_eq_u32_e64 s[42:43], 14, v33
	v_cmp_eq_u32_e64 s[98:99], 15, v33
	v_writelane_b32 v126, s96, 47
	v_cndmask_b32_e64 v0, v0, v9, s[42:43]
	v_cndmask_b32_e64 v0, v0, v8, s[98:99]
	ds_bpermute_b32 v16, v120, v0
	v_writelane_b32 v126, s97, 48
	scratch_store_dword off, v36, off offset:12 ; 4-byte Folded Spill
	s_waitcnt lgkmcnt(0)
	v_cndmask_b32_e64 v2, v9, v16, s[42:43]
	v_cndmask_b32_e64 v9, v17, v16, s[82:83]
	v_cndmask_b32_e64 v17, v88, v87, s[4:5]
	v_cndmask_b32_e64 v50, v26, v16, s[96:97]
	v_cmp_eq_u32_e64 s[96:97], 0, v33
	v_cndmask_b32_e64 v1, v8, v16, s[98:99]
	v_cndmask_b32_e64 v7, v10, v16, s[40:41]
	;; [unrolled: 1-line block ×13, first 2 shown]
	v_writelane_b32 v126, s96, 49
	v_cndmask_b32_e64 v17, v17, v85, s[34:35]
	v_cndmask_b32_e64 v17, v17, v114, s[36:37]
	;; [unrolled: 1-line block ×28, first 2 shown]
	ds_bpermute_b32 v18, v120, v17
	v_cndmask_b32_e64 v16, v16, v89, s[84:85]
	ds_bpermute_b32 v42, v120, v16
	v_writelane_b32 v126, s97, 50
	s_waitcnt lgkmcnt(1)
	v_cndmask_b32_e64 v121, v88, v18, s[16:17]
	scratch_load_dword v88, off, off offset:12 ; 4-byte Folded Reload
	s_waitcnt lgkmcnt(0)
	v_cndmask_b32_e64 v122, v89, v42, s[84:85]
	v_cndmask_b32_e64 v32, v90, v42, s[80:81]
	;; [unrolled: 1-line block ×5, first 2 shown]
	scratch_load_dword v89, off, off offset:28 ; 4-byte Folded Reload
	scratch_load_dword v90, off, off offset:24 ; 4-byte Folded Reload
	;; [unrolled: 1-line block ×5, first 2 shown]
	v_cndmask_b32_e64 v21, v53, v42, s[38:39]
	v_cndmask_b32_e64 v53, v72, v73, s[4:5]
	v_cndmask_b32_e64 v53, v53, v81, s[28:29]
	v_cndmask_b32_e64 v53, v53, v82, s[34:35]
	v_cndmask_b32_e64 v25, v85, v18, s[34:35]
	v_cndmask_b32_e64 v26, v86, v18, s[28:29]
	v_cndmask_b32_e64 v27, v87, v18, s[4:5]
	v_cndmask_b32_e64 v66, v107, v18, s[64:65]
	v_cndmask_b32_e64 v75, v79, v18, s[84:85]
	v_cndmask_b32_e64 v76, v78, v18, s[80:81]
	v_cndmask_b32_e64 v77, v77, v18, s[76:77]
	v_cndmask_b32_e64 v78, v105, v18, s[72:73]
	v_cndmask_b32_e64 v79, v106, v18, s[68:69]
	v_cndmask_b32_e64 v67, v108, v18, s[60:61]
	v_cndmask_b32_e64 v17, v109, v18, s[56:57]
	v_cndmask_b32_e64 v22, v110, v18, s[52:53]
	v_cndmask_b32_e64 v23, v112, v18, s[48:49]
	v_cndmask_b32_e64 v24, v113, v18, s[38:39]
	v_cndmask_b32_e64 v43, v114, v18, s[36:37]
	v_cndmask_b32_e64 v18, v56, v42, s[56:57]
	v_cndmask_b32_e64 v19, v55, v42, s[52:53]
	v_cndmask_b32_e64 v123, v97, v42, s[34:35]
	v_cndmask_b32_e64 v125, v99, v42, s[28:29]
	v_cndmask_b32_e64 v41, v102, v42, s[4:5]
	v_cndmask_b32_e64 v20, v54, v42, s[48:49]
	v_cndmask_b32_e64 v34, v94, v42, s[64:65]
	v_cndmask_b32_e64 v40, v96, v42, s[36:37]
	v_cndmask_b32_e64 v36, v95, v42, s[60:61]
	v_cndmask_b32_e64 v42, v103, v42, s[16:17]
	s_waitcnt vmcnt(5)
	v_cndmask_b32_e64 v53, v53, v88, s[36:37]
	s_waitcnt vmcnt(0)
	v_cndmask_b32_e64 v53, v53, v93, s[38:39]
	v_cndmask_b32_e64 v53, v53, v64, s[48:49]
	;; [unrolled: 1-line block ×11, first 2 shown]
	ds_bpermute_b32 v85, v120, v53
	v_cndmask_b32_e64 v53, v80, v89, s[4:5]
	v_cndmask_b32_e64 v53, v53, v90, s[28:29]
	;; [unrolled: 1-line block ×15, first 2 shown]
	ds_bpermute_b32 v86, v120, v53
	v_cndmask_b32_e64 v53, v71, v3, s[4:5]
	v_cndmask_b32_e64 v53, v53, v98, s[28:29]
	v_cndmask_b32_e64 v53, v53, v6, s[34:35]
	v_cndmask_b32_e64 v53, v53, v4, s[36:37]
	v_cndmask_b32_e64 v53, v53, v5, s[38:39]
	v_cndmask_b32_e64 v53, v53, v115, s[48:49]
	v_cndmask_b32_e64 v53, v53, v116, s[52:53]
	v_cndmask_b32_e64 v53, v53, v117, s[56:57]
	v_cndmask_b32_e64 v53, v53, v29, s[60:61]
	v_cndmask_b32_e64 v53, v53, v28, s[64:65]
	v_cndmask_b32_e64 v53, v53, v119, s[68:69]
	v_cndmask_b32_e64 v53, v53, v12, s[72:73]
	v_cndmask_b32_e64 v53, v53, v13, s[76:77]
	v_cndmask_b32_e64 v53, v53, v14, s[80:81]
	v_cndmask_b32_e64 v53, v53, v15, s[84:85]
	ds_bpermute_b32 v87, v120, v53
	s_waitcnt lgkmcnt(1)
	v_cndmask_b32_e64 v55, v37, v86, s[76:77]
	v_cndmask_b32_e64 v56, v38, v86, s[72:73]
	;; [unrolled: 1-line block ×4, first 2 shown]
	s_waitcnt lgkmcnt(0)
	v_cndmask_b32_e64 v107, v13, v87, s[76:77]
	scratch_load_dword v13, off, off offset:64 ; 4-byte Folded Reload
	v_cndmask_b32_e64 v114, v116, v87, s[52:53]
	v_cndmask_b32_e64 v64, v65, v86, s[38:39]
	;; [unrolled: 1-line block ×40, first 2 shown]
	v_readlane_b32 s84, v126, 45
	v_cndmask_b32_e64 v52, v52, v85, s[60:61]
	v_cndmask_b32_e64 v59, v59, v86, s[60:61]
	;; [unrolled: 1-line block ×3, first 2 shown]
	v_readlane_b32 s85, v126, 46
	s_waitcnt vmcnt(0)
	v_cmp_eq_u32_e64 s[38:39], 1, v13
	s_nop 1
	v_cndmask_b32_e64 v12, v74, v51, s[38:39]
	v_cmp_eq_u32_e64 s[28:29], 2, v13
	v_cmp_eq_u32_e64 s[48:49], 3, v13
	v_cmp_eq_u32_e64 s[52:53], 4, v13
	v_cndmask_b32_e64 v12, v12, v50, s[28:29]
	v_cndmask_b32_e64 v12, v12, v49, s[48:49]
	v_cndmask_b32_e64 v12, v12, v48, s[52:53]
	v_cmp_eq_u32_e64 s[56:57], 5, v13
	v_cmp_eq_u32_e64 s[64:65], 6, v13
	v_cmp_eq_u32_e64 s[68:69], 7, v13
	v_cndmask_b32_e64 v12, v12, v68, s[56:57]
	v_cndmask_b32_e64 v12, v12, v70, s[64:65]
	v_cndmask_b32_e64 v12, v12, v69, s[68:69]
	v_cmp_eq_u32_e64 s[72:73], 8, v13
	v_cmp_eq_u32_e64 s[76:77], 9, v13
	v_cmp_eq_u32_e64 s[80:81], 10, v13
	v_cndmask_b32_e64 v12, v12, v0, s[72:73]
	v_cndmask_b32_e64 v12, v12, v11, s[76:77]
	v_cndmask_b32_e64 v12, v12, v10, s[80:81]
	v_cmp_eq_u32_e64 s[36:37], 11, v13
	v_cmp_eq_u32_e64 s[16:17], 12, v13
	v_cmp_eq_u32_e64 s[34:35], 13, v13
	v_cndmask_b32_e64 v12, v12, v9, s[36:37]
	v_cndmask_b32_e64 v12, v12, v8, s[16:17]
	v_cndmask_b32_e64 v12, v12, v7, s[34:35]
	v_cmp_eq_u32_e64 s[96:97], 14, v13
	v_cmp_eq_u32_e64 s[4:5], 15, v13
	v_cmp_eq_u32_e64 s[60:61], 0, v13
	v_cndmask_b32_e64 v12, v12, v2, s[96:97]
	v_cndmask_b32_e64 v12, v12, v1, s[4:5]
	ds_bpermute_b32 v12, v120, v12
	s_waitcnt lgkmcnt(0)
	v_cndmask_b32_e64 v81, v1, v12, s[4:5]
	v_cndmask_b32_e64 v1, v42, v41, s[44:45]
	;; [unrolled: 1-line block ×15, first 2 shown]
	v_cndmask_b32_e32 v1, v1, v122, vcc
	ds_bpermute_b32 v1, v120, v1
	v_cndmask_b32_e64 v90, v0, v12, s[72:73]
	v_cndmask_b32_e64 v0, v121, v27, s[44:45]
	;; [unrolled: 1-line block ×4, first 2 shown]
	s_waitcnt lgkmcnt(0)
	v_cndmask_b32_e64 v14, v35, v1, s[30:31]
	scratch_load_dword v35, off, off offset:68 ; 4-byte Folded Reload
	v_cndmask_b32_e64 v0, v0, v43, s[10:11]
	v_cndmask_b32_e64 v0, v0, v24, s[12:13]
	v_cndmask_b32_e64 v0, v0, v23, s[14:15]
	v_cndmask_b32_e64 v0, v0, v22, s[18:19]
	v_cndmask_b32_e64 v0, v0, v17, s[20:21]
	v_cndmask_b32_e64 v0, v0, v67, s[22:23]
	v_cndmask_b32_e64 v0, v0, v66, s[24:25]
	v_cndmask_b32_e64 v0, v0, v79, s[26:27]
	v_cndmask_b32_e64 v0, v0, v78, s[30:31]
	v_cndmask_b32_e64 v0, v0, v77, s[2:3]
	v_cndmask_b32_e64 v0, v0, v76, s[0:1]
	v_cndmask_b32_e32 v0, v0, v75, vcc
	ds_bpermute_b32 v0, v120, v0
	v_cndmask_b32_e64 v87, v9, v12, s[36:37]
	v_cndmask_b32_e64 v88, v10, v12, s[80:81]
	;; [unrolled: 1-line block ×6, first 2 shown]
	s_waitcnt lgkmcnt(0)
	v_cndmask_b32_e32 v68, v75, v0, vcc
	v_cndmask_b32_e64 v69, v76, v0, s[0:1]
	v_cndmask_b32_e64 v70, v77, v0, s[2:3]
	;; [unrolled: 1-line block ×29, first 2 shown]
	v_cndmask_b32_e32 v0, v0, v47, vcc
	v_cndmask_b32_e64 v82, v2, v12, s[96:97]
	v_cndmask_b32_e64 v83, v7, v12, s[34:35]
	;; [unrolled: 1-line block ×8, first 2 shown]
	v_cndmask_b32_e32 v11, v122, v1, vcc
	v_cndmask_b32_e64 v12, v32, v1, s[0:1]
	v_cndmask_b32_e64 v13, v33, v1, s[2:3]
	;; [unrolled: 1-line block ×14, first 2 shown]
	ds_bpermute_b32 v1, v120, v0
	v_cndmask_b32_e64 v0, v3, v103, s[44:45]
	v_cndmask_b32_e64 v0, v0, v102, s[6:7]
	v_cndmask_b32_e64 v0, v0, v99, s[8:9]
	v_cndmask_b32_e64 v0, v0, v65, s[10:11]
	v_cndmask_b32_e64 v0, v0, v64, s[12:13]
	v_cndmask_b32_e64 v0, v0, v63, s[14:15]
	v_cndmask_b32_e64 v0, v0, v62, s[18:19]
	v_cndmask_b32_e64 v0, v0, v61, s[20:21]
	v_cndmask_b32_e64 v0, v0, v59, s[22:23]
	v_cndmask_b32_e64 v0, v0, v58, s[24:25]
	v_cndmask_b32_e64 v0, v0, v57, s[26:27]
	v_cndmask_b32_e64 v0, v0, v56, s[30:31]
	v_cndmask_b32_e64 v0, v0, v55, s[2:3]
	v_cndmask_b32_e64 v0, v0, v54, s[0:1]
	v_cndmask_b32_e32 v0, v0, v53, vcc
	ds_bpermute_b32 v32, v120, v0
	v_cndmask_b32_e64 v0, v6, v119, s[44:45]
	v_cndmask_b32_e64 v0, v0, v118, s[6:7]
	;; [unrolled: 1-line block ×14, first 2 shown]
	v_cndmask_b32_e32 v0, v0, v105, vcc
	ds_bpermute_b32 v33, v120, v0
	s_waitcnt lgkmcnt(2)
	v_cndmask_b32_e64 v28, v31, v1, s[0:1]
	s_waitcnt lgkmcnt(1)
	v_cndmask_b32_e64 v41, v54, v32, s[0:1]
	v_cndmask_b32_e32 v27, v47, v1, vcc
	v_cndmask_b32_e64 v29, v30, v1, s[2:3]
	s_waitcnt lgkmcnt(0)
	v_cndmask_b32_e64 v54, v106, v33, s[0:1]
	s_waitcnt vmcnt(0)
	v_cmp_eq_u32_e64 s[0:1], 1, v35
	v_cndmask_b32_e64 v42, v55, v32, s[2:3]
	v_cndmask_b32_e64 v55, v107, v33, s[2:3]
	;; [unrolled: 1-line block ×9, first 2 shown]
	s_mov_b64 s[2:3], s[84:85]
	v_cndmask_b32_e64 v34, v80, v86, s[0:1]
	s_mov_b64 s[10:11], s[0:1]
	v_cmp_eq_u32_e64 s[0:1], 2, v35
	v_cndmask_b32_e32 v40, v53, v32, vcc
	v_cndmask_b32_e64 v30, v44, v1, s[30:31]
	v_cndmask_b32_e64 v43, v56, v32, s[30:31]
	v_cndmask_b32_e64 v31, v45, v1, s[26:27]
	v_cndmask_b32_e64 v44, v57, v32, s[26:27]
	v_cndmask_b32_e64 v57, v109, v33, s[26:27]
	v_cndmask_b32_e64 v106, v46, v1, s[24:25]
	v_cndmask_b32_e64 v45, v58, v32, s[24:25]
	v_cndmask_b32_e64 v107, v52, v1, s[22:23]
	v_cndmask_b32_e64 v46, v59, v32, s[22:23]
	v_cndmask_b32_e64 v109, v39, v1, s[18:19]
	v_cndmask_b32_e64 v48, v62, v32, s[18:19]
	v_cndmask_b32_e64 v49, v63, v32, s[14:15]
	v_cndmask_b32_e64 v39, v4, v1, s[8:9]
	v_cndmask_b32_e64 v52, v99, v32, s[8:9]
	v_cndmask_b32_e64 v7, v97, v1, s[6:7]
	v_cndmask_b32_e64 v8, v102, v32, s[6:7]
	v_cndmask_b32_e64 v4, v118, v33, s[6:7]
	v_cndmask_b32_e64 v2, v103, v32, s[44:45]
	v_cndmask_b32_e64 v3, v3, v32, s[2:3]
	v_cndmask_b32_e64 v32, v34, v85, s[0:1]
	s_mov_b64 s[6:7], s[0:1]
	v_cmp_eq_u32_e64 s[0:1], 3, v35
	v_cndmask_b32_e64 v37, v37, v1, s[12:13]
	v_cndmask_b32_e64 v63, v116, v33, s[12:13]
	;; [unrolled: 1-line block ×3, first 2 shown]
	s_mov_b64 s[12:13], s[0:1]
	v_cmp_eq_u32_e64 s[0:1], 4, v35
	v_cndmask_b32_e64 v62, v115, v33, s[14:15]
	s_mov_b64 s[14:15], s[0:1]
	v_cndmask_b32_e64 v32, v32, v94, s[0:1]
	v_cmp_eq_u32_e64 s[0:1], 5, v35
	s_mov_b64 s[18:19], s[0:1]
	v_cndmask_b32_e64 v56, v108, v33, s[30:31]
	v_cndmask_b32_e64 v32, v32, v93, s[0:1]
	v_cmp_eq_u32_e64 s[0:1], 6, v35
	v_cndmask_b32_e64 v108, v60, v1, s[20:21]
	v_cndmask_b32_e64 v60, v113, v33, s[20:21]
	;; [unrolled: 1-line block ×3, first 2 shown]
	s_mov_b64 s[20:21], s[0:1]
	v_cmp_eq_u32_e64 s[0:1], 7, v35
	v_cndmask_b32_e64 v59, v112, v33, s[22:23]
	s_mov_b64 s[22:23], s[0:1]
	v_cndmask_b32_e64 v32, v32, v91, s[0:1]
	v_cmp_eq_u32_e64 s[0:1], 8, v35
	v_cndmask_b32_e64 v58, v110, v33, s[24:25]
	s_mov_b64 s[24:25], s[0:1]
	v_cndmask_b32_e64 v32, v32, v90, s[0:1]
	v_cmp_eq_u32_e64 s[0:1], 9, v35
	s_mov_b64 s[26:27], s[0:1]
	v_cndmask_b32_e64 v0, v98, v1, s[44:45]
	v_cndmask_b32_e64 v32, v32, v89, s[0:1]
	v_cmp_eq_u32_e64 s[0:1], 10, v35
	s_mov_b64 s[30:31], s[0:1]
	v_cndmask_b32_e64 v5, v119, v33, s[44:45]
	v_cndmask_b32_e64 v32, v32, v88, s[0:1]
	v_cmp_eq_u32_e64 s[0:1], 11, v35
	s_mov_b64 s[44:45], s[0:1]
	v_writelane_b32 v126, s44, 51
	v_cndmask_b32_e64 v32, v32, v87, s[0:1]
	v_cmp_eq_u32_e64 s[0:1], 12, v35
	v_writelane_b32 v126, s45, 52
	s_mov_b64 s[84:85], s[0:1]
	v_writelane_b32 v126, s84, 53
	v_cndmask_b32_e64 v32, v32, v84, s[0:1]
	v_cmp_eq_u32_e64 s[0:1], 13, v35
	v_writelane_b32 v126, s85, 54
	v_cndmask_b32_e64 v1, v96, v1, s[2:3]
	v_writelane_b32 v126, s0, 55
	v_cndmask_b32_e64 v6, v6, v33, s[2:3]
	v_cmp_eq_u32_e64 s[2:3], 14, v35
	v_writelane_b32 v126, s1, 56
	v_cndmask_b32_e64 v32, v32, v83, s[0:1]
	;; [unrolled: 5-line block ×3, first 2 shown]
	v_writelane_b32 v126, s8, 57
	v_cndmask_b32_e32 v53, v105, v33, vcc
	v_cndmask_b32_e64 v33, v10, v9, s[58:59]
	v_cndmask_b32_e64 v32, v32, v81, s[8:9]
	ds_bpermute_b32 v32, v120, v32
	v_writelane_b32 v126, s9, 58
	s_waitcnt lgkmcnt(0)
	v_cndmask_b32_e64 v82, v82, v32, s[2:3]
	v_readlane_b32 s2, v126, 47
	v_readlane_b32 s3, v126, 48
	v_cndmask_b32_e64 v83, v83, v32, s[0:1]
	v_cmp_eq_u32_e64 s[0:1], 0, v35
	v_cndmask_b32_e64 v33, v33, v67, s[2:3]
	v_cndmask_b32_e64 v33, v33, v66, s[46:47]
	v_cndmask_b32_e64 v33, v33, v79, s[50:51]
	v_cndmask_b32_e64 v33, v33, v78, s[54:55]
	v_writelane_b32 v126, s0, 59
	v_cndmask_b32_e64 v81, v81, v32, s[8:9]
	v_cndmask_b32_e64 v84, v84, v32, s[84:85]
	;; [unrolled: 1-line block ×14, first 2 shown]
	v_writelane_b32 v126, s1, 60
	v_cndmask_b32_e64 v80, v80, v32, s[0:1]
	v_cndmask_b32_e64 v32, v26, v25, s[58:59]
	s_mov_b64 s[0:1], s[2:3]
	v_cndmask_b32_e64 v33, v33, v76, s[66:67]
	v_cndmask_b32_e64 v32, v32, v24, s[0:1]
	v_cndmask_b32_e64 v33, v33, v75, s[70:71]
	v_cndmask_b32_e64 v32, v32, v23, s[46:47]
	v_cndmask_b32_e64 v33, v33, v74, s[74:75]
	v_cndmask_b32_e64 v32, v32, v22, s[50:51]
	v_cndmask_b32_e64 v33, v33, v73, s[78:79]
	v_cndmask_b32_e64 v32, v32, v21, s[54:55]
	v_cndmask_b32_e64 v33, v33, v72, s[82:83]
	v_cndmask_b32_e64 v32, v32, v20, s[62:63]
	v_cndmask_b32_e64 v33, v33, v71, s[86:87]
	v_cndmask_b32_e64 v32, v32, v19, s[66:67]
	v_cndmask_b32_e64 v33, v33, v70, s[40:41]
	v_cndmask_b32_e64 v32, v32, v18, s[70:71]
	v_cndmask_b32_e64 v33, v33, v69, s[42:43]
	v_cndmask_b32_e64 v32, v32, v17, s[74:75]
	v_cndmask_b32_e64 v33, v33, v68, s[98:99]
	v_cndmask_b32_e64 v32, v32, v16, s[78:79]
	ds_bpermute_b32 v33, v120, v33
	v_cndmask_b32_e64 v32, v32, v15, s[82:83]
	v_cndmask_b32_e64 v32, v32, v14, s[86:87]
	;; [unrolled: 1-line block ×5, first 2 shown]
	s_waitcnt lgkmcnt(0)
	v_cndmask_b32_e64 v123, v73, v33, s[78:79]
	ds_bpermute_b32 v73, v120, v32
	v_cndmask_b32_e64 v32, v9, v33, s[58:59]
	v_cndmask_b32_e64 v9, v1, v0, s[58:59]
	;; [unrolled: 1-line block ×4, first 2 shown]
	s_waitcnt lgkmcnt(0)
	v_cndmask_b32_e64 v36, v19, v73, s[66:67]
	scratch_load_dword v19, off, off offset:72 ; 4-byte Folded Reload
	v_cndmask_b32_e64 v9, v9, v38, s[50:51]
	v_cndmask_b32_e64 v9, v9, v37, s[54:55]
	;; [unrolled: 1-line block ×10, first 2 shown]
	v_readlane_b32 s2, v126, 49
	v_cndmask_b32_e64 v9, v9, v28, s[42:43]
	v_readlane_b32 s3, v126, 50
	v_cndmask_b32_e64 v9, v9, v27, s[98:99]
	v_cndmask_b32_e64 v68, v68, v33, s[98:99]
	v_cndmask_b32_e64 v69, v69, v33, s[42:43]
	v_cndmask_b32_e64 v70, v70, v33, s[40:41]
	v_cndmask_b32_e64 v71, v71, v33, s[86:87]
	v_cndmask_b32_e64 v72, v72, v33, s[82:83]
	v_cndmask_b32_e64 v125, v74, v33, s[74:75]
	v_cndmask_b32_e64 v75, v75, v33, s[70:71]
	v_cndmask_b32_e64 v76, v76, v33, s[66:67]
	v_cndmask_b32_e64 v77, v77, v33, s[62:63]
	v_cndmask_b32_e64 v78, v78, v33, s[54:55]
	v_cndmask_b32_e64 v79, v79, v33, s[50:51]
	v_cndmask_b32_e64 v66, v66, v33, s[46:47]
	v_cndmask_b32_e64 v67, v67, v33, s[0:1]
	v_cndmask_b32_e64 v10, v10, v33, s[2:3]
	v_cndmask_b32_e64 v33, v16, v73, s[78:79]
	ds_bpermute_b32 v16, v120, v9
	v_cndmask_b32_e64 v9, v3, v2, s[58:59]
	v_cndmask_b32_e64 v9, v9, v8, s[0:1]
	v_cndmask_b32_e64 v9, v9, v52, s[46:47]
	v_cndmask_b32_e64 v9, v9, v51, s[50:51]
	v_cndmask_b32_e64 v9, v9, v50, s[54:55]
	v_cndmask_b32_e64 v9, v9, v49, s[62:63]
	v_cndmask_b32_e64 v9, v9, v48, s[66:67]
	v_cndmask_b32_e64 v9, v9, v47, s[70:71]
	v_cndmask_b32_e64 v9, v9, v46, s[74:75]
	v_cndmask_b32_e64 v9, v9, v45, s[78:79]
	v_cndmask_b32_e64 v9, v9, v44, s[82:83]
	v_cndmask_b32_e64 v9, v9, v43, s[86:87]
	v_cndmask_b32_e64 v9, v9, v42, s[40:41]
	v_cndmask_b32_e64 v9, v9, v41, s[42:43]
	v_cndmask_b32_e64 v9, v9, v40, s[98:99]
	v_cndmask_b32_e64 v34, v17, v73, s[74:75]
	ds_bpermute_b32 v17, v120, v9
	;; [unrolled: 17-line block ×3, first 2 shown]
	v_cndmask_b32_e64 v24, v24, v73, s[0:1]
	s_waitcnt lgkmcnt(2)
	v_cndmask_b32_e64 v9, v7, v16, s[0:1]
	s_waitcnt lgkmcnt(1)
	v_cndmask_b32_e64 v8, v8, v17, s[0:1]
	v_cndmask_b32_e64 v7, v2, v17, s[58:59]
	s_waitcnt lgkmcnt(0)
	v_cndmask_b32_e64 v113, v56, v18, s[86:87]
	v_cndmask_b32_e64 v56, v109, v16, s[66:67]
	;; [unrolled: 1-line block ×4, first 2 shown]
	s_mov_b64 s[0:1], s[2:3]
	v_cndmask_b32_e64 v4, v0, v16, s[58:59]
	v_cndmask_b32_e64 v2, v1, v16, s[0:1]
	;; [unrolled: 1-line block ×6, first 2 shown]
	s_waitcnt vmcnt(0)
	v_cmp_eq_u32_e64 s[8:9], 1, v19
	v_cmp_eq_u32_e64 s[0:1], 2, v19
	v_cndmask_b32_e64 v122, v63, v18, s[54:55]
	v_cndmask_b32_e64 v0, v80, v86, s[8:9]
	;; [unrolled: 1-line block ×6, first 2 shown]
	s_mov_b64 s[50:51], s[0:1]
	v_cmp_eq_u32_e64 s[0:1], 3, v19
	v_cndmask_b32_e64 v21, v21, v73, s[54:55]
	v_cndmask_b32_e64 v117, v58, v18, s[78:79]
	;; [unrolled: 1-line block ×6, first 2 shown]
	s_mov_b64 s[54:55], s[0:1]
	v_cmp_eq_u32_e64 s[0:1], 4, v19
	v_cndmask_b32_e64 v25, v25, v73, s[58:59]
	v_cndmask_b32_e64 v5, v5, v18, s[58:59]
	;; [unrolled: 1-line block ×3, first 2 shown]
	s_mov_b64 s[58:59], s[0:1]
	v_cmp_eq_u32_e64 s[0:1], 5, v19
	v_cndmask_b32_e64 v20, v20, v73, s[62:63]
	v_cndmask_b32_e64 v116, v57, v18, s[82:83]
	;; [unrolled: 1-line block ×6, first 2 shown]
	s_mov_b64 s[62:63], s[0:1]
	v_cmp_eq_u32_e64 s[0:1], 6, v19
	s_mov_b64 s[66:67], s[0:1]
	v_cndmask_b32_e64 v112, v55, v18, s[40:41]
	v_cndmask_b32_e64 v0, v0, v92, s[0:1]
	v_cmp_eq_u32_e64 s[0:1], 7, v19
	v_cndmask_b32_e64 v55, v108, v16, s[70:71]
	v_cndmask_b32_e64 v108, v47, v17, s[70:71]
	v_cndmask_b32_e64 v118, v60, v18, s[70:71]
	v_cndmask_b32_e64 v0, v0, v91, s[0:1]
	s_mov_b64 s[70:71], s[0:1]
	v_cmp_eq_u32_e64 s[0:1], 8, v19
	v_cndmask_b32_e64 v110, v54, v18, s[42:43]
	v_cndmask_b32_e64 v54, v107, v16, s[74:75]
	v_cndmask_b32_e64 v107, v46, v17, s[74:75]
	v_cndmask_b32_e64 v0, v0, v90, s[0:1]
	s_mov_b64 s[74:75], s[0:1]
	;; [unrolled: 6-line block ×4, first 2 shown]
	v_cmp_eq_u32_e64 s[0:1], 11, v19
	s_mov_b64 s[84:85], s[0:1]
	v_cndmask_b32_e64 v14, v14, v73, s[86:87]
	v_cndmask_b32_e64 v0, v0, v87, s[0:1]
	v_cmp_eq_u32_e64 s[0:1], 12, v19
	v_cndmask_b32_e64 v30, v30, v16, s[86:87]
	v_cndmask_b32_e64 v103, v43, v17, s[86:87]
	;; [unrolled: 1-line block ×3, first 2 shown]
	s_mov_b64 s[86:87], s[0:1]
	v_cmp_eq_u32_e64 s[0:1], 13, v19
	v_cndmask_b32_e64 v11, v11, v73, s[98:99]
	v_cndmask_b32_e64 v27, v27, v16, s[98:99]
	;; [unrolled: 1-line block ×3, first 2 shown]
	v_writelane_b32 v126, s0, 47
	v_cmp_eq_u32_e64 s[98:99], 14, v19
	v_cndmask_b32_e64 v23, v23, v73, s[46:47]
	v_cndmask_b32_e64 v0, v0, v83, s[0:1]
	;; [unrolled: 1-line block ×5, first 2 shown]
	s_mov_b64 s[46:47], s[8:9]
	v_writelane_b32 v126, s1, 48
	v_cndmask_b32_e64 v0, v0, v82, s[98:99]
	v_cmp_eq_u32_e64 s[8:9], 15, v19
	v_cndmask_b32_e64 v28, v28, v16, s[42:43]
	v_cndmask_b32_e64 v29, v29, v16, s[40:41]
	v_writelane_b32 v126, s8, 49
	v_cndmask_b32_e64 v26, v26, v73, s[2:3]
	v_cndmask_b32_e64 v13, v13, v73, s[40:41]
	;; [unrolled: 1-line block ×3, first 2 shown]
	ds_bpermute_b32 v16, v120, v0
	v_cndmask_b32_e64 v0, v10, v32, s[38:39]
	v_cndmask_b32_e64 v0, v0, v67, s[28:29]
	;; [unrolled: 1-line block ×14, first 2 shown]
	v_writelane_b32 v126, s9, 50
	s_waitcnt lgkmcnt(0)
	v_cndmask_b32_e64 v83, v83, v16, s[0:1]
	v_cndmask_b32_e64 v0, v0, v68, s[4:5]
	v_cmp_eq_u32_e64 s[0:1], 0, v19
	v_cndmask_b32_e64 v81, v81, v16, s[8:9]
	v_cndmask_b32_e64 v82, v82, v16, s[98:99]
	;; [unrolled: 1-line block ×12, first 2 shown]
	ds_bpermute_b32 v37, v120, v0
	v_cndmask_b32_e64 v0, v85, v16, s[50:51]
	v_cndmask_b32_e64 v1, v86, v16, s[46:47]
	v_writelane_b32 v126, s0, 61
	v_cndmask_b32_e64 v12, v12, v73, s[42:43]
	v_cndmask_b32_e64 v102, v42, v17, s[40:41]
	;; [unrolled: 1-line block ×18, first 2 shown]
	ds_bpermute_b32 v49, v120, v16
	v_cndmask_b32_e64 v97, v41, v17, s[42:43]
	s_waitcnt lgkmcnt(1)
	v_cndmask_b32_e64 v18, v68, v37, s[4:5]
	v_cndmask_b32_e64 v74, v69, v37, s[96:97]
	;; [unrolled: 1-line block ×3, first 2 shown]
	s_waitcnt lgkmcnt(0)
	v_cndmask_b32_e64 v47, v11, v49, s[4:5]
	v_cndmask_b32_e64 v46, v12, v49, s[96:97]
	;; [unrolled: 1-line block ×32, first 2 shown]
	ds_bpermute_b32 v11, v120, v11
	ds_bpermute_b32 v12, v120, v12
	v_cndmask_b32_e64 v75, v10, v37, s[60:61]
	v_cndmask_b32_e64 v10, v2, v4, s[38:39]
	;; [unrolled: 1-line block ×3, first 2 shown]
	s_waitcnt lgkmcnt(1)
	v_cndmask_b32_e64 v68, v105, v11, s[36:37]
	s_waitcnt lgkmcnt(0)
	v_cndmask_b32_e64 v105, v119, v12, s[68:69]
	scratch_load_dword v119, off, off offset:76 ; 4-byte Folded Reload
	v_cndmask_b32_e64 v10, v10, v60, s[48:49]
	v_cndmask_b32_e64 v10, v10, v59, s[52:53]
	;; [unrolled: 1-line block ×13, first 2 shown]
	ds_bpermute_b32 v10, v120, v10
	v_cndmask_b32_e64 v45, v13, v49, s[34:35]
	v_cndmask_b32_e64 v13, v99, v12, s[4:5]
	;; [unrolled: 1-line block ×4, first 2 shown]
	scratch_store_dword off, v13, off offset:8 ; 4-byte Folded Spill
	v_cndmask_b32_e64 v13, v110, v12, s[96:97]
	v_cndmask_b32_e64 v110, v102, v11, s[34:35]
	s_waitcnt lgkmcnt(0)
	v_cndmask_b32_e64 v52, v31, v10, s[36:37]
	v_cndmask_b32_e64 v102, v116, v12, s[36:37]
	;; [unrolled: 1-line block ×58, first 2 shown]
	s_waitcnt vmcnt(1)
	v_cmp_eq_u32_e64 s[36:37], 1, v119
	v_cmp_eq_u32_e64 s[38:39], 2, v119
	v_cmp_eq_u32_e64 s[40:41], 3, v119
	v_cndmask_b32_e64 v2, v65, v1, s[36:37]
	v_cndmask_b32_e64 v2, v2, v0, s[38:39]
	v_cndmask_b32_e64 v2, v2, v114, s[40:41]
	v_cmp_eq_u32_e64 s[42:43], 4, v119
	v_cmp_eq_u32_e64 s[44:45], 5, v119
	v_cmp_eq_u32_e64 s[48:49], 6, v119
	v_cndmask_b32_e64 v2, v2, v94, s[42:43]
	v_cndmask_b32_e64 v2, v2, v93, s[44:45]
	v_cndmask_b32_e64 v2, v2, v92, s[48:49]
	;; [unrolled: 6-line block ×4, first 2 shown]
	v_cmp_eq_u32_e64 s[76:77], 13, v119
	v_cndmask_b32_e64 v53, v53, v10, s[80:81]
	v_cmp_eq_u32_e64 s[80:81], 14, v119
	v_cndmask_b32_e64 v2, v2, v83, s[76:77]
	v_cmp_eq_u32_e32 vcc, 15, v119
	v_cndmask_b32_e64 v2, v2, v82, s[80:81]
	v_cndmask_b32_e64 v51, v30, v10, s[16:17]
	v_cndmask_b32_e32 v2, v2, v81, vcc
	ds_bpermute_b32 v20, v120, v2
	s_mov_b64 s[16:17], s[10:11]
	s_mov_b64 s[8:9], s[6:7]
	v_cndmask_b32_e64 v61, v9, v10, s[28:29]
	v_cndmask_b32_e64 v77, v8, v11, s[28:29]
	s_waitcnt lgkmcnt(0)
	v_cndmask_b32_e64 v2, v0, v20, s[38:39]
	v_cndmask_b32_e64 v0, v75, v78, s[16:17]
	;; [unrolled: 1-line block ×3, first 2 shown]
	s_mov_b64 s[28:29], s[12:13]
	v_cndmask_b32_e64 v50, v29, v10, s[34:35]
	v_cndmask_b32_e64 v0, v0, v16, s[28:29]
	s_mov_b64 s[34:35], s[14:15]
	v_cndmask_b32_e64 v32, v28, v10, s[96:97]
	v_cndmask_b32_e64 v0, v0, v123, s[34:35]
	s_mov_b64 s[96:97], s[18:19]
	v_cndmask_b32_e64 v0, v0, v125, s[96:97]
	s_mov_b64 s[6:7], s[20:21]
	;; [unrolled: 2-line block ×4, first 2 shown]
	v_writelane_b32 v126, s1, 62
	v_cndmask_b32_e64 v0, v0, v69, s[12:13]
	s_mov_b64 s[14:15], s[26:27]
	v_cndmask_b32_e64 v0, v0, v70, s[14:15]
	s_mov_b64 s[18:19], s[30:31]
	v_readlane_b32 s20, v126, 51
	v_cndmask_b32_e64 v0, v0, v71, s[18:19]
	v_readlane_b32 s21, v126, 52
	v_readlane_b32 s22, v126, 53
	v_readlane_b32 s23, v126, 54
	v_cndmask_b32_e64 v0, v0, v72, s[20:21]
	v_readlane_b32 s88, v126, 55
	v_cndmask_b32_e64 v0, v0, v19, s[22:23]
	v_readlane_b32 s89, v126, 56
	v_readlane_b32 s26, v126, 45
	v_readlane_b32 s27, v126, 46
	v_cndmask_b32_e64 v0, v0, v73, s[88:89]
	;; [unrolled: 6-line block ×3, first 2 shown]
	ds_bpermute_b32 v0, v120, v0
	v_cndmask_b32_e64 v66, v27, v10, s[4:5]
	v_cndmask_b32_e64 v96, v96, v11, s[4:5]
	s_mov_b64 s[4:5], s[46:47]
	s_mov_b64 s[46:47], s[50:51]
	s_waitcnt lgkmcnt(0)
	v_cndmask_b32_e64 v18, v18, v0, s[30:31]
	v_cndmask_b32_e64 v21, v74, v0, s[26:27]
	;; [unrolled: 1-line block ×18, first 2 shown]
	s_mov_b64 s[50:51], s[54:55]
	v_cndmask_b32_e64 v69, v69, v16, s[50:51]
	s_mov_b64 s[54:55], s[58:59]
	v_cndmask_b32_e64 v69, v69, v30, s[54:55]
	;; [unrolled: 2-line block ×9, first 2 shown]
	s_mov_b64 s[84:85], s[86:87]
	v_readlane_b32 s86, v126, 47
	v_cndmask_b32_e64 v69, v69, v19, s[84:85]
	v_readlane_b32 s87, v126, 48
	v_readlane_b32 s0, v126, 49
	;; [unrolled: 1-line block ×3, first 2 shown]
	v_cndmask_b32_e64 v69, v69, v22, s[86:87]
	v_cndmask_b32_e64 v69, v69, v21, s[98:99]
	;; [unrolled: 1-line block ×3, first 2 shown]
	ds_bpermute_b32 v69, v120, v69
	s_mov_b64 s[24:25], s[18:19]
	s_mov_b64 s[18:19], s[10:11]
	v_readlane_b32 s10, v126, 61
	v_readlane_b32 s11, v126, 62
	s_waitcnt lgkmcnt(0)
	v_cndmask_b32_e64 v18, v18, v69, s[0:1]
	v_cndmask_b32_e64 v21, v21, v69, s[98:99]
	;; [unrolled: 1-line block ×30, first 2 shown]
	v_cndmask_b32_e32 v0, v0, v18, vcc
	ds_bpermute_b32 v78, v120, v0
	s_mov_b64 s[94:95], s[26:27]
	s_mov_b64 s[26:27], s[20:21]
	;; [unrolled: 1-line block ×4, first 2 shown]
	s_waitcnt lgkmcnt(0)
	v_cndmask_b32_e64 v28, v19, v78, s[72:73]
	v_cndmask_b32_e64 v19, v16, v78, s[40:41]
	;; [unrolled: 1-line block ×9, first 2 shown]
	s_mov_b64 s[90:91], s[30:31]
	s_mov_b64 s[30:31], s[22:23]
	;; [unrolled: 1-line block ×3, first 2 shown]
	v_cndmask_b32_e64 v16, v16, v42, s[20:21]
	v_cndmask_b32_e64 v16, v16, v41, s[22:23]
	;; [unrolled: 1-line block ×6, first 2 shown]
	s_mov_b64 s[14:15], s[94:95]
	v_cndmask_b32_e64 v16, v16, v46, s[14:15]
	s_mov_b64 s[94:95], s[90:91]
	v_cndmask_b32_e64 v16, v16, v47, s[94:95]
	ds_bpermute_b32 v16, v120, v16
	s_mov_b64 s[8:9], s[2:3]
	v_cmp_eq_u32_e64 s[0:1], 0, v119
	v_cndmask_b32_e64 v27, v23, v78, s[68:69]
	v_cndmask_b32_e64 v26, v24, v78, s[64:65]
	s_waitcnt lgkmcnt(0)
	v_cndmask_b32_e64 v47, v47, v16, s[94:95]
	v_cndmask_b32_e64 v46, v46, v16, s[14:15]
	;; [unrolled: 1-line block ×16, first 2 shown]
	s_mov_b64 s[2:3], s[4:5]
	v_cndmask_b32_e64 v49, v16, v33, s[2:3]
	v_cndmask_b32_e64 v49, v49, v34, s[46:47]
	;; [unrolled: 1-line block ×13, first 2 shown]
	v_readlane_b32 s4, v126, 49
	v_cndmask_b32_e64 v49, v49, v46, s[98:99]
	v_readlane_b32 s5, v126, 50
	s_mov_b64 s[14:15], s[6:7]
	s_mov_b64 s[6:7], s[10:11]
	v_cndmask_b32_e64 v49, v49, v47, s[4:5]
	ds_bpermute_b32 v49, v120, v49
	v_cndmask_b32_e64 v0, v65, v20, s[0:1]
	v_cndmask_b32_e64 v24, v70, v78, s[56:57]
	;; [unrolled: 1-line block ×3, first 2 shown]
	s_mov_b64 s[88:89], s[98:99]
	s_waitcnt lgkmcnt(0)
	v_cndmask_b32_e64 v47, v47, v49, s[4:5]
	v_cndmask_b32_e64 v46, v46, v49, s[98:99]
	;; [unrolled: 1-line block ×21, first 2 shown]
	s_mov_b64 s[98:99], s[86:87]
	s_mov_b64 s[86:87], s[84:85]
	;; [unrolled: 1-line block ×10, first 2 shown]
	v_cndmask_b32_e64 v16, v16, v71, s[48:49]
	s_mov_b64 s[54:55], s[52:53]
	v_cndmask_b32_e64 v16, v16, v70, s[54:55]
	v_cndmask_b32_e64 v16, v16, v65, s[56:57]
	;; [unrolled: 1-line block ×8, first 2 shown]
	v_cndmask_b32_e32 v15, v81, v20, vcc
	v_cndmask_b32_e32 v31, v18, v78, vcc
	v_writelane_b32 v126, vcc_lo, 63
	v_cndmask_b32_e64 v29, v22, v78, s[76:77]
	v_cndmask_b32_e64 v22, v72, v78, s[48:49]
	v_cndmask_b32_e32 v16, v16, v47, vcc
	ds_bpermute_b32 v72, v120, v16
	s_mov_b64 s[4:5], s[2:3]
	s_mov_b64 s[2:3], s[12:13]
	v_cndmask_b32_e64 v16, v69, v78, s[0:1]
	s_mov_b64 s[90:91], s[0:1]
	s_waitcnt lgkmcnt(0)
	v_cndmask_b32_e64 v42, v40, v72, s[64:65]
	v_cndmask_b32_e64 v40, v65, v72, s[56:57]
	;; [unrolled: 1-line block ×7, first 2 shown]
	s_mov_b64 s[0:1], s[14:15]
	v_cndmask_b32_e64 v65, v65, v57, s[0:1]
	s_mov_b64 s[10:11], s[18:19]
	v_cndmask_b32_e64 v65, v65, v56, s[10:11]
	;; [unrolled: 2-line block ×6, first 2 shown]
	s_mov_b64 s[22:23], s[30:31]
	v_readlane_b32 s24, v126, 55
	scratch_store_dword off, v13, off offset:12 ; 4-byte Folded Spill
	v_cndmask_b32_e64 v14, v82, v20, s[80:81]
	v_cndmask_b32_e64 v13, v83, v20, s[76:77]
	;; [unrolled: 1-line block ×19, first 2 shown]
	s_mov_b64 s[52:53], s[44:45]
	v_cndmask_b32_e64 v36, v36, v72, s[42:43]
	s_mov_b64 s[44:45], s[42:43]
	v_cndmask_b32_e64 v35, v35, v72, s[40:41]
	;; [unrolled: 2-line block ×5, first 2 shown]
	v_readlane_b32 s25, v126, 56
	v_readlane_b32 s36, v126, 45
	;; [unrolled: 1-line block ×3, first 2 shown]
	v_cndmask_b32_e64 v65, v65, v50, s[24:25]
	s_mov_b64 s[26:27], s[22:23]
	v_cndmask_b32_e64 v65, v65, v32, s[36:37]
	v_cndmask_b32_e64 v65, v65, v66, s[94:95]
	ds_bpermute_b32 v65, v120, v65
	v_cndmask_b32_e64 v25, v25, v78, s[60:61]
	v_cndmask_b32_e64 v44, v38, v72, s[72:73]
	;; [unrolled: 1-line block ×4, first 2 shown]
	s_waitcnt lgkmcnt(0)
	v_cndmask_b32_e64 v62, v62, v65, s[16:17]
	v_cndmask_b32_e64 v63, v63, v65, s[8:9]
	;; [unrolled: 1-line block ×28, first 2 shown]
	s_mov_b64 s[22:23], s[18:19]
	s_mov_b64 s[18:19], s[12:13]
	;; [unrolled: 1-line block ×4, first 2 shown]
	v_cndmask_b32_e64 v65, v65, v50, s[98:99]
	v_readlane_b32 s8, v126, 49
	v_cndmask_b32_e64 v65, v65, v32, s[88:89]
	v_readlane_b32 s9, v126, 50
	v_cndmask_b32_e64 v38, v71, v72, s[48:49]
	v_writelane_b32 v127, vcc_hi, 0
	v_cndmask_b32_e64 v65, v65, v66, s[8:9]
	ds_bpermute_b32 v65, v120, v65
	v_cndmask_b32_e32 v47, v47, v72, vcc
	v_cndmask_b32_e64 v46, v46, v72, s[80:81]
	s_mov_b64 vcc, s[80:81]
	v_cndmask_b32_e64 v45, v45, v72, s[76:77]
	s_waitcnt lgkmcnt(0)
	v_cndmask_b32_e64 v66, v66, v65, s[8:9]
	v_cndmask_b32_e64 v69, v32, v65, s[88:89]
	;; [unrolled: 1-line block ×22, first 2 shown]
	s_mov_b64 s[80:81], s[76:77]
	s_mov_b64 s[76:77], s[72:73]
	;; [unrolled: 1-line block ×4, first 2 shown]
	v_cndmask_b32_e64 v41, v41, v72, s[60:61]
	s_mov_b64 s[64:65], s[60:61]
	s_mov_b64 s[60:61], s[56:57]
	v_cndmask_b32_e64 v32, v32, v70, s[54:55]
	v_cndmask_b32_e64 v32, v32, v55, s[60:61]
	;; [unrolled: 1-line block ×7, first 2 shown]
	v_readlane_b32 s56, v126, 63
	v_cndmask_b32_e32 v32, v32, v69, vcc
	v_readlane_b32 s57, v127, 0
	s_mov_b64 s[30:31], s[24:25]
	s_mov_b64 s[24:25], s[20:21]
	v_cndmask_b32_e64 v32, v32, v66, s[56:57]
	ds_bpermute_b32 v82, v120, v32
	s_mov_b64 s[20:21], s[14:15]
	s_mov_b64 s[14:15], s[10:11]
	;; [unrolled: 1-line block ×4, first 2 shown]
	s_waitcnt lgkmcnt(0)
	v_cndmask_b32_e64 v63, v66, v82, s[56:57]
	v_cndmask_b32_e64 v66, v79, v48, s[16:17]
	;; [unrolled: 1-line block ×5, first 2 shown]
	s_mov_b64 s[6:7], s[90:91]
	s_mov_b64 s[90:91], s[56:57]
	v_cndmask_b32_e64 v66, v66, v121, s[96:97]
	s_mov_b64 s[56:57], s[12:13]
	v_cndmask_b32_e64 v66, v66, v80, s[56:57]
	;; [unrolled: 2-line block ×10, first 2 shown]
	v_cndmask_b32_e64 v66, v66, v96, s[94:95]
	ds_bpermute_b32 v66, v120, v66
	v_writelane_b32 v127, s6, 1
	v_cndmask_b32_e32 v62, v69, v82, vcc
	v_cndmask_b32_e64 v61, v50, v82, s[80:81]
	v_writelane_b32 v127, s7, 2
	v_cndmask_b32_e64 v32, v49, v72, s[6:7]
	v_cndmask_b32_e64 v60, v51, v82, s[76:77]
	;; [unrolled: 1-line block ×13, first 2 shown]
	s_waitcnt lgkmcnt(0)
	v_cndmask_b32_e64 v69, v96, v66, s[94:95]
	v_cndmask_b32_e64 v70, v95, v66, s[30:31]
	;; [unrolled: 1-line block ×16, first 2 shown]
	v_writelane_b32 v127, s4, 3
	s_mov_b64 s[0:1], s[88:89]
	scratch_load_dwordx2 v[118:119], off, off ; 8-byte Folded Reload
	v_writelane_b32 v127, s5, 4
	v_cndmask_b32_e64 v79, v66, v48, s[4:5]
	v_writelane_b32 v127, s46, 5
	v_readlane_b32 s36, v126, 23
	v_readlane_b32 s37, v126, 24
	v_cndmask_b32_e64 v79, v79, v77, s[46:47]
	v_cndmask_b32_e64 v79, v79, v76, s[50:51]
	;; [unrolled: 1-line block ×14, first 2 shown]
	ds_bpermute_b32 v79, v120, v79
	v_writelane_b32 v127, s47, 6
	s_waitcnt lgkmcnt(0)
	v_cndmask_b32_e64 v86, v80, v79, s[62:63]
	v_cndmask_b32_e64 v90, v48, v79, s[4:5]
	;; [unrolled: 1-line block ×10, first 2 shown]
	s_mov_b64 s[46:47], s[52:53]
	v_cndmask_b32_e64 v85, v78, v79, s[66:67]
	v_cndmask_b32_e64 v48, v48, v86, s[46:47]
	;; [unrolled: 1-line block ×19, first 2 shown]
	v_cndmask_b32_e32 v48, v48, v70, vcc
	v_cndmask_b32_e64 v48, v48, v69, s[90:91]
	ds_bpermute_b32 v81, v120, v48
	v_cndmask_b32_e64 v48, v65, v82, s[6:7]
	v_cndmask_b32_e64 v82, v115, v109, s[16:17]
	;; [unrolled: 1-line block ×4, first 2 shown]
	s_waitcnt lgkmcnt(0)
	v_cndmask_b32_e64 v77, v71, v81, s[80:81]
	v_cndmask_b32_e64 v71, v84, v81, s[54:55]
	scratch_load_dword v84, off, off offset:12 ; 4-byte Folded Reload
	v_cndmask_b32_e64 v74, v72, v81, s[68:69]
	v_cndmask_b32_e64 v72, v83, v81, s[60:61]
	scratch_load_dword v83, off, off offset:8 ; 4-byte Folded Reload
	scratch_load_dword v116, off, off offset:40 ; 4-byte Folded Reload
	;; [unrolled: 1-line block ×4, first 2 shown]
	v_cndmask_b32_e64 v82, v82, v108, s[34:35]
	v_cndmask_b32_e64 v82, v82, v107, s[96:97]
	;; [unrolled: 1-line block ×11, first 2 shown]
	v_cndmask_b32_e32 v78, v70, v81, vcc
	v_cndmask_b32_e64 v76, v67, v81, s[76:77]
	v_cndmask_b32_e64 v75, v68, v81, s[72:73]
	;; [unrolled: 1-line block ×8, first 2 shown]
	s_mov_b64 s[52:53], s[60:61]
	s_mov_b64 s[60:61], s[38:39]
	v_readlane_b32 s39, v126, 44
	v_cndmask_b32_e64 v73, v73, v81, s[64:65]
	s_mov_b32 s6, 0
	s_mov_b32 s7, 0
	v_readlane_b32 s38, v126, 25
	s_waitcnt vmcnt(4)
	v_cndmask_b32_e64 v82, v82, v84, s[30:31]
	s_waitcnt vmcnt(3)
	v_cndmask_b32_e64 v82, v82, v83, s[94:95]
	ds_bpermute_b32 v82, v120, v82
	s_waitcnt lgkmcnt(0)
	v_cndmask_b32_e64 v95, v98, v82, s[10:11]
	v_readlane_b32 s10, v126, 59
	v_cndmask_b32_e64 v91, v105, v82, s[12:13]
	v_readlane_b32 s11, v126, 60
	v_readlane_b32 s12, v127, 3
	v_cndmask_b32_e64 v83, v83, v82, s[94:95]
	v_cndmask_b32_e64 v84, v84, v82, s[30:31]
	;; [unrolled: 1-line block ×14, first 2 shown]
	v_readlane_b32 s13, v127, 4
	v_readlane_b32 s10, v127, 5
	;; [unrolled: 1-line block ×3, first 2 shown]
	v_cndmask_b32_e64 v97, v82, v96, s[12:13]
	v_readlane_b32 s16, v126, 2
	v_cndmask_b32_e64 v97, v97, v95, s[10:11]
	v_cndmask_b32_e64 v97, v97, v64, s[50:51]
	;; [unrolled: 1-line block ×14, first 2 shown]
	ds_bpermute_b32 v97, v120, v97
	v_readlane_b32 s20, v126, 6
	v_readlane_b32 s21, v126, 7
	;; [unrolled: 1-line block ×4, first 2 shown]
	s_waitcnt lgkmcnt(0)
	v_cndmask_b32_e64 v83, v83, v97, s[8:9]
	v_cndmask_b32_e64 v84, v84, v97, s[0:1]
	;; [unrolled: 1-line block ×29, first 2 shown]
	v_cndmask_b32_e32 v64, v64, v84, vcc
	v_cndmask_b32_e64 v64, v64, v83, s[90:91]
	ds_bpermute_b32 v108, v120, v64
	v_readlane_b32 s8, v127, 1
	v_readlane_b32 s9, v127, 2
	;; [unrolled: 1-line block ×4, first 2 shown]
	s_waitcnt lgkmcnt(0)
	v_cndmask_b32_e64 v91, v87, v108, s[72:73]
	v_cndmask_b32_e64 v90, v88, v108, s[68:69]
	;; [unrolled: 1-line block ×4, first 2 shown]
	v_readlane_b32 s52, v126, 26
	v_readlane_b32 s53, v126, 27
	s_mul_i32 s0, s39, s53
	s_ashr_i32 s1, s0, 31
	v_cndmask_b32_e32 v94, v84, v108, vcc
	v_cndmask_b32_e64 v84, v105, v108, s[44:45]
	s_lshl_b64 s[0:1], s[0:1], 1
	v_readlane_b32 s44, v126, 38
	s_add_u32 s2, s20, s0
	v_readlane_b32 s45, v126, 39
	s_addc_u32 s3, s21, s1
	s_ashr_i32 s45, s44, 31
	s_lshl_b64 s[0:1], s[44:45], 1
	s_add_u32 s0, s2, s0
	v_cndmask_b32_e64 v95, v83, v108, s[90:91]
	v_cndmask_b32_e64 v93, v85, v108, s[80:81]
	;; [unrolled: 1-line block ×7, first 2 shown]
	s_addc_u32 s1, s3, s1
	v_readlane_b32 s41, v126, 42
	v_readlane_b32 s42, v126, 40
	v_readlane_b32 s46, v126, 36
	v_readlane_b32 s48, v126, 34
	v_cndmask_b32_e64 v64, v80, v81, s[8:9]
	v_cndmask_b32_e64 v89, v89, v108, s[64:65]
	v_readlane_b32 s54, v126, 28
	v_readlane_b32 s55, v126, 29
	;; [unrolled: 1-line block ×9, first 2 shown]
	v_subrev_u32_e32 v101, s41, v101
	v_cndmask_b32_e64 v81, v96, v108, s[60:61]
	v_cndmask_b32_e64 v80, v97, v108, s[8:9]
	v_lshl_add_u64 v[102:103], s[0:1], 0, v[118:119]
	s_mov_b64 s[0:1], 0
	v_readlane_b32 s11, v126, 0
	v_readlane_b32 s12, v126, 1
	;; [unrolled: 1-line block ×17, first 2 shown]
                                        ; implicit-def: $sgpr2_sgpr3
	s_branch .LBB376_37
.LBB376_36:                             ;   in Loop: Header=BB376_37 Depth=2
	s_or_b64 exec, exec, s[4:5]
	s_and_b64 s[4:5], exec, s[2:3]
	s_or_b64 s[0:1], s[4:5], s[0:1]
	s_andn2_b64 exec, exec, s[0:1]
	s_cbranch_execz .LBB376_39
.LBB376_37:                             ;   Parent Loop BB376_7 Depth=1
                                        ; =>  This Inner Loop Header: Depth=2
	s_and_b32 s4, s7, 2
	s_and_b32 s5, s6, 24
	s_or_b32 s4, s5, s4
	s_waitcnt vmcnt(0)
	v_or_b32_e32 v96, s4, v121
	v_add_u32_e32 v97, s92, v96
	v_cmp_gt_u32_e32 vcc, 32, v97
	s_or_b64 s[2:3], s[2:3], exec
	s_and_saveexec_b64 s[4:5], vcc
	s_cbranch_execz .LBB376_36
; %bb.38:                               ;   in Loop: Header=BB376_37 Depth=2
	s_add_i32 s10, s7, 1
	s_set_gpr_idx_on s7, gpr_idx(SRC0)
	v_mov_b32_e32 v97, v0
	s_set_gpr_idx_off
	v_cvt_f16_f32_e32 v98, v97
	s_set_gpr_idx_on s10, gpr_idx(SRC0)
	v_mov_b32_e32 v97, v0
	s_set_gpr_idx_off
	v_cvt_f16_f32_sdwa v99, v97 dst_sel:WORD_1 dst_unused:UNUSED_PAD src0_sel:DWORD
	v_mul_lo_u32 v96, v96, s53
	v_ashrrev_i32_e32 v97, 31, v96
	v_lshl_add_u64 v[96:97], v[96:97], 1, v[102:103]
	v_or_b32_e32 v98, v99, v98
	;;#ASMSTART
	global_atomic_pk_add_f16 v[96:97], v98, off
	
	;;#ASMEND
	s_set_gpr_idx_on s7, gpr_idx(SRC0)
	v_mov_b32_e32 v98, v16
	s_set_gpr_idx_off
	v_cvt_f16_f32_e32 v105, v98
	s_set_gpr_idx_on s10, gpr_idx(SRC0)
	v_mov_b32_e32 v98, v16
	s_set_gpr_idx_off
	v_cvt_f16_f32_sdwa v106, v98 dst_sel:WORD_1 dst_unused:UNUSED_PAD src0_sel:DWORD
	v_lshl_add_u64 v[98:99], v[96:97], 0, 64
	s_mov_b64 s[8:9], 0x80
	s_add_i32 s6, s6, 4
	v_or_b32_e32 v105, v106, v105
	;;#ASMSTART
	global_atomic_pk_add_f16 v[98:99], v105, off
	
	;;#ASMEND
	s_set_gpr_idx_on s7, gpr_idx(SRC0)
	v_mov_b32_e32 v98, v32
	s_set_gpr_idx_off
	v_cvt_f16_f32_e32 v105, v98
	s_set_gpr_idx_on s10, gpr_idx(SRC0)
	v_mov_b32_e32 v98, v32
	s_set_gpr_idx_off
	v_cvt_f16_f32_sdwa v106, v98 dst_sel:WORD_1 dst_unused:UNUSED_PAD src0_sel:DWORD
	v_lshl_add_u64 v[98:99], v[96:97], 0, s[8:9]
	s_mov_b64 s[8:9], 0xc0
	v_or_b32_e32 v105, v106, v105
	;;#ASMSTART
	global_atomic_pk_add_f16 v[98:99], v105, off
	
	;;#ASMEND
	s_set_gpr_idx_on s7, gpr_idx(SRC0)
	v_mov_b32_e32 v98, v48
	s_set_gpr_idx_off
	v_cvt_f16_f32_e32 v105, v98
	s_set_gpr_idx_on s10, gpr_idx(SRC0)
	v_mov_b32_e32 v98, v48
	s_set_gpr_idx_off
	v_cvt_f16_f32_sdwa v106, v98 dst_sel:WORD_1 dst_unused:UNUSED_PAD src0_sel:DWORD
	v_lshl_add_u64 v[98:99], v[96:97], 0, s[8:9]
	s_mov_b64 s[8:9], 0x100
	;; [unrolled: 15-line block ×3, first 2 shown]
	v_lshl_add_u64 v[96:97], v[96:97], 0, s[8:9]
	v_or_b32_e32 v105, v106, v105
	;;#ASMSTART
	global_atomic_pk_add_f16 v[98:99], v105, off
	
	;;#ASMEND
	s_set_gpr_idx_on s7, gpr_idx(SRC0)
	v_mov_b32_e32 v98, v80
	s_set_gpr_idx_off
	v_cvt_f16_f32_e32 v98, v98
	s_set_gpr_idx_on s10, gpr_idx(SRC0)
	v_mov_b32_e32 v99, v80
	s_set_gpr_idx_off
	s_add_i32 s7, s7, 2
	v_cvt_f16_f32_sdwa v99, v99 dst_sel:WORD_1 dst_unused:UNUSED_PAD src0_sel:DWORD
	s_cmp_eq_u32 s7, 16
	s_cselect_b64 s[8:9], -1, 0
	s_andn2_b64 s[2:3], s[2:3], exec
	s_and_b64 s[8:9], s[8:9], exec
	s_or_b64 s[2:3], s[2:3], s[8:9]
	v_or_b32_e32 v98, v99, v98
	;;#ASMSTART
	global_atomic_pk_add_f16 v[96:97], v98, off
	
	;;#ASMEND
	s_branch .LBB376_36
.LBB376_39:                             ;   in Loop: Header=BB376_7 Depth=1
	s_or_b64 exec, exec, s[0:1]
	scratch_load_dword v14, off, off offset:32 ; 4-byte Folded Reload
	scratch_load_dword v100, off, off offset:36 ; 4-byte Folded Reload
	scratch_load_dwordx2 v[16:17], off, off offset:80 ; 8-byte Folded Reload
	scratch_load_dword v15, off, off offset:96 ; 4-byte Folded Reload
.LBB376_40:                             ;   in Loop: Header=BB376_7 Depth=1
	s_or_b64 exec, exec, s[48:49]
.LBB376_41:                             ;   in Loop: Header=BB376_7 Depth=1
	s_andn2_saveexec_b64 s[0:1], s[46:47]
	s_cbranch_execz .LBB376_50
; %bb.42:                               ;   in Loop: Header=BB376_7 Depth=1
	s_mul_i32 s10, s41, 6
	v_cmp_gt_i32_e32 vcc, s10, v101
	s_and_saveexec_b64 s[2:3], vcc
	s_cbranch_execz .LBB376_49
; %bb.43:                               ;   in Loop: Header=BB376_7 Depth=1
	scratch_load_dwordx2 v[0:1], off, off offset:88 ; 8-byte Folded Reload
	s_mul_i32 s4, s44, s55
	s_ashr_i32 s5, s4, 31
	s_add_u32 s4, s18, s4
	s_addc_u32 s5, s19, s5
	s_ashr_i32 s6, s40, 31
	s_add_u32 s4, s4, s40
	s_addc_u32 s5, s5, s6
	s_waitcnt vmcnt(0)
	v_lshl_add_u64 v[0:1], s[4:5], 0, v[0:1]
	v_lshl_add_u64 v[8:9], v[0:1], 0, v[16:17]
	s_mov_b64 s[4:5], 0
	s_branch .LBB376_45
.LBB376_44:                             ;   in Loop: Header=BB376_45 Depth=2
	s_or_b64 exec, exec, s[6:7]
	v_lshl_or_b32 v12, v10, 11, v15
	;;#ASMSTART
	s_waitcnt vmcnt(1)
	;;#ASMEND
	ds_write2_b32 v12, v4, v5 offset1:32
	ds_write2_b32 v12, v6, v7 offset0:64 offset1:96
	v_add_u32_e32 v4, 0x400, v12
	v_add_u32_e32 v101, s58, v101
	;;#ASMSTART
	s_waitcnt vmcnt(0)
	;;#ASMEND
	ds_write2_b32 v4, v0, v1 offset1:32
	ds_write2_b32 v4, v2, v3 offset0:64 offset1:96
	v_add_u32_e32 v0, 1, v111
	v_add_u32_e32 v104, s58, v10
	v_cmp_le_i32_e32 vcc, s10, v101
	ds_write_b32 v11, v0 offset:16
	v_add_u32_e32 v0, 2, v111
	s_or_b64 s[4:5], vcc, s[4:5]
	v_cmp_lt_i32_e32 vcc, 5, v104
	s_nop 1
	v_cndmask_b32_e32 v111, v111, v0, vcc
	s_andn2_b64 exec, exec, s[4:5]
	s_cbranch_execz .LBB376_48
.LBB376_45:                             ;   Parent Loop BB376_7 Depth=1
                                        ; =>  This Loop Header: Depth=2
                                        ;       Child Loop BB376_47 Depth 3
	v_cmp_gt_i32_e32 vcc, 6, v104
	s_mov_b32 s6, 0x2aaaaaab
	s_nop 0
	v_cndmask_b32_e64 v0, -6, 0, vcc
	v_add_u32_e32 v10, v0, v104
	v_mul_hi_i32 v0, v101, s6
	v_lshrrev_b32_e32 v1, 31, v0
	v_add_u32_e32 v0, v0, v1
	v_mul_lo_u32 v1, v0, 6
	v_sub_u32_e32 v2, v101, v1
	v_lshlrev_b32_e32 v0, 6, v0
	v_ashrrev_i32_e32 v1, 31, v0
	v_mul_lo_u32 v2, s31, v2
	v_lshl_add_u64 v[0:1], v[8:9], 0, v[0:1]
	v_ashrrev_i32_e32 v3, 31, v2
	v_lshl_add_u64 v[0:1], v[0:1], 0, v[2:3]
	v_lshlrev_b32_e32 v11, 2, v10
	;;#ASMSTART
	global_load_dwordx4 v[4:7], v[0:1], off offset:0   sc0 sc1 nt  
	global_load_dwordx4 v[0:3], v[0:1], off offset:32  sc0 sc1 nt  
	
	;;#ASMEND
	ds_read_b32 v12, v11 offset:20496
	v_add_u32_e32 v11, 0x5000, v11
	s_waitcnt lgkmcnt(0)
	v_cmp_ne_u32_e32 vcc, v12, v111
	s_and_saveexec_b64 s[6:7], vcc
	s_cbranch_execz .LBB376_44
; %bb.46:                               ;   in Loop: Header=BB376_45 Depth=2
	s_mov_b64 s[8:9], 0
.LBB376_47:                             ;   Parent Loop BB376_7 Depth=1
                                        ;     Parent Loop BB376_45 Depth=2
                                        ; =>    This Inner Loop Header: Depth=3
	;;#ASMSTART
	s_sleep 0
	;;#ASMEND
	ds_read_b32 v12, v11 offset:16
	s_waitcnt lgkmcnt(0)
	v_cmp_eq_u32_e32 vcc, v12, v111
	s_or_b64 s[8:9], vcc, s[8:9]
	s_andn2_b64 exec, exec, s[8:9]
	s_cbranch_execnz .LBB376_47
	s_branch .LBB376_44
.LBB376_48:                             ;   in Loop: Header=BB376_7 Depth=1
	s_or_b64 exec, exec, s[4:5]
.LBB376_49:                             ;   in Loop: Header=BB376_7 Depth=1
	s_or_b64 exec, exec, s[2:3]
	v_subrev_u32_e32 v101, s10, v101
.LBB376_50:                             ;   in Loop: Header=BB376_7 Depth=1
	s_or_b64 exec, exec, s[0:1]
.LBB376_51:                             ;   in Loop: Header=BB376_7 Depth=1
	s_andn2_saveexec_b64 s[0:1], s[42:43]
	s_cbranch_execz .LBB376_6
; %bb.52:                               ;   in Loop: Header=BB376_7 Depth=1
	s_lshl_b32 s10, s41, 2
	v_cmp_gt_i32_e32 vcc, s10, v101
	s_and_saveexec_b64 s[2:3], vcc
	s_cbranch_execz .LBB376_5
; %bb.53:                               ;   in Loop: Header=BB376_7 Depth=1
	s_mul_i32 s4, s39, s54
	s_ashr_i32 s5, s4, 31
	s_add_u32 s4, s16, s4
	s_addc_u32 s5, s17, s5
	s_ashr_i32 s6, s40, 31
	s_add_u32 s4, s4, s40
	s_addc_u32 s5, s5, s6
	s_waitcnt vmcnt(2)
	v_add_u32_e32 v2, s92, v100
	s_movk_i32 s6, 0x80
	v_mul_lo_u32 v0, s54, v100
	v_cmp_gt_u32_e32 vcc, s6, v2
	v_sub_u32_e32 v10, 0x7f, v2
	s_nop 0
	v_cndmask_b32_e32 v0, 0, v0, vcc
	v_ashrrev_i32_e32 v1, 31, v0
	v_lshl_add_u64 v[0:1], s[4:5], 0, v[0:1]
	s_waitcnt vmcnt(1)
	v_lshl_add_u64 v[8:9], v[0:1], 0, v[16:17]
	s_mov_b64 s[4:5], 0
	s_branch .LBB376_55
.LBB376_54:                             ;   in Loop: Header=BB376_55 Depth=2
	s_or_b64 exec, exec, s[6:7]
	v_lshl_add_u32 v13, v11, 11, v124
	;;#ASMSTART
	s_waitcnt vmcnt(1)
	;;#ASMEND
	ds_write2_b32 v13, v4, v5 offset1:32
	ds_write2_b32 v13, v6, v7 offset0:64 offset1:96
	v_add_u32_e32 v4, 0x400, v13
	v_add_u32_e32 v101, s57, v101
	;;#ASMSTART
	s_waitcnt vmcnt(0)
	;;#ASMEND
	ds_write2_b32 v4, v0, v1 offset1:32
	ds_write2_b32 v4, v2, v3 offset0:64 offset1:96
	v_add_u32_e32 v0, 1, v111
	v_add_u32_e32 v104, s57, v11
	v_cmp_le_i32_e32 vcc, s10, v101
	ds_write_b32 v12, v0
	v_add_u32_e32 v0, 2, v111
	s_or_b64 s[4:5], vcc, s[4:5]
	v_cmp_lt_i32_e32 vcc, 3, v104
	s_nop 1
	v_cndmask_b32_e32 v111, v111, v0, vcc
	s_andn2_b64 exec, exec, s[4:5]
	s_cbranch_execz .LBB376_4
.LBB376_55:                             ;   Parent Loop BB376_7 Depth=1
                                        ; =>  This Loop Header: Depth=2
                                        ;       Child Loop BB376_57 Depth 3
	v_cmp_gt_i32_e32 vcc, 4, v104
	s_nop 1
	v_cndmask_b32_e64 v0, -4, 0, vcc
	v_add_u32_e32 v11, v0, v104
	v_ashrrev_i32_e32 v0, 31, v101
	v_lshrrev_b32_e32 v0, 30, v0
	v_add_u32_e32 v0, v101, v0
	v_and_b32_e32 v1, 0x7fffffc, v0
	v_sub_u32_e32 v1, v101, v1
	v_lshlrev_b32_e32 v1, 5, v1
	v_cmp_le_i32_e32 vcc, v1, v10
	v_lshlrev_b32_e32 v0, 4, v0
	v_and_b32_e32 v0, 0xffffffc0, v0
	v_cndmask_b32_e32 v2, 0, v1, vcc
	v_ashrrev_i32_e32 v1, 31, v0
	v_mul_lo_u32 v2, v2, s54
	v_lshl_add_u64 v[0:1], v[8:9], 0, v[0:1]
	v_ashrrev_i32_e32 v3, 31, v2
	v_lshl_add_u64 v[0:1], v[0:1], 0, v[2:3]
	v_lshlrev_b32_e32 v12, 2, v11
	;;#ASMSTART
	global_load_dwordx4 v[4:7], v[0:1], off offset:0   
	global_load_dwordx4 v[0:3], v[0:1], off offset:32  
	
	;;#ASMEND
	ds_read_b32 v13, v12 offset:20480
	v_add_u32_e32 v12, 0x5000, v12
	s_waitcnt lgkmcnt(0)
	v_cmp_ne_u32_e32 vcc, v13, v111
	s_and_saveexec_b64 s[6:7], vcc
	s_cbranch_execz .LBB376_54
; %bb.56:                               ;   in Loop: Header=BB376_55 Depth=2
	s_mov_b64 s[8:9], 0
.LBB376_57:                             ;   Parent Loop BB376_7 Depth=1
                                        ;     Parent Loop BB376_55 Depth=2
                                        ; =>    This Inner Loop Header: Depth=3
	;;#ASMSTART
	s_sleep 0
	;;#ASMEND
	ds_read_b32 v13, v12
	s_waitcnt lgkmcnt(0)
	v_cmp_eq_u32_e32 vcc, v13, v111
	s_or_b64 s[8:9], vcc, s[8:9]
	s_andn2_b64 exec, exec, s[8:9]
	s_cbranch_execnz .LBB376_57
	s_branch .LBB376_54
.LBB376_58:
	s_endpgm
	.section	.rodata,"a",@progbits
	.p2align	6, 0x0
	.amdhsa_kernel _Z19_skinny_gemm_kernelILi4ELi6ELi1ELi32ELi4EEvPKhS1_P6__halfPKfiiiiiiii
		.amdhsa_group_segment_fixed_size 20520
		.amdhsa_private_segment_fixed_size 108
		.amdhsa_kernarg_size 64
		.amdhsa_user_sgpr_count 2
		.amdhsa_user_sgpr_dispatch_ptr 0
		.amdhsa_user_sgpr_queue_ptr 0
		.amdhsa_user_sgpr_kernarg_segment_ptr 1
		.amdhsa_user_sgpr_dispatch_id 0
		.amdhsa_user_sgpr_kernarg_preload_length 0
		.amdhsa_user_sgpr_kernarg_preload_offset 0
		.amdhsa_user_sgpr_private_segment_size 0
		.amdhsa_uses_dynamic_stack 0
		.amdhsa_enable_private_segment 1
		.amdhsa_system_sgpr_workgroup_id_x 1
		.amdhsa_system_sgpr_workgroup_id_y 0
		.amdhsa_system_sgpr_workgroup_id_z 0
		.amdhsa_system_sgpr_workgroup_info 0
		.amdhsa_system_vgpr_workitem_id 0
		.amdhsa_next_free_vgpr 128
		.amdhsa_next_free_sgpr 100
		.amdhsa_accum_offset 128
		.amdhsa_reserve_vcc 1
		.amdhsa_float_round_mode_32 0
		.amdhsa_float_round_mode_16_64 0
		.amdhsa_float_denorm_mode_32 3
		.amdhsa_float_denorm_mode_16_64 3
		.amdhsa_dx10_clamp 1
		.amdhsa_ieee_mode 1
		.amdhsa_fp16_overflow 0
		.amdhsa_tg_split 0
		.amdhsa_exception_fp_ieee_invalid_op 0
		.amdhsa_exception_fp_denorm_src 0
		.amdhsa_exception_fp_ieee_div_zero 0
		.amdhsa_exception_fp_ieee_overflow 0
		.amdhsa_exception_fp_ieee_underflow 0
		.amdhsa_exception_fp_ieee_inexact 0
		.amdhsa_exception_int_div_zero 0
	.end_amdhsa_kernel
	.section	.text._Z19_skinny_gemm_kernelILi4ELi6ELi1ELi32ELi4EEvPKhS1_P6__halfPKfiiiiiiii,"axG",@progbits,_Z19_skinny_gemm_kernelILi4ELi6ELi1ELi32ELi4EEvPKhS1_P6__halfPKfiiiiiiii,comdat
.Lfunc_end376:
	.size	_Z19_skinny_gemm_kernelILi4ELi6ELi1ELi32ELi4EEvPKhS1_P6__halfPKfiiiiiiii, .Lfunc_end376-_Z19_skinny_gemm_kernelILi4ELi6ELi1ELi32ELi4EEvPKhS1_P6__halfPKfiiiiiiii
                                        ; -- End function
	.set _Z19_skinny_gemm_kernelILi4ELi6ELi1ELi32ELi4EEvPKhS1_P6__halfPKfiiiiiiii.num_vgpr, 128
	.set _Z19_skinny_gemm_kernelILi4ELi6ELi1ELi32ELi4EEvPKhS1_P6__halfPKfiiiiiiii.num_agpr, 0
	.set _Z19_skinny_gemm_kernelILi4ELi6ELi1ELi32ELi4EEvPKhS1_P6__halfPKfiiiiiiii.numbered_sgpr, 100
	.set _Z19_skinny_gemm_kernelILi4ELi6ELi1ELi32ELi4EEvPKhS1_P6__halfPKfiiiiiiii.num_named_barrier, 0
	.set _Z19_skinny_gemm_kernelILi4ELi6ELi1ELi32ELi4EEvPKhS1_P6__halfPKfiiiiiiii.private_seg_size, 108
	.set _Z19_skinny_gemm_kernelILi4ELi6ELi1ELi32ELi4EEvPKhS1_P6__halfPKfiiiiiiii.uses_vcc, 1
	.set _Z19_skinny_gemm_kernelILi4ELi6ELi1ELi32ELi4EEvPKhS1_P6__halfPKfiiiiiiii.uses_flat_scratch, 0
	.set _Z19_skinny_gemm_kernelILi4ELi6ELi1ELi32ELi4EEvPKhS1_P6__halfPKfiiiiiiii.has_dyn_sized_stack, 0
	.set _Z19_skinny_gemm_kernelILi4ELi6ELi1ELi32ELi4EEvPKhS1_P6__halfPKfiiiiiiii.has_recursion, 0
	.set _Z19_skinny_gemm_kernelILi4ELi6ELi1ELi32ELi4EEvPKhS1_P6__halfPKfiiiiiiii.has_indirect_call, 0
	.section	.AMDGPU.csdata,"",@progbits
; Kernel info:
; codeLenInByte = 20700
; TotalNumSgprs: 106
; NumVgprs: 128
; NumAgprs: 0
; TotalNumVgprs: 128
; ScratchSize: 108
; MemoryBound: 0
; FloatMode: 240
; IeeeMode: 1
; LDSByteSize: 20520 bytes/workgroup (compile time only)
; SGPRBlocks: 13
; VGPRBlocks: 15
; NumSGPRsForWavesPerEU: 106
; NumVGPRsForWavesPerEU: 128
; AccumOffset: 128
; Occupancy: 4
; WaveLimiterHint : 0
; COMPUTE_PGM_RSRC2:SCRATCH_EN: 1
; COMPUTE_PGM_RSRC2:USER_SGPR: 2
; COMPUTE_PGM_RSRC2:TRAP_HANDLER: 0
; COMPUTE_PGM_RSRC2:TGID_X_EN: 1
; COMPUTE_PGM_RSRC2:TGID_Y_EN: 0
; COMPUTE_PGM_RSRC2:TGID_Z_EN: 0
; COMPUTE_PGM_RSRC2:TIDIG_COMP_CNT: 0
; COMPUTE_PGM_RSRC3_GFX90A:ACCUM_OFFSET: 31
; COMPUTE_PGM_RSRC3_GFX90A:TG_SPLIT: 0
	.section	.text._Z19_skinny_gemm_kernelILi4ELi6ELi1ELi32ELi8EEvPKhS1_P6__halfPKfiiiiiiii,"axG",@progbits,_Z19_skinny_gemm_kernelILi4ELi6ELi1ELi32ELi8EEvPKhS1_P6__halfPKfiiiiiiii,comdat
	.protected	_Z19_skinny_gemm_kernelILi4ELi6ELi1ELi32ELi8EEvPKhS1_P6__halfPKfiiiiiiii ; -- Begin function _Z19_skinny_gemm_kernelILi4ELi6ELi1ELi32ELi8EEvPKhS1_P6__halfPKfiiiiiiii
	.globl	_Z19_skinny_gemm_kernelILi4ELi6ELi1ELi32ELi8EEvPKhS1_P6__halfPKfiiiiiiii
	.p2align	8
	.type	_Z19_skinny_gemm_kernelILi4ELi6ELi1ELi32ELi8EEvPKhS1_P6__halfPKfiiiiiiii,@function
_Z19_skinny_gemm_kernelILi4ELi6ELi1ELi32ELi8EEvPKhS1_P6__halfPKfiiiiiiii: ; @_Z19_skinny_gemm_kernelILi4ELi6ELi1ELi32ELi8EEvPKhS1_P6__halfPKfiiiiiiii
; %bb.0:
	v_cmp_gt_u32_e32 vcc, 10, v0
	s_and_saveexec_b64 s[4:5], vcc
; %bb.1:
	v_lshlrev_b32_e32 v1, 2, v0
	v_mov_b32_e32 v2, 0
	ds_write_b32 v1, v2 offset:40960
; %bb.2:
	s_or_b64 exec, exec, s[4:5]
	s_load_dwordx8 s[52:59], s[0:1], 0x20
	s_waitcnt lgkmcnt(0)
	s_barrier
	s_add_i32 s3, s52, 0x7f
	s_ashr_i32 s5, s3, 31
	s_add_i32 s4, s53, 0xbf
	s_lshr_b32 s5, s5, 25
	s_mul_hi_i32 s4, s4, 0x2aaaaaab
	s_add_i32 s3, s3, s5
	s_ashr_i32 s11, s3, 7
	s_lshr_b32 s3, s4, 31
	s_ashr_i32 s4, s4, 5
	s_add_i32 s12, s4, s3
	s_mul_i32 s3, s12, s11
	s_mul_i32 s3, s3, s56
	s_add_i32 s4, s3, 0x12f
	s_mul_hi_i32 s4, s4, 0x6bca1af3
	s_lshr_b32 s5, s4, 31
	s_ashr_i32 s4, s4, 7
	s_add_i32 s4, s4, s5
	s_add_i32 s5, s2, 1
	s_mul_i32 s5, s4, s5
	v_cvt_f64_i32_e32 v[2:3], s3
	v_cvt_f64_u32_e32 v[4:5], s5
	v_min_f64 v[2:3], v[2:3], v[4:5]
	v_cvt_i32_f64_e32 v22, v[2:3]
	s_mul_i32 s33, s4, s2
	v_cmp_ge_i32_e32 vcc, s33, v22
	s_cbranch_vccnz .LBB377_58
; %bb.3:
	s_load_dwordx8 s[16:23], s[0:1], 0x0
	v_lshrrev_b32_e32 v1, 6, v0
	s_add_i32 s0, s58, s57
	v_cmp_le_i32_e64 s[14:15], s0, v1
	v_mov_b32_e32 v2, s57
	v_cmp_le_i32_e64 s[24:25], s57, v1
	v_mov_b32_e32 v3, s58
	v_cndmask_b32_e64 v3, 0, v3, s[14:15]
	v_cndmask_b32_e64 v2, 0, v2, s[24:25]
	s_abs_i32 s1, s56
	v_add_u32_e32 v2, v2, v3
	v_cvt_f32_u32_e32 v3, s1
	v_sub_u32_e32 v104, v1, v2
	s_ashr_i32 s2, s54, 31
	s_lshr_b32 s2, s2, 25
	v_rcp_iflag_f32_e32 v2, v3
	s_sub_i32 s5, 0, s1
	s_add_i32 s2, s54, s2
	s_ashr_i32 s2, s2, 7
	v_mul_f32_e32 v2, 0x4f7ffffe, v2
	v_cvt_u32_f32_e32 v2, v2
	s_abs_i32 s4, s2
	s_xor_b32 s3, s2, s56
	s_ashr_i32 s3, s3, 31
	v_readfirstlane_b32 s6, v2
	s_mul_i32 s5, s5, s6
	s_mul_hi_u32 s5, s6, s5
	s_add_i32 s6, s6, s5
	s_mul_hi_u32 s5, s4, s6
	s_mul_i32 s6, s5, s1
	s_sub_i32 s4, s4, s6
	s_add_i32 s6, s5, 1
	s_sub_i32 s7, s4, s1
	s_cmp_ge_u32 s4, s1
	s_cselect_b32 s5, s6, s5
	s_cselect_b32 s4, s7, s4
	s_add_i32 s6, s5, 1
	s_cmp_ge_u32 s4, s1
	s_cselect_b32 s1, s6, s5
	s_add_i32 s0, s0, s59
	v_and_b32_e32 v121, 31, v0
	v_lshrrev_b32_e32 v2, 3, v0
	v_cmp_gt_i32_e64 s[28:29], s0, v1
	v_lshlrev_b32_e32 v1, 2, v121
	v_and_b32_e32 v3, 4, v2
	v_lshlrev_b32_e32 v2, 6, v3
	v_or_b32_e32 v4, 0x6000, v1
	v_or_b32_e32 v123, v4, v2
	v_or_b32_e32 v2, v1, v2
	v_and_b32_e32 v5, 1, v0
	scratch_store_dword off, v2, off        ; 4-byte Folded Spill
	v_lshlrev_b32_e32 v2, 1, v5
	v_sub_u32_e32 v2, v0, v2
	v_add_u32_e32 v2, 1, v2
	v_and_b32_e32 v6, 63, v2
	v_bitop3_b32 v2, v0, 1, v0 bitop3:0xc
	scratch_store_dword off, v2, off offset:40 ; 4-byte Folded Spill
	v_bitop3_b32 v2, v0, 3, 1 bitop3:0x6c
	scratch_store_dword off, v2, off offset:44 ; 4-byte Folded Spill
	;; [unrolled: 2-line block ×5, first 2 shown]
	v_bitop3_b32 v2, v0, 11, 1 bitop3:0x6c
	v_lshrrev_b32_e32 v7, 1, v0
	s_abs_i32 s30, s11
                                        ; implicit-def: $vgpr126 : SGPR spill to VGPR lane
	scratch_store_dword off, v2, off offset:60 ; 4-byte Folded Spill
	v_bitop3_b32 v2, v0, 13, 1 bitop3:0x6c
	v_and_b32_e32 v24, 16, v7
	v_cvt_f32_u32_e32 v7, s30
	v_writelane_b32 v126, s11, 0
	scratch_store_dword off, v2, off offset:64 ; 4-byte Folded Spill
	v_bitop3_b32 v2, v0, 15, 1 bitop3:0x6c
	v_writelane_b32 v126, s12, 1
	scratch_store_dword off, v2, off offset:68 ; 4-byte Folded Spill
	v_and_b32_e32 v2, 30, v0
	v_lshlrev_b32_e32 v0, 4, v0
	s_waitcnt lgkmcnt(0)
	v_writelane_b32 v126, s16, 2
	v_and_b32_e32 v0, 0x200, v0
	v_or_b32_e32 v23, v1, v0
	v_writelane_b32 v126, s17, 3
	v_rcp_iflag_f32_e32 v1, v7
	v_writelane_b32 v126, s18, 4
	v_writelane_b32 v126, s19, 5
	;; [unrolled: 1-line block ×3, first 2 shown]
	s_abs_i32 s34, s12
	v_writelane_b32 v126, s21, 7
	v_or_b32_e32 v118, v4, v0
	v_mul_f32_e32 v0, 0x4f7ffffe, v1
	v_cvt_f32_u32_e32 v1, s34
	v_writelane_b32 v126, s22, 8
	v_writelane_b32 v126, s23, 9
	v_cndmask_b32_e64 v119, 0, 1, s[14:15]
	v_writelane_b32 v126, s14, 10
	s_xor_b32 s1, s1, s3
	v_cvt_u32_f32_e32 v0, v0
	v_writelane_b32 v126, s15, 11
	v_rcp_iflag_f32_e32 v1, v1
	v_writelane_b32 v126, s24, 12
	s_sub_i32 s13, s1, s3
	s_add_i32 s26, s56, -1
	v_writelane_b32 v126, s25, 13
	s_mul_i32 s1, s13, s26
	v_writelane_b32 v126, s13, 14
	s_sub_i32 s27, s2, s1
	v_writelane_b32 v126, s26, 15
	v_readfirstlane_b32 s1, v0
	v_mul_f32_e32 v0, 0x4f7ffffe, v1
	v_writelane_b32 v126, s27, 16
	v_cvt_u32_f32_e32 v0, v0
	v_writelane_b32 v126, s28, 17
	s_sub_i32 s0, 0, s30
	s_lshl_b32 s31, s55, 5
	v_writelane_b32 v126, s29, 18
	s_mul_i32 s0, s0, s1
	v_writelane_b32 v126, s30, 19
	s_mul_hi_u32 s0, s1, s0
	v_writelane_b32 v126, s31, 20
	s_ashr_i32 s35, s11, 31
	s_add_i32 s36, s1, s0
	s_sub_i32 s0, 0, s34
	v_readfirstlane_b32 s1, v0
	v_writelane_b32 v126, s34, 21
	s_mul_i32 s0, s0, s1
	v_writelane_b32 v126, s35, 22
	s_ashr_i32 s37, s12, 31
	s_mul_hi_u32 s0, s1, s0
	v_writelane_b32 v126, s36, 23
	s_add_i32 s38, s1, s0
	v_writelane_b32 v126, s37, 24
	v_writelane_b32 v126, s38, 25
	v_mul_lo_u32 v8, s55, v121
	v_writelane_b32 v126, s52, 26
	v_mbcnt_lo_u32_b32 v0, -1, 0
	v_mbcnt_hi_u32_b32 v0, -1, v0
	v_writelane_b32 v126, s53, 27
	v_writelane_b32 v126, s54, 28
	;; [unrolled: 1-line block ×5, first 2 shown]
	v_mov_b32_e32 v107, 0
	v_and_or_b32 v0, v0, 64, v6
	v_writelane_b32 v126, s58, 32
	v_ashrrev_i32_e32 v9, 31, v8
	v_mov_b32_e32 v25, v107
	v_lshlrev_b32_e32 v106, 1, v2
	v_lshlrev_b32_e32 v0, 2, v0
	v_mov_b32_e32 v122, v104
	v_writelane_b32 v126, s59, 33
	scratch_store_dwordx2 off, v[8:9], off offset:80 ; 8-byte Folded Spill
	v_or_b32_e32 v97, v5, v3
	scratch_store_dword off, v0, off offset:96 ; 4-byte Folded Spill
	scratch_store_dword off, v22, off offset:28 ; 4-byte Folded Spill
	;; [unrolled: 1-line block ×4, first 2 shown]
	scratch_store_dwordx2 off, v[24:25], off offset:72 ; 8-byte Folded Spill
	scratch_store_dword off, v23, off offset:88 ; 4-byte Folded Spill
	scratch_store_dword off, v97, off offset:92 ; 4-byte Folded Spill
	s_branch .LBB377_7
.LBB377_4:                              ;   in Loop: Header=BB377_7 Depth=1
	s_or_b64 exec, exec, s[4:5]
.LBB377_5:                              ;   in Loop: Header=BB377_7 Depth=1
	s_or_b64 exec, exec, s[2:3]
	v_subrev_u32_e32 v122, s10, v122
.LBB377_6:                              ;   in Loop: Header=BB377_7 Depth=1
	s_or_b64 exec, exec, s[0:1]
	s_add_i32 s33, s33, 1
	s_waitcnt vmcnt(3)
	v_cmp_ge_i32_e32 vcc, s33, v22
	s_cbranch_vccnz .LBB377_58
.LBB377_7:                              ; =>This Loop Header: Depth=1
                                        ;     Child Loop BB377_13 Depth 2
                                        ;       Child Loop BB377_15 Depth 3
                                        ;       Child Loop BB377_18 Depth 3
	;; [unrolled: 1-line block ×7, first 2 shown]
                                        ;     Child Loop BB377_37 Depth 2
                                        ;     Child Loop BB377_45 Depth 2
                                        ;       Child Loop BB377_47 Depth 3
                                        ;     Child Loop BB377_55 Depth 2
                                        ;       Child Loop BB377_57 Depth 3
	s_abs_i32 s1, s33
	s_mul_hi_u32 s2, s1, s36
	s_mul_i32 s3, s2, s30
	s_ashr_i32 s0, s33, 31
	s_sub_i32 s1, s1, s3
	s_xor_b32 s0, s0, s35
	s_add_i32 s3, s2, 1
	s_sub_i32 s4, s1, s30
	s_cmp_ge_u32 s1, s30
	s_cselect_b32 s2, s3, s2
	s_cselect_b32 s1, s4, s1
	s_add_i32 s3, s2, 1
	s_cmp_ge_u32 s1, s30
	s_cselect_b32 s1, s3, s2
	s_xor_b32 s1, s1, s0
	s_sub_i32 s0, s1, s0
	s_abs_i32 s2, s0
	s_mul_i32 s1, s0, s11
	s_mul_hi_u32 s3, s2, s38
	s_sub_i32 s1, s33, s1
	s_mul_i32 s4, s3, s34
	s_lshl_b32 s39, s1, 7
	s_ashr_i32 s1, s0, 31
	s_sub_i32 s2, s2, s4
	s_xor_b32 s1, s1, s37
	s_add_i32 s4, s3, 1
	s_sub_i32 s5, s2, s34
	s_cmp_ge_u32 s2, s34
	s_cselect_b32 s3, s4, s3
	s_cselect_b32 s2, s5, s2
	s_add_i32 s4, s3, 1
	s_cmp_ge_u32 s2, s34
	s_cselect_b32 s2, s4, s3
	s_xor_b32 s2, s2, s1
	s_sub_i32 s1, s2, s1
	s_mul_i32 s2, s1, s13
	s_lshl_b32 s40, s2, 7
	s_cmp_eq_u32 s1, s26
	s_cselect_b32 s41, s27, s13
	s_sub_i32 s2, s39, s52
	s_addk_i32 s2, 0x80
	s_max_i32 s92, s2, 0
	s_and_saveexec_b64 s[2:3], s[24:25]
	s_xor_b64 s[42:43], exec, s[2:3]
	s_cbranch_execz .LBB377_51
; %bb.8:                                ;   in Loop: Header=BB377_7 Depth=1
	s_mul_i32 s1, s1, s12
	s_sub_i32 s0, s0, s1
	s_mulk_i32 s0, 0xc0
	s_sub_i32 s8, s0, s53
	s_addk_i32 s8, 0xc0
	s_max_i32 s1, s8, 0
	s_sub_i32 s44, s0, s1
	s_and_saveexec_b64 s[0:1], s[14:15]
	s_xor_b64 s[46:47], exec, s[0:1]
	s_cbranch_execz .LBB377_41
; %bb.9:                                ;   in Loop: Header=BB377_7 Depth=1
	s_and_saveexec_b64 s[48:49], s[28:29]
	s_cbranch_execz .LBB377_40
; %bb.10:                               ;   in Loop: Header=BB377_7 Depth=1
	global_load_dword v105, v107, s[22:23]
	v_mov_b32_e32 v95, 0
	v_cmp_gt_i32_e32 vcc, s41, v122
	v_mov_b32_e32 v94, v95
	v_mov_b32_e32 v93, v95
	;; [unrolled: 1-line block ×69, first 2 shown]
	s_waitcnt vmcnt(2)
	v_mov_b32_e32 v25, v95
	v_mov_b32_e32 v24, v95
	s_waitcnt vmcnt(1)
	v_mov_b32_e32 v23, v95
	v_mov_b32_e32 v22, v95
	;; [unrolled: 1-line block ×24, first 2 shown]
	scratch_store_dwordx2 off, v[106:107], off offset:4 ; 8-byte Folded Spill
	s_and_saveexec_b64 s[0:1], vcc
	s_cbranch_execz .LBB377_35
; %bb.11:                               ;   in Loop: Header=BB377_7 Depth=1
	v_mov_b32_e32 v0, 0
	s_mov_b64 s[2:3], 0
	v_mov_b32_e32 v1, v0
	v_mov_b32_e32 v2, v0
	v_mov_b32_e32 v3, v0
	v_mov_b32_e32 v4, v0
	v_mov_b32_e32 v5, v0
	v_mov_b32_e32 v6, v0
	v_mov_b32_e32 v7, v0
	v_mov_b32_e32 v8, v0
	v_mov_b32_e32 v9, v0
	v_mov_b32_e32 v10, v0
	v_mov_b32_e32 v11, v0
	v_mov_b32_e32 v12, v0
	v_mov_b32_e32 v13, v0
	v_mov_b32_e32 v14, v0
	v_mov_b32_e32 v15, v0
	v_mov_b32_e32 v16, v0
	v_mov_b32_e32 v17, v0
	v_mov_b32_e32 v18, v0
	v_mov_b32_e32 v19, v0
	v_mov_b32_e32 v20, v0
	v_mov_b32_e32 v21, v0
	v_mov_b32_e32 v22, v0
	v_mov_b32_e32 v23, v0
	v_mov_b32_e32 v24, v0
	v_mov_b32_e32 v25, v0
	v_mov_b32_e32 v26, v0
	v_mov_b32_e32 v27, v0
	v_mov_b32_e32 v28, v0
	v_mov_b32_e32 v29, v0
	v_mov_b32_e32 v30, v0
	v_mov_b32_e32 v31, v0
	v_mov_b32_e32 v32, v0
	v_mov_b32_e32 v33, v0
	v_mov_b32_e32 v34, v0
	v_mov_b32_e32 v35, v0
	v_mov_b32_e32 v36, v0
	v_mov_b32_e32 v37, v0
	v_mov_b32_e32 v38, v0
	v_mov_b32_e32 v39, v0
	v_mov_b32_e32 v40, v0
	v_mov_b32_e32 v41, v0
	v_mov_b32_e32 v42, v0
	v_mov_b32_e32 v43, v0
	v_mov_b32_e32 v44, v0
	v_mov_b32_e32 v45, v0
	v_mov_b32_e32 v46, v0
	v_mov_b32_e32 v47, v0
	v_mov_b32_e32 v48, v0
	v_mov_b32_e32 v49, v0
	v_mov_b32_e32 v50, v0
	v_mov_b32_e32 v51, v0
	v_mov_b32_e32 v52, v0
	v_mov_b32_e32 v53, v0
	v_mov_b32_e32 v54, v0
	v_mov_b32_e32 v55, v0
	v_mov_b32_e32 v56, v0
	v_mov_b32_e32 v57, v0
	v_mov_b32_e32 v58, v0
	v_mov_b32_e32 v59, v0
	v_mov_b32_e32 v60, v0
	v_mov_b32_e32 v61, v0
	v_mov_b32_e32 v62, v0
	v_mov_b32_e32 v63, v0
	v_mov_b32_e32 v64, v0
	v_mov_b32_e32 v65, v0
	v_mov_b32_e32 v66, v0
	v_mov_b32_e32 v67, v0
	v_mov_b32_e32 v68, v0
	v_mov_b32_e32 v69, v0
	v_mov_b32_e32 v70, v0
	v_mov_b32_e32 v71, v0
	v_mov_b32_e32 v72, v0
	v_mov_b32_e32 v73, v0
	v_mov_b32_e32 v74, v0
	v_mov_b32_e32 v75, v0
	v_mov_b32_e32 v76, v0
	v_mov_b32_e32 v77, v0
	v_mov_b32_e32 v78, v0
	v_mov_b32_e32 v79, v0
	v_mov_b32_e32 v80, v0
	v_mov_b32_e32 v81, v0
	v_mov_b32_e32 v82, v0
	v_mov_b32_e32 v83, v0
	v_mov_b32_e32 v84, v0
	v_mov_b32_e32 v85, v0
	v_mov_b32_e32 v86, v0
	v_mov_b32_e32 v87, v0
	v_mov_b32_e32 v88, v0
	v_mov_b32_e32 v89, v0
	v_mov_b32_e32 v90, v0
	v_mov_b32_e32 v91, v0
	v_mov_b32_e32 v92, v0
	v_mov_b32_e32 v93, v0
	v_mov_b32_e32 v94, v0
	v_mov_b32_e32 v95, v0
	s_waitcnt vmcnt(1)
	scratch_store_dword off, v105, off offset:12 ; 4-byte Folded Spill
	s_branch .LBB377_13
.LBB377_12:                             ;   in Loop: Header=BB377_13 Depth=2
	s_or_b64 exec, exec, s[4:5]
	v_add_u32_e32 v101, 0x5000, v96
	ds_read2_b32 v[98:99], v101 offset1:32
	v_add_u32_e32 v122, s59, v122
	s_waitcnt lgkmcnt(0)
	v_mfma_f32_32x32x16_fp8_fp8 v[0:15], v[116:117], v[98:99], v[0:15]
	ds_read2_b32 v[98:99], v101 offset0:128 offset1:160
	v_add_u32_e32 v101, 0x5400, v96
	s_waitcnt lgkmcnt(0)
	v_mfma_f32_32x32x16_fp8_fp8 v[0:15], v[114:115], v[98:99], v[0:15]
	ds_read2_b32 v[98:99], v101 offset1:32
	s_waitcnt lgkmcnt(0)
	v_mfma_f32_32x32x16_fp8_fp8 v[0:15], v[112:113], v[98:99], v[0:15]
	ds_read2_b32 v[98:99], v101 offset0:128 offset1:160
	v_add_u32_e32 v101, 0x5800, v96
	v_add_u32_e32 v96, 0x5c00, v96
	s_waitcnt lgkmcnt(0)
	v_mfma_f32_32x32x16_fp8_fp8 v[0:15], v[110:111], v[98:99], v[0:15]
	ds_read2_b32 v[98:99], v101 offset1:32
	s_waitcnt lgkmcnt(0)
	v_mfma_f32_32x32x16_fp8_fp8 v[0:15], v[108:109], v[98:99], v[0:15]
	ds_read2_b32 v[98:99], v101 offset0:128 offset1:160
	s_waitcnt lgkmcnt(0)
	v_mfma_f32_32x32x16_fp8_fp8 v[0:15], v[106:107], v[98:99], v[0:15]
	ds_read2_b32 v[98:99], v96 offset1:32
	ds_read2_b32 v[106:107], v96 offset0:128 offset1:160
	v_add_u32_e32 v96, 2, v119
	ds_write_b32 v125, v100 offset:41004
	s_waitcnt lgkmcnt(2)
	v_mfma_f32_32x32x16_fp8_fp8 v[0:15], v[104:105], v[98:99], v[0:15]
	v_add_u32_e32 v104, s59, v124
	v_cmp_lt_i32_e32 vcc, 0, v104
	s_nop 1
	v_cndmask_b32_e32 v119, v119, v96, vcc
	v_cmp_le_i32_e32 vcc, s41, v122
	s_or_b64 s[2:3], vcc, s[2:3]
	s_waitcnt lgkmcnt(1)
	v_mfma_f32_32x32x16_fp8_fp8 v[0:15], v[102:103], v[106:107], v[0:15]
	s_andn2_b64 exec, exec, s[2:3]
	s_cbranch_execz .LBB377_34
.LBB377_13:                             ;   Parent Loop BB377_7 Depth=1
                                        ; =>  This Loop Header: Depth=2
                                        ;       Child Loop BB377_15 Depth 3
                                        ;       Child Loop BB377_18 Depth 3
	;; [unrolled: 1-line block ×7, first 2 shown]
	v_cmp_lt_i32_e32 vcc, 0, v104
	s_nop 1
	v_subbrev_co_u32_e32 v124, vcc, 0, v104, vcc
	v_mul_lo_u32 v125, v124, 48
	ds_read_b32 v96, v125 offset:40960
	s_waitcnt lgkmcnt(0)
	v_cmp_ne_u32_e32 vcc, v96, v119
	s_and_saveexec_b64 s[4:5], vcc
	s_cbranch_execz .LBB377_16
; %bb.14:                               ;   in Loop: Header=BB377_13 Depth=2
	s_mov_b64 s[6:7], 0
.LBB377_15:                             ;   Parent Loop BB377_7 Depth=1
                                        ;     Parent Loop BB377_13 Depth=2
                                        ; =>    This Inner Loop Header: Depth=3
	;;#ASMSTART
	s_sleep 0
	;;#ASMEND
	ds_read_b32 v96, v125 offset:40960
	s_waitcnt lgkmcnt(0)
	v_cmp_eq_u32_e32 vcc, v96, v119
	s_or_b64 s[6:7], vcc, s[6:7]
	s_andn2_b64 exec, exec, s[6:7]
	s_cbranch_execnz .LBB377_15
.LBB377_16:                             ;   in Loop: Header=BB377_13 Depth=2
	s_or_b64 exec, exec, s[4:5]
	v_lshl_add_u32 v96, v124, 12, v123
	v_add_u32_e32 v98, 0x400, v96
	ds_read2_b32 v[116:117], v96 offset1:32
	ds_read2_b32 v[114:115], v96 offset0:128 offset1:160
	ds_read2_b32 v[112:113], v98 offset1:32
	ds_read2_b32 v[110:111], v98 offset0:128 offset1:160
	v_add_u32_e32 v98, 0x800, v96
	v_add_u32_e32 v96, 0xc00, v96
	ds_read2_b32 v[108:109], v98 offset1:32
	ds_read2_b32 v[106:107], v98 offset0:128 offset1:160
	ds_read2_b32 v[104:105], v96 offset1:32
	ds_read_b32 v98, v125 offset:40964
	ds_read2_b32 v[102:103], v96 offset0:128 offset1:160
	v_add_u32_e32 v100, 1, v119
	ds_write_b32 v125, v100 offset:40960
	s_waitcnt lgkmcnt(2)
	v_cmp_ne_u32_e32 vcc, v98, v119
	s_and_saveexec_b64 s[4:5], vcc
	s_cbranch_execz .LBB377_19
; %bb.17:                               ;   in Loop: Header=BB377_13 Depth=2
	s_mov_b64 s[6:7], 0
.LBB377_18:                             ;   Parent Loop BB377_7 Depth=1
                                        ;     Parent Loop BB377_13 Depth=2
                                        ; =>    This Inner Loop Header: Depth=3
	;;#ASMSTART
	s_sleep 0
	;;#ASMEND
	ds_read_b32 v96, v125 offset:40964
	s_waitcnt lgkmcnt(0)
	v_cmp_eq_u32_e32 vcc, v96, v119
	s_or_b64 s[6:7], vcc, s[6:7]
	s_andn2_b64 exec, exec, s[6:7]
	s_cbranch_execnz .LBB377_18
.LBB377_19:                             ;   in Loop: Header=BB377_13 Depth=2
	s_or_b64 exec, exec, s[4:5]
	scratch_load_dword v98, off, off        ; 4-byte Folded Reload
	s_movk_i32 s4, 0x6000
	v_mul_lo_u32 v96, v124, s4
	ds_write_b32 v125, v100 offset:40964
	s_waitcnt vmcnt(0)
	v_or_b32_e32 v96, v98, v96
	ds_read2_b32 v[98:99], v96 offset1:32
	v_add_u32_e32 v101, 0x400, v96
	s_waitcnt lgkmcnt(0)
	v_mfma_f32_32x32x16_fp8_fp8 v[80:95], v[116:117], v[98:99], v[80:95]
	ds_read2_b32 v[98:99], v96 offset0:128 offset1:160
	s_waitcnt lgkmcnt(0)
	v_mfma_f32_32x32x16_fp8_fp8 v[80:95], v[114:115], v[98:99], v[80:95]
	ds_read2_b32 v[98:99], v101 offset1:32
	s_waitcnt lgkmcnt(0)
	v_mfma_f32_32x32x16_fp8_fp8 v[80:95], v[112:113], v[98:99], v[80:95]
	ds_read2_b32 v[98:99], v101 offset0:128 offset1:160
	v_add_u32_e32 v101, 0x800, v96
	s_waitcnt lgkmcnt(0)
	v_mfma_f32_32x32x16_fp8_fp8 v[80:95], v[110:111], v[98:99], v[80:95]
	ds_read2_b32 v[98:99], v101 offset1:32
	s_waitcnt lgkmcnt(0)
	v_mfma_f32_32x32x16_fp8_fp8 v[80:95], v[108:109], v[98:99], v[80:95]
	ds_read2_b32 v[98:99], v101 offset0:128 offset1:160
	v_add_u32_e32 v101, 0xc00, v96
	s_waitcnt lgkmcnt(0)
	v_mfma_f32_32x32x16_fp8_fp8 v[80:95], v[106:107], v[98:99], v[80:95]
	ds_read2_b32 v[98:99], v101 offset1:32
	s_waitcnt lgkmcnt(0)
	v_mfma_f32_32x32x16_fp8_fp8 v[80:95], v[104:105], v[98:99], v[80:95]
	ds_read2_b32 v[98:99], v101 offset0:128 offset1:160
	ds_read_b32 v101, v125 offset:40972
	s_waitcnt lgkmcnt(0)
	v_cmp_ne_u32_e32 vcc, v101, v119
	v_mfma_f32_32x32x16_fp8_fp8 v[80:95], v[102:103], v[98:99], v[80:95]
	s_and_saveexec_b64 s[4:5], vcc
	s_cbranch_execz .LBB377_22
; %bb.20:                               ;   in Loop: Header=BB377_13 Depth=2
	s_mov_b64 s[6:7], 0
.LBB377_21:                             ;   Parent Loop BB377_7 Depth=1
                                        ;     Parent Loop BB377_13 Depth=2
                                        ; =>    This Inner Loop Header: Depth=3
	;;#ASMSTART
	s_sleep 0
	;;#ASMEND
	ds_read_b32 v98, v125 offset:40972
	s_waitcnt lgkmcnt(0)
	v_cmp_eq_u32_e32 vcc, v98, v119
	s_or_b64 s[6:7], vcc, s[6:7]
	s_andn2_b64 exec, exec, s[6:7]
	s_cbranch_execnz .LBB377_21
.LBB377_22:                             ;   in Loop: Header=BB377_13 Depth=2
	s_or_b64 exec, exec, s[4:5]
	v_add_u32_e32 v101, 0x1000, v96
	ds_read2_b32 v[98:99], v101 offset1:32
	s_waitcnt lgkmcnt(0)
	v_mfma_f32_32x32x16_fp8_fp8 v[64:79], v[116:117], v[98:99], v[64:79]
	ds_read2_b32 v[98:99], v101 offset0:128 offset1:160
	v_add_u32_e32 v101, 0x1400, v96
	s_waitcnt lgkmcnt(0)
	v_mfma_f32_32x32x16_fp8_fp8 v[64:79], v[114:115], v[98:99], v[64:79]
	ds_read2_b32 v[98:99], v101 offset1:32
	s_waitcnt lgkmcnt(0)
	v_mfma_f32_32x32x16_fp8_fp8 v[64:79], v[112:113], v[98:99], v[64:79]
	ds_read2_b32 v[98:99], v101 offset0:128 offset1:160
	v_add_u32_e32 v101, 0x1800, v96
	s_waitcnt lgkmcnt(0)
	v_mfma_f32_32x32x16_fp8_fp8 v[64:79], v[110:111], v[98:99], v[64:79]
	ds_read2_b32 v[98:99], v101 offset1:32
	s_waitcnt lgkmcnt(0)
	v_mfma_f32_32x32x16_fp8_fp8 v[64:79], v[108:109], v[98:99], v[64:79]
	ds_read2_b32 v[98:99], v101 offset0:128 offset1:160
	v_add_u32_e32 v101, 0x1c00, v96
	s_waitcnt lgkmcnt(0)
	v_mfma_f32_32x32x16_fp8_fp8 v[64:79], v[106:107], v[98:99], v[64:79]
	ds_read2_b32 v[98:99], v101 offset1:32
	s_waitcnt lgkmcnt(0)
	v_mfma_f32_32x32x16_fp8_fp8 v[64:79], v[104:105], v[98:99], v[64:79]
	ds_read_b32 v120, v125 offset:40980
	ds_read2_b32 v[98:99], v101 offset0:128 offset1:160
	ds_write_b32 v125, v100 offset:40972
	s_waitcnt lgkmcnt(2)
	v_cmp_ne_u32_e32 vcc, v120, v119
	s_waitcnt lgkmcnt(1)
	v_mfma_f32_32x32x16_fp8_fp8 v[64:79], v[102:103], v[98:99], v[64:79]
	s_and_saveexec_b64 s[4:5], vcc
	s_cbranch_execz .LBB377_25
; %bb.23:                               ;   in Loop: Header=BB377_13 Depth=2
	s_mov_b64 s[6:7], 0
.LBB377_24:                             ;   Parent Loop BB377_7 Depth=1
                                        ;     Parent Loop BB377_13 Depth=2
                                        ; =>    This Inner Loop Header: Depth=3
	;;#ASMSTART
	s_sleep 0
	;;#ASMEND
	ds_read_b32 v98, v125 offset:40980
	s_waitcnt lgkmcnt(0)
	v_cmp_eq_u32_e32 vcc, v98, v119
	s_or_b64 s[6:7], vcc, s[6:7]
	s_andn2_b64 exec, exec, s[6:7]
	s_cbranch_execnz .LBB377_24
.LBB377_25:                             ;   in Loop: Header=BB377_13 Depth=2
	s_or_b64 exec, exec, s[4:5]
	v_add_u32_e32 v101, 0x2000, v96
	ds_read2_b32 v[98:99], v101 offset1:32
	s_waitcnt lgkmcnt(0)
	v_mfma_f32_32x32x16_fp8_fp8 v[48:63], v[116:117], v[98:99], v[48:63]
	ds_read2_b32 v[98:99], v101 offset0:128 offset1:160
	v_add_u32_e32 v101, 0x2400, v96
	s_waitcnt lgkmcnt(0)
	v_mfma_f32_32x32x16_fp8_fp8 v[48:63], v[114:115], v[98:99], v[48:63]
	ds_read2_b32 v[98:99], v101 offset1:32
	s_waitcnt lgkmcnt(0)
	v_mfma_f32_32x32x16_fp8_fp8 v[48:63], v[112:113], v[98:99], v[48:63]
	ds_read2_b32 v[98:99], v101 offset0:128 offset1:160
	v_add_u32_e32 v101, 0x2800, v96
	s_waitcnt lgkmcnt(0)
	v_mfma_f32_32x32x16_fp8_fp8 v[48:63], v[110:111], v[98:99], v[48:63]
	ds_read2_b32 v[98:99], v101 offset1:32
	s_waitcnt lgkmcnt(0)
	v_mfma_f32_32x32x16_fp8_fp8 v[48:63], v[108:109], v[98:99], v[48:63]
	ds_read2_b32 v[98:99], v101 offset0:128 offset1:160
	v_add_u32_e32 v101, 0x2c00, v96
	s_waitcnt lgkmcnt(0)
	v_mfma_f32_32x32x16_fp8_fp8 v[48:63], v[106:107], v[98:99], v[48:63]
	ds_read2_b32 v[98:99], v101 offset1:32
	s_waitcnt lgkmcnt(0)
	v_mfma_f32_32x32x16_fp8_fp8 v[48:63], v[104:105], v[98:99], v[48:63]
	ds_read_b32 v120, v125 offset:40988
	ds_read2_b32 v[98:99], v101 offset0:128 offset1:160
	ds_write_b32 v125, v100 offset:40980
	s_waitcnt lgkmcnt(2)
	v_cmp_ne_u32_e32 vcc, v120, v119
	s_waitcnt lgkmcnt(1)
	;; [unrolled: 50-line block ×4, first 2 shown]
	v_mfma_f32_32x32x16_fp8_fp8 v[16:31], v[102:103], v[98:99], v[16:31]
	s_and_saveexec_b64 s[4:5], vcc
	s_cbranch_execz .LBB377_12
; %bb.32:                               ;   in Loop: Header=BB377_13 Depth=2
	s_mov_b64 s[6:7], 0
.LBB377_33:                             ;   Parent Loop BB377_7 Depth=1
                                        ;     Parent Loop BB377_13 Depth=2
                                        ; =>    This Inner Loop Header: Depth=3
	;;#ASMSTART
	s_sleep 0
	;;#ASMEND
	ds_read_b32 v98, v125 offset:41004
	s_waitcnt lgkmcnt(0)
	v_cmp_eq_u32_e32 vcc, v98, v119
	s_or_b64 s[6:7], vcc, s[6:7]
	s_andn2_b64 exec, exec, s[6:7]
	s_cbranch_execnz .LBB377_33
	s_branch .LBB377_12
.LBB377_34:                             ;   in Loop: Header=BB377_7 Depth=1
	s_or_b64 exec, exec, s[2:3]
	scratch_load_dword v105, off, off offset:12 ; 4-byte Folded Reload
.LBB377_35:                             ;   in Loop: Header=BB377_7 Depth=1
	v_writelane_b32 v126, s48, 34
	s_nop 1
	v_writelane_b32 v126, s49, 35
	v_writelane_b32 v126, s46, 36
	s_nop 1
	v_writelane_b32 v126, s47, 37
	;; [unrolled: 3-line block ×4, first 2 shown]
	v_writelane_b32 v126, s41, 42
	v_writelane_b32 v126, s40, 43
	;; [unrolled: 1-line block ×3, first 2 shown]
	s_or_b64 exec, exec, s[0:1]
	v_cmp_le_i32_e32 vcc, s8, v121
	scratch_load_dword v107, off, off offset:96 ; 4-byte Folded Reload
	v_or_b32_e32 v102, 32, v121
	s_waitcnt vmcnt(1)
	v_cndmask_b32_e32 v96, 0, v105, vcc
	v_pk_mul_f32 v[94:95], v[96:97], v[94:95] op_sel_hi:[0,1]
	v_pk_mul_f32 v[92:93], v[96:97], v[92:93] op_sel_hi:[0,1]
	;; [unrolled: 1-line block ×8, first 2 shown]
	scratch_load_dword v97, off, off offset:40 ; 4-byte Folded Reload
	v_cmp_le_i32_e32 vcc, s8, v102
	v_or_b32_e32 v96, 64, v121
                                        ; implicit-def: $vgpr127 : SGPR spill to VGPR lane
	s_nop 0
	v_cndmask_b32_e32 v82, 0, v105, vcc
	v_cmp_le_i32_e32 vcc, s8, v96
	v_or_b32_e32 v96, 0x60, v121
	v_pk_mul_f32 v[100:101], v[82:83], v[66:67] op_sel_hi:[0,1]
	v_cndmask_b32_e32 v66, 0, v105, vcc
	v_cmp_le_i32_e32 vcc, s8, v96
	v_or_b32_e32 v96, 0x80, v121
	v_pk_mul_f32 v[114:115], v[66:67], v[48:49] op_sel_hi:[0,1]
	;; [unrolled: 4-line block ×3, first 2 shown]
	v_pk_mul_f32 v[102:103], v[82:83], v[76:77] op_sel_hi:[0,1]
	v_pk_mul_f32 v[110:111], v[82:83], v[74:75] op_sel_hi:[0,1]
	;; [unrolled: 1-line block ×7, first 2 shown]
	v_cndmask_b32_e32 v32, 0, v105, vcc
	v_cmp_le_i32_e32 vcc, s8, v96
	v_pk_mul_f32 v[30:31], v[32:33], v[30:31] op_sel_hi:[0,1]
	v_pk_mul_f32 v[28:29], v[32:33], v[28:29] op_sel_hi:[0,1]
	;; [unrolled: 1-line block ×8, first 2 shown]
	v_cndmask_b32_e32 v32, 0, v105, vcc
	v_pk_mul_f32 v[124:125], v[32:33], v[0:1] op_sel_hi:[0,1]
	scratch_load_dword v0, off, off offset:48 ; 4-byte Folded Reload
	v_pk_mul_f32 v[14:15], v[32:33], v[14:15] op_sel_hi:[0,1]
	v_pk_mul_f32 v[12:13], v[32:33], v[12:13] op_sel_hi:[0,1]
	;; [unrolled: 1-line block ×21, first 2 shown]
	s_waitcnt vmcnt(1)
	v_cmp_eq_u32_e64 s[6:7], 1, v97
	s_nop 1
	v_cndmask_b32_e64 v32, v80, v81, s[6:7]
	v_cmp_eq_u32_e64 s[40:41], 2, v97
	v_cmp_eq_u32_e64 s[42:43], 3, v97
	v_cmp_eq_u32_e32 vcc, 4, v97
	v_cndmask_b32_e64 v32, v32, v98, s[40:41]
	v_cndmask_b32_e64 v32, v32, v99, s[42:43]
	v_cndmask_b32_e32 v32, v32, v84, vcc
	v_cmp_eq_u32_e64 s[0:1], 5, v97
	v_cmp_eq_u32_e64 s[2:3], 6, v97
	v_cmp_eq_u32_e64 s[30:31], 7, v97
	v_cndmask_b32_e64 v32, v32, v85, s[0:1]
	v_cndmask_b32_e64 v32, v32, v86, s[2:3]
	v_cndmask_b32_e64 v32, v32, v87, s[30:31]
	v_cmp_eq_u32_e64 s[26:27], 8, v97
	v_cmp_eq_u32_e64 s[24:25], 9, v97
	v_cmp_eq_u32_e64 s[22:23], 10, v97
	v_cndmask_b32_e64 v32, v32, v88, s[26:27]
	v_cndmask_b32_e64 v32, v32, v89, s[24:25]
	v_cndmask_b32_e64 v32, v32, v90, s[22:23]
	v_cmp_eq_u32_e64 s[20:21], 11, v97
	v_cmp_eq_u32_e64 s[18:19], 12, v97
	v_cmp_eq_u32_e64 s[14:15], 13, v97
	v_cndmask_b32_e64 v32, v32, v91, s[20:21]
	v_cndmask_b32_e64 v32, v32, v92, s[18:19]
	v_cndmask_b32_e64 v32, v32, v93, s[14:15]
	v_cmp_eq_u32_e64 s[12:13], 14, v97
	v_cmp_eq_u32_e64 s[10:11], 15, v97
	;; [unrolled: 1-line block ×3, first 2 shown]
	v_cndmask_b32_e64 v32, v32, v94, s[12:13]
	v_cndmask_b32_e64 v32, v32, v95, s[10:11]
	ds_bpermute_b32 v32, v107, v32
	s_waitcnt lgkmcnt(0)
	v_cndmask_b32_e64 v69, v88, v32, s[26:27]
	scratch_load_dword v88, off, off offset:44 ; 4-byte Folded Reload
	v_cndmask_b32_e64 v33, v95, v32, s[10:11]
	v_cndmask_b32_e64 v48, v94, v32, s[12:13]
	;; [unrolled: 1-line block ×10, first 2 shown]
	v_cndmask_b32_e32 v84, v84, v32, vcc
	v_cndmask_b32_e64 v86, v99, v32, s[42:43]
	v_cndmask_b32_e64 v87, v98, v32, s[40:41]
	;; [unrolled: 1-line block ×4, first 2 shown]
	s_waitcnt vmcnt(1)
	v_cmp_eq_u32_e64 s[44:45], 1, v0
	v_cmp_eq_u32_e64 s[8:9], 3, v0
	s_waitcnt vmcnt(0)
	v_cmp_eq_u32_e64 s[4:5], 1, v88
	s_nop 1
	v_cndmask_b32_e64 v66, v32, v81, s[4:5]
	v_cmp_eq_u32_e64 s[28:29], 2, v88
	v_cmp_eq_u32_e64 s[34:35], 3, v88
	v_cmp_eq_u32_e64 s[36:37], 4, v88
	v_cndmask_b32_e64 v66, v66, v87, s[28:29]
	v_cndmask_b32_e64 v66, v66, v86, s[34:35]
	v_cndmask_b32_e64 v66, v66, v84, s[36:37]
	v_cmp_eq_u32_e64 s[38:39], 5, v88
	v_cmp_eq_u32_e64 s[48:49], 6, v88
	v_cmp_eq_u32_e64 s[52:53], 7, v88
	v_cndmask_b32_e64 v66, v66, v85, s[38:39]
	v_cndmask_b32_e64 v66, v66, v77, s[48:49]
	;; [unrolled: 6-line block ×5, first 2 shown]
	ds_bpermute_b32 v80, v107, v66
	s_waitcnt lgkmcnt(0)
	v_cndmask_b32_e64 v98, v33, v80, s[84:85]
	v_cndmask_b32_e64 v33, v64, v65, s[6:7]
	;; [unrolled: 1-line block ×4, first 2 shown]
	v_cndmask_b32_e32 v33, v33, v112, vcc
	v_cndmask_b32_e64 v33, v33, v113, s[0:1]
	v_cndmask_b32_e64 v33, v33, v70, s[2:3]
	;; [unrolled: 1-line block ×9, first 2 shown]
	v_cndmask_b32_e32 v32, v32, v52, vcc
	v_cndmask_b32_e64 v33, v33, v110, s[22:23]
	v_cndmask_b32_e64 v32, v32, v53, s[0:1]
	;; [unrolled: 1-line block ×13, first 2 shown]
	ds_bpermute_b32 v69, v107, v33
	v_cndmask_b32_e64 v32, v32, v59, s[20:21]
	v_cndmask_b32_e64 v32, v32, v60, s[18:19]
	;; [unrolled: 1-line block ×5, first 2 shown]
	s_waitcnt lgkmcnt(0)
	v_cndmask_b32_e64 v106, v109, v69, s[24:25]
	v_cndmask_b32_e64 v109, v70, v69, s[2:3]
	ds_bpermute_b32 v70, v107, v32
	v_cndmask_b32_e64 v32, v82, v83, s[6:7]
	v_cndmask_b32_e64 v32, v32, v34, s[40:41]
	;; [unrolled: 1-line block ×3, first 2 shown]
	v_cndmask_b32_e32 v32, v32, v72, vcc
	v_cndmask_b32_e64 v32, v32, v73, s[0:1]
	v_cndmask_b32_e64 v32, v32, v38, s[2:3]
	;; [unrolled: 1-line block ×11, first 2 shown]
	s_waitcnt lgkmcnt(0)
	v_cndmask_b32_e64 v93, v59, v70, s[20:21]
	ds_bpermute_b32 v59, v107, v32
	v_cndmask_b32_e64 v120, v48, v80, s[80:81]
	v_cndmask_b32_e64 v1, v49, v80, s[76:77]
	v_cndmask_b32_e64 v36, v50, v80, s[72:73]
	v_cndmask_b32_e64 v66, v51, v80, s[68:69]
	v_cndmask_b32_e64 v67, v67, v80, s[64:65]
	v_cndmask_b32_e64 v76, v68, v80, s[60:61]
	v_cndmask_b32_e64 v75, v75, v80, s[52:53]
	v_cndmask_b32_e64 v68, v77, v80, s[48:49]
	v_cndmask_b32_e64 v48, v85, v80, s[38:39]
	v_cndmask_b32_e64 v49, v84, v80, s[36:37]
	v_cndmask_b32_e64 v50, v86, v80, s[34:35]
	v_cndmask_b32_e64 v51, v87, v80, s[28:29]
	v_cndmask_b32_e64 v33, v81, v80, s[4:5]
	s_waitcnt lgkmcnt(0)
	v_cndmask_b32_e64 v80, v35, v59, s[42:43]
	v_cndmask_b32_e64 v35, v16, v17, s[6:7]
	;; [unrolled: 1-line block ×4, first 2 shown]
	v_cndmask_b32_e32 v35, v35, v20, vcc
	v_cndmask_b32_e64 v35, v35, v21, s[0:1]
	v_cndmask_b32_e64 v35, v35, v22, s[2:3]
	;; [unrolled: 1-line block ×11, first 2 shown]
	ds_bpermute_b32 v35, v107, v35
	v_cndmask_b32_e64 v87, v65, v69, s[6:7]
	v_cndmask_b32_e64 v65, v38, v59, s[2:3]
	;; [unrolled: 1-line block ×3, first 2 shown]
	scratch_store_dword off, v38, off offset:12 ; 4-byte Folded Spill
	v_cndmask_b32_e32 v38, v72, v59, vcc
	s_waitcnt lgkmcnt(0)
	v_cndmask_b32_e64 v72, v16, v35, s[46:47]
	v_cndmask_b32_e64 v16, v124, v125, s[6:7]
	;; [unrolled: 1-line block ×4, first 2 shown]
	v_cndmask_b32_e32 v16, v16, v4, vcc
	v_cndmask_b32_e64 v16, v16, v5, s[0:1]
	v_cndmask_b32_e64 v16, v16, v6, s[2:3]
	v_cndmask_b32_e64 v16, v16, v7, s[30:31]
	v_cndmask_b32_e64 v16, v16, v8, s[26:27]
	v_cndmask_b32_e64 v16, v16, v9, s[24:25]
	v_cndmask_b32_e64 v16, v16, v10, s[22:23]
	v_cndmask_b32_e64 v16, v16, v11, s[20:21]
	v_cndmask_b32_e64 v16, v16, v12, s[18:19]
	v_cndmask_b32_e64 v16, v16, v13, s[14:15]
	v_cndmask_b32_e64 v16, v16, v14, s[12:13]
	v_cndmask_b32_e64 v16, v16, v15, s[10:11]
	ds_bpermute_b32 v16, v107, v16
	v_cndmask_b32_e64 v37, v108, v69, s[26:27]
	v_cndmask_b32_e64 v108, v71, v69, s[30:31]
	v_cndmask_b32_e64 v85, v101, v69, s[42:43]
	v_cndmask_b32_e64 v101, v115, v70, s[6:7]
	v_cndmask_b32_e64 v73, v34, v59, s[40:41]
	v_cndmask_b32_e64 v71, v83, v59, s[6:7]
	v_cndmask_b32_e64 v34, v121, v33, s[44:45]
	v_cndmask_b32_e64 v81, v17, v35, s[6:7]
	v_cmp_eq_u32_e64 s[6:7], 2, v0
	v_cndmask_b32_e64 v79, v79, v69, s[10:11]
	v_cndmask_b32_e64 v89, v63, v70, s[10:11]
	;; [unrolled: 1-line block ×6, first 2 shown]
	s_waitcnt lgkmcnt(0)
	v_cndmask_b32_e64 v15, v15, v16, s[10:11]
	v_cmp_eq_u32_e64 s[10:11], 4, v0
	v_cndmask_b32_e64 v78, v78, v69, s[12:13]
	v_cndmask_b32_e64 v90, v62, v70, s[12:13]
	;; [unrolled: 1-line block ×6, first 2 shown]
	v_cmp_eq_u32_e64 s[12:13], 5, v0
	v_cndmask_b32_e64 v77, v103, v69, s[14:15]
	v_cndmask_b32_e64 v91, v61, v70, s[14:15]
	;; [unrolled: 1-line block ×3, first 2 shown]
	scratch_store_dword off, v38, off offset:16 ; 4-byte Folded Spill
	v_cndmask_b32_e64 v38, v29, v35, s[14:15]
	v_cndmask_b32_e64 v17, v17, v48, s[12:13]
	;; [unrolled: 1-line block ×3, first 2 shown]
	v_cmp_eq_u32_e64 s[14:15], 6, v0
	v_cndmask_b32_e64 v99, v102, v69, s[18:19]
	v_cndmask_b32_e64 v88, v64, v69, s[46:47]
	;; [unrolled: 1-line block ×8, first 2 shown]
	v_cmp_eq_u32_e64 s[18:19], 7, v0
	v_cndmask_b32_e64 v103, v111, v69, s[20:21]
	v_cndmask_b32_e64 v95, v57, v70, s[24:25]
	;; [unrolled: 1-line block ×7, first 2 shown]
	v_cmp_eq_u32_e64 s[20:21], 8, v0
	v_cndmask_b32_e64 v105, v110, v69, s[22:23]
	v_cndmask_b32_e64 v86, v100, v69, s[40:41]
	;; [unrolled: 1-line block ×8, first 2 shown]
	v_cmp_eq_u32_e64 s[22:23], 9, v0
	v_cndmask_b32_e64 v56, v56, v70, s[26:27]
	v_cndmask_b32_e64 v55, v55, v70, s[30:31]
	;; [unrolled: 1-line block ×4, first 2 shown]
	v_cndmask_b32_e32 v96, v52, v70, vcc
	v_cndmask_b32_e64 v102, v114, v70, s[46:47]
	v_cndmask_b32_e64 v52, v41, v59, s[24:25]
	;; [unrolled: 1-line block ×7, first 2 shown]
	v_cmp_eq_u32_e64 s[24:25], 10, v0
	v_cndmask_b32_e64 v61, v24, v35, s[26:27]
	v_cndmask_b32_e64 v114, v8, v16, s[26:27]
	;; [unrolled: 1-line block ×3, first 2 shown]
	v_cmp_eq_u32_e64 s[26:27], 11, v0
	v_cndmask_b32_e32 v111, v112, v69, vcc
	v_cndmask_b32_e64 v62, v23, v35, s[30:31]
	v_cndmask_b32_e64 v8, v9, v66, s[26:27]
	v_cndmask_b32_e64 v112, v7, v16, s[30:31]
	v_cmp_eq_u32_e64 s[30:31], 12, v0
	v_cndmask_b32_e64 v110, v113, v69, s[0:1]
	v_cndmask_b32_e64 v63, v22, v35, s[2:3]
	;; [unrolled: 1-line block ×4, first 2 shown]
	v_cmp_eq_u32_e64 s[2:3], 13, v0
	v_cndmask_b32_e64 v69, v21, v35, s[0:1]
	v_cndmask_b32_e64 v5, v5, v16, s[0:1]
	;; [unrolled: 1-line block ×3, first 2 shown]
	v_cmp_eq_u32_e64 s[0:1], 14, v0
	v_cndmask_b32_e32 v20, v20, v35, vcc
	v_cndmask_b32_e32 v4, v4, v16, vcc
	v_cndmask_b32_e64 v6, v6, v120, s[0:1]
	v_cmp_eq_u32_e32 vcc, 15, v0
	v_cndmask_b32_e64 v19, v19, v35, s[42:43]
	v_cndmask_b32_e64 v82, v18, v35, s[40:41]
	v_cndmask_b32_e32 v6, v6, v98, vcc
	ds_bpermute_b32 v7, v107, v6
	v_cndmask_b32_e64 v6, v3, v16, s[42:43]
	v_cmp_eq_u32_e64 s[42:43], 0, v0
	scratch_store_dword off, v20, off offset:20 ; 4-byte Folded Spill
	scratch_store_dword off, v19, off offset:24 ; 4-byte Folded Spill
	s_waitcnt lgkmcnt(0)
	v_cndmask_b32_e64 v26, v33, v7, s[44:45]
	scratch_load_dword v33, off, off offset:52 ; 4-byte Folded Reload
	v_cndmask_b32_e32 v8, v98, v7, vcc
	v_writelane_b32 v126, s42, 45
	v_cndmask_b32_e64 v98, v2, v16, s[40:41]
	v_cmp_ne_u32_e64 s[40:41], 0, v97
	v_cndmask_b32_e64 v27, v121, v7, s[42:43]
	v_cndmask_b32_e64 v10, v1, v7, s[2:3]
	;; [unrolled: 1-line block ×16, first 2 shown]
	v_writelane_b32 v126, s43, 46
	s_waitcnt vmcnt(0)
	v_cmp_eq_u32_e64 s[58:59], 1, v33
	s_nop 1
	v_cndmask_b32_e64 v1, v27, v26, s[58:59]
	v_cmp_eq_u32_e64 s[40:41], 2, v33
	v_cmp_eq_u32_e64 s[46:47], 3, v33
	v_cmp_eq_u32_e64 s[50:51], 4, v33
	v_cndmask_b32_e64 v0, v1, v25, s[40:41]
	v_cndmask_b32_e64 v0, v0, v24, s[46:47]
	v_cndmask_b32_e64 v0, v0, v23, s[50:51]
	v_cmp_eq_u32_e64 s[54:55], 5, v33
	v_cmp_eq_u32_e64 s[62:63], 6, v33
	v_cmp_eq_u32_e64 s[66:67], 7, v33
	v_cndmask_b32_e64 v0, v0, v22, s[54:55]
	v_cndmask_b32_e64 v0, v0, v21, s[62:63]
	;; [unrolled: 6-line block ×3, first 2 shown]
	v_cndmask_b32_e64 v0, v0, v17, s[78:79]
	v_cmp_eq_u32_e64 s[82:83], 11, v33
	v_cmp_eq_u32_e64 s[86:87], 12, v33
	s_mov_b64 s[96:97], s[40:41]
	v_cndmask_b32_e64 v0, v0, v12, s[82:83]
	v_cndmask_b32_e64 v0, v0, v11, s[86:87]
	v_cmp_eq_u32_e64 s[40:41], 13, v33
	v_cmp_eq_u32_e64 s[42:43], 14, v33
	v_cmp_eq_u32_e64 s[98:99], 15, v33
	v_cndmask_b32_e64 v0, v0, v10, s[40:41]
	v_cndmask_b32_e64 v0, v0, v9, s[42:43]
	v_cndmask_b32_e64 v0, v0, v8, s[98:99]
	ds_bpermute_b32 v16, v107, v0
	v_writelane_b32 v126, s96, 47
	s_waitcnt lgkmcnt(0)
	v_cndmask_b32_e64 v1, v8, v16, s[98:99]
	v_writelane_b32 v126, s97, 48
	v_cndmask_b32_e64 v50, v25, v16, s[96:97]
	v_cmp_eq_u32_e64 s[96:97], 0, v33
	v_cndmask_b32_e64 v2, v9, v16, s[42:43]
	v_cndmask_b32_e64 v7, v10, v16, s[40:41]
	;; [unrolled: 1-line block ×13, first 2 shown]
	v_writelane_b32 v126, s96, 49
	v_cndmask_b32_e64 v17, v88, v87, s[4:5]
	v_cndmask_b32_e64 v17, v17, v86, s[28:29]
	v_cndmask_b32_e64 v74, v27, v16, s[96:97]
	v_cndmask_b32_e64 v16, v102, v101, s[4:5]
	v_cndmask_b32_e64 v16, v16, v100, s[28:29]
	v_cndmask_b32_e64 v16, v16, v32, s[34:35]
	v_cndmask_b32_e64 v17, v17, v85, s[34:35]
	v_cndmask_b32_e64 v16, v16, v96, s[36:37]
	v_cndmask_b32_e64 v17, v17, v111, s[36:37]
	v_cndmask_b32_e64 v16, v16, v53, s[38:39]
	v_cndmask_b32_e64 v17, v17, v110, s[38:39]
	v_cndmask_b32_e64 v16, v16, v54, s[48:49]
	v_cndmask_b32_e64 v17, v17, v109, s[48:49]
	v_cndmask_b32_e64 v16, v16, v55, s[52:53]
	v_cndmask_b32_e64 v17, v17, v108, s[52:53]
	v_cndmask_b32_e64 v16, v16, v56, s[56:57]
	v_cndmask_b32_e64 v17, v17, v37, s[56:57]
	v_cndmask_b32_e64 v16, v16, v95, s[60:61]
	v_cndmask_b32_e64 v17, v17, v106, s[60:61]
	v_cndmask_b32_e64 v16, v16, v94, s[64:65]
	v_cndmask_b32_e64 v17, v17, v105, s[64:65]
	v_cndmask_b32_e64 v16, v16, v93, s[68:69]
	v_cndmask_b32_e64 v17, v17, v103, s[68:69]
	v_cndmask_b32_e64 v16, v16, v92, s[72:73]
	v_cndmask_b32_e64 v17, v17, v99, s[72:73]
	v_cndmask_b32_e64 v16, v16, v91, s[76:77]
	v_cndmask_b32_e64 v17, v17, v77, s[76:77]
	v_cndmask_b32_e64 v16, v16, v90, s[80:81]
	v_cndmask_b32_e64 v17, v17, v78, s[80:81]
	v_cndmask_b32_e64 v16, v16, v89, s[84:85]
	v_cndmask_b32_e64 v17, v17, v79, s[84:85]
	ds_bpermute_b32 v42, v107, v16
	ds_bpermute_b32 v18, v107, v17
	v_writelane_b32 v126, s97, 50
	s_waitcnt lgkmcnt(1)
	v_cndmask_b32_e64 v125, v89, v42, s[84:85]
	scratch_load_dword v89, off, off offset:24 ; 4-byte Folded Reload
	s_waitcnt lgkmcnt(0)
	v_cndmask_b32_e64 v25, v85, v18, s[34:35]
	v_cndmask_b32_e64 v124, v88, v18, s[16:17]
	;; [unrolled: 1-line block ×3, first 2 shown]
	scratch_load_dword v88, off, off offset:16 ; 4-byte Folded Reload
	scratch_load_dword v90, off, off offset:20 ; 4-byte Folded Reload
	v_cndmask_b32_e64 v21, v53, v42, s[38:39]
	v_cndmask_b32_e64 v53, v72, v81, s[4:5]
	;; [unrolled: 1-line block ×5, first 2 shown]
	scratch_load_dword v37, off, off offset:12 ; 4-byte Folded Reload
	v_cndmask_b32_e64 v27, v87, v18, s[4:5]
	v_cndmask_b32_e64 v66, v105, v18, s[64:65]
	;; [unrolled: 1-line block ×28, first 2 shown]
	s_waitcnt vmcnt(3)
	v_cndmask_b32_e64 v53, v53, v89, s[34:35]
	s_waitcnt vmcnt(2)
	v_cndmask_b32_e64 v32, v32, v88, s[36:37]
	;; [unrolled: 2-line block ×3, first 2 shown]
	v_cndmask_b32_e64 v53, v53, v69, s[38:39]
	v_cndmask_b32_e64 v53, v53, v63, s[48:49]
	;; [unrolled: 1-line block ×11, first 2 shown]
	ds_bpermute_b32 v86, v107, v53
	v_cndmask_b32_e64 v53, v68, v3, s[4:5]
	v_cndmask_b32_e64 v53, v53, v98, s[28:29]
	;; [unrolled: 1-line block ×15, first 2 shown]
	ds_bpermute_b32 v87, v107, v53
	s_waitcnt vmcnt(0)
	v_cndmask_b32_e64 v32, v32, v37, s[38:39]
	v_cndmask_b32_e64 v32, v32, v65, s[48:49]
	;; [unrolled: 1-line block ×4, first 2 shown]
	s_waitcnt lgkmcnt(0)
	v_cndmask_b32_e64 v105, v14, v87, s[80:81]
	scratch_load_dword v14, off, off offset:56 ; 4-byte Folded Reload
	v_cndmask_b32_e64 v32, v32, v52, s[60:61]
	v_cndmask_b32_e64 v32, v32, v58, s[64:65]
	;; [unrolled: 1-line block ×7, first 2 shown]
	ds_bpermute_b32 v32, v107, v32
	v_cndmask_b32_e64 v56, v39, v86, s[72:73]
	v_cndmask_b32_e64 v111, v114, v87, s[56:57]
	;; [unrolled: 1-line block ×4, first 2 shown]
	s_waitcnt lgkmcnt(0)
	v_cndmask_b32_e64 v39, v64, v32, s[52:53]
	v_cndmask_b32_e64 v37, v37, v32, s[38:39]
	;; [unrolled: 1-line block ×41, first 2 shown]
	v_readlane_b32 s84, v126, 45
	v_cndmask_b32_e64 v52, v52, v32, s[60:61]
	v_cndmask_b32_e64 v59, v59, v86, s[60:61]
	v_readlane_b32 s85, v126, 46
	s_waitcnt vmcnt(0)
	v_cmp_eq_u32_e64 s[38:39], 1, v14
	s_nop 1
	v_cndmask_b32_e64 v13, v74, v51, s[38:39]
	v_cmp_eq_u32_e64 s[28:29], 2, v14
	v_cmp_eq_u32_e64 s[48:49], 3, v14
	v_cmp_eq_u32_e64 s[52:53], 4, v14
	v_cndmask_b32_e64 v13, v13, v50, s[28:29]
	v_cndmask_b32_e64 v13, v13, v49, s[48:49]
	v_cndmask_b32_e64 v13, v13, v48, s[52:53]
	v_cmp_eq_u32_e64 s[56:57], 5, v14
	v_cmp_eq_u32_e64 s[64:65], 6, v14
	v_cmp_eq_u32_e64 s[68:69], 7, v14
	v_cndmask_b32_e64 v13, v13, v29, s[56:57]
	v_cndmask_b32_e64 v13, v13, v28, s[64:65]
	;; [unrolled: 6-line block ×5, first 2 shown]
	ds_bpermute_b32 v13, v107, v13
	s_waitcnt lgkmcnt(0)
	v_cndmask_b32_e64 v91, v0, v13, s[68:69]
	v_cndmask_b32_e64 v0, v124, v27, s[44:45]
	;; [unrolled: 1-line block ×15, first 2 shown]
	v_cndmask_b32_e32 v0, v0, v75, vcc
	v_cndmask_b32_e64 v81, v1, v13, s[4:5]
	ds_bpermute_b32 v0, v107, v0
	v_cndmask_b32_e64 v1, v42, v41, s[44:45]
	v_cndmask_b32_e64 v1, v1, v40, s[6:7]
	;; [unrolled: 1-line block ×8, first 2 shown]
	s_waitcnt lgkmcnt(0)
	v_cndmask_b32_e32 v68, v75, v0, vcc
	v_cndmask_b32_e64 v69, v76, v0, s[0:1]
	v_cndmask_b32_e64 v70, v77, v0, s[2:3]
	;; [unrolled: 1-line block ×33, first 2 shown]
	v_cndmask_b32_e32 v1, v1, v125, vcc
	v_cndmask_b32_e64 v0, v0, v46, s[24:25]
	ds_bpermute_b32 v1, v107, v1
	v_cndmask_b32_e64 v0, v0, v45, s[26:27]
	v_cndmask_b32_e64 v0, v0, v44, s[30:31]
	;; [unrolled: 1-line block ×4, first 2 shown]
	v_cndmask_b32_e32 v0, v0, v47, vcc
	v_cndmask_b32_e64 v82, v2, v13, s[96:97]
	v_cndmask_b32_e64 v83, v7, v13, s[34:35]
	;; [unrolled: 1-line block ×11, first 2 shown]
	s_waitcnt lgkmcnt(0)
	v_cndmask_b32_e32 v11, v125, v1, vcc
	v_cndmask_b32_e64 v12, v85, v1, s[0:1]
	v_cndmask_b32_e64 v13, v33, v1, s[2:3]
	;; [unrolled: 1-line block ×15, first 2 shown]
	ds_bpermute_b32 v1, v107, v0
	v_cndmask_b32_e64 v0, v3, v102, s[44:45]
	v_cndmask_b32_e64 v0, v0, v101, s[6:7]
	v_cndmask_b32_e64 v0, v0, v100, s[8:9]
	v_cndmask_b32_e64 v0, v0, v65, s[10:11]
	v_cndmask_b32_e64 v0, v0, v64, s[12:13]
	v_cndmask_b32_e64 v0, v0, v63, s[14:15]
	v_cndmask_b32_e64 v0, v0, v62, s[18:19]
	v_cndmask_b32_e64 v0, v0, v61, s[20:21]
	v_cndmask_b32_e64 v0, v0, v59, s[22:23]
	v_cndmask_b32_e64 v0, v0, v58, s[24:25]
	v_cndmask_b32_e64 v0, v0, v57, s[26:27]
	v_cndmask_b32_e64 v0, v0, v56, s[30:31]
	v_cndmask_b32_e64 v0, v0, v55, s[2:3]
	v_cndmask_b32_e64 v0, v0, v54, s[0:1]
	v_cndmask_b32_e32 v0, v0, v53, vcc
	ds_bpermute_b32 v33, v107, v0
	v_cndmask_b32_e64 v0, v6, v123, s[44:45]
	v_cndmask_b32_e64 v0, v0, v117, s[6:7]
	;; [unrolled: 1-line block ×14, first 2 shown]
	v_cndmask_b32_e32 v0, v0, v103, vcc
	ds_bpermute_b32 v34, v107, v0
	s_waitcnt lgkmcnt(1)
	v_cndmask_b32_e64 v43, v56, v33, s[30:31]
	v_cndmask_b32_e64 v28, v31, v1, s[0:1]
	;; [unrolled: 1-line block ×4, first 2 shown]
	s_waitcnt lgkmcnt(0)
	v_cndmask_b32_e64 v56, v97, v34, s[30:31]
	scratch_load_dword v97, off, off offset:60 ; 4-byte Folded Reload
	v_cndmask_b32_e64 v54, v105, v34, s[0:1]
	v_cndmask_b32_e64 v42, v55, v33, s[2:3]
	;; [unrolled: 1-line block ×8, first 2 shown]
	s_mov_b64 s[2:3], s[84:85]
	v_cndmask_b32_e32 v27, v47, v1, vcc
	v_cndmask_b32_e32 v40, v53, v33, vcc
	v_cndmask_b32_e64 v30, v44, v1, s[30:31]
	v_cndmask_b32_e64 v31, v45, v1, s[26:27]
	;; [unrolled: 1-line block ×32, first 2 shown]
	v_cndmask_b32_e32 v53, v103, v34, vcc
	v_cndmask_b32_e64 v34, v10, v9, s[58:59]
	s_waitcnt vmcnt(0)
	v_cmp_eq_u32_e64 s[0:1], 1, v97
	s_nop 1
	v_cndmask_b32_e64 v35, v80, v86, s[0:1]
	s_mov_b64 s[10:11], s[0:1]
	v_cmp_eq_u32_e64 s[0:1], 2, v97
	s_mov_b64 s[6:7], s[0:1]
	v_cmp_eq_u32_e64 s[2:3], 14, v97
	v_cndmask_b32_e64 v33, v35, v32, s[0:1]
	v_cmp_eq_u32_e64 s[0:1], 3, v97
	s_mov_b64 s[12:13], s[0:1]
	v_cmp_eq_u32_e64 s[8:9], 15, v97
	v_cndmask_b32_e64 v33, v33, v95, s[0:1]
	v_cmp_eq_u32_e64 s[0:1], 4, v97
	s_mov_b64 s[14:15], s[0:1]
	s_nop 0
	v_cndmask_b32_e64 v33, v33, v94, s[0:1]
	v_cmp_eq_u32_e64 s[0:1], 5, v97
	s_mov_b64 s[18:19], s[0:1]
	s_nop 0
	;; [unrolled: 4-line block ×7, first 2 shown]
	v_cndmask_b32_e64 v33, v33, v88, s[0:1]
	v_cmp_eq_u32_e64 s[0:1], 11, v97
	s_mov_b64 s[44:45], s[0:1]
	v_writelane_b32 v126, s44, 51
	v_cndmask_b32_e64 v33, v33, v87, s[0:1]
	v_cmp_eq_u32_e64 s[0:1], 12, v97
	v_writelane_b32 v126, s45, 52
	s_mov_b64 s[84:85], s[0:1]
	v_writelane_b32 v126, s84, 53
	v_cndmask_b32_e64 v33, v33, v84, s[0:1]
	v_cmp_eq_u32_e64 s[0:1], 13, v97
	v_writelane_b32 v126, s85, 54
	s_nop 0
	v_writelane_b32 v126, s0, 55
	s_nop 1
	v_writelane_b32 v126, s1, 56
	v_cndmask_b32_e64 v33, v33, v83, s[0:1]
	v_writelane_b32 v126, s2, 45
	s_nop 1
	v_writelane_b32 v126, s3, 46
	v_cndmask_b32_e64 v33, v33, v82, s[2:3]
	v_writelane_b32 v126, s8, 57
	s_nop 1
	v_cndmask_b32_e64 v33, v33, v81, s[8:9]
	ds_bpermute_b32 v33, v107, v33
	v_writelane_b32 v126, s9, 58
	s_waitcnt lgkmcnt(0)
	v_cndmask_b32_e64 v82, v82, v33, s[2:3]
	v_readlane_b32 s2, v126, 47
	v_readlane_b32 s3, v126, 48
	v_cndmask_b32_e64 v83, v83, v33, s[0:1]
	v_cmp_eq_u32_e64 s[0:1], 0, v97
	v_cndmask_b32_e64 v34, v34, v67, s[2:3]
	v_cndmask_b32_e64 v34, v34, v66, s[46:47]
	;; [unrolled: 1-line block ×4, first 2 shown]
	v_writelane_b32 v126, s0, 59
	v_cndmask_b32_e64 v34, v34, v77, s[62:63]
	v_cndmask_b32_e64 v85, v32, v33, s[6:7]
	v_writelane_b32 v126, s1, 60
	v_cndmask_b32_e64 v80, v80, v33, s[0:1]
	v_cndmask_b32_e64 v32, v26, v25, s[58:59]
	s_mov_b64 s[0:1], s[2:3]
	v_cndmask_b32_e64 v34, v34, v76, s[66:67]
	v_cndmask_b32_e64 v32, v32, v24, s[0:1]
	;; [unrolled: 1-line block ×18, first 2 shown]
	ds_bpermute_b32 v34, v107, v34
	v_cndmask_b32_e64 v32, v32, v15, s[82:83]
	v_cndmask_b32_e64 v32, v32, v14, s[86:87]
	;; [unrolled: 1-line block ×5, first 2 shown]
	s_waitcnt lgkmcnt(0)
	v_cndmask_b32_e64 v99, v72, v34, s[82:83]
	ds_bpermute_b32 v72, v107, v32
	v_cndmask_b32_e64 v32, v9, v34, s[58:59]
	v_cndmask_b32_e64 v9, v1, v0, s[58:59]
	;; [unrolled: 1-line block ×28, first 2 shown]
	s_waitcnt lgkmcnt(0)
	v_cndmask_b32_e64 v33, v16, v72, s[78:79]
	ds_bpermute_b32 v16, v107, v9
	v_cndmask_b32_e64 v9, v3, v2, s[58:59]
	v_cndmask_b32_e64 v9, v9, v8, s[0:1]
	;; [unrolled: 1-line block ×13, first 2 shown]
	v_readlane_b32 s2, v126, 49
	v_cndmask_b32_e64 v9, v9, v41, s[42:43]
	v_readlane_b32 s3, v126, 50
	v_cndmask_b32_e64 v9, v9, v40, s[98:99]
	v_cndmask_b32_e64 v68, v68, v34, s[98:99]
	;; [unrolled: 1-line block ×16, first 2 shown]
	ds_bpermute_b32 v17, v107, v9
	v_cndmask_b32_e64 v9, v6, v5, s[58:59]
	v_cndmask_b32_e64 v9, v9, v4, s[0:1]
	;; [unrolled: 1-line block ×16, first 2 shown]
	ds_bpermute_b32 v18, v107, v9
	v_cndmask_b32_e64 v24, v24, v72, s[0:1]
	s_waitcnt lgkmcnt(2)
	v_cndmask_b32_e64 v9, v7, v16, s[0:1]
	s_waitcnt lgkmcnt(1)
	v_cndmask_b32_e64 v8, v8, v17, s[0:1]
	v_cndmask_b32_e64 v7, v2, v17, s[58:59]
	s_waitcnt lgkmcnt(0)
	v_cndmask_b32_e64 v117, v58, v18, s[78:79]
	v_cndmask_b32_e64 v58, v37, v16, s[54:55]
	scratch_load_dword v37, off, off offset:64 ; 4-byte Folded Reload
	v_cndmask_b32_e64 v98, v64, v18, s[50:51]
	v_cndmask_b32_e64 v64, v4, v18, s[0:1]
	s_mov_b64 s[0:1], s[2:3]
	v_cndmask_b32_e64 v4, v0, v16, s[58:59]
	v_cndmask_b32_e64 v2, v1, v16, s[0:1]
	v_cndmask_b32_e64 v3, v3, v17, s[0:1]
	v_cndmask_b32_e64 v6, v6, v18, s[0:1]
	v_cndmask_b32_e64 v22, v22, v72, s[50:51]
	v_cndmask_b32_e64 v112, v53, v18, s[98:99]
	v_cndmask_b32_e64 v53, v124, v16, s[78:79]
	v_cndmask_b32_e64 v124, v59, v18, s[74:75]
	v_cndmask_b32_e64 v121, v63, v18, s[54:55]
	v_cndmask_b32_e64 v59, v38, v16, s[50:51]
	v_cndmask_b32_e64 v63, v51, v17, s[50:51]
	v_cndmask_b32_e64 v21, v21, v72, s[54:55]
	v_cndmask_b32_e64 v96, v62, v18, s[62:63]
	v_cndmask_b32_e64 v62, v50, v17, s[54:55]
	v_cndmask_b32_e64 v25, v25, v72, s[58:59]
	v_cndmask_b32_e64 v5, v5, v18, s[58:59]
	v_cndmask_b32_e64 v20, v20, v72, s[62:63]
	v_cndmask_b32_e64 v116, v57, v18, s[82:83]
	v_cndmask_b32_e64 v101, v61, v18, s[66:67]
	v_cndmask_b32_e64 v57, v36, v16, s[62:63]
	v_cndmask_b32_e64 v61, v49, v17, s[62:63]
	v_cndmask_b32_e64 v19, v19, v72, s[66:67]
	v_cndmask_b32_e64 v115, v56, v18, s[86:87]
	v_cndmask_b32_e64 v56, v110, v16, s[66:67]
	v_cndmask_b32_e64 v110, v48, v17, s[66:67]
	v_cndmask_b32_e64 v114, v55, v18, s[40:41]
	v_cndmask_b32_e64 v55, v109, v16, s[70:71]
	v_cndmask_b32_e64 v109, v47, v17, s[70:71]
	v_cndmask_b32_e64 v125, v60, v18, s[70:71]
	v_cndmask_b32_e64 v113, v54, v18, s[42:43]
	v_cndmask_b32_e64 v54, v108, v16, s[74:75]
	v_cndmask_b32_e64 v108, v46, v17, s[74:75]
	v_cndmask_b32_e64 v97, v45, v17, s[78:79]
	v_cndmask_b32_e64 v15, v15, v72, s[82:83]
	v_cndmask_b32_e64 v31, v31, v16, s[82:83]
	v_cndmask_b32_e64 v106, v44, v17, s[82:83]
	v_cndmask_b32_e64 v14, v14, v72, s[86:87]
	v_cndmask_b32_e64 v30, v30, v16, s[86:87]
	v_cndmask_b32_e64 v105, v43, v17, s[86:87]
	v_cndmask_b32_e64 v11, v11, v72, s[98:99]
	v_cndmask_b32_e64 v27, v27, v16, s[98:99]
	v_cndmask_b32_e64 v100, v40, v17, s[98:99]
	v_cndmask_b32_e64 v23, v23, v72, s[46:47]
	v_cndmask_b32_e64 v60, v39, v16, s[46:47]
	v_cndmask_b32_e64 v111, v52, v17, s[46:47]
	v_cndmask_b32_e64 v123, v65, v18, s[46:47]
	v_cndmask_b32_e64 v28, v28, v16, s[42:43]
	v_cndmask_b32_e64 v29, v29, v16, s[40:41]
	v_cndmask_b32_e64 v26, v26, v72, s[2:3]
	v_cndmask_b32_e64 v13, v13, v72, s[40:41]
	v_cndmask_b32_e64 v12, v12, v72, s[42:43]
	v_cndmask_b32_e64 v103, v42, v17, s[40:41]
	v_cndmask_b32_e64 v102, v41, v17, s[42:43]
	s_waitcnt vmcnt(0)
	v_cmp_eq_u32_e64 s[8:9], 1, v37
	s_nop 1
	v_cndmask_b32_e64 v0, v80, v86, s[8:9]
	v_cmp_eq_u32_e64 s[0:1], 2, v37
	s_mov_b64 s[50:51], s[0:1]
	v_cmp_eq_u32_e64 s[98:99], 14, v37
	v_cndmask_b32_e64 v0, v0, v85, s[0:1]
	v_cmp_eq_u32_e64 s[0:1], 3, v37
	s_mov_b64 s[54:55], s[0:1]
	s_mov_b64 s[46:47], s[8:9]
	v_cndmask_b32_e64 v0, v0, v95, s[0:1]
	v_cmp_eq_u32_e64 s[0:1], 4, v37
	s_mov_b64 s[58:59], s[0:1]
	v_cmp_eq_u32_e64 s[8:9], 15, v37
	v_cndmask_b32_e64 v0, v0, v94, s[0:1]
	v_cmp_eq_u32_e64 s[0:1], 5, v37
	s_mov_b64 s[62:63], s[0:1]
	s_nop 0
	v_cndmask_b32_e64 v0, v0, v93, s[0:1]
	v_cmp_eq_u32_e64 s[0:1], 6, v37
	s_mov_b64 s[66:67], s[0:1]
	s_nop 0
	;; [unrolled: 4-line block ×8, first 2 shown]
	v_cndmask_b32_e64 v0, v0, v84, s[0:1]
	v_cmp_eq_u32_e64 s[0:1], 13, v37
	s_nop 1
	v_writelane_b32 v126, s0, 47
	s_nop 1
	v_cndmask_b32_e64 v0, v0, v83, s[0:1]
	v_writelane_b32 v126, s1, 48
	v_cndmask_b32_e64 v0, v0, v82, s[98:99]
	v_writelane_b32 v126, s8, 49
	s_nop 1
	v_cndmask_b32_e64 v0, v0, v81, s[8:9]
	ds_bpermute_b32 v16, v107, v0
	v_cndmask_b32_e64 v0, v10, v32, s[38:39]
	v_cndmask_b32_e64 v0, v0, v67, s[28:29]
	;; [unrolled: 1-line block ×14, first 2 shown]
	v_writelane_b32 v126, s9, 50
	s_waitcnt lgkmcnt(0)
	v_cndmask_b32_e64 v83, v83, v16, s[0:1]
	v_cndmask_b32_e64 v0, v0, v68, s[4:5]
	v_cmp_eq_u32_e64 s[0:1], 0, v37
	v_cndmask_b32_e64 v81, v81, v16, s[8:9]
	v_cndmask_b32_e64 v82, v82, v16, s[98:99]
	;; [unrolled: 1-line block ×12, first 2 shown]
	ds_bpermute_b32 v36, v107, v0
	v_cndmask_b32_e64 v0, v85, v16, s[50:51]
	v_cndmask_b32_e64 v1, v86, v16, s[46:47]
	v_writelane_b32 v126, s0, 61
	s_mov_b64 s[8:9], s[6:7]
	s_waitcnt lgkmcnt(0)
	v_cndmask_b32_e64 v85, v76, v36, s[68:69]
	v_cndmask_b32_e64 v65, v80, v16, s[0:1]
	;; [unrolled: 1-line block ×17, first 2 shown]
	ds_bpermute_b32 v48, v107, v16
	v_cndmask_b32_e64 v16, v66, v36, s[48:49]
	v_cndmask_b32_e64 v76, v10, v36, s[60:61]
	v_cndmask_b32_e64 v10, v2, v4, s[38:39]
	v_cndmask_b32_e64 v10, v10, v9, s[28:29]
	s_waitcnt lgkmcnt(0)
	v_cndmask_b32_e64 v47, v11, v48, s[4:5]
	v_cndmask_b32_e64 v46, v12, v48, s[96:97]
	;; [unrolled: 1-line block ×32, first 2 shown]
	ds_bpermute_b32 v11, v107, v11
	ds_bpermute_b32 v12, v107, v12
	v_cndmask_b32_e64 v10, v10, v60, s[48:49]
	v_cndmask_b32_e64 v10, v10, v59, s[52:53]
	v_cndmask_b32_e64 v10, v10, v58, s[56:57]
	s_waitcnt lgkmcnt(1)
	v_cndmask_b32_e64 v66, v103, v11, s[34:35]
	s_waitcnt lgkmcnt(0)
	v_cndmask_b32_e64 v103, v116, v12, s[36:37]
	v_cndmask_b32_e64 v116, v97, v11, s[80:81]
	scratch_load_dword v97, off, off offset:68 ; 4-byte Folded Reload
	v_cndmask_b32_e64 v10, v10, v57, s[64:65]
	v_cndmask_b32_e64 v10, v10, v56, s[68:69]
	;; [unrolled: 1-line block ×10, first 2 shown]
	ds_bpermute_b32 v10, v107, v10
	v_cndmask_b32_e64 v45, v13, v48, s[34:35]
	v_cndmask_b32_e64 v13, v100, v11, s[4:5]
	;; [unrolled: 1-line block ×5, first 2 shown]
	scratch_store_dword off, v13, off offset:20 ; 4-byte Folded Spill
	v_cndmask_b32_e64 v13, v112, v12, s[4:5]
	v_cndmask_b32_e64 v112, v115, v12, s[16:17]
	s_waitcnt lgkmcnt(0)
	v_cndmask_b32_e64 v52, v31, v10, s[36:37]
	v_cndmask_b32_e64 v115, v106, v11, s[36:37]
	;; [unrolled: 1-line block ×46, first 2 shown]
	scratch_store_dword off, v13, off offset:12 ; 4-byte Folded Spill
	v_cndmask_b32_e64 v13, v113, v12, s[96:97]
	v_cndmask_b32_e64 v113, v114, v12, s[34:35]
	;; [unrolled: 1-line block ×13, first 2 shown]
	s_waitcnt vmcnt(2)
	v_cmp_eq_u32_e64 s[36:37], 1, v97
	v_cmp_eq_u32_e64 s[38:39], 2, v97
	v_cmp_eq_u32_e64 s[40:41], 3, v97
	v_cndmask_b32_e64 v2, v65, v1, s[36:37]
	v_cndmask_b32_e64 v2, v2, v0, s[38:39]
	v_cndmask_b32_e64 v2, v2, v95, s[40:41]
	v_cmp_eq_u32_e64 s[42:43], 4, v97
	v_cmp_eq_u32_e64 s[44:45], 5, v97
	v_cmp_eq_u32_e64 s[48:49], 6, v97
	v_cndmask_b32_e64 v2, v2, v94, s[42:43]
	v_cndmask_b32_e64 v2, v2, v93, s[44:45]
	v_cndmask_b32_e64 v2, v2, v92, s[48:49]
	;; [unrolled: 6-line block ×4, first 2 shown]
	v_cmp_eq_u32_e64 s[76:77], 13, v97
	v_cmp_eq_u32_e64 s[80:81], 14, v97
	v_cmp_eq_u32_e32 vcc, 15, v97
	v_cndmask_b32_e64 v2, v2, v83, s[76:77]
	v_cndmask_b32_e64 v2, v2, v82, s[80:81]
	v_cndmask_b32_e32 v2, v2, v81, vcc
	ds_bpermute_b32 v19, v107, v2
	s_mov_b64 s[16:17], s[10:11]
	v_cndmask_b32_e64 v61, v9, v10, s[28:29]
	v_cndmask_b32_e64 v123, v8, v11, s[28:29]
	;; [unrolled: 1-line block ×3, first 2 shown]
	s_waitcnt lgkmcnt(0)
	v_cndmask_b32_e64 v2, v0, v19, s[38:39]
	v_cndmask_b32_e64 v0, v76, v77, s[16:17]
	;; [unrolled: 1-line block ×3, first 2 shown]
	s_mov_b64 s[28:29], s[12:13]
	v_cndmask_b32_e64 v50, v29, v10, s[34:35]
	v_cndmask_b32_e64 v0, v0, v16, s[28:29]
	s_mov_b64 s[34:35], s[14:15]
	v_cndmask_b32_e64 v49, v28, v10, s[96:97]
	v_cndmask_b32_e64 v0, v0, v99, s[34:35]
	s_mov_b64 s[96:97], s[18:19]
	v_cndmask_b32_e64 v0, v0, v120, s[96:97]
	s_mov_b64 s[6:7], s[20:21]
	;; [unrolled: 2-line block ×4, first 2 shown]
	v_writelane_b32 v126, s1, 62
	v_cndmask_b32_e64 v0, v0, v86, s[12:13]
	s_mov_b64 s[14:15], s[26:27]
	v_cndmask_b32_e64 v0, v0, v68, s[14:15]
	s_mov_b64 s[18:19], s[30:31]
	v_readlane_b32 s20, v126, 51
	v_cndmask_b32_e64 v0, v0, v69, s[18:19]
	v_readlane_b32 s21, v126, 52
	v_readlane_b32 s22, v126, 53
	v_readlane_b32 s23, v126, 54
	v_cndmask_b32_e64 v0, v0, v70, s[20:21]
	v_readlane_b32 s88, v126, 55
	v_cndmask_b32_e64 v0, v0, v71, s[22:23]
	v_readlane_b32 s89, v126, 56
	v_readlane_b32 s26, v126, 45
	v_readlane_b32 s27, v126, 46
	v_cndmask_b32_e64 v0, v0, v18, s[88:89]
	v_readlane_b32 s30, v126, 57
	v_cndmask_b32_e64 v0, v0, v72, s[26:27]
	v_readlane_b32 s31, v126, 58
	v_readlane_b32 s2, v126, 59
	v_readlane_b32 s3, v126, 60
	v_cndmask_b32_e64 v0, v0, v73, s[30:31]
	ds_bpermute_b32 v0, v107, v0
	v_cndmask_b32_e64 v32, v27, v10, s[4:5]
	s_mov_b64 s[4:5], s[46:47]
	s_mov_b64 s[46:47], s[50:51]
	;; [unrolled: 1-line block ×3, first 2 shown]
	s_waitcnt lgkmcnt(0)
	v_cndmask_b32_e64 v20, v73, v0, s[30:31]
	v_cndmask_b32_e64 v21, v72, v0, s[26:27]
	v_cndmask_b32_e64 v18, v18, v0, s[88:89]
	v_cndmask_b32_e64 v22, v71, v0, s[22:23]
	v_cndmask_b32_e64 v23, v70, v0, s[20:21]
	v_cndmask_b32_e64 v24, v69, v0, s[18:19]
	v_cndmask_b32_e64 v25, v68, v0, s[14:15]
	v_cndmask_b32_e64 v26, v86, v0, s[12:13]
	v_cndmask_b32_e64 v27, v85, v0, s[10:11]
	v_cndmask_b32_e64 v28, v80, v0, s[6:7]
	v_cndmask_b32_e64 v29, v120, v0, s[96:97]
	v_cndmask_b32_e64 v30, v99, v0, s[34:35]
	v_cndmask_b32_e64 v16, v16, v0, s[28:29]
	v_cndmask_b32_e64 v17, v17, v0, s[8:9]
	v_cndmask_b32_e64 v31, v77, v0, s[16:17]
	v_cndmask_b32_e64 v0, v76, v0, s[2:3]
	v_cndmask_b32_e64 v68, v0, v31, s[4:5]
	v_cndmask_b32_e64 v68, v68, v17, s[46:47]
	v_cndmask_b32_e64 v68, v68, v16, s[50:51]
	s_mov_b64 s[54:55], s[58:59]
	v_cndmask_b32_e64 v68, v68, v30, s[54:55]
	s_mov_b64 s[58:59], s[62:63]
	v_cndmask_b32_e64 v68, v68, v29, s[58:59]
	;; [unrolled: 2-line block ×8, first 2 shown]
	s_mov_b64 s[84:85], s[86:87]
	v_readlane_b32 s86, v126, 47
	v_cndmask_b32_e64 v68, v68, v22, s[84:85]
	v_readlane_b32 s87, v126, 48
	v_readlane_b32 s0, v126, 49
	;; [unrolled: 1-line block ×3, first 2 shown]
	v_cndmask_b32_e64 v68, v68, v18, s[86:87]
	v_cndmask_b32_e64 v68, v68, v21, s[98:99]
	;; [unrolled: 1-line block ×3, first 2 shown]
	ds_bpermute_b32 v68, v107, v68
	s_mov_b64 s[24:25], s[18:19]
	s_mov_b64 s[18:19], s[10:11]
	v_readlane_b32 s10, v126, 61
	v_readlane_b32 s11, v126, 62
	s_waitcnt lgkmcnt(0)
	v_cndmask_b32_e64 v20, v20, v68, s[0:1]
	v_cndmask_b32_e64 v21, v21, v68, s[98:99]
	;; [unrolled: 1-line block ×30, first 2 shown]
	v_cndmask_b32_e32 v0, v0, v20, vcc
	ds_bpermute_b32 v77, v107, v0
	v_cmp_eq_u32_e64 s[0:1], 0, v97
	scratch_store_dword off, v13, off offset:16 ; 4-byte Folded Spill
	v_cndmask_b32_e32 v15, v81, v19, vcc
	v_cndmask_b32_e64 v14, v82, v19, s[80:81]
	v_cndmask_b32_e64 v13, v83, v19, s[76:77]
	;; [unrolled: 1-line block ×13, first 2 shown]
	s_mov_b64 s[94:95], s[26:27]
	s_mov_b64 s[26:27], s[20:21]
	s_mov_b64 s[20:21], s[12:13]
	s_mov_b64 s[12:13], s[8:9]
	v_cndmask_b32_e64 v0, v65, v19, s[0:1]
	s_waitcnt lgkmcnt(0)
	v_cndmask_b32_e64 v19, v16, v77, s[40:41]
	v_cndmask_b32_e64 v16, v48, v33, s[16:17]
	v_cndmask_b32_e64 v16, v16, v34, s[12:13]
	v_cndmask_b32_e64 v16, v16, v35, s[28:29]
	v_cndmask_b32_e64 v16, v16, v36, s[34:35]
	v_cndmask_b32_e64 v16, v16, v37, s[96:97]
	v_cndmask_b32_e64 v16, v16, v44, s[6:7]
	v_cndmask_b32_e64 v16, v16, v43, s[18:19]
	s_mov_b64 s[90:91], s[30:31]
	s_mov_b64 s[30:31], s[22:23]
	s_mov_b64 s[22:23], s[14:15]
	v_cndmask_b32_e64 v16, v16, v42, s[20:21]
	v_cndmask_b32_e64 v16, v16, v41, s[22:23]
	;; [unrolled: 1-line block ×6, first 2 shown]
	s_mov_b64 s[14:15], s[94:95]
	v_cndmask_b32_e64 v16, v16, v46, s[14:15]
	s_mov_b64 s[94:95], s[90:91]
	v_cndmask_b32_e64 v16, v16, v47, s[94:95]
	ds_bpermute_b32 v16, v107, v16
	s_mov_b64 s[8:9], s[2:3]
	v_cndmask_b32_e64 v27, v23, v77, s[68:69]
	v_cndmask_b32_e64 v26, v24, v77, s[64:65]
	;; [unrolled: 1-line block ×3, first 2 shown]
	s_waitcnt lgkmcnt(0)
	v_cndmask_b32_e64 v47, v47, v16, s[94:95]
	v_cndmask_b32_e64 v46, v46, v16, s[14:15]
	;; [unrolled: 1-line block ×16, first 2 shown]
	s_mov_b64 s[2:3], s[4:5]
	v_cndmask_b32_e64 v48, v16, v33, s[2:3]
	v_cndmask_b32_e64 v48, v48, v34, s[46:47]
	v_cndmask_b32_e64 v48, v48, v35, s[50:51]
	v_cndmask_b32_e64 v48, v48, v36, s[54:55]
	v_cndmask_b32_e64 v48, v48, v37, s[58:59]
	v_cndmask_b32_e64 v48, v48, v44, s[62:63]
	v_cndmask_b32_e64 v48, v48, v43, s[66:67]
	v_cndmask_b32_e64 v48, v48, v42, s[70:71]
	v_cndmask_b32_e64 v48, v48, v41, s[74:75]
	v_cndmask_b32_e64 v48, v48, v40, s[78:79]
	v_cndmask_b32_e64 v48, v48, v39, s[82:83]
	v_cndmask_b32_e64 v48, v48, v38, s[84:85]
	v_cndmask_b32_e64 v48, v48, v45, s[86:87]
	v_readlane_b32 s4, v126, 49
	v_cndmask_b32_e64 v48, v48, v46, s[98:99]
	v_readlane_b32 s5, v126, 50
	s_mov_b64 s[14:15], s[6:7]
	s_mov_b64 s[6:7], s[10:11]
	v_cndmask_b32_e64 v48, v48, v47, s[4:5]
	ds_bpermute_b32 v48, v107, v48
	v_cndmask_b32_e64 v23, v70, v77, s[52:53]
	s_mov_b64 s[88:89], s[98:99]
	v_cndmask_b32_e32 v31, v20, v77, vcc
	v_writelane_b32 v126, vcc_lo, 63
	s_waitcnt lgkmcnt(0)
	v_cndmask_b32_e64 v47, v47, v48, s[4:5]
	v_cndmask_b32_e64 v46, v46, v48, s[98:99]
	;; [unrolled: 1-line block ×21, first 2 shown]
	s_mov_b64 s[98:99], s[86:87]
	s_mov_b64 s[86:87], s[84:85]
	;; [unrolled: 1-line block ×10, first 2 shown]
	v_cndmask_b32_e64 v16, v16, v70, s[48:49]
	s_mov_b64 s[54:55], s[52:53]
	v_cndmask_b32_e64 v16, v16, v69, s[54:55]
	v_cndmask_b32_e64 v16, v16, v65, s[56:57]
	;; [unrolled: 1-line block ×8, first 2 shown]
	v_cndmask_b32_e32 v16, v16, v47, vcc
	v_cndmask_b32_e64 v28, v22, v77, s[72:73]
	v_cndmask_b32_e64 v22, v71, v77, s[48:49]
	ds_bpermute_b32 v71, v107, v16
	s_mov_b64 s[4:5], s[2:3]
	s_mov_b64 s[2:3], s[12:13]
	v_cndmask_b32_e64 v16, v68, v77, s[0:1]
	s_mov_b64 s[90:91], s[0:1]
	s_waitcnt lgkmcnt(0)
	v_cndmask_b32_e64 v42, v40, v71, s[64:65]
	v_cndmask_b32_e64 v40, v65, v71, s[56:57]
	;; [unrolled: 1-line block ×7, first 2 shown]
	s_mov_b64 s[0:1], s[14:15]
	v_cndmask_b32_e64 v65, v65, v57, s[0:1]
	s_mov_b64 s[10:11], s[18:19]
	v_cndmask_b32_e64 v65, v65, v56, s[10:11]
	;; [unrolled: 2-line block ×6, first 2 shown]
	s_mov_b64 s[22:23], s[30:31]
	v_readlane_b32 s24, v126, 55
	v_cndmask_b32_e64 v30, v21, v77, s[80:81]
	v_cndmask_b32_e64 v29, v18, v77, s[76:77]
	;; [unrolled: 1-line block ×7, first 2 shown]
	s_mov_b64 s[52:53], s[44:45]
	v_cndmask_b32_e64 v36, v36, v71, s[42:43]
	s_mov_b64 s[44:45], s[42:43]
	v_cndmask_b32_e64 v35, v35, v71, s[40:41]
	;; [unrolled: 2-line block ×5, first 2 shown]
	v_readlane_b32 s25, v126, 56
	v_readlane_b32 s36, v126, 45
	;; [unrolled: 1-line block ×3, first 2 shown]
	v_cndmask_b32_e64 v65, v65, v50, s[24:25]
	s_mov_b64 s[26:27], s[22:23]
	v_cndmask_b32_e64 v65, v65, v49, s[36:37]
	v_cndmask_b32_e64 v65, v65, v32, s[94:95]
	ds_bpermute_b32 v65, v107, v65
	v_cndmask_b32_e64 v25, v25, v77, s[60:61]
	v_cndmask_b32_e64 v44, v38, v71, s[72:73]
	;; [unrolled: 1-line block ×4, first 2 shown]
	s_waitcnt lgkmcnt(0)
	v_cndmask_b32_e64 v62, v62, v65, s[16:17]
	v_cndmask_b32_e64 v63, v63, v65, s[8:9]
	;; [unrolled: 1-line block ×28, first 2 shown]
	s_mov_b64 s[22:23], s[18:19]
	s_mov_b64 s[18:19], s[12:13]
	;; [unrolled: 1-line block ×4, first 2 shown]
	v_cndmask_b32_e64 v65, v65, v50, s[98:99]
	v_readlane_b32 s8, v126, 49
	v_cndmask_b32_e64 v65, v65, v49, s[88:89]
	v_readlane_b32 s9, v126, 50
	v_cndmask_b32_e64 v38, v70, v71, s[48:49]
	v_writelane_b32 v127, vcc_hi, 0
	v_cndmask_b32_e64 v65, v65, v32, s[8:9]
	ds_bpermute_b32 v65, v107, v65
	v_cndmask_b32_e32 v47, v47, v71, vcc
	v_cndmask_b32_e64 v46, v46, v71, s[80:81]
	s_mov_b64 vcc, s[80:81]
	v_cndmask_b32_e64 v45, v45, v71, s[76:77]
	s_waitcnt lgkmcnt(0)
	v_cndmask_b32_e64 v68, v32, v65, s[8:9]
	v_cndmask_b32_e64 v49, v49, v65, s[88:89]
	v_cndmask_b32_e64 v50, v50, v65, s[98:99]
	v_cndmask_b32_e64 v51, v51, v65, s[86:87]
	v_cndmask_b32_e64 v52, v52, v65, s[84:85]
	v_cndmask_b32_e64 v53, v53, v65, s[82:83]
	v_cndmask_b32_e64 v54, v54, v65, s[78:79]
	v_cndmask_b32_e64 v55, v55, v65, s[74:75]
	v_cndmask_b32_e64 v69, v56, v65, s[70:71]
	v_cndmask_b32_e64 v70, v57, v65, s[66:67]
	v_cndmask_b32_e64 v72, v58, v65, s[62:63]
	v_cndmask_b32_e64 v73, v59, v65, s[58:59]
	v_cndmask_b32_e64 v76, v60, v65, s[50:51]
	v_cndmask_b32_e64 v77, v61, v65, s[46:47]
	v_cndmask_b32_e64 v80, v62, v65, s[4:5]
	v_cndmask_b32_e64 v65, v63, v65, s[6:7]
	v_cndmask_b32_e64 v32, v65, v80, s[38:39]
	v_cndmask_b32_e64 v32, v32, v77, s[40:41]
	v_cndmask_b32_e64 v32, v32, v76, s[42:43]
	v_cndmask_b32_e64 v32, v32, v73, s[44:45]
	v_cndmask_b32_e64 v32, v32, v72, s[52:53]
	v_cndmask_b32_e64 v32, v32, v70, s[48:49]
	s_mov_b64 s[80:81], s[76:77]
	s_mov_b64 s[76:77], s[72:73]
	;; [unrolled: 1-line block ×4, first 2 shown]
	v_cndmask_b32_e64 v41, v41, v71, s[60:61]
	s_mov_b64 s[64:65], s[60:61]
	s_mov_b64 s[60:61], s[56:57]
	v_cndmask_b32_e64 v32, v32, v69, s[54:55]
	v_cndmask_b32_e64 v32, v32, v55, s[60:61]
	;; [unrolled: 1-line block ×7, first 2 shown]
	v_readlane_b32 s56, v126, 63
	v_cndmask_b32_e32 v32, v32, v49, vcc
	v_readlane_b32 s57, v127, 0
	s_mov_b64 s[30:31], s[24:25]
	s_mov_b64 s[24:25], s[20:21]
	v_cndmask_b32_e64 v32, v32, v68, s[56:57]
	ds_bpermute_b32 v82, v107, v32
	s_mov_b64 s[20:21], s[14:15]
	s_mov_b64 s[14:15], s[10:11]
	;; [unrolled: 1-line block ×4, first 2 shown]
	s_waitcnt lgkmcnt(0)
	v_cndmask_b32_e64 v63, v68, v82, s[56:57]
	scratch_load_dword v68, off, off offset:20 ; 4-byte Folded Reload
	s_mov_b64 s[6:7], s[90:91]
	v_writelane_b32 v127, s6, 1
	s_mov_b64 s[90:91], s[56:57]
	s_mov_b64 s[56:57], s[12:13]
	v_cndmask_b32_e64 v32, v48, v71, s[6:7]
	v_cndmask_b32_e64 v48, v79, v78, s[16:17]
	;; [unrolled: 1-line block ×7, first 2 shown]
	s_mov_b64 s[12:13], s[14:15]
	v_cndmask_b32_e64 v48, v48, v110, s[12:13]
	s_mov_b64 s[14:15], s[18:19]
	v_cndmask_b32_e64 v48, v48, v124, s[14:15]
	;; [unrolled: 2-line block ×8, first 2 shown]
	v_writelane_b32 v127, s7, 2
	v_cndmask_b32_e32 v62, v49, v82, vcc
	v_cndmask_b32_e64 v61, v50, v82, s[80:81]
	v_cndmask_b32_e64 v60, v51, v82, s[76:77]
	;; [unrolled: 1-line block ×13, first 2 shown]
	v_writelane_b32 v127, s4, 3
	v_readlane_b32 s36, v126, 23
	v_readlane_b32 s37, v126, 24
	v_writelane_b32 v127, s5, 4
	v_writelane_b32 v127, s46, 5
	s_waitcnt vmcnt(0)
	v_cndmask_b32_e64 v48, v48, v68, s[94:95]
	ds_bpermute_b32 v48, v107, v48
	v_writelane_b32 v127, s47, 6
	s_waitcnt lgkmcnt(0)
	v_cndmask_b32_e64 v68, v68, v48, s[94:95]
	v_cndmask_b32_e64 v69, v100, v48, s[30:31]
	;; [unrolled: 1-line block ×29, first 2 shown]
	s_mov_b64 s[0:1], s[88:89]
	v_cndmask_b32_e64 v79, v79, v69, s[0:1]
	v_cndmask_b32_e64 v79, v79, v68, s[8:9]
	ds_bpermute_b32 v79, v107, v79
	s_waitcnt lgkmcnt(0)
	v_cndmask_b32_e64 v88, v80, v79, s[50:51]
	v_cndmask_b32_e64 v90, v78, v79, s[4:5]
	;; [unrolled: 1-line block ×10, first 2 shown]
	s_mov_b64 s[46:47], s[52:53]
	v_cndmask_b32_e64 v85, v77, v79, s[66:67]
	v_cndmask_b32_e64 v48, v48, v86, s[46:47]
	;; [unrolled: 1-line block ×19, first 2 shown]
	v_cndmask_b32_e32 v48, v48, v69, vcc
	v_cndmask_b32_e64 v48, v48, v68, s[90:91]
	ds_bpermute_b32 v81, v107, v48
	v_cndmask_b32_e64 v48, v65, v82, s[6:7]
	v_cndmask_b32_e64 v82, v108, v96, s[16:17]
	;; [unrolled: 1-line block ×4, first 2 shown]
	s_waitcnt lgkmcnt(0)
	v_cndmask_b32_e64 v74, v71, v81, s[68:69]
	v_cndmask_b32_e64 v71, v84, v81, s[54:55]
	scratch_load_dword v84, off, off offset:16 ; 4-byte Folded Reload
	v_cndmask_b32_e64 v73, v72, v81, s[64:65]
	v_cndmask_b32_e64 v72, v83, v81, s[60:61]
	scratch_load_dword v83, off, off offset:12 ; 4-byte Folded Reload
	v_cndmask_b32_e64 v82, v82, v98, s[34:35]
	v_cndmask_b32_e64 v82, v82, v121, s[96:97]
	;; [unrolled: 1-line block ×11, first 2 shown]
	v_cndmask_b32_e32 v78, v69, v81, vcc
	v_cndmask_b32_e64 v77, v66, v81, s[80:81]
	v_cndmask_b32_e64 v76, v67, v81, s[76:77]
	;; [unrolled: 1-line block ×9, first 2 shown]
	s_mov_b64 s[52:53], s[60:61]
	s_mov_b64 s[60:61], s[38:39]
	v_readlane_b32 s39, v126, 44
	s_mov_b32 s6, 0
	s_mov_b32 s7, 0
	v_readlane_b32 s38, v126, 25
	s_waitcnt vmcnt(1)
	v_cndmask_b32_e64 v82, v82, v84, s[30:31]
	s_waitcnt vmcnt(0)
	v_cndmask_b32_e64 v82, v82, v83, s[94:95]
	ds_bpermute_b32 v82, v107, v82
	s_waitcnt lgkmcnt(0)
	v_cndmask_b32_e64 v64, v64, v82, s[10:11]
	v_readlane_b32 s10, v126, 59
	v_cndmask_b32_e64 v91, v102, v82, s[12:13]
	v_readlane_b32 s11, v126, 60
	v_readlane_b32 s12, v127, 3
	v_cndmask_b32_e64 v83, v83, v82, s[94:95]
	v_cndmask_b32_e64 v84, v84, v82, s[30:31]
	;; [unrolled: 1-line block ×14, first 2 shown]
	v_readlane_b32 s13, v127, 4
	v_readlane_b32 s10, v127, 5
	;; [unrolled: 1-line block ×3, first 2 shown]
	v_cndmask_b32_e64 v98, v82, v96, s[12:13]
	v_readlane_b32 s16, v126, 2
	v_cndmask_b32_e64 v98, v98, v64, s[10:11]
	v_cndmask_b32_e64 v98, v98, v95, s[50:51]
	;; [unrolled: 1-line block ×14, first 2 shown]
	ds_bpermute_b32 v98, v107, v98
	v_readlane_b32 s20, v126, 6
	v_readlane_b32 s21, v126, 7
	;; [unrolled: 1-line block ×4, first 2 shown]
	s_waitcnt lgkmcnt(0)
	v_cndmask_b32_e64 v83, v83, v98, s[8:9]
	v_cndmask_b32_e64 v84, v84, v98, s[0:1]
	v_cndmask_b32_e64 v85, v85, v98, s[98:99]
	v_cndmask_b32_e64 v86, v86, v98, s[86:87]
	v_cndmask_b32_e64 v87, v87, v98, s[84:85]
	v_cndmask_b32_e64 v88, v88, v98, s[82:83]
	v_cndmask_b32_e64 v89, v89, v98, s[78:79]
	v_cndmask_b32_e64 v99, v90, v98, s[74:75]
	v_cndmask_b32_e64 v100, v91, v98, s[70:71]
	v_cndmask_b32_e64 v101, v92, v98, s[66:67]
	v_cndmask_b32_e64 v102, v93, v98, s[62:63]
	v_cndmask_b32_e64 v103, v94, v98, s[58:59]
	v_cndmask_b32_e64 v105, v95, v98, s[50:51]
	v_cndmask_b32_e64 v106, v64, v98, s[10:11]
	v_cndmask_b32_e64 v96, v96, v98, s[12:13]
	v_cndmask_b32_e64 v98, v82, v98, s[2:3]
	v_cndmask_b32_e64 v64, v98, v96, s[60:61]
	v_cndmask_b32_e64 v64, v64, v106, s[40:41]
	v_cndmask_b32_e64 v64, v64, v105, s[42:43]
	v_cndmask_b32_e64 v64, v64, v103, s[44:45]
	v_cndmask_b32_e64 v64, v64, v102, s[46:47]
	v_cndmask_b32_e64 v64, v64, v101, s[48:49]
	v_cndmask_b32_e64 v64, v64, v100, s[54:55]
	v_cndmask_b32_e64 v64, v64, v99, s[52:53]
	v_cndmask_b32_e64 v64, v64, v89, s[64:65]
	v_cndmask_b32_e64 v64, v64, v88, s[68:69]
	v_cndmask_b32_e64 v64, v64, v87, s[72:73]
	v_cndmask_b32_e64 v64, v64, v86, s[76:77]
	v_cndmask_b32_e64 v64, v64, v85, s[80:81]
	v_cndmask_b32_e32 v64, v64, v84, vcc
	v_cndmask_b32_e64 v64, v64, v83, s[90:91]
	ds_bpermute_b32 v107, v107, v64
	v_readlane_b32 s8, v127, 1
	v_readlane_b32 s9, v127, 2
	;; [unrolled: 1-line block ×4, first 2 shown]
	v_cndmask_b32_e64 v64, v80, v81, s[8:9]
	s_waitcnt lgkmcnt(0)
	v_cndmask_b32_e64 v95, v83, v107, s[90:91]
	v_cndmask_b32_e32 v94, v84, v107, vcc
	v_cndmask_b32_e64 v93, v85, v107, s[80:81]
	v_cndmask_b32_e64 v92, v86, v107, s[76:77]
	;; [unrolled: 1-line block ×14, first 2 shown]
	scratch_load_dwordx2 v[106:107], off, off offset:4 ; 8-byte Folded Reload
	scratch_load_dword v123, off, off offset:36 ; 4-byte Folded Reload
	scratch_load_dword v97, off, off offset:92 ; 4-byte Folded Reload
	v_readlane_b32 s52, v126, 26
	v_readlane_b32 s53, v126, 27
	s_mul_i32 s0, s39, s53
	s_ashr_i32 s1, s0, 31
	s_lshl_b64 s[0:1], s[0:1], 1
	v_readlane_b32 s44, v126, 38
	s_add_u32 s2, s20, s0
	v_readlane_b32 s45, v126, 39
	s_addc_u32 s3, s21, s1
	s_ashr_i32 s45, s44, 31
	s_lshl_b64 s[0:1], s[44:45], 1
	s_add_u32 s0, s2, s0
	s_addc_u32 s1, s3, s1
	v_readlane_b32 s41, v126, 42
	v_readlane_b32 s42, v126, 40
	;; [unrolled: 1-line block ×13, first 2 shown]
	v_subrev_u32_e32 v122, s41, v122
	v_readlane_b32 s11, v126, 0
	v_readlane_b32 s12, v126, 1
	v_readlane_b32 s15, v126, 11
	v_readlane_b32 s25, v126, 13
	v_readlane_b32 s13, v126, 14
	v_readlane_b32 s26, v126, 15
	v_readlane_b32 s27, v126, 16
	v_readlane_b32 s29, v126, 18
	v_readlane_b32 s30, v126, 19
	v_readlane_b32 s31, v126, 20
	v_readlane_b32 s34, v126, 21
	v_readlane_b32 s35, v126, 22
	v_readlane_b32 s40, v126, 43
	v_readlane_b32 s43, v126, 41
	v_readlane_b32 s47, v126, 37
	v_readlane_b32 s49, v126, 35
	v_readlane_b32 s56, v126, 30
                                        ; implicit-def: $sgpr2_sgpr3
	s_waitcnt vmcnt(2)
	v_lshl_add_u64 v[102:103], s[0:1], 0, v[106:107]
	s_mov_b64 s[0:1], 0
	s_branch .LBB377_37
.LBB377_36:                             ;   in Loop: Header=BB377_37 Depth=2
	s_or_b64 exec, exec, s[4:5]
	s_and_b64 s[4:5], exec, s[2:3]
	s_or_b64 s[0:1], s[4:5], s[0:1]
	s_andn2_b64 exec, exec, s[0:1]
	s_cbranch_execz .LBB377_39
.LBB377_37:                             ;   Parent Loop BB377_7 Depth=1
                                        ; =>  This Inner Loop Header: Depth=2
	s_and_b32 s4, s7, 2
	s_and_b32 s5, s6, 24
	s_or_b32 s4, s5, s4
	s_waitcnt vmcnt(0)
	v_or_b32_e32 v96, s4, v97
	v_add_u32_e32 v98, s92, v96
	v_cmp_gt_u32_e32 vcc, 32, v98
	s_or_b64 s[2:3], s[2:3], exec
	s_and_saveexec_b64 s[4:5], vcc
	s_cbranch_execz .LBB377_36
; %bb.38:                               ;   in Loop: Header=BB377_37 Depth=2
	s_add_i32 s10, s7, 1
	s_set_gpr_idx_on s7, gpr_idx(SRC0)
	v_mov_b32_e32 v98, v0
	s_set_gpr_idx_off
	v_cvt_f16_f32_e32 v100, v98
	s_set_gpr_idx_on s10, gpr_idx(SRC0)
	v_mov_b32_e32 v98, v0
	s_set_gpr_idx_off
	v_cvt_f16_f32_sdwa v101, v98 dst_sel:WORD_1 dst_unused:UNUSED_PAD src0_sel:DWORD
	v_mul_lo_u32 v98, v96, s53
	v_ashrrev_i32_e32 v99, 31, v98
	v_lshl_add_u64 v[98:99], v[98:99], 1, v[102:103]
	v_or_b32_e32 v96, v101, v100
	;;#ASMSTART
	global_atomic_pk_add_f16 v[98:99], v96, off
	
	;;#ASMEND
	s_set_gpr_idx_on s7, gpr_idx(SRC0)
	v_mov_b32_e32 v96, v16
	s_set_gpr_idx_off
	v_cvt_f16_f32_e32 v96, v96
	s_set_gpr_idx_on s10, gpr_idx(SRC0)
	v_mov_b32_e32 v100, v16
	s_set_gpr_idx_off
	v_cvt_f16_f32_sdwa v105, v100 dst_sel:WORD_1 dst_unused:UNUSED_PAD src0_sel:DWORD
	v_lshl_add_u64 v[100:101], v[98:99], 0, 64
	s_mov_b64 s[8:9], 0x80
	s_add_i32 s6, s6, 4
	v_or_b32_e32 v96, v105, v96
	;;#ASMSTART
	global_atomic_pk_add_f16 v[100:101], v96, off
	
	;;#ASMEND
	s_set_gpr_idx_on s7, gpr_idx(SRC0)
	v_mov_b32_e32 v96, v32
	s_set_gpr_idx_off
	v_cvt_f16_f32_e32 v96, v96
	s_set_gpr_idx_on s10, gpr_idx(SRC0)
	v_mov_b32_e32 v100, v32
	s_set_gpr_idx_off
	v_cvt_f16_f32_sdwa v105, v100 dst_sel:WORD_1 dst_unused:UNUSED_PAD src0_sel:DWORD
	v_lshl_add_u64 v[100:101], v[98:99], 0, s[8:9]
	s_mov_b64 s[8:9], 0xc0
	v_or_b32_e32 v96, v105, v96
	;;#ASMSTART
	global_atomic_pk_add_f16 v[100:101], v96, off
	
	;;#ASMEND
	s_set_gpr_idx_on s7, gpr_idx(SRC0)
	v_mov_b32_e32 v96, v48
	s_set_gpr_idx_off
	v_cvt_f16_f32_e32 v96, v96
	s_set_gpr_idx_on s10, gpr_idx(SRC0)
	v_mov_b32_e32 v100, v48
	s_set_gpr_idx_off
	v_cvt_f16_f32_sdwa v105, v100 dst_sel:WORD_1 dst_unused:UNUSED_PAD src0_sel:DWORD
	v_lshl_add_u64 v[100:101], v[98:99], 0, s[8:9]
	s_mov_b64 s[8:9], 0x100
	;; [unrolled: 15-line block ×3, first 2 shown]
	v_lshl_add_u64 v[98:99], v[98:99], 0, s[8:9]
	v_or_b32_e32 v96, v105, v96
	;;#ASMSTART
	global_atomic_pk_add_f16 v[100:101], v96, off
	
	;;#ASMEND
	s_set_gpr_idx_on s7, gpr_idx(SRC0)
	v_mov_b32_e32 v96, v80
	s_set_gpr_idx_off
	v_cvt_f16_f32_e32 v96, v96
	s_set_gpr_idx_on s10, gpr_idx(SRC0)
	v_mov_b32_e32 v100, v80
	s_set_gpr_idx_off
	s_add_i32 s7, s7, 2
	v_cvt_f16_f32_sdwa v100, v100 dst_sel:WORD_1 dst_unused:UNUSED_PAD src0_sel:DWORD
	s_cmp_eq_u32 s7, 16
	s_cselect_b64 s[8:9], -1, 0
	s_andn2_b64 s[2:3], s[2:3], exec
	s_and_b64 s[8:9], s[8:9], exec
	s_or_b64 s[2:3], s[2:3], s[8:9]
	v_or_b32_e32 v96, v100, v96
	;;#ASMSTART
	global_atomic_pk_add_f16 v[98:99], v96, off
	
	;;#ASMEND
	s_branch .LBB377_36
.LBB377_39:                             ;   in Loop: Header=BB377_7 Depth=1
	s_or_b64 exec, exec, s[0:1]
	scratch_load_dword v22, off, off offset:28 ; 4-byte Folded Reload
	scratch_load_dword v121, off, off offset:32 ; 4-byte Folded Reload
	scratch_load_dwordx2 v[24:25], off, off offset:72 ; 8-byte Folded Reload
	scratch_load_dword v23, off, off offset:88 ; 4-byte Folded Reload
.LBB377_40:                             ;   in Loop: Header=BB377_7 Depth=1
	s_or_b64 exec, exec, s[48:49]
.LBB377_41:                             ;   in Loop: Header=BB377_7 Depth=1
	s_andn2_saveexec_b64 s[0:1], s[46:47]
	s_cbranch_execz .LBB377_50
; %bb.42:                               ;   in Loop: Header=BB377_7 Depth=1
	s_mul_i32 s10, s41, 6
	v_cmp_gt_i32_e32 vcc, s10, v122
	s_and_saveexec_b64 s[2:3], vcc
	s_cbranch_execz .LBB377_49
; %bb.43:                               ;   in Loop: Header=BB377_7 Depth=1
	scratch_load_dwordx2 v[0:1], off, off offset:80 ; 8-byte Folded Reload
	s_mul_i32 s4, s44, s55
	s_ashr_i32 s5, s4, 31
	s_add_u32 s4, s18, s4
	s_addc_u32 s5, s19, s5
	s_ashr_i32 s6, s40, 31
	s_add_u32 s4, s4, s40
	s_addc_u32 s5, s5, s6
	s_waitcnt vmcnt(0)
	v_lshl_add_u64 v[0:1], s[4:5], 0, v[0:1]
	v_lshl_add_u64 v[16:17], v[0:1], 0, v[24:25]
	s_mov_b64 s[4:5], 0
	s_branch .LBB377_45
.LBB377_44:                             ;   in Loop: Header=BB377_45 Depth=2
	s_or_b64 exec, exec, s[6:7]
	v_lshl_or_b32 v20, v18, 12, v23
	;;#ASMSTART
	s_waitcnt vmcnt(3)
	;;#ASMEND
	ds_write2_b32 v20, v12, v13 offset1:32
	ds_write2_b32 v20, v14, v15 offset0:64 offset1:96
	v_add_u32_e32 v12, 0x400, v20
	;;#ASMSTART
	s_waitcnt vmcnt(2)
	;;#ASMEND
	ds_write2_b32 v12, v8, v9 offset1:32
	ds_write2_b32 v12, v10, v11 offset0:64 offset1:96
	v_add_u32_e32 v8, 0x800, v20
	;;#ASMSTART
	s_waitcnt vmcnt(1)
	;;#ASMEND
	ds_write2_b32 v8, v4, v5 offset1:32
	ds_write2_b32 v8, v6, v7 offset0:64 offset1:96
	v_add_u32_e32 v4, 0xc00, v20
	v_add_u32_e32 v122, s58, v122
	;;#ASMSTART
	s_waitcnt vmcnt(0)
	;;#ASMEND
	ds_write2_b32 v4, v0, v1 offset1:32
	ds_write2_b32 v4, v2, v3 offset0:64 offset1:96
	v_add_u32_e32 v0, 1, v119
	v_add_u32_e32 v104, s58, v18
	v_cmp_le_i32_e32 vcc, s10, v122
	ds_write_b32 v19, v0 offset:16
	v_add_u32_e32 v0, 2, v119
	s_or_b64 s[4:5], vcc, s[4:5]
	v_cmp_lt_i32_e32 vcc, 5, v104
	s_nop 1
	v_cndmask_b32_e32 v119, v119, v0, vcc
	s_andn2_b64 exec, exec, s[4:5]
	s_cbranch_execz .LBB377_48
.LBB377_45:                             ;   Parent Loop BB377_7 Depth=1
                                        ; =>  This Loop Header: Depth=2
                                        ;       Child Loop BB377_47 Depth 3
	v_cmp_gt_i32_e32 vcc, 6, v104
	s_mov_b32 s6, 0x2aaaaaab
	s_nop 0
	v_cndmask_b32_e64 v0, -6, 0, vcc
	v_add_u32_e32 v18, v0, v104
	v_mul_hi_i32 v0, v122, s6
	v_lshrrev_b32_e32 v1, 31, v0
	v_add_u32_e32 v0, v0, v1
	v_mul_lo_u32 v1, v0, 6
	v_sub_u32_e32 v2, v122, v1
	v_lshlrev_b32_e32 v0, 7, v0
	v_ashrrev_i32_e32 v1, 31, v0
	v_mul_lo_u32 v2, s31, v2
	v_lshl_add_u64 v[0:1], v[16:17], 0, v[0:1]
	v_ashrrev_i32_e32 v3, 31, v2
	v_lshl_add_u64 v[0:1], v[0:1], 0, v[2:3]
	v_lshlrev_b32_e32 v19, 2, v18
	;;#ASMSTART
	global_load_dwordx4 v[12:15], v[0:1], off offset:0   sc0 sc1 nt  
	global_load_dwordx4 v[8:11], v[0:1], off offset:32  sc0 sc1 nt  
	global_load_dwordx4 v[4:7], v[0:1], off offset:64  sc0 sc1 nt  
	;; [unrolled: 1-line block ×3, first 2 shown]
	
	;;#ASMEND
	ds_read_b32 v20, v19 offset:40976
	v_add_u32_e32 v19, 0xa000, v19
	s_waitcnt lgkmcnt(0)
	v_cmp_ne_u32_e32 vcc, v20, v119
	s_and_saveexec_b64 s[6:7], vcc
	s_cbranch_execz .LBB377_44
; %bb.46:                               ;   in Loop: Header=BB377_45 Depth=2
	s_mov_b64 s[8:9], 0
.LBB377_47:                             ;   Parent Loop BB377_7 Depth=1
                                        ;     Parent Loop BB377_45 Depth=2
                                        ; =>    This Inner Loop Header: Depth=3
	;;#ASMSTART
	s_sleep 0
	;;#ASMEND
	ds_read_b32 v20, v19 offset:16
	s_waitcnt lgkmcnt(0)
	v_cmp_eq_u32_e32 vcc, v20, v119
	s_or_b64 s[8:9], vcc, s[8:9]
	s_andn2_b64 exec, exec, s[8:9]
	s_cbranch_execnz .LBB377_47
	s_branch .LBB377_44
.LBB377_48:                             ;   in Loop: Header=BB377_7 Depth=1
	s_or_b64 exec, exec, s[4:5]
.LBB377_49:                             ;   in Loop: Header=BB377_7 Depth=1
	s_or_b64 exec, exec, s[2:3]
	v_subrev_u32_e32 v122, s10, v122
.LBB377_50:                             ;   in Loop: Header=BB377_7 Depth=1
	s_or_b64 exec, exec, s[0:1]
.LBB377_51:                             ;   in Loop: Header=BB377_7 Depth=1
	s_andn2_saveexec_b64 s[0:1], s[42:43]
	s_cbranch_execz .LBB377_6
; %bb.52:                               ;   in Loop: Header=BB377_7 Depth=1
	s_lshl_b32 s10, s41, 2
	v_cmp_gt_i32_e32 vcc, s10, v122
	s_and_saveexec_b64 s[2:3], vcc
	s_cbranch_execz .LBB377_5
; %bb.53:                               ;   in Loop: Header=BB377_7 Depth=1
	s_mul_i32 s4, s39, s54
	s_ashr_i32 s5, s4, 31
	s_add_u32 s4, s16, s4
	s_addc_u32 s5, s17, s5
	s_ashr_i32 s6, s40, 31
	s_add_u32 s4, s4, s40
	s_addc_u32 s5, s5, s6
	s_waitcnt vmcnt(2)
	v_add_u32_e32 v2, s92, v121
	s_movk_i32 s6, 0x80
	v_mul_lo_u32 v0, s54, v121
	v_cmp_gt_u32_e32 vcc, s6, v2
	v_sub_u32_e32 v18, 0x7f, v2
	s_nop 0
	v_cndmask_b32_e32 v0, 0, v0, vcc
	v_ashrrev_i32_e32 v1, 31, v0
	v_lshl_add_u64 v[0:1], s[4:5], 0, v[0:1]
	s_waitcnt vmcnt(1)
	v_lshl_add_u64 v[16:17], v[0:1], 0, v[24:25]
	s_mov_b64 s[4:5], 0
	s_branch .LBB377_55
.LBB377_54:                             ;   in Loop: Header=BB377_55 Depth=2
	s_or_b64 exec, exec, s[6:7]
	v_lshl_add_u32 v21, v19, 12, v118
	;;#ASMSTART
	s_waitcnt vmcnt(3)
	;;#ASMEND
	ds_write2_b32 v21, v12, v13 offset1:32
	ds_write2_b32 v21, v14, v15 offset0:64 offset1:96
	v_add_u32_e32 v12, 0x400, v21
	;;#ASMSTART
	s_waitcnt vmcnt(2)
	;;#ASMEND
	ds_write2_b32 v12, v8, v9 offset1:32
	ds_write2_b32 v12, v10, v11 offset0:64 offset1:96
	v_add_u32_e32 v8, 0x800, v21
	;; [unrolled: 6-line block ×3, first 2 shown]
	v_add_u32_e32 v122, s57, v122
	;;#ASMSTART
	s_waitcnt vmcnt(0)
	;;#ASMEND
	ds_write2_b32 v4, v0, v1 offset1:32
	ds_write2_b32 v4, v2, v3 offset0:64 offset1:96
	v_add_u32_e32 v0, 1, v119
	v_add_u32_e32 v104, s57, v19
	v_cmp_le_i32_e32 vcc, s10, v122
	ds_write_b32 v20, v0
	v_add_u32_e32 v0, 2, v119
	s_or_b64 s[4:5], vcc, s[4:5]
	v_cmp_lt_i32_e32 vcc, 3, v104
	s_nop 1
	v_cndmask_b32_e32 v119, v119, v0, vcc
	s_andn2_b64 exec, exec, s[4:5]
	s_cbranch_execz .LBB377_4
.LBB377_55:                             ;   Parent Loop BB377_7 Depth=1
                                        ; =>  This Loop Header: Depth=2
                                        ;       Child Loop BB377_57 Depth 3
	v_cmp_gt_i32_e32 vcc, 4, v104
	s_nop 1
	v_cndmask_b32_e64 v0, -4, 0, vcc
	v_add_u32_e32 v19, v0, v104
	v_ashrrev_i32_e32 v0, 31, v122
	v_lshrrev_b32_e32 v0, 30, v0
	v_add_u32_e32 v0, v122, v0
	v_and_b32_e32 v1, 0x7fffffc, v0
	v_sub_u32_e32 v1, v122, v1
	v_lshlrev_b32_e32 v1, 5, v1
	v_cmp_le_i32_e32 vcc, v1, v18
	v_lshlrev_b32_e32 v0, 5, v0
	v_and_b32_e32 v0, 0xffffff80, v0
	v_cndmask_b32_e32 v2, 0, v1, vcc
	v_ashrrev_i32_e32 v1, 31, v0
	v_mul_lo_u32 v2, v2, s54
	v_lshl_add_u64 v[0:1], v[16:17], 0, v[0:1]
	v_ashrrev_i32_e32 v3, 31, v2
	v_lshl_add_u64 v[0:1], v[0:1], 0, v[2:3]
	v_lshlrev_b32_e32 v20, 2, v19
	;;#ASMSTART
	global_load_dwordx4 v[12:15], v[0:1], off offset:0   
	global_load_dwordx4 v[8:11], v[0:1], off offset:32  
	;; [unrolled: 1-line block ×4, first 2 shown]
	
	;;#ASMEND
	ds_read_b32 v21, v20 offset:40960
	v_add_u32_e32 v20, 0xa000, v20
	s_waitcnt lgkmcnt(0)
	v_cmp_ne_u32_e32 vcc, v21, v119
	s_and_saveexec_b64 s[6:7], vcc
	s_cbranch_execz .LBB377_54
; %bb.56:                               ;   in Loop: Header=BB377_55 Depth=2
	s_mov_b64 s[8:9], 0
.LBB377_57:                             ;   Parent Loop BB377_7 Depth=1
                                        ;     Parent Loop BB377_55 Depth=2
                                        ; =>    This Inner Loop Header: Depth=3
	;;#ASMSTART
	s_sleep 0
	;;#ASMEND
	ds_read_b32 v21, v20
	s_waitcnt lgkmcnt(0)
	v_cmp_eq_u32_e32 vcc, v21, v119
	s_or_b64 s[8:9], vcc, s[8:9]
	s_andn2_b64 exec, exec, s[8:9]
	s_cbranch_execnz .LBB377_57
	s_branch .LBB377_54
.LBB377_58:
	s_endpgm
	.section	.rodata,"a",@progbits
	.p2align	6, 0x0
	.amdhsa_kernel _Z19_skinny_gemm_kernelILi4ELi6ELi1ELi32ELi8EEvPKhS1_P6__halfPKfiiiiiiii
		.amdhsa_group_segment_fixed_size 41000
		.amdhsa_private_segment_fixed_size 104
		.amdhsa_kernarg_size 64
		.amdhsa_user_sgpr_count 2
		.amdhsa_user_sgpr_dispatch_ptr 0
		.amdhsa_user_sgpr_queue_ptr 0
		.amdhsa_user_sgpr_kernarg_segment_ptr 1
		.amdhsa_user_sgpr_dispatch_id 0
		.amdhsa_user_sgpr_kernarg_preload_length 0
		.amdhsa_user_sgpr_kernarg_preload_offset 0
		.amdhsa_user_sgpr_private_segment_size 0
		.amdhsa_uses_dynamic_stack 0
		.amdhsa_enable_private_segment 1
		.amdhsa_system_sgpr_workgroup_id_x 1
		.amdhsa_system_sgpr_workgroup_id_y 0
		.amdhsa_system_sgpr_workgroup_id_z 0
		.amdhsa_system_sgpr_workgroup_info 0
		.amdhsa_system_vgpr_workitem_id 0
		.amdhsa_next_free_vgpr 128
		.amdhsa_next_free_sgpr 100
		.amdhsa_accum_offset 128
		.amdhsa_reserve_vcc 1
		.amdhsa_float_round_mode_32 0
		.amdhsa_float_round_mode_16_64 0
		.amdhsa_float_denorm_mode_32 3
		.amdhsa_float_denorm_mode_16_64 3
		.amdhsa_dx10_clamp 1
		.amdhsa_ieee_mode 1
		.amdhsa_fp16_overflow 0
		.amdhsa_tg_split 0
		.amdhsa_exception_fp_ieee_invalid_op 0
		.amdhsa_exception_fp_denorm_src 0
		.amdhsa_exception_fp_ieee_div_zero 0
		.amdhsa_exception_fp_ieee_overflow 0
		.amdhsa_exception_fp_ieee_underflow 0
		.amdhsa_exception_fp_ieee_inexact 0
		.amdhsa_exception_int_div_zero 0
	.end_amdhsa_kernel
	.section	.text._Z19_skinny_gemm_kernelILi4ELi6ELi1ELi32ELi8EEvPKhS1_P6__halfPKfiiiiiiii,"axG",@progbits,_Z19_skinny_gemm_kernelILi4ELi6ELi1ELi32ELi8EEvPKhS1_P6__halfPKfiiiiiiii,comdat
.Lfunc_end377:
	.size	_Z19_skinny_gemm_kernelILi4ELi6ELi1ELi32ELi8EEvPKhS1_P6__halfPKfiiiiiiii, .Lfunc_end377-_Z19_skinny_gemm_kernelILi4ELi6ELi1ELi32ELi8EEvPKhS1_P6__halfPKfiiiiiiii
                                        ; -- End function
	.set _Z19_skinny_gemm_kernelILi4ELi6ELi1ELi32ELi8EEvPKhS1_P6__halfPKfiiiiiiii.num_vgpr, 128
	.set _Z19_skinny_gemm_kernelILi4ELi6ELi1ELi32ELi8EEvPKhS1_P6__halfPKfiiiiiiii.num_agpr, 0
	.set _Z19_skinny_gemm_kernelILi4ELi6ELi1ELi32ELi8EEvPKhS1_P6__halfPKfiiiiiiii.numbered_sgpr, 100
	.set _Z19_skinny_gemm_kernelILi4ELi6ELi1ELi32ELi8EEvPKhS1_P6__halfPKfiiiiiiii.num_named_barrier, 0
	.set _Z19_skinny_gemm_kernelILi4ELi6ELi1ELi32ELi8EEvPKhS1_P6__halfPKfiiiiiiii.private_seg_size, 104
	.set _Z19_skinny_gemm_kernelILi4ELi6ELi1ELi32ELi8EEvPKhS1_P6__halfPKfiiiiiiii.uses_vcc, 1
	.set _Z19_skinny_gemm_kernelILi4ELi6ELi1ELi32ELi8EEvPKhS1_P6__halfPKfiiiiiiii.uses_flat_scratch, 0
	.set _Z19_skinny_gemm_kernelILi4ELi6ELi1ELi32ELi8EEvPKhS1_P6__halfPKfiiiiiiii.has_dyn_sized_stack, 0
	.set _Z19_skinny_gemm_kernelILi4ELi6ELi1ELi32ELi8EEvPKhS1_P6__halfPKfiiiiiiii.has_recursion, 0
	.set _Z19_skinny_gemm_kernelILi4ELi6ELi1ELi32ELi8EEvPKhS1_P6__halfPKfiiiiiiii.has_indirect_call, 0
	.section	.AMDGPU.csdata,"",@progbits
; Kernel info:
; codeLenInByte = 21688
; TotalNumSgprs: 106
; NumVgprs: 128
; NumAgprs: 0
; TotalNumVgprs: 128
; ScratchSize: 104
; MemoryBound: 0
; FloatMode: 240
; IeeeMode: 1
; LDSByteSize: 41000 bytes/workgroup (compile time only)
; SGPRBlocks: 13
; VGPRBlocks: 15
; NumSGPRsForWavesPerEU: 106
; NumVGPRsForWavesPerEU: 128
; AccumOffset: 128
; Occupancy: 4
; WaveLimiterHint : 0
; COMPUTE_PGM_RSRC2:SCRATCH_EN: 1
; COMPUTE_PGM_RSRC2:USER_SGPR: 2
; COMPUTE_PGM_RSRC2:TRAP_HANDLER: 0
; COMPUTE_PGM_RSRC2:TGID_X_EN: 1
; COMPUTE_PGM_RSRC2:TGID_Y_EN: 0
; COMPUTE_PGM_RSRC2:TGID_Z_EN: 0
; COMPUTE_PGM_RSRC2:TIDIG_COMP_CNT: 0
; COMPUTE_PGM_RSRC3_GFX90A:ACCUM_OFFSET: 31
; COMPUTE_PGM_RSRC3_GFX90A:TG_SPLIT: 0
	.section	.text._Z19_skinny_gemm_kernelILi4ELi6ELi2ELi16ELi4EEvPKhS1_P6__halfPKfiiiiiiii,"axG",@progbits,_Z19_skinny_gemm_kernelILi4ELi6ELi2ELi16ELi4EEvPKhS1_P6__halfPKfiiiiiiii,comdat
	.protected	_Z19_skinny_gemm_kernelILi4ELi6ELi2ELi16ELi4EEvPKhS1_P6__halfPKfiiiiiiii ; -- Begin function _Z19_skinny_gemm_kernelILi4ELi6ELi2ELi16ELi4EEvPKhS1_P6__halfPKfiiiiiiii
	.globl	_Z19_skinny_gemm_kernelILi4ELi6ELi2ELi16ELi4EEvPKhS1_P6__halfPKfiiiiiiii
	.p2align	8
	.type	_Z19_skinny_gemm_kernelILi4ELi6ELi2ELi16ELi4EEvPKhS1_P6__halfPKfiiiiiiii,@function
_Z19_skinny_gemm_kernelILi4ELi6ELi2ELi16ELi4EEvPKhS1_P6__halfPKfiiiiiiii: ; @_Z19_skinny_gemm_kernelILi4ELi6ELi2ELi16ELi4EEvPKhS1_P6__halfPKfiiiiiiii
; %bb.0:
	v_cmp_gt_u32_e32 vcc, 20, v0
	v_lshlrev_b32_e32 v1, 2, v0
	s_and_saveexec_b64 s[4:5], vcc
; %bb.1:
	v_mov_b32_e32 v2, 0
	ds_write_b32 v1, v2 offset:40960
; %bb.2:
	s_or_b64 exec, exec, s[4:5]
	s_load_dwordx8 s[20:27], s[0:1], 0x20
	s_mov_b32 s58, 0x2aaaaaab
	s_waitcnt lgkmcnt(0)
	s_barrier
	s_add_i32 s3, s20, 63
	s_ashr_i32 s5, s3, 31
	s_lshr_b32 s5, s5, 26
	s_add_i32 s4, s21, 0x5f
	s_add_i32 s3, s3, s5
	s_ashr_i32 s33, s3, 6
	s_mul_hi_i32 s3, s4, 0x2aaaaaab
	s_lshr_b32 s4, s3, 31
	s_ashr_i32 s56, s3, 4
	s_add_i32 s56, s56, s4
	s_mul_i32 s3, s56, s33
	s_mul_i32 s3, s3, s24
	s_add_i32 s4, s3, 0x12f
	s_mul_hi_i32 s4, s4, 0x6bca1af3
	s_lshr_b32 s5, s4, 31
	s_ashr_i32 s4, s4, 7
	s_add_i32 s4, s4, s5
	s_add_i32 s5, s2, 1
	s_mul_i32 s5, s4, s5
	v_cvt_f64_i32_e32 v[2:3], s3
	v_cvt_f64_u32_e32 v[4:5], s5
	v_min_f64 v[2:3], v[2:3], v[4:5]
	v_cvt_i32_f64_e32 v17, v[2:3]
	s_mul_i32 s57, s4, s2
	v_cmp_ge_i32_e32 vcc, s57, v17
	s_cbranch_vccnz .LBB378_72
; %bb.3:
	v_lshrrev_b32_e32 v3, 6, v0
	s_add_i32 s4, s26, s25
	s_load_dwordx8 s[36:43], s[0:1], 0x0
	v_cmp_le_i32_e64 s[0:1], s4, v3
	v_mov_b32_e32 v2, s25
	v_cmp_le_i32_e64 s[2:3], s25, v3
	v_mov_b32_e32 v4, s26
	v_cndmask_b32_e64 v4, 0, v4, s[0:1]
	v_cndmask_b32_e64 v2, 0, v2, s[2:3]
	s_abs_i32 s5, s24
	v_add_u32_e32 v2, v2, v4
	v_cvt_f32_u32_e32 v4, s5
	s_ashr_i32 s6, s22, 31
	s_lshr_b32 s6, s6, 25
	s_sub_i32 s9, 0, s5
	v_rcp_iflag_f32_e32 v4, v4
	s_add_i32 s6, s22, s6
	s_ashr_i32 s6, s6, 7
	s_abs_i32 s8, s6
	v_mul_f32_e32 v4, 0x4f7ffffe, v4
	v_cvt_u32_f32_e32 v4, v4
	s_xor_b32 s7, s6, s24
	s_ashr_i32 s7, s7, 31
	v_sub_u32_e32 v2, v3, v2
	v_readfirstlane_b32 s10, v4
	s_mul_i32 s9, s9, s10
	s_mul_hi_u32 s9, s10, s9
	s_add_i32 s10, s10, s9
	s_mul_hi_u32 s9, s8, s10
	s_mul_i32 s10, s9, s5
	s_sub_i32 s8, s8, s10
	s_add_i32 s10, s9, 1
	s_sub_i32 s11, s8, s5
	s_cmp_ge_u32 s8, s5
	s_cselect_b32 s9, s10, s9
	s_cselect_b32 s8, s11, s8
	s_add_i32 s10, s9, 1
	s_cmp_ge_u32 s8, s5
	s_cselect_b32 s5, s10, s9
	s_xor_b32 s5, s5, s7
	s_sub_i32 s59, s5, s7
	s_add_i32 s24, s24, -1
	s_mul_i32 s5, s59, s24
	s_add_i32 s4, s4, s27
	s_sub_i32 s60, s6, s5
	v_cmp_gt_i32_e64 s[4:5], s4, v3
	v_lshlrev_b32_e32 v3, 1, v0
	v_lshlrev_b32_e32 v4, 4, v0
	v_and_b32_e32 v1, 60, v1
	v_and_b32_e32 v3, 64, v3
	;; [unrolled: 1-line block ×3, first 2 shown]
	v_bfe_u32 v20, v0, 2, 4
	v_or3_b32 v30, v1, v3, v5
	v_and_b32_e32 v8, 14, v0
	v_and_b32_e32 v1, 1, v0
	v_lshrrev_b32_e32 v5, 2, v0
	v_bitop3_b32 v6, v0, 1, v0 bitop3:0xc
	v_and_b32_e32 v18, 48, v4
	v_mul_lo_u32 v4, s23, v20
	v_lshlrev_b32_e32 v3, 1, v1
	scratch_store_dword off, v6, off offset:100 ; 4-byte Folded Spill
	v_and_or_b32 v1, v5, 12, v1
	v_mov_b32_e32 v6, v8
	v_ashrrev_i32_e32 v5, 31, v4
	s_abs_i32 s61, s33
	scratch_store_dwordx2 off, v[6:7], off offset:116 ; 8-byte Folded Spill
	scratch_store_dword off, v1, off offset:104 ; 4-byte Folded Spill
	scratch_store_dwordx2 off, v[4:5], off offset:140 ; 8-byte Folded Spill
	v_cvt_f32_u32_e32 v4, s61
	v_sub_u32_e32 v3, v0, v3
	v_bitop3_b32 v94, v0, 3, 1 bitop3:0x6c
	v_mad_u64_u32 v[6:7], s[6:7], s21, v1, v[8:9]
	v_and_b32_e32 v1, 60, v0
	v_lshlrev_b32_e32 v5, 8, v0
	v_lshlrev_b32_e32 v0, 6, v0
	v_and_b32_e32 v5, 0x200, v5
	v_rcp_iflag_f32_e32 v4, v4
	v_and_b32_e32 v0, 64, v0
	s_abs_i32 s63, s56
	v_or3_b32 v11, v1, v5, v0
	v_cvt_f32_u32_e32 v1, s63
	v_mul_f32_e32 v0, 0x4f7ffffe, v4
	v_cvt_u32_f32_e32 v0, v0
	v_ashrrev_i32_e32 v7, 31, v6
	v_rcp_iflag_f32_e32 v1, v1
	s_lshl_b32 s6, s21, 4
	scratch_store_dwordx2 off, v[6:7], off offset:148 ; 8-byte Folded Spill
	v_add_u32_e32 v6, s6, v6
	v_ashrrev_i32_e32 v7, 31, v6
	scratch_store_dwordx2 off, v[6:7], off offset:156 ; 8-byte Folded Spill
	v_add_u32_e32 v6, s6, v6
	v_readfirstlane_b32 s7, v0
	v_mul_f32_e32 v0, 0x4f7ffffe, v1
	v_ashrrev_i32_e32 v7, 31, v6
	v_cvt_u32_f32_e32 v0, v0
	scratch_store_dwordx2 off, v[6:7], off offset:164 ; 8-byte Folded Spill
	v_add_u32_e32 v6, s6, v6
	s_sub_i32 s6, 0, s61
	s_mul_i32 s6, s6, s7
	s_mul_hi_u32 s6, s7, s6
	v_add_u32_e32 v3, 1, v3
	s_add_i32 s65, s7, s6
	s_sub_i32 s6, 0, s63
	v_readfirstlane_b32 s7, v0
	v_mbcnt_lo_u32_b32 v0, -1, 0
	v_and_b32_e32 v3, 63, v3
	s_mul_i32 s6, s6, s7
	v_mbcnt_hi_u32_b32 v0, -1, v0
	s_mul_hi_u32 s6, s7, s6
	v_and_or_b32 v0, v0, 64, v3
	v_cndmask_b32_e64 v10, 0, 1, s[0:1]
	s_ashr_i32 s29, s21, 31
	s_mov_b32 s28, s21
	v_ashrrev_i32_e32 v7, 31, v6
	v_mov_b32_e32 v19, 0
	s_lshl_b32 s62, s23, 4
	s_ashr_i32 s64, s33, 31
	s_ashr_i32 s66, s56, 31
	s_add_i32 s67, s7, s6
	s_movk_i32 s68, 0x3000
	s_mov_b64 s[30:31], 0x60
	s_mov_b64 s[34:35], 0x80
	;; [unrolled: 1-line block ×3, first 2 shown]
	v_lshlrev_b32_e32 v0, 2, v0
	v_mov_b32_e32 v12, v2
	scratch_store_dwordx2 off, v[6:7], off offset:172 ; 8-byte Folded Spill
	scratch_store_dword off, v0, off offset:108 ; 4-byte Folded Spill
	scratch_store_dword off, v17, off offset:112 ; 4-byte Folded Spill
	;; [unrolled: 1-line block ×3, first 2 shown]
	scratch_store_dwordx2 off, v[18:19], off offset:128 ; 8-byte Folded Spill
	scratch_store_dword off, v20, off offset:136 ; 4-byte Folded Spill
	s_branch .LBB378_7
.LBB378_4:                              ;   in Loop: Header=BB378_7 Depth=1
	s_or_b64 exec, exec, s[10:11]
.LBB378_5:                              ;   in Loop: Header=BB378_7 Depth=1
	s_or_b64 exec, exec, s[8:9]
	v_subrev_u32_e32 v12, s16, v12
.LBB378_6:                              ;   in Loop: Header=BB378_7 Depth=1
	s_or_b64 exec, exec, s[6:7]
	s_add_i32 s57, s57, 1
	s_waitcnt vmcnt(2)
	v_cmp_ge_i32_e32 vcc, s57, v17
	s_cbranch_vccnz .LBB378_72
.LBB378_7:                              ; =>This Loop Header: Depth=1
                                        ;     Child Loop BB378_13 Depth 2
                                        ;       Child Loop BB378_15 Depth 3
                                        ;       Child Loop BB378_18 Depth 3
	;; [unrolled: 1-line block ×10, first 2 shown]
                                        ;     Child Loop BB378_59 Depth 2
                                        ;       Child Loop BB378_61 Depth 3
                                        ;     Child Loop BB378_69 Depth 2
                                        ;       Child Loop BB378_71 Depth 3
	s_abs_i32 s7, s57
	s_mul_hi_u32 s8, s7, s65
	s_mul_i32 s9, s8, s61
	s_ashr_i32 s6, s57, 31
	s_sub_i32 s7, s7, s9
	s_xor_b32 s6, s6, s64
	s_add_i32 s9, s8, 1
	s_sub_i32 s10, s7, s61
	s_cmp_ge_u32 s7, s61
	s_cselect_b32 s8, s9, s8
	s_cselect_b32 s7, s10, s7
	s_add_i32 s9, s8, 1
	s_cmp_ge_u32 s7, s61
	s_cselect_b32 s7, s9, s8
	s_xor_b32 s7, s7, s6
	s_sub_i32 s6, s7, s6
	s_abs_i32 s8, s6
	s_mul_i32 s7, s6, s33
	s_mul_hi_u32 s9, s8, s67
	s_sub_i32 s7, s57, s7
	s_mul_i32 s10, s9, s63
	s_lshl_b32 s69, s7, 6
	s_ashr_i32 s7, s6, 31
	s_sub_i32 s8, s8, s10
	s_xor_b32 s7, s7, s66
	s_add_i32 s10, s9, 1
	s_sub_i32 s11, s8, s63
	s_cmp_ge_u32 s8, s63
	s_cselect_b32 s9, s10, s9
	s_cselect_b32 s8, s11, s8
	s_add_i32 s10, s9, 1
	s_cmp_ge_u32 s8, s63
	s_cselect_b32 s8, s10, s9
	s_xor_b32 s8, s8, s7
	s_sub_i32 s7, s8, s7
	s_mul_i32 s8, s7, s59
	s_lshl_b32 s70, s8, 7
	s_cmp_eq_u32 s7, s24
	s_cselect_b32 s72, s60, s59
	s_sub_i32 s8, s69, s20
	s_add_i32 s8, s8, 64
	s_max_i32 s71, s8, 0
	s_and_saveexec_b64 s[8:9], s[2:3]
	s_xor_b64 s[46:47], exec, s[8:9]
	s_cbranch_execz .LBB378_65
; %bb.8:                                ;   in Loop: Header=BB378_7 Depth=1
	s_mul_i32 s7, s7, s56
	s_sub_i32 s6, s6, s7
	s_mulk_i32 s6, 0x60
	s_sub_i32 s49, s6, s21
	s_addk_i32 s49, 0x60
	s_max_i32 s7, s49, 0
	s_sub_i32 s48, s6, s7
	s_and_saveexec_b64 s[6:7], s[0:1]
	s_xor_b64 s[50:51], exec, s[6:7]
	s_cbranch_execz .LBB378_55
; %bb.9:                                ;   in Loop: Header=BB378_7 Depth=1
	s_and_saveexec_b64 s[52:53], s[4:5]
	s_cbranch_execz .LBB378_54
; %bb.10:                               ;   in Loop: Header=BB378_7 Depth=1
	s_waitcnt vmcnt(1) lgkmcnt(0)
	global_load_dword v0, v19, s[42:43]
	v_mov_b32_e32 v91, 0
	v_cmp_gt_i32_e32 vcc, s72, v12
	v_mov_b32_e32 v90, v91
	v_mov_b32_e32 v89, v91
	;; [unrolled: 1-line block ×75, first 2 shown]
	scratch_store_dwordx4 off, v[4:7], off  ; 16-byte Folded Spill
	s_waitcnt vmcnt(1)
	scratch_store_dword off, v0, off offset:96 ; 4-byte Folded Spill
	scratch_store_dwordx4 off, v[4:7], off offset:80 ; 16-byte Folded Spill
	scratch_store_dwordx4 off, v[4:7], off offset:64 ; 16-byte Folded Spill
	scratch_store_dwordx4 off, v[4:7], off offset:48 ; 16-byte Folded Spill
	scratch_store_dwordx4 off, v[4:7], off offset:32 ; 16-byte Folded Spill
	scratch_store_dwordx4 off, v[4:7], off offset:16 ; 16-byte Folded Spill
	s_and_saveexec_b64 s[6:7], vcc
	s_cbranch_execz .LBB378_44
; %bb.11:                               ;   in Loop: Header=BB378_7 Depth=1
	v_mov_b32_e32 v16, 0
	s_mov_b64 s[8:9], 0
	v_mov_b32_e32 v17, v16
	v_mov_b32_e32 v18, v16
	;; [unrolled: 1-line block ×75, first 2 shown]
	scratch_store_dwordx4 off, v[4:7], off offset:16 ; 16-byte Folded Spill
	scratch_store_dwordx4 off, v[4:7], off offset:32 ; 16-byte Folded Spill
	;; [unrolled: 1-line block ×5, first 2 shown]
	scratch_store_dwordx4 off, v[4:7], off  ; 16-byte Folded Spill
	s_branch .LBB378_13
.LBB378_12:                             ;   in Loop: Header=BB378_13 Depth=2
	s_or_b64 exec, exec, s[10:11]
	v_add_u32_e32 v1, 0x2800, v0
	ds_read2_b32 v[6:7], v1 offset1:32
	ds_read2_b32 v[20:21], v1 offset0:128 offset1:160
	v_add_u32_e32 v8, 0x2c00, v0
	ds_read2_b32 v[22:23], v8 offset1:32
	ds_read2_b32 v[28:29], v8 offset0:128 offset1:160
	s_waitcnt lgkmcnt(3)
	v_mfma_f32_16x16x32_fp8_fp8 v[2:5], v[116:117], v[6:7], v[92:95]
	v_add_u32_e32 v12, s27, v12
	;;#ASMSTART
	s_waitcnt lgkmcnt(0)
	;;#ASMEND
	ds_write_b32 v13, v14 offset:41012
	s_waitcnt lgkmcnt(3)
	v_mfma_f32_16x16x32_fp8_fp8 v[0:3], v[112:113], v[20:21], v[2:5]
	s_waitcnt lgkmcnt(2)
	v_mfma_f32_16x16x32_fp8_fp8 v[0:3], v[114:115], v[22:23], v[0:3]
	s_waitcnt lgkmcnt(1)
	v_mfma_f32_16x16x32_fp8_fp8 v[92:95], v[110:111], v[28:29], v[0:3]
	v_mfma_f32_16x16x32_fp8_fp8 v[0:3], v[118:119], v[6:7], v[48:51]
	v_mfma_f32_16x16x32_fp8_fp8 v[0:3], v[120:121], v[20:21], v[0:3]
	;; [unrolled: 1-line block ×11, first 2 shown]
	s_nop 5
	v_add_u32_e32 v2, s27, v9
	v_add_u32_e32 v0, 2, v10
	v_cmp_lt_i32_e32 vcc, 1, v2
	v_mfma_f32_16x16x32_fp8_fp8 v[16:19], v[98:99], v[28:29], v[4:7]
	s_nop 0
	v_cndmask_b32_e32 v10, v10, v0, vcc
	v_cmp_le_i32_e32 vcc, s72, v12
	s_or_b64 s[8:9], vcc, s[8:9]
	s_andn2_b64 exec, exec, s[8:9]
	s_cbranch_execz .LBB378_43
.LBB378_13:                             ;   Parent Loop BB378_7 Depth=1
                                        ; =>  This Loop Header: Depth=2
                                        ;       Child Loop BB378_15 Depth 3
                                        ;       Child Loop BB378_18 Depth 3
	;; [unrolled: 1-line block ×10, first 2 shown]
	v_cmp_gt_i32_e32 vcc, 2, v2
	s_nop 1
	v_cndmask_b32_e64 v0, -2, 0, vcc
	v_add_u32_e32 v9, v0, v2
	v_mul_lo_u32 v13, v9, 24
	ds_read_b32 v0, v13 offset:40992
	s_waitcnt lgkmcnt(0)
	v_cmp_ne_u32_e32 vcc, v0, v10
	s_and_saveexec_b64 s[10:11], vcc
	s_cbranch_execz .LBB378_16
; %bb.14:                               ;   in Loop: Header=BB378_13 Depth=2
	s_mov_b64 s[12:13], 0
.LBB378_15:                             ;   Parent Loop BB378_7 Depth=1
                                        ;     Parent Loop BB378_13 Depth=2
                                        ; =>    This Inner Loop Header: Depth=3
	;;#ASMSTART
	s_sleep 0
	;;#ASMEND
	ds_read_b32 v0, v13 offset:40992
	s_waitcnt lgkmcnt(0)
	v_cmp_eq_u32_e32 vcc, v0, v10
	s_or_b64 s[12:13], vcc, s[12:13]
	s_andn2_b64 exec, exec, s[12:13]
	s_cbranch_execnz .LBB378_15
.LBB378_16:                             ;   in Loop: Header=BB378_13 Depth=2
	s_or_b64 exec, exec, s[10:11]
	v_mul_lo_u32 v15, v9, s68
	v_or_b32_e32 v0, v30, v15
	ds_read2_b32 v[96:97], v0 offset1:32
	ds_read2_b32 v[98:99], v0 offset0:128 offset1:160
	v_add_u32_e32 v0, 0x400, v0
	v_add_u32_e32 v14, 1, v10
	ds_read2_b32 v[2:3], v0 offset1:32
	ds_read2_b32 v[0:1], v0 offset0:128 offset1:160
	;;#ASMSTART
	s_waitcnt lgkmcnt(0)
	;;#ASMEND
	ds_write_b32 v13, v14 offset:40992
	v_lshlrev_b32_e32 v8, 4, v9
	ds_read_b32 v4, v8 offset:40960
	s_waitcnt lgkmcnt(0)
	v_cmp_ne_u32_e32 vcc, v4, v10
	s_and_saveexec_b64 s[10:11], vcc
	s_cbranch_execz .LBB378_19
; %bb.17:                               ;   in Loop: Header=BB378_13 Depth=2
	s_mov_b64 s[12:13], 0
.LBB378_18:                             ;   Parent Loop BB378_7 Depth=1
                                        ;     Parent Loop BB378_13 Depth=2
                                        ; =>    This Inner Loop Header: Depth=3
	;;#ASMSTART
	s_sleep 0
	;;#ASMEND
	ds_read_b32 v4, v8 offset:40960
	s_waitcnt lgkmcnt(0)
	v_cmp_eq_u32_e32 vcc, v4, v10
	s_or_b64 s[12:13], vcc, s[12:13]
	s_andn2_b64 exec, exec, s[12:13]
	s_cbranch_execnz .LBB378_18
.LBB378_19:                             ;   in Loop: Header=BB378_13 Depth=2
	s_or_b64 exec, exec, s[10:11]
	v_lshlrev_b32_e32 v4, 13, v9
	v_or_b32_e32 v5, 0x6000, v30
	v_add_u32_e32 v4, v5, v4
	ds_read2_b32 v[116:117], v4 offset1:32
	ds_read2_b32 v[112:113], v4 offset0:128 offset1:160
	v_add_u32_e32 v5, 0x400, v4
	ds_read2_b32 v[114:115], v5 offset1:32
	ds_read2_b32 v[110:111], v5 offset0:128 offset1:160
	s_waitcnt lgkmcnt(3)
	v_mfma_f32_16x16x32_fp8_fp8 v[88:91], v[116:117], v[96:97], v[88:91]
	ds_read_b32 v5, v8 offset:40964
	ds_write_b32 v8, v14 offset:40960
	s_waitcnt lgkmcnt(1)
	v_cmp_ne_u32_e32 vcc, v5, v10
	v_mfma_f32_16x16x32_fp8_fp8 v[88:91], v[112:113], v[98:99], v[88:91]
	v_mfma_f32_16x16x32_fp8_fp8 v[88:91], v[114:115], v[2:3], v[88:91]
	;; [unrolled: 1-line block ×3, first 2 shown]
	s_and_saveexec_b64 s[10:11], vcc
	s_cbranch_execz .LBB378_22
; %bb.20:                               ;   in Loop: Header=BB378_13 Depth=2
	s_mov_b64 s[12:13], 0
.LBB378_21:                             ;   Parent Loop BB378_7 Depth=1
                                        ;     Parent Loop BB378_13 Depth=2
                                        ; =>    This Inner Loop Header: Depth=3
	;;#ASMSTART
	s_sleep 0
	;;#ASMEND
	ds_read_b32 v5, v8 offset:40964
	s_waitcnt lgkmcnt(0)
	v_cmp_eq_u32_e32 vcc, v5, v10
	s_or_b64 s[12:13], vcc, s[12:13]
	s_andn2_b64 exec, exec, s[12:13]
	s_cbranch_execnz .LBB378_21
.LBB378_22:                             ;   in Loop: Header=BB378_13 Depth=2
	s_or_b64 exec, exec, s[10:11]
	v_add_u32_e32 v5, 0x800, v4
	ds_read2_b32 v[118:119], v5 offset1:32
	ds_read2_b32 v[120:121], v5 offset0:128 offset1:160
	v_add_u32_e32 v5, 0xc00, v4
	ds_read2_b32 v[122:123], v5 offset1:32
	ds_read2_b32 v[124:125], v5 offset0:128 offset1:160
	ds_read_b32 v5, v8 offset:40968
	s_waitcnt lgkmcnt(4)
	v_mfma_f32_16x16x32_fp8_fp8 v[68:71], v[118:119], v[96:97], v[68:71]
	ds_write_b32 v8, v14 offset:40964
	s_waitcnt lgkmcnt(1)
	v_cmp_ne_u32_e32 vcc, v5, v10
	v_mfma_f32_16x16x32_fp8_fp8 v[68:71], v[120:121], v[98:99], v[68:71]
	v_mfma_f32_16x16x32_fp8_fp8 v[68:71], v[122:123], v[2:3], v[68:71]
	;; [unrolled: 1-line block ×3, first 2 shown]
	s_and_saveexec_b64 s[10:11], vcc
	s_cbranch_execz .LBB378_25
; %bb.23:                               ;   in Loop: Header=BB378_13 Depth=2
	s_mov_b64 s[12:13], 0
.LBB378_24:                             ;   Parent Loop BB378_7 Depth=1
                                        ;     Parent Loop BB378_13 Depth=2
                                        ; =>    This Inner Loop Header: Depth=3
	;;#ASMSTART
	s_sleep 0
	;;#ASMEND
	ds_read_b32 v5, v8 offset:40968
	s_waitcnt lgkmcnt(0)
	v_cmp_eq_u32_e32 vcc, v5, v10
	s_or_b64 s[12:13], vcc, s[12:13]
	s_andn2_b64 exec, exec, s[12:13]
	s_cbranch_execnz .LBB378_24
.LBB378_25:                             ;   in Loop: Header=BB378_13 Depth=2
	s_or_b64 exec, exec, s[10:11]
	v_add_u32_e32 v5, 0x1000, v4
	ds_read2_b32 v[126:127], v5 offset1:32
	ds_read2_b32 v[104:105], v5 offset0:128 offset1:160
	v_add_u32_e32 v5, 0x1400, v4
	ds_read2_b32 v[102:103], v5 offset1:32
	ds_read2_b32 v[100:101], v5 offset0:128 offset1:160
	ds_read_b32 v5, v8 offset:40972
	s_waitcnt lgkmcnt(4)
	v_mfma_f32_16x16x32_fp8_fp8 v[44:47], v[126:127], v[96:97], v[44:47]
	ds_write_b32 v8, v14 offset:40968
	s_waitcnt lgkmcnt(1)
	v_cmp_ne_u32_e32 vcc, v5, v10
	v_mfma_f32_16x16x32_fp8_fp8 v[44:47], v[104:105], v[98:99], v[44:47]
	v_mfma_f32_16x16x32_fp8_fp8 v[44:47], v[102:103], v[2:3], v[44:47]
	;; [unrolled: 1-line block ×3, first 2 shown]
	s_and_saveexec_b64 s[10:11], vcc
	s_cbranch_execz .LBB378_28
; %bb.26:                               ;   in Loop: Header=BB378_13 Depth=2
	s_mov_b64 s[12:13], 0
.LBB378_27:                             ;   Parent Loop BB378_7 Depth=1
                                        ;     Parent Loop BB378_13 Depth=2
                                        ; =>    This Inner Loop Header: Depth=3
	;;#ASMSTART
	s_sleep 0
	;;#ASMEND
	ds_read_b32 v5, v8 offset:40972
	s_waitcnt lgkmcnt(0)
	v_cmp_eq_u32_e32 vcc, v5, v10
	s_or_b64 s[12:13], vcc, s[12:13]
	s_andn2_b64 exec, exec, s[12:13]
	s_cbranch_execnz .LBB378_27
.LBB378_28:                             ;   in Loop: Header=BB378_13 Depth=2
	s_or_b64 exec, exec, s[10:11]
	v_add_u32_e32 v5, 0x1800, v4
	ds_read2_b32 v[108:109], v5 offset1:32
	ds_read2_b32 v[106:107], v5 offset0:128 offset1:160
	v_add_u32_e32 v20, 0x1c00, v4
	scratch_load_dwordx4 v[4:7], off, off offset:80 ; 16-byte Folded Reload
	ds_write_b32 v8, v14 offset:40972
	s_waitcnt vmcnt(0) lgkmcnt(2)
	v_mfma_f32_16x16x32_fp8_fp8 v[4:7], v[108:109], v[96:97], v[4:7]
	ds_read2_b32 v[96:97], v20 offset1:32
	s_waitcnt lgkmcnt(2)
	v_mfma_f32_16x16x32_fp8_fp8 v[4:7], v[106:107], v[98:99], v[4:7]
	ds_read2_b32 v[98:99], v20 offset0:128 offset1:160
	s_waitcnt lgkmcnt(1)
	v_mfma_f32_16x16x32_fp8_fp8 v[2:5], v[96:97], v[2:3], v[4:7]
	s_nop 4
	ds_read_b32 v6, v13 offset:40996
	s_waitcnt lgkmcnt(1)
	v_mfma_f32_16x16x32_fp8_fp8 v[0:3], v[98:99], v[0:1], v[2:5]
	s_waitcnt lgkmcnt(0)
	v_cmp_ne_u32_e32 vcc, v6, v10
	s_nop 5
	scratch_store_dwordx4 off, v[0:3], off offset:80 ; 16-byte Folded Spill
	s_and_saveexec_b64 s[10:11], vcc
	s_cbranch_execz .LBB378_31
; %bb.29:                               ;   in Loop: Header=BB378_13 Depth=2
	s_mov_b64 s[12:13], 0
.LBB378_30:                             ;   Parent Loop BB378_7 Depth=1
                                        ;     Parent Loop BB378_13 Depth=2
                                        ; =>    This Inner Loop Header: Depth=3
	;;#ASMSTART
	s_sleep 0
	;;#ASMEND
	ds_read_b32 v0, v13 offset:40996
	s_waitcnt lgkmcnt(0)
	v_cmp_eq_u32_e32 vcc, v0, v10
	s_or_b64 s[12:13], vcc, s[12:13]
	s_andn2_b64 exec, exec, s[12:13]
	s_cbranch_execnz .LBB378_30
.LBB378_31:                             ;   in Loop: Header=BB378_13 Depth=2
	s_or_b64 exec, exec, s[10:11]
	v_add_u32_e32 v0, v30, v15
	v_add_u32_e32 v1, 0x800, v0
	ds_read2_b32 v[6:7], v1 offset1:32
	ds_read2_b32 v[20:21], v1 offset0:128 offset1:160
	v_add_u32_e32 v1, 0xc00, v0
	ds_read2_b32 v[22:23], v1 offset1:32
	ds_read2_b32 v[28:29], v1 offset0:128 offset1:160
	s_waitcnt lgkmcnt(3)
	v_mfma_f32_16x16x32_fp8_fp8 v[2:5], v[116:117], v[6:7], v[84:87]
	s_waitcnt lgkmcnt(2)
	v_mfma_f32_16x16x32_fp8_fp8 v[2:5], v[112:113], v[20:21], v[2:5]
	v_mfma_f32_16x16x32_fp8_fp8 v[64:67], v[118:119], v[6:7], v[64:67]
	s_waitcnt lgkmcnt(1)
	v_mfma_f32_16x16x32_fp8_fp8 v[2:5], v[114:115], v[22:23], v[2:5]
	s_waitcnt lgkmcnt(0)
	v_mfma_f32_16x16x32_fp8_fp8 v[84:87], v[110:111], v[28:29], v[2:5]
	v_mfma_f32_16x16x32_fp8_fp8 v[2:5], v[120:121], v[20:21], v[64:67]
	v_mfma_f32_16x16x32_fp8_fp8 v[2:5], v[122:123], v[22:23], v[2:5]
	v_mfma_f32_16x16x32_fp8_fp8 v[64:67], v[124:125], v[28:29], v[2:5]
	v_mfma_f32_16x16x32_fp8_fp8 v[2:5], v[126:127], v[6:7], v[40:43]
	v_mfma_f32_16x16x32_fp8_fp8 v[2:5], v[104:105], v[20:21], v[2:5]
	v_mfma_f32_16x16x32_fp8_fp8 v[2:5], v[102:103], v[22:23], v[2:5]
	v_mfma_f32_16x16x32_fp8_fp8 v[40:43], v[100:101], v[28:29], v[2:5]
	s_nop 6
	scratch_load_dwordx4 v[2:5], off, off offset:64 ; 16-byte Folded Reload
	;;#ASMSTART
	s_waitcnt lgkmcnt(0)
	;;#ASMEND
	ds_read_b32 v1, v13 offset:41000
	ds_write_b32 v13, v14 offset:40996
	s_waitcnt vmcnt(0)
	v_mfma_f32_16x16x32_fp8_fp8 v[2:5], v[108:109], v[6:7], v[2:5]
	s_waitcnt lgkmcnt(1)
	v_cmp_ne_u32_e32 vcc, v1, v10
	v_mfma_f32_16x16x32_fp8_fp8 v[2:5], v[106:107], v[20:21], v[2:5]
	v_mfma_f32_16x16x32_fp8_fp8 v[2:5], v[96:97], v[22:23], v[2:5]
	v_mfma_f32_16x16x32_fp8_fp8 v[2:5], v[98:99], v[28:29], v[2:5]
	s_nop 7
	scratch_store_dwordx4 off, v[2:5], off offset:64 ; 16-byte Folded Spill
	s_and_saveexec_b64 s[10:11], vcc
	s_cbranch_execz .LBB378_34
; %bb.32:                               ;   in Loop: Header=BB378_13 Depth=2
	s_mov_b64 s[12:13], 0
.LBB378_33:                             ;   Parent Loop BB378_7 Depth=1
                                        ;     Parent Loop BB378_13 Depth=2
                                        ; =>    This Inner Loop Header: Depth=3
	;;#ASMSTART
	s_sleep 0
	;;#ASMEND
	ds_read_b32 v1, v13 offset:41000
	s_waitcnt lgkmcnt(0)
	v_cmp_eq_u32_e32 vcc, v1, v10
	s_or_b64 s[12:13], vcc, s[12:13]
	s_andn2_b64 exec, exec, s[12:13]
	s_cbranch_execnz .LBB378_33
.LBB378_34:                             ;   in Loop: Header=BB378_13 Depth=2
	s_or_b64 exec, exec, s[10:11]
	v_add_u32_e32 v1, 0x1000, v0
	ds_read2_b32 v[6:7], v1 offset1:32
	ds_read2_b32 v[20:21], v1 offset0:128 offset1:160
	v_add_u32_e32 v1, 0x1400, v0
	ds_read2_b32 v[22:23], v1 offset1:32
	ds_read2_b32 v[28:29], v1 offset0:128 offset1:160
	s_waitcnt lgkmcnt(3)
	v_mfma_f32_16x16x32_fp8_fp8 v[2:5], v[116:117], v[6:7], v[80:83]
	s_waitcnt lgkmcnt(2)
	v_mfma_f32_16x16x32_fp8_fp8 v[2:5], v[112:113], v[20:21], v[2:5]
	s_waitcnt lgkmcnt(1)
	v_mfma_f32_16x16x32_fp8_fp8 v[2:5], v[114:115], v[22:23], v[2:5]
	s_waitcnt lgkmcnt(0)
	v_mfma_f32_16x16x32_fp8_fp8 v[80:83], v[110:111], v[28:29], v[2:5]
	v_mfma_f32_16x16x32_fp8_fp8 v[2:5], v[118:119], v[6:7], v[60:63]
	v_mfma_f32_16x16x32_fp8_fp8 v[2:5], v[120:121], v[20:21], v[2:5]
	v_mfma_f32_16x16x32_fp8_fp8 v[2:5], v[122:123], v[22:23], v[2:5]
	v_mfma_f32_16x16x32_fp8_fp8 v[60:63], v[124:125], v[28:29], v[2:5]
	v_mfma_f32_16x16x32_fp8_fp8 v[2:5], v[126:127], v[6:7], v[36:39]
	v_mfma_f32_16x16x32_fp8_fp8 v[2:5], v[104:105], v[20:21], v[2:5]
	v_mfma_f32_16x16x32_fp8_fp8 v[2:5], v[102:103], v[22:23], v[2:5]
	v_mfma_f32_16x16x32_fp8_fp8 v[36:39], v[100:101], v[28:29], v[2:5]
	s_nop 6
	scratch_load_dwordx4 v[2:5], off, off offset:48 ; 16-byte Folded Reload
	;;#ASMSTART
	s_waitcnt lgkmcnt(0)
	;;#ASMEND
	ds_read_b32 v1, v13 offset:41004
	ds_write_b32 v13, v14 offset:41000
	s_waitcnt vmcnt(0)
	v_mfma_f32_16x16x32_fp8_fp8 v[2:5], v[108:109], v[6:7], v[2:5]
	s_waitcnt lgkmcnt(1)
	v_cmp_ne_u32_e32 vcc, v1, v10
	v_mfma_f32_16x16x32_fp8_fp8 v[2:5], v[106:107], v[20:21], v[2:5]
	v_mfma_f32_16x16x32_fp8_fp8 v[2:5], v[96:97], v[22:23], v[2:5]
	v_mfma_f32_16x16x32_fp8_fp8 v[2:5], v[98:99], v[28:29], v[2:5]
	s_nop 7
	scratch_store_dwordx4 off, v[2:5], off offset:48 ; 16-byte Folded Spill
	s_and_saveexec_b64 s[10:11], vcc
	s_cbranch_execz .LBB378_37
; %bb.35:                               ;   in Loop: Header=BB378_13 Depth=2
	s_mov_b64 s[12:13], 0
.LBB378_36:                             ;   Parent Loop BB378_7 Depth=1
                                        ;     Parent Loop BB378_13 Depth=2
                                        ; =>    This Inner Loop Header: Depth=3
	;;#ASMSTART
	s_sleep 0
	;;#ASMEND
	ds_read_b32 v1, v13 offset:41004
	s_waitcnt lgkmcnt(0)
	v_cmp_eq_u32_e32 vcc, v1, v10
	s_or_b64 s[12:13], vcc, s[12:13]
	s_andn2_b64 exec, exec, s[12:13]
	s_cbranch_execnz .LBB378_36
.LBB378_37:                             ;   in Loop: Header=BB378_13 Depth=2
	s_or_b64 exec, exec, s[10:11]
	v_add_u32_e32 v1, 0x1800, v0
	ds_read2_b32 v[6:7], v1 offset1:32
	ds_read2_b32 v[20:21], v1 offset0:128 offset1:160
	v_add_u32_e32 v1, 0x1c00, v0
	ds_read2_b32 v[22:23], v1 offset1:32
	ds_read2_b32 v[28:29], v1 offset0:128 offset1:160
	s_waitcnt lgkmcnt(3)
	v_mfma_f32_16x16x32_fp8_fp8 v[2:5], v[116:117], v[6:7], v[76:79]
	s_waitcnt lgkmcnt(2)
	v_mfma_f32_16x16x32_fp8_fp8 v[2:5], v[112:113], v[20:21], v[2:5]
	s_waitcnt lgkmcnt(1)
	v_mfma_f32_16x16x32_fp8_fp8 v[2:5], v[114:115], v[22:23], v[2:5]
	s_waitcnt lgkmcnt(0)
	v_mfma_f32_16x16x32_fp8_fp8 v[76:79], v[110:111], v[28:29], v[2:5]
	;; [unrolled: 56-line block ×3, first 2 shown]
	v_mfma_f32_16x16x32_fp8_fp8 v[2:5], v[118:119], v[6:7], v[52:55]
	v_mfma_f32_16x16x32_fp8_fp8 v[2:5], v[120:121], v[20:21], v[2:5]
	;; [unrolled: 1-line block ×4, first 2 shown]
	s_nop 6
	scratch_load_dwordx4 v[2:5], off, off   ; 16-byte Folded Reload
	s_waitcnt vmcnt(0)
	v_mfma_f32_16x16x32_fp8_fp8 v[2:5], v[126:127], v[6:7], v[2:5]
	v_mfma_f32_16x16x32_fp8_fp8 v[2:5], v[104:105], v[20:21], v[2:5]
	;; [unrolled: 1-line block ×4, first 2 shown]
	s_nop 7
	scratch_store_dwordx4 off, v[2:5], off  ; 16-byte Folded Spill
	scratch_load_dwordx4 v[2:5], off, off offset:16 ; 16-byte Folded Reload
	;;#ASMSTART
	s_waitcnt lgkmcnt(0)
	;;#ASMEND
	ds_read_b32 v1, v13 offset:41012
	ds_write_b32 v13, v14 offset:41008
	s_waitcnt vmcnt(0)
	v_mfma_f32_16x16x32_fp8_fp8 v[2:5], v[108:109], v[6:7], v[2:5]
	s_waitcnt lgkmcnt(1)
	v_cmp_ne_u32_e32 vcc, v1, v10
	v_mfma_f32_16x16x32_fp8_fp8 v[2:5], v[106:107], v[20:21], v[2:5]
	v_mfma_f32_16x16x32_fp8_fp8 v[2:5], v[96:97], v[22:23], v[2:5]
	;; [unrolled: 1-line block ×3, first 2 shown]
	s_nop 7
	scratch_store_dwordx4 off, v[2:5], off offset:16 ; 16-byte Folded Spill
	s_and_saveexec_b64 s[10:11], vcc
	s_cbranch_execz .LBB378_12
; %bb.41:                               ;   in Loop: Header=BB378_13 Depth=2
	s_mov_b64 s[12:13], 0
.LBB378_42:                             ;   Parent Loop BB378_7 Depth=1
                                        ;     Parent Loop BB378_13 Depth=2
                                        ; =>    This Inner Loop Header: Depth=3
	;;#ASMSTART
	s_sleep 0
	;;#ASMEND
	ds_read_b32 v1, v13 offset:41012
	s_waitcnt lgkmcnt(0)
	v_cmp_eq_u32_e32 vcc, v1, v10
	s_or_b64 s[12:13], vcc, s[12:13]
	s_andn2_b64 exec, exec, s[12:13]
	s_cbranch_execnz .LBB378_42
	s_branch .LBB378_12
.LBB378_43:                             ;   in Loop: Header=BB378_7 Depth=1
	s_or_b64 exec, exec, s[8:9]
.LBB378_44:                             ;   in Loop: Header=BB378_7 Depth=1
	s_or_b64 exec, exec, s[6:7]
	v_mov_b32_e32 v98, v30
	scratch_load_dwordx2 v[30:31], off, off offset:116 ; 8-byte Folded Reload
	scratch_load_dword v100, off, off offset:96 ; 4-byte Folded Reload
	scratch_load_dword v31, off, off offset:100 ; 4-byte Folded Reload
	;; [unrolled: 1-line block ×3, first 2 shown]
	s_waitcnt vmcnt(3)
	v_cmp_le_i32_e32 vcc, s49, v30
	s_waitcnt vmcnt(2)
	s_nop 0
	v_cndmask_b32_e32 v110, 0, v100, vcc
	v_pk_mul_f32 v[0:1], v[110:111], v[90:91] op_sel_hi:[0,1]
	scratch_load_dword v90, off, off offset:124 ; 4-byte Folded Reload
	v_pk_mul_f32 v[6:7], v[110:111], v[88:89] op_sel_hi:[0,1]
	s_waitcnt vmcnt(2)
	v_cmp_eq_u32_e64 s[12:13], 1, v31
	v_cmp_eq_u32_e32 vcc, 2, v31
	v_cmp_eq_u32_e64 s[6:7], 3, v31
	v_cndmask_b32_e64 v3, v6, v7, s[12:13]
	v_cndmask_b32_e32 v3, v3, v0, vcc
	v_cndmask_b32_e64 v3, v3, v1, s[6:7]
	s_waitcnt vmcnt(1)
	ds_bpermute_b32 v5, v99, v3
	v_cmp_eq_u32_e64 s[8:9], 0, v31
	s_waitcnt lgkmcnt(0)
	v_cndmask_b32_e64 v3, v1, v5, s[6:7]
	v_cndmask_b32_e64 v1, v6, v5, s[8:9]
	v_or_b32_e32 v6, 16, v30
	v_cmp_le_i32_e64 s[14:15], s49, v6
	v_cndmask_b32_e32 v4, v0, v5, vcc
	v_cndmask_b32_e64 v0, v7, v5, s[12:13]
	v_cndmask_b32_e64 v88, 0, v100, s[14:15]
	v_pk_mul_f32 v[14:15], v[88:89], v[84:85] op_sel_hi:[0,1]
	v_pk_mul_f32 v[8:9], v[88:89], v[86:87] op_sel_hi:[0,1]
	v_cndmask_b32_e64 v6, v14, v15, s[12:13]
	v_cndmask_b32_e32 v6, v6, v8, vcc
	v_cndmask_b32_e64 v6, v6, v9, s[6:7]
	ds_bpermute_b32 v13, v99, v6
	s_waitcnt lgkmcnt(0)
	v_cndmask_b32_e32 v7, v8, v13, vcc
	v_or_b32_e32 v8, 32, v30
	v_cmp_le_i32_e64 s[18:19], s49, v8
	v_cndmask_b32_e64 v85, v15, v13, s[12:13]
	v_cndmask_b32_e64 v86, v14, v13, s[8:9]
	;; [unrolled: 1-line block ×3, first 2 shown]
	v_pk_mul_f32 v[20:21], v[84:85], v[80:81] op_sel_hi:[0,1]
	v_pk_mul_f32 v[14:15], v[84:85], v[82:83] op_sel_hi:[0,1]
	v_cndmask_b32_e64 v8, v20, v21, s[12:13]
	v_cndmask_b32_e32 v8, v8, v14, vcc
	v_cndmask_b32_e64 v8, v8, v15, s[6:7]
	ds_bpermute_b32 v22, v99, v8
	v_cndmask_b32_e64 v6, v9, v13, s[6:7]
	s_waitcnt lgkmcnt(0)
	v_cndmask_b32_e32 v13, v14, v22, vcc
	v_or_b32_e32 v14, 48, v30
	v_cmp_le_i32_e64 s[18:19], s49, v14
	v_cndmask_b32_e64 v81, v21, v22, s[12:13]
	v_cndmask_b32_e64 v9, v15, v22, s[6:7]
	;; [unrolled: 1-line block ×4, first 2 shown]
	v_pk_mul_f32 v[22:23], v[80:81], v[76:77] op_sel_hi:[0,1]
	v_pk_mul_f32 v[20:21], v[80:81], v[78:79] op_sel_hi:[0,1]
	v_cndmask_b32_e64 v14, v22, v23, s[12:13]
	v_cndmask_b32_e32 v14, v14, v20, vcc
	v_cndmask_b32_e64 v14, v14, v21, s[6:7]
	ds_bpermute_b32 v28, v99, v14
	s_waitcnt lgkmcnt(0)
	v_cndmask_b32_e32 v78, v20, v28, vcc
	v_or_b32_e32 v20, 64, v30
	v_cmp_le_i32_e64 s[18:19], s49, v20
	v_cndmask_b32_e64 v77, v23, v28, s[12:13]
	v_cndmask_b32_e64 v91, v22, v28, s[8:9]
	v_cndmask_b32_e64 v76, 0, v100, s[18:19]
	v_pk_mul_f32 v[22:23], v[76:77], v[72:73] op_sel_hi:[0,1]
	v_cndmask_b32_e64 v15, v21, v28, s[6:7]
	v_pk_mul_f32 v[20:21], v[76:77], v[74:75] op_sel_hi:[0,1]
	v_cndmask_b32_e64 v28, v22, v23, s[12:13]
	v_cndmask_b32_e32 v28, v28, v20, vcc
	v_cndmask_b32_e64 v28, v28, v21, s[6:7]
	ds_bpermute_b32 v28, v99, v28
	s_waitcnt lgkmcnt(0)
	v_cndmask_b32_e32 v79, v20, v28, vcc
	v_or_b32_e32 v20, 0x50, v30
	v_cmp_le_i32_e64 s[18:19], s49, v20
	v_cndmask_b32_e64 v96, v23, v28, s[12:13]
	v_cndmask_b32_e64 v97, v22, v28, s[8:9]
	;; [unrolled: 1-line block ×3, first 2 shown]
	v_pk_mul_f32 v[22:23], v[72:73], v[92:93] op_sel_hi:[0,1]
	v_cndmask_b32_e64 v75, v21, v28, s[6:7]
	v_pk_mul_f32 v[20:21], v[72:73], v[94:95] op_sel_hi:[0,1]
	v_cndmask_b32_e64 v28, v22, v23, s[12:13]
	v_cndmask_b32_e32 v28, v28, v20, vcc
	v_cndmask_b32_e64 v28, v28, v21, s[6:7]
	ds_bpermute_b32 v28, v99, v28
	s_waitcnt vmcnt(0)
	v_cmp_eq_u32_e64 s[10:11], 1, v90
	v_cmp_eq_u32_e64 s[14:15], 2, v90
	;; [unrolled: 1-line block ×3, first 2 shown]
	v_mov_b32_e32 v94, v90
	s_waitcnt lgkmcnt(0)
	v_cndmask_b32_e32 v87, v20, v28, vcc
	v_cmp_ne_u32_e32 vcc, 0, v31
	v_cndmask_b32_e64 v93, v22, v28, s[8:9]
	v_cndmask_b32_e64 v83, v21, v28, s[6:7]
	v_cndmask_b32_e32 v92, v23, v28, vcc
	v_cndmask_b32_e64 v20, v93, v92, s[10:11]
	v_cndmask_b32_e64 v20, v20, v87, s[14:15]
	;; [unrolled: 1-line block ×3, first 2 shown]
	ds_bpermute_b32 v90, v99, v20
	scratch_load_dword v20, off, off offset:104 ; 4-byte Folded Reload
	v_cndmask_b32_e64 v29, v91, v77, s[10:11]
	v_cndmask_b32_e64 v29, v29, v78, s[14:15]
	;; [unrolled: 1-line block ×6, first 2 shown]
	ds_bpermute_b32 v74, v99, v29
	v_cndmask_b32_e64 v29, v97, v96, s[10:11]
	v_cndmask_b32_e64 v5, v5, v4, s[14:15]
	;; [unrolled: 1-line block ×9, first 2 shown]
	ds_bpermute_b32 v5, v99, v5
	ds_bpermute_b32 v8, v99, v8
	;; [unrolled: 1-line block ×4, first 2 shown]
	s_waitcnt vmcnt(0)
	v_add_u32_e32 v73, s71, v20
	v_cmp_gt_u32_e32 vcc, 64, v73
	s_and_saveexec_b64 s[18:19], vcc
	s_cbranch_execz .LBB378_53
; %bb.45:                               ;   in Loop: Header=BB378_7 Depth=1
	v_cmp_eq_u32_e64 s[8:9], 1, v94
	v_cmp_eq_u32_e64 s[10:11], 0, v94
	v_cmp_eq_u32_e32 vcc, 3, v94
	s_waitcnt lgkmcnt(3)
	v_cndmask_b32_e64 v0, v0, v5, s[8:9]
	v_cndmask_b32_e64 v1, v1, v5, s[10:11]
	s_waitcnt lgkmcnt(2)
	v_cndmask_b32_e64 v20, v85, v8, s[8:9]
	v_cndmask_b32_e64 v21, v86, v8, s[10:11]
	v_cvt_f16_f32_e32 v85, v1
	v_cvt_f16_f32_sdwa v86, v0 dst_sel:WORD_1 dst_unused:UNUSED_PAD src0_sel:DWORD
	scratch_load_dwordx2 v[0:1], off, off offset:148 ; 8-byte Folded Reload
	s_waitcnt lgkmcnt(1)
	v_cndmask_b32_e64 v22, v81, v14, s[8:9]
	v_cndmask_b32_e64 v28, v77, v74, s[8:9]
	s_waitcnt lgkmcnt(0)
	v_cndmask_b32_e64 v30, v96, v82, s[8:9]
	v_cndmask_b32_e64 v77, v92, v90, s[8:9]
	s_mul_i32 s8, s69, s21
	s_ashr_i32 s9, s8, 31
	s_lshl_b64 s[8:9], s[8:9], 1
	v_cndmask_b32_e64 v23, v89, v14, s[10:11]
	v_cndmask_b32_e64 v29, v91, v74, s[10:11]
	;; [unrolled: 1-line block ×4, first 2 shown]
	s_add_u32 s10, s40, s8
	s_addc_u32 s11, s41, s9
	s_ashr_i32 s49, s48, 31
	s_lshl_b64 s[8:9], s[48:49], 1
	v_cvt_f16_f32_e32 v23, v23
	v_cvt_f16_f32_sdwa v22, v22 dst_sel:WORD_1 dst_unused:UNUSED_PAD src0_sel:DWORD
	s_add_u32 s54, s10, s8
	v_cvt_f16_f32_e32 v89, v21
	v_cvt_f16_f32_sdwa v91, v20 dst_sel:WORD_1 dst_unused:UNUSED_PAD src0_sel:DWORD
	v_cvt_f16_f32_e32 v29, v29
	v_cvt_f16_f32_sdwa v28, v28 dst_sel:WORD_1 dst_unused:UNUSED_PAD src0_sel:DWORD
	s_addc_u32 s55, s11, s9
	v_or_b32_e32 v20, v86, v85
	v_or_b32_e32 v22, v22, v23
	;; [unrolled: 1-line block ×3, first 2 shown]
	v_cvt_f16_f32_sdwa v23, v30 dst_sel:WORD_1 dst_unused:UNUSED_PAD src0_sel:DWORD
	v_cmp_eq_u32_e64 s[6:7], 2, v94
	v_cmp_gt_u32_e64 s[8:9], 62, v73
	s_waitcnt vmcnt(0)
	v_lshl_add_u64 v[0:1], v[0:1], 1, s[54:55]
	;;#ASMSTART
	global_atomic_pk_add_f16 v[0:1], v20, off
	
	;;#ASMEND
	v_lshl_add_u64 v[20:21], v[0:1], 0, 32
	;;#ASMSTART
	global_atomic_pk_add_f16 v[20:21], v85, off
	
	;;#ASMEND
	;; [unrolled: 5-line block ×3, first 2 shown]
	v_or_b32_e32 v22, v28, v29
	v_lshl_add_u64 v[20:21], v[0:1], 0, s[30:31]
	;;#ASMSTART
	global_atomic_pk_add_f16 v[20:21], v22, off
	
	;;#ASMEND
	v_cvt_f16_f32_e32 v22, v31
	v_cvt_f16_f32_e32 v28, v81
	v_cvt_f16_f32_sdwa v29, v77 dst_sel:WORD_1 dst_unused:UNUSED_PAD src0_sel:DWORD
	v_lshl_add_u64 v[20:21], v[0:1], 0, s[34:35]
	v_or_b32_e32 v22, v23, v22
	;;#ASMSTART
	global_atomic_pk_add_f16 v[20:21], v22, off
	
	;;#ASMEND
	v_lshl_add_u64 v[20:21], v[0:1], 0, s[44:45]
	v_or_b32_e32 v22, v29, v28
	;;#ASMSTART
	global_atomic_pk_add_f16 v[20:21], v22, off
	
	;;#ASMEND
	s_and_b64 exec, exec, s[8:9]
	s_cbranch_execz .LBB378_53
; %bb.46:                               ;   in Loop: Header=BB378_7 Depth=1
	v_cndmask_b32_e32 v3, v3, v5, vcc
	v_cndmask_b32_e64 v4, v4, v5, s[6:7]
	v_cvt_f16_f32_e32 v4, v4
	v_cvt_f16_f32_sdwa v3, v3 dst_sel:WORD_1 dst_unused:UNUSED_PAD src0_sel:DWORD
	v_cndmask_b32_e32 v5, v6, v8, vcc
	v_cndmask_b32_e64 v6, v7, v8, s[6:7]
	v_lshl_add_u64 v[0:1], s[28:29], 2, v[0:1]
	v_or_b32_e32 v3, v3, v4
	;;#ASMSTART
	global_atomic_pk_add_f16 v[0:1], v3, off
	
	;;#ASMEND
	v_cvt_f16_f32_e32 v3, v6
	v_cvt_f16_f32_sdwa v6, v5 dst_sel:WORD_1 dst_unused:UNUSED_PAD src0_sel:DWORD
	v_cndmask_b32_e32 v7, v9, v14, vcc
	v_cndmask_b32_e64 v8, v13, v14, s[6:7]
	v_lshl_add_u64 v[4:5], v[0:1], 0, 32
	v_or_b32_e32 v3, v6, v3
	;;#ASMSTART
	global_atomic_pk_add_f16 v[4:5], v3, off
	
	;;#ASMEND
	;; [unrolled: 10-line block ×5, first 2 shown]
	v_cvt_f16_f32_e32 v3, v21
	v_cvt_f16_f32_sdwa v4, v20 dst_sel:WORD_1 dst_unused:UNUSED_PAD src0_sel:DWORD
	v_lshl_add_u64 v[0:1], v[0:1], 0, s[44:45]
	v_mov_b32_e32 v111, v110
	v_cmp_eq_u32_e64 s[12:13], 1, v94
	v_or_b32_e32 v3, v4, v3
	;;#ASMSTART
	global_atomic_pk_add_f16 v[0:1], v3, off
	
	;;#ASMEND
	scratch_load_dword v29, off, off offset:100 ; 4-byte Folded Reload
	scratch_load_dword v30, off, off offset:108 ; 4-byte Folded Reload
	v_mov_b32_e32 v0, v110
	v_mov_b32_e32 v1, v110
	v_pk_mul_f32 v[4:5], v[110:111], v[68:69]
	v_pk_mul_f32 v[0:1], v[0:1], v[70:71]
	v_cmp_eq_u32_e64 s[14:15], 2, v94
	v_cmp_eq_u32_e64 s[16:17], 3, v94
	v_mov_b32_e32 v89, v88
	v_pk_mul_f32 v[14:15], v[88:89], v[64:65]
	v_mov_b32_e32 v85, v84
	v_mov_b32_e32 v20, v84
	v_mov_b32_e32 v21, v84
	v_pk_mul_f32 v[22:23], v[84:85], v[60:61]
	v_pk_mul_f32 v[20:21], v[20:21], v[62:63]
	v_mov_b32_e32 v81, v80
	v_mov_b32_e32 v77, v76
	;; [unrolled: 1-line block ×3, first 2 shown]
	s_waitcnt vmcnt(1)
	v_cmp_eq_u32_e64 s[8:9], 1, v29
	s_nop 1
	v_cndmask_b32_e64 v3, v4, v5, s[8:9]
	v_cmp_eq_u32_e32 vcc, 2, v29
	v_cmp_eq_u32_e64 s[6:7], 3, v29
	v_cmp_eq_u32_e64 s[10:11], 0, v29
	v_cndmask_b32_e32 v3, v3, v0, vcc
	v_cndmask_b32_e64 v3, v3, v1, s[6:7]
	s_waitcnt vmcnt(0)
	ds_bpermute_b32 v6, v30, v3
	s_waitcnt lgkmcnt(0)
	v_cndmask_b32_e64 v3, v1, v6, s[6:7]
	v_cndmask_b32_e32 v8, v0, v6, vcc
	v_cndmask_b32_e64 v0, v5, v6, s[8:9]
	v_cndmask_b32_e64 v1, v4, v6, s[10:11]
	;; [unrolled: 1-line block ×5, first 2 shown]
	ds_bpermute_b32 v9, v30, v4
	v_mov_b32_e32 v4, v88
	v_mov_b32_e32 v5, v88
	v_pk_mul_f32 v[6:7], v[4:5], v[66:67]
	v_cndmask_b32_e64 v4, v14, v15, s[8:9]
	v_cndmask_b32_e32 v4, v4, v6, vcc
	v_cndmask_b32_e64 v4, v4, v7, s[6:7]
	ds_bpermute_b32 v13, v30, v4
	s_waitcnt lgkmcnt(0)
	v_cndmask_b32_e64 v4, v7, v13, s[6:7]
	v_cndmask_b32_e64 v7, v22, v23, s[8:9]
	v_cndmask_b32_e32 v7, v7, v20, vcc
	v_cndmask_b32_e64 v7, v7, v21, s[6:7]
	v_cndmask_b32_e64 v64, v14, v13, s[10:11]
	ds_bpermute_b32 v14, v30, v7
	v_cndmask_b32_e32 v5, v6, v13, vcc
	v_cndmask_b32_e64 v15, v15, v13, s[8:9]
	v_cndmask_b32_e64 v6, v64, v15, s[12:13]
	v_cndmask_b32_e64 v6, v6, v5, s[14:15]
	s_waitcnt lgkmcnt(0)
	v_cndmask_b32_e64 v7, v21, v14, s[6:7]
	v_cndmask_b32_e32 v13, v20, v14, vcc
	v_cndmask_b32_e64 v60, v23, v14, s[8:9]
	v_cndmask_b32_e64 v61, v22, v14, s[10:11]
	v_mov_b32_e32 v20, v80
	v_mov_b32_e32 v21, v80
	v_pk_mul_f32 v[22:23], v[80:81], v[56:57]
	v_pk_mul_f32 v[20:21], v[20:21], v[58:59]
	v_cndmask_b32_e64 v28, v22, v23, s[8:9]
	v_cndmask_b32_e32 v28, v28, v20, vcc
	v_cndmask_b32_e64 v28, v28, v21, s[6:7]
	ds_bpermute_b32 v28, v30, v28
	v_cndmask_b32_e64 v14, v61, v60, s[12:13]
	v_cndmask_b32_e64 v14, v14, v13, s[14:15]
	;; [unrolled: 1-line block ×4, first 2 shown]
	s_waitcnt lgkmcnt(0)
	v_cndmask_b32_e64 v59, v23, v28, s[8:9]
	v_cndmask_b32_e64 v62, v22, v28, s[10:11]
	v_cndmask_b32_e32 v57, v20, v28, vcc
	v_cndmask_b32_e64 v20, v62, v59, s[12:13]
	v_cndmask_b32_e64 v56, v21, v28, s[6:7]
	;; [unrolled: 1-line block ×4, first 2 shown]
	ds_bpermute_b32 v58, v30, v20
	v_mov_b32_e32 v20, v76
	v_mov_b32_e32 v21, v76
	v_pk_mul_f32 v[22:23], v[76:77], v[52:53]
	v_pk_mul_f32 v[20:21], v[20:21], v[54:55]
	v_cndmask_b32_e64 v28, v22, v23, s[8:9]
	v_cndmask_b32_e32 v28, v28, v20, vcc
	v_cndmask_b32_e64 v28, v28, v21, s[6:7]
	ds_bpermute_b32 v28, v30, v28
	ds_bpermute_b32 v6, v30, v6
	;; [unrolled: 1-line block ×3, first 2 shown]
	s_waitcnt lgkmcnt(2)
	v_cndmask_b32_e64 v55, v23, v28, s[8:9]
	v_cndmask_b32_e64 v63, v22, v28, s[10:11]
	v_cndmask_b32_e32 v53, v20, v28, vcc
	v_cndmask_b32_e64 v20, v63, v55, s[12:13]
	v_cndmask_b32_e64 v52, v21, v28, s[6:7]
	;; [unrolled: 1-line block ×4, first 2 shown]
	ds_bpermute_b32 v54, v30, v20
	v_mov_b32_e32 v20, v72
	v_mov_b32_e32 v21, v72
	v_pk_mul_f32 v[22:23], v[72:73], v[48:49]
	v_pk_mul_f32 v[20:21], v[20:21], v[50:51]
	v_cndmask_b32_e64 v28, v22, v23, s[8:9]
	v_cndmask_b32_e32 v28, v28, v20, vcc
	v_cndmask_b32_e64 v28, v28, v21, s[6:7]
	ds_bpermute_b32 v28, v30, v28
	s_waitcnt lgkmcnt(0)
	v_cndmask_b32_e32 v49, v20, v28, vcc
	v_cmp_ne_u32_e32 vcc, 0, v29
	v_cndmask_b32_e64 v66, v22, v28, s[10:11]
	v_cndmask_b32_e64 v48, v21, v28, s[6:7]
	v_cndmask_b32_e32 v65, v23, v28, vcc
	v_cndmask_b32_e64 v20, v66, v65, s[12:13]
	v_cndmask_b32_e64 v20, v20, v49, s[14:15]
	;; [unrolled: 1-line block ×3, first 2 shown]
	ds_bpermute_b32 v50, v30, v20
	scratch_load_dword v20, off, off offset:104 ; 4-byte Folded Reload
	s_waitcnt vmcnt(0)
	v_or_b32_e32 v20, 16, v20
	v_add_u32_e32 v51, s71, v20
	v_cmp_gt_u32_e32 vcc, 64, v51
	s_and_b64 exec, exec, vcc
	s_cbranch_execz .LBB378_53
; %bb.47:                               ;   in Loop: Header=BB378_7 Depth=1
	v_cmp_eq_u32_e64 s[8:9], 1, v94
	v_cmp_eq_u32_e64 s[10:11], 0, v94
	v_cmp_eq_u32_e32 vcc, 3, v94
	v_cndmask_b32_e64 v0, v0, v9, s[8:9]
	v_cndmask_b32_e64 v1, v1, v9, s[10:11]
	;; [unrolled: 1-line block ×3, first 2 shown]
	v_cvt_f16_f32_e32 v21, v1
	v_cvt_f16_f32_sdwa v60, v0 dst_sel:WORD_1 dst_unused:UNUSED_PAD src0_sel:DWORD
	scratch_load_dwordx2 v[0:1], off, off offset:156 ; 8-byte Folded Reload
	v_cndmask_b32_e64 v15, v15, v6, s[8:9]
	v_cndmask_b32_e64 v20, v64, v6, s[10:11]
	;; [unrolled: 1-line block ×3, first 2 shown]
	v_cvt_f16_f32_e32 v61, v20
	v_cvt_f16_f32_sdwa v15, v15 dst_sel:WORD_1 dst_unused:UNUSED_PAD src0_sel:DWORD
	v_or_b32_e32 v20, v60, v21
	v_cndmask_b32_e64 v28, v59, v58, s[8:9]
	v_cndmask_b32_e64 v29, v62, v58, s[10:11]
	v_or_b32_e32 v15, v15, v61
	v_cvt_f16_f32_sdwa v22, v22 dst_sel:WORD_1 dst_unused:UNUSED_PAD src0_sel:DWORD
	v_cvt_f16_f32_sdwa v28, v28 dst_sel:WORD_1 dst_unused:UNUSED_PAD src0_sel:DWORD
	v_cndmask_b32_e64 v30, v55, v54, s[8:9]
	v_cndmask_b32_e64 v31, v63, v54, s[10:11]
	s_waitcnt lgkmcnt(0)
	v_cndmask_b32_e64 v55, v65, v50, s[8:9]
	v_cndmask_b32_e64 v59, v66, v50, s[10:11]
	v_cmp_eq_u32_e64 s[6:7], 2, v94
	v_cmp_gt_u32_e64 s[8:9], 62, v51
	s_waitcnt vmcnt(0)
	v_lshl_add_u64 v[0:1], v[0:1], 1, s[54:55]
	;;#ASMSTART
	global_atomic_pk_add_f16 v[0:1], v20, off
	
	;;#ASMEND
	v_lshl_add_u64 v[20:21], v[0:1], 0, 32
	;;#ASMSTART
	global_atomic_pk_add_f16 v[20:21], v15, off
	
	;;#ASMEND
	v_cvt_f16_f32_e32 v15, v23
	v_cvt_f16_f32_e32 v23, v29
	v_lshl_add_u64 v[20:21], v[0:1], 0, 64
	v_or_b32_e32 v15, v22, v15
	;;#ASMSTART
	global_atomic_pk_add_f16 v[20:21], v15, off
	
	;;#ASMEND
	v_or_b32_e32 v15, v28, v23
	v_lshl_add_u64 v[20:21], v[0:1], 0, s[30:31]
	;;#ASMSTART
	global_atomic_pk_add_f16 v[20:21], v15, off
	
	;;#ASMEND
	v_cvt_f16_f32_e32 v15, v31
	v_cvt_f16_f32_sdwa v22, v30 dst_sel:WORD_1 dst_unused:UNUSED_PAD src0_sel:DWORD
	v_cvt_f16_f32_e32 v23, v59
	v_cvt_f16_f32_sdwa v28, v55 dst_sel:WORD_1 dst_unused:UNUSED_PAD src0_sel:DWORD
	v_lshl_add_u64 v[20:21], v[0:1], 0, s[34:35]
	v_or_b32_e32 v15, v22, v15
	;;#ASMSTART
	global_atomic_pk_add_f16 v[20:21], v15, off
	
	;;#ASMEND
	v_lshl_add_u64 v[20:21], v[0:1], 0, s[44:45]
	v_or_b32_e32 v15, v28, v23
	;;#ASMSTART
	global_atomic_pk_add_f16 v[20:21], v15, off
	
	;;#ASMEND
	s_and_b64 exec, exec, s[8:9]
	s_cbranch_execz .LBB378_53
; %bb.48:                               ;   in Loop: Header=BB378_7 Depth=1
	v_cndmask_b32_e32 v3, v3, v9, vcc
	v_cndmask_b32_e64 v8, v8, v9, s[6:7]
	v_cvt_f16_f32_e32 v8, v8
	v_cvt_f16_f32_sdwa v3, v3 dst_sel:WORD_1 dst_unused:UNUSED_PAD src0_sel:DWORD
	v_cndmask_b32_e32 v4, v4, v6, vcc
	v_cndmask_b32_e64 v5, v5, v6, s[6:7]
	v_cndmask_b32_e32 v6, v7, v14, vcc
	v_or_b32_e32 v3, v3, v8
	v_cndmask_b32_e64 v7, v13, v14, s[6:7]
	v_lshl_add_u64 v[0:1], s[28:29], 2, v[0:1]
	;;#ASMSTART
	global_atomic_pk_add_f16 v[0:1], v3, off
	
	;;#ASMEND
	v_cvt_f16_f32_e32 v3, v5
	v_cvt_f16_f32_sdwa v8, v4 dst_sel:WORD_1 dst_unused:UNUSED_PAD src0_sel:DWORD
	v_cvt_f16_f32_e32 v7, v7
	v_cvt_f16_f32_sdwa v6, v6 dst_sel:WORD_1 dst_unused:UNUSED_PAD src0_sel:DWORD
	v_cndmask_b32_e32 v9, v56, v58, vcc
	v_or_b32_e32 v3, v8, v3
	v_cndmask_b32_e64 v13, v57, v58, s[6:7]
	v_lshl_add_u64 v[4:5], v[0:1], 0, 32
	;;#ASMSTART
	global_atomic_pk_add_f16 v[4:5], v3, off
	
	;;#ASMEND
	v_or_b32_e32 v3, v6, v7
	v_cndmask_b32_e32 v14, v52, v54, vcc
	v_cndmask_b32_e64 v15, v53, v54, s[6:7]
	v_lshl_add_u64 v[4:5], v[0:1], 0, 64
	;;#ASMSTART
	global_atomic_pk_add_f16 v[4:5], v3, off
	
	;;#ASMEND
	v_cvt_f16_f32_e32 v3, v13
	v_cvt_f16_f32_sdwa v6, v9 dst_sel:WORD_1 dst_unused:UNUSED_PAD src0_sel:DWORD
	v_cvt_f16_f32_e32 v7, v15
	v_cvt_f16_f32_sdwa v8, v14 dst_sel:WORD_1 dst_unused:UNUSED_PAD src0_sel:DWORD
	v_lshl_add_u64 v[4:5], v[0:1], 0, s[30:31]
	v_or_b32_e32 v3, v6, v3
	;;#ASMSTART
	global_atomic_pk_add_f16 v[4:5], v3, off
	
	;;#ASMEND
	v_or_b32_e32 v3, v8, v7
	v_pk_mul_f32 v[8:9], v[110:111], v[44:45]
	scratch_load_dword v44, off, off offset:100 ; 4-byte Folded Reload
	v_mov_b32_e32 v6, v110
	v_mov_b32_e32 v7, v110
	v_pk_mul_f32 v[6:7], v[6:7], v[46:47]
	scratch_load_dword v46, off, off offset:108 ; 4-byte Folded Reload
	v_cndmask_b32_e32 v20, v48, v50, vcc
	v_cndmask_b32_e64 v21, v49, v50, s[6:7]
	v_lshl_add_u64 v[4:5], v[0:1], 0, s[34:35]
	;;#ASMSTART
	global_atomic_pk_add_f16 v[4:5], v3, off
	
	;;#ASMEND
	scratch_load_dwordx4 v[48:51], off, off ; 16-byte Folded Reload
	v_cvt_f16_f32_e32 v31, v21
	v_cvt_f16_f32_sdwa v45, v20 dst_sel:WORD_1 dst_unused:UNUSED_PAD src0_sel:DWORD
	v_pk_mul_f32 v[20:21], v[88:89], v[40:41]
	v_pk_mul_f32 v[22:23], v[84:85], v[36:37]
	v_cmp_eq_u32_e64 s[12:13], 1, v94
	v_cmp_eq_u32_e64 s[14:15], 2, v94
	;; [unrolled: 1-line block ×3, first 2 shown]
	v_lshl_add_u64 v[0:1], v[0:1], 0, s[44:45]
	s_waitcnt vmcnt(2)
	v_cmp_eq_u32_e64 s[8:9], 1, v44
	s_nop 1
	v_cndmask_b32_e64 v13, v8, v9, s[8:9]
	v_cmp_eq_u32_e32 vcc, 2, v44
	v_cmp_eq_u32_e64 s[6:7], 3, v44
	v_cmp_eq_u32_e64 s[10:11], 0, v44
	v_cndmask_b32_e32 v13, v13, v6, vcc
	v_cndmask_b32_e64 v13, v13, v7, s[6:7]
	s_waitcnt vmcnt(1)
	ds_bpermute_b32 v13, v46, v13
	s_waitcnt lgkmcnt(0)
	v_cndmask_b32_e64 v3, v7, v13, s[6:7]
	v_cndmask_b32_e32 v4, v6, v13, vcc
	v_mov_b32_e32 v6, v88
	v_mov_b32_e32 v7, v88
	v_cndmask_b32_e64 v14, v9, v13, s[8:9]
	v_cndmask_b32_e64 v15, v8, v13, s[10:11]
	v_pk_mul_f32 v[8:9], v[6:7], v[42:43]
	v_cndmask_b32_e64 v6, v20, v21, s[8:9]
	v_cndmask_b32_e32 v6, v6, v8, vcc
	v_cndmask_b32_e64 v6, v6, v9, s[6:7]
	ds_bpermute_b32 v13, v46, v6
	v_cndmask_b32_e64 v5, v15, v14, s[12:13]
	v_cndmask_b32_e64 v5, v5, v4, s[14:15]
	;; [unrolled: 1-line block ×3, first 2 shown]
	ds_bpermute_b32 v5, v46, v5
	s_waitcnt lgkmcnt(1)
	v_cndmask_b32_e64 v6, v9, v13, s[6:7]
	v_cndmask_b32_e32 v7, v8, v13, vcc
	v_mov_b32_e32 v8, v84
	v_mov_b32_e32 v9, v84
	v_cndmask_b32_e64 v40, v21, v13, s[8:9]
	v_cndmask_b32_e64 v41, v20, v13, s[10:11]
	v_pk_mul_f32 v[20:21], v[8:9], v[38:39]
	v_cndmask_b32_e64 v8, v22, v23, s[8:9]
	v_cndmask_b32_e32 v8, v8, v20, vcc
	v_cndmask_b32_e64 v8, v8, v21, s[6:7]
	ds_bpermute_b32 v28, v46, v8
	v_cndmask_b32_e64 v8, v41, v40, s[12:13]
	v_cndmask_b32_e64 v8, v8, v7, s[14:15]
	;; [unrolled: 1-line block ×3, first 2 shown]
	ds_bpermute_b32 v8, v46, v8
	s_waitcnt lgkmcnt(1)
	v_cndmask_b32_e64 v9, v21, v28, s[6:7]
	v_cndmask_b32_e32 v13, v20, v28, vcc
	v_cndmask_b32_e64 v36, v23, v28, s[8:9]
	v_cndmask_b32_e64 v37, v22, v28, s[10:11]
	v_mov_b32_e32 v20, v80
	v_mov_b32_e32 v21, v80
	v_pk_mul_f32 v[22:23], v[80:81], v[32:33]
	v_pk_mul_f32 v[20:21], v[20:21], v[34:35]
	v_cndmask_b32_e64 v28, v22, v23, s[8:9]
	v_cndmask_b32_e32 v28, v28, v20, vcc
	v_cndmask_b32_e64 v28, v28, v21, s[6:7]
	ds_bpermute_b32 v28, v46, v28
	v_cndmask_b32_e64 v29, v37, v36, s[12:13]
	v_cndmask_b32_e64 v29, v29, v13, s[14:15]
	;; [unrolled: 1-line block ×3, first 2 shown]
	ds_bpermute_b32 v32, v46, v29
	s_waitcnt lgkmcnt(1)
	v_cndmask_b32_e64 v33, v21, v28, s[6:7]
	v_cndmask_b32_e32 v34, v20, v28, vcc
	v_cndmask_b32_e64 v35, v23, v28, s[8:9]
	v_cndmask_b32_e64 v38, v22, v28, s[10:11]
	v_mov_b32_e32 v20, v76
	v_mov_b32_e32 v21, v76
	s_waitcnt vmcnt(0)
	v_pk_mul_f32 v[22:23], v[76:77], v[48:49]
	v_pk_mul_f32 v[20:21], v[20:21], v[50:51]
	v_cndmask_b32_e64 v28, v22, v23, s[8:9]
	v_cndmask_b32_e32 v28, v28, v20, vcc
	v_cndmask_b32_e64 v28, v28, v21, s[6:7]
	ds_bpermute_b32 v42, v46, v28
	v_cndmask_b32_e64 v28, v38, v35, s[12:13]
	v_cndmask_b32_e64 v28, v28, v34, s[14:15]
	;; [unrolled: 1-line block ×3, first 2 shown]
	ds_bpermute_b32 v28, v46, v28
	s_waitcnt lgkmcnt(1)
	v_cndmask_b32_e64 v29, v21, v42, s[6:7]
	v_cndmask_b32_e32 v30, v20, v42, vcc
	v_cndmask_b32_e64 v39, v23, v42, s[8:9]
	v_cndmask_b32_e64 v42, v22, v42, s[10:11]
	v_mov_b32_e32 v20, v72
	v_mov_b32_e32 v21, v72
	v_pk_mul_f32 v[22:23], v[72:73], v[24:25]
	v_pk_mul_f32 v[20:21], v[20:21], v[26:27]
	v_cndmask_b32_e64 v24, v22, v23, s[8:9]
	v_cndmask_b32_e32 v24, v24, v20, vcc
	v_cndmask_b32_e64 v24, v24, v21, s[6:7]
	ds_bpermute_b32 v27, v46, v24
	v_cndmask_b32_e64 v24, v42, v39, s[12:13]
	v_cndmask_b32_e64 v24, v24, v30, s[14:15]
	;; [unrolled: 1-line block ×3, first 2 shown]
	ds_bpermute_b32 v26, v46, v24
	s_waitcnt lgkmcnt(1)
	v_cndmask_b32_e32 v25, v20, v27, vcc
	v_cmp_ne_u32_e32 vcc, 0, v44
	v_cndmask_b32_e64 v44, v22, v27, s[10:11]
	v_cndmask_b32_e64 v24, v21, v27, s[6:7]
	v_cndmask_b32_e32 v43, v23, v27, vcc
	v_cndmask_b32_e64 v20, v44, v43, s[12:13]
	v_cndmask_b32_e64 v20, v20, v25, s[14:15]
	;; [unrolled: 1-line block ×3, first 2 shown]
	ds_bpermute_b32 v27, v46, v20
	v_or_b32_e32 v20, v45, v31
	;;#ASMSTART
	global_atomic_pk_add_f16 v[0:1], v20, off
	
	;;#ASMEND
	scratch_load_dword v0, off, off offset:104 ; 4-byte Folded Reload
	s_waitcnt vmcnt(0)
	v_or_b32_e32 v0, 32, v0
	v_add_u32_e32 v31, s71, v0
	v_cmp_gt_u32_e32 vcc, 64, v31
	s_and_b64 exec, exec, vcc
	s_cbranch_execz .LBB378_53
; %bb.49:                               ;   in Loop: Header=BB378_7 Depth=1
	v_cmp_eq_u32_e64 s[8:9], 1, v94
	v_cmp_eq_u32_e64 s[10:11], 0, v94
	v_cmp_eq_u32_e32 vcc, 3, v94
	v_cndmask_b32_e64 v0, v14, v5, s[8:9]
	v_cndmask_b32_e64 v1, v15, v5, s[10:11]
	;; [unrolled: 1-line block ×4, first 2 shown]
	s_waitcnt lgkmcnt(1)
	v_cndmask_b32_e64 v35, v39, v26, s[8:9]
	v_cvt_f16_f32_e32 v39, v1
	v_cvt_f16_f32_sdwa v40, v0 dst_sel:WORD_1 dst_unused:UNUSED_PAD src0_sel:DWORD
	scratch_load_dwordx2 v[0:1], off, off offset:164 ; 8-byte Folded Reload
	v_cndmask_b32_e64 v20, v36, v32, s[8:9]
	v_cndmask_b32_e64 v21, v37, v32, s[10:11]
	;; [unrolled: 1-line block ×4, first 2 shown]
	v_cvt_f16_f32_e32 v21, v21
	v_cvt_f16_f32_sdwa v20, v20 dst_sel:WORD_1 dst_unused:UNUSED_PAD src0_sel:DWORD
	v_cndmask_b32_e64 v36, v42, v26, s[10:11]
	v_cvt_f16_f32_e32 v41, v15
	v_cvt_f16_f32_sdwa v42, v14 dst_sel:WORD_1 dst_unused:UNUSED_PAD src0_sel:DWORD
	v_cvt_f16_f32_e32 v23, v23
	v_cvt_f16_f32_sdwa v22, v22 dst_sel:WORD_1 dst_unused:UNUSED_PAD src0_sel:DWORD
	v_or_b32_e32 v14, v40, v39
	v_or_b32_e32 v20, v20, v21
	;; [unrolled: 1-line block ×3, first 2 shown]
	s_waitcnt lgkmcnt(0)
	v_cndmask_b32_e64 v37, v43, v27, s[8:9]
	v_cndmask_b32_e64 v38, v44, v27, s[10:11]
	v_cvt_f16_f32_sdwa v21, v35 dst_sel:WORD_1 dst_unused:UNUSED_PAD src0_sel:DWORD
	v_cmp_eq_u32_e64 s[6:7], 2, v94
	v_cmp_gt_u32_e64 s[8:9], 62, v31
	s_waitcnt vmcnt(0)
	v_lshl_add_u64 v[0:1], v[0:1], 1, s[54:55]
	;;#ASMSTART
	global_atomic_pk_add_f16 v[0:1], v14, off
	
	;;#ASMEND
	v_lshl_add_u64 v[14:15], v[0:1], 0, 32
	;;#ASMSTART
	global_atomic_pk_add_f16 v[14:15], v39, off
	
	;;#ASMEND
	;; [unrolled: 5-line block ×3, first 2 shown]
	v_or_b32_e32 v20, v22, v23
	v_lshl_add_u64 v[14:15], v[0:1], 0, s[30:31]
	;;#ASMSTART
	global_atomic_pk_add_f16 v[14:15], v20, off
	
	;;#ASMEND
	v_cvt_f16_f32_e32 v20, v36
	v_cvt_f16_f32_e32 v22, v38
	v_cvt_f16_f32_sdwa v23, v37 dst_sel:WORD_1 dst_unused:UNUSED_PAD src0_sel:DWORD
	v_lshl_add_u64 v[14:15], v[0:1], 0, s[34:35]
	v_or_b32_e32 v20, v21, v20
	;;#ASMSTART
	global_atomic_pk_add_f16 v[14:15], v20, off
	
	;;#ASMEND
	v_lshl_add_u64 v[14:15], v[0:1], 0, s[44:45]
	v_or_b32_e32 v20, v23, v22
	;;#ASMSTART
	global_atomic_pk_add_f16 v[14:15], v20, off
	
	;;#ASMEND
	s_and_b64 exec, exec, s[8:9]
	s_cbranch_execz .LBB378_53
; %bb.50:                               ;   in Loop: Header=BB378_7 Depth=1
	v_cndmask_b32_e32 v3, v3, v5, vcc
	v_cndmask_b32_e64 v4, v4, v5, s[6:7]
	v_cvt_f16_f32_e32 v4, v4
	v_cvt_f16_f32_sdwa v3, v3 dst_sel:WORD_1 dst_unused:UNUSED_PAD src0_sel:DWORD
	v_cndmask_b32_e32 v5, v6, v8, vcc
	v_cndmask_b32_e64 v6, v7, v8, s[6:7]
	v_cndmask_b32_e32 v7, v9, v32, vcc
	v_or_b32_e32 v3, v3, v4
	v_cndmask_b32_e64 v8, v13, v32, s[6:7]
	v_lshl_add_u64 v[0:1], s[28:29], 2, v[0:1]
	;;#ASMSTART
	global_atomic_pk_add_f16 v[0:1], v3, off
	
	;;#ASMEND
	v_cvt_f16_f32_e32 v3, v6
	v_cvt_f16_f32_sdwa v6, v5 dst_sel:WORD_1 dst_unused:UNUSED_PAD src0_sel:DWORD
	v_cvt_f16_f32_e32 v8, v8
	v_cvt_f16_f32_sdwa v7, v7 dst_sel:WORD_1 dst_unused:UNUSED_PAD src0_sel:DWORD
	v_cndmask_b32_e32 v9, v33, v28, vcc
	v_or_b32_e32 v3, v6, v3
	v_cndmask_b32_e64 v13, v34, v28, s[6:7]
	v_lshl_add_u64 v[4:5], v[0:1], 0, 32
	;;#ASMSTART
	global_atomic_pk_add_f16 v[4:5], v3, off
	
	;;#ASMEND
	v_or_b32_e32 v3, v7, v8
	v_lshl_add_u64 v[4:5], v[0:1], 0, 64
	;;#ASMSTART
	global_atomic_pk_add_f16 v[4:5], v3, off
	
	;;#ASMEND
	v_cvt_f16_f32_e32 v3, v13
	v_cvt_f16_f32_sdwa v6, v9 dst_sel:WORD_1 dst_unused:UNUSED_PAD src0_sel:DWORD
	v_cndmask_b32_e32 v20, v24, v27, vcc
	v_cndmask_b32_e64 v21, v25, v27, s[6:7]
	v_lshl_add_u64 v[4:5], v[0:1], 0, s[30:31]
	v_or_b32_e32 v3, v6, v3
	;;#ASMSTART
	global_atomic_pk_add_f16 v[4:5], v3, off
	
	;;#ASMEND
	scratch_load_dwordx4 v[22:25], off, off offset:80 ; 16-byte Folded Reload
	scratch_load_dword v40, off, off offset:100 ; 4-byte Folded Reload
	scratch_load_dword v41, off, off offset:108 ; 4-byte Folded Reload
	v_cndmask_b32_e32 v14, v29, v26, vcc
	v_cndmask_b32_e64 v15, v30, v26, s[6:7]
	v_cvt_f16_f32_e32 v7, v15
	v_cvt_f16_f32_sdwa v8, v14 dst_sel:WORD_1 dst_unused:UNUSED_PAD src0_sel:DWORD
	v_lshl_add_u64 v[4:5], v[0:1], 0, s[34:35]
	v_cvt_f16_f32_e32 v38, v21
	v_cvt_f16_f32_sdwa v39, v20 dst_sel:WORD_1 dst_unused:UNUSED_PAD src0_sel:DWORD
	v_or_b32_e32 v3, v8, v7
	;;#ASMSTART
	global_atomic_pk_add_f16 v[4:5], v3, off
	
	;;#ASMEND
	scratch_load_dwordx4 v[30:33], off, off offset:32 ; 16-byte Folded Reload
	scratch_load_dwordx4 v[34:37], off, off offset:16 ; 16-byte Folded Reload
	v_mov_b32_e32 v6, v110
	v_mov_b32_e32 v7, v110
	v_lshl_add_u64 v[0:1], v[0:1], 0, s[44:45]
	v_cmp_eq_u32_e64 s[12:13], 1, v94
	v_cmp_eq_u32_e64 s[14:15], 2, v94
	;; [unrolled: 1-line block ×3, first 2 shown]
	scratch_load_dwordx4 v[26:29], off, off offset:48 ; 16-byte Folded Reload
	s_waitcnt vmcnt(5)
	v_pk_mul_f32 v[8:9], v[110:111], v[22:23]
	scratch_load_dwordx4 v[20:23], off, off offset:64 ; 16-byte Folded Reload
	s_waitcnt vmcnt(5)
	v_cmp_eq_u32_e64 s[8:9], 1, v40
	v_pk_mul_f32 v[6:7], v[6:7], v[24:25]
	v_cmp_eq_u32_e32 vcc, 2, v40
	v_cndmask_b32_e64 v13, v8, v9, s[8:9]
	v_cmp_eq_u32_e64 s[6:7], 3, v40
	v_cndmask_b32_e32 v13, v13, v6, vcc
	v_cmp_eq_u32_e64 s[10:11], 0, v40
	v_cndmask_b32_e64 v13, v13, v7, s[6:7]
	s_waitcnt vmcnt(4)
	ds_bpermute_b32 v13, v41, v13
	s_waitcnt vmcnt(2)
	v_pk_mul_f32 v[34:35], v[76:77], v[34:35]
	s_waitcnt lgkmcnt(0)
	v_cndmask_b32_e64 v3, v7, v13, s[6:7]
	v_cndmask_b32_e32 v4, v6, v13, vcc
	v_mov_b32_e32 v6, v88
	v_mov_b32_e32 v7, v88
	v_cndmask_b32_e64 v14, v9, v13, s[8:9]
	v_cndmask_b32_e64 v15, v8, v13, s[10:11]
	;; [unrolled: 1-line block ×5, first 2 shown]
	ds_bpermute_b32 v5, v41, v5
	s_waitcnt vmcnt(1)
	v_pk_mul_f32 v[26:27], v[84:85], v[26:27]
	s_waitcnt vmcnt(0)
	v_pk_mul_f32 v[20:21], v[88:89], v[20:21]
	v_pk_mul_f32 v[8:9], v[6:7], v[22:23]
	v_cndmask_b32_e64 v6, v20, v21, s[8:9]
	v_cndmask_b32_e32 v6, v6, v8, vcc
	v_cndmask_b32_e64 v6, v6, v9, s[6:7]
	ds_bpermute_b32 v13, v41, v6
	s_waitcnt lgkmcnt(0)
	v_cndmask_b32_e64 v6, v9, v13, s[6:7]
	v_cndmask_b32_e32 v7, v8, v13, vcc
	v_mov_b32_e32 v8, v84
	v_mov_b32_e32 v9, v84
	v_cndmask_b32_e64 v23, v21, v13, s[8:9]
	v_cndmask_b32_e64 v24, v20, v13, s[10:11]
	v_pk_mul_f32 v[20:21], v[8:9], v[28:29]
	v_cndmask_b32_e64 v8, v26, v27, s[8:9]
	v_cndmask_b32_e32 v8, v8, v20, vcc
	v_cndmask_b32_e64 v8, v8, v21, s[6:7]
	ds_bpermute_b32 v22, v41, v8
	v_cndmask_b32_e64 v8, v24, v23, s[12:13]
	v_cndmask_b32_e64 v8, v8, v7, s[14:15]
	;; [unrolled: 1-line block ×3, first 2 shown]
	ds_bpermute_b32 v8, v41, v8
	s_waitcnt lgkmcnt(1)
	v_cndmask_b32_e64 v9, v21, v22, s[6:7]
	v_cndmask_b32_e32 v13, v20, v22, vcc
	v_mov_b32_e32 v20, v80
	v_mov_b32_e32 v21, v80
	v_cndmask_b32_e64 v28, v27, v22, s[8:9]
	v_cndmask_b32_e64 v29, v26, v22, s[10:11]
	v_pk_mul_f32 v[26:27], v[20:21], v[32:33]
	v_pk_mul_f32 v[32:33], v[80:81], v[30:31]
	s_nop 0
	v_cndmask_b32_e64 v20, v32, v33, s[8:9]
	v_cndmask_b32_e32 v20, v20, v26, vcc
	v_cndmask_b32_e64 v20, v20, v27, s[6:7]
	ds_bpermute_b32 v25, v41, v20
	v_cndmask_b32_e64 v20, v29, v28, s[12:13]
	v_cndmask_b32_e64 v20, v20, v13, s[14:15]
	;; [unrolled: 1-line block ×3, first 2 shown]
	ds_bpermute_b32 v20, v41, v20
	s_waitcnt lgkmcnt(1)
	v_cndmask_b32_e64 v21, v27, v25, s[6:7]
	v_cndmask_b32_e32 v22, v26, v25, vcc
	v_mov_b32_e32 v26, v76
	v_mov_b32_e32 v27, v76
	v_cndmask_b32_e64 v30, v33, v25, s[8:9]
	v_cndmask_b32_e64 v31, v32, v25, s[10:11]
	v_pk_mul_f32 v[32:33], v[26:27], v[36:37]
	v_cndmask_b32_e64 v25, v34, v35, s[8:9]
	v_cndmask_b32_e32 v25, v25, v32, vcc
	v_cndmask_b32_e64 v25, v25, v33, s[6:7]
	ds_bpermute_b32 v36, v41, v25
	v_mov_b32_e32 v37, v72
	v_cndmask_b32_e64 v25, v31, v30, s[12:13]
	v_cndmask_b32_e64 v25, v25, v22, s[14:15]
	;; [unrolled: 1-line block ×3, first 2 shown]
	s_waitcnt lgkmcnt(0)
	v_cndmask_b32_e64 v26, v33, v36, s[6:7]
	v_cndmask_b32_e32 v27, v32, v36, vcc
	v_cndmask_b32_e64 v33, v35, v36, s[8:9]
	v_cndmask_b32_e64 v34, v34, v36, s[10:11]
	v_mov_b32_e32 v36, v72
	v_pk_mul_f32 v[18:19], v[36:37], v[18:19]
	v_pk_mul_f32 v[36:37], v[72:73], v[16:17]
	ds_bpermute_b32 v25, v41, v25
	v_cndmask_b32_e64 v16, v36, v37, s[8:9]
	v_cndmask_b32_e32 v16, v16, v18, vcc
	v_cndmask_b32_e64 v16, v16, v19, s[6:7]
	ds_bpermute_b32 v32, v41, v16
	v_cndmask_b32_e64 v16, v34, v33, s[12:13]
	v_cndmask_b32_e64 v16, v16, v27, s[14:15]
	;; [unrolled: 1-line block ×3, first 2 shown]
	ds_bpermute_b32 v16, v41, v16
	s_waitcnt lgkmcnt(1)
	v_cndmask_b32_e32 v18, v18, v32, vcc
	v_cmp_ne_u32_e32 vcc, 0, v40
	v_cndmask_b32_e64 v17, v19, v32, s[6:7]
	v_cndmask_b32_e64 v36, v36, v32, s[10:11]
	v_cndmask_b32_e32 v35, v37, v32, vcc
	v_or_b32_e32 v32, v39, v38
	;;#ASMSTART
	global_atomic_pk_add_f16 v[0:1], v32, off
	
	;;#ASMEND
	scratch_load_dword v0, off, off offset:104 ; 4-byte Folded Reload
	v_cndmask_b32_e64 v19, v36, v35, s[12:13]
	v_cndmask_b32_e64 v19, v19, v18, s[14:15]
	;; [unrolled: 1-line block ×3, first 2 shown]
	ds_bpermute_b32 v19, v41, v19
	s_waitcnt vmcnt(0)
	v_or_b32_e32 v0, 48, v0
	v_add_u32_e32 v32, s71, v0
	v_cmp_gt_u32_e32 vcc, 64, v32
	s_and_b64 exec, exec, vcc
	s_cbranch_execz .LBB378_53
; %bb.51:                               ;   in Loop: Header=BB378_7 Depth=1
	v_cmp_eq_u32_e64 s[8:9], 1, v94
	v_cmp_eq_u32_e64 s[10:11], 0, v94
	v_cmp_eq_u32_e32 vcc, 3, v94
	v_cndmask_b32_e64 v0, v14, v5, s[8:9]
	v_cndmask_b32_e64 v1, v15, v5, s[10:11]
	;; [unrolled: 1-line block ×8, first 2 shown]
	s_waitcnt lgkmcnt(1)
	v_cndmask_b32_e64 v30, v33, v16, s[8:9]
	v_cndmask_b32_e64 v31, v34, v16, s[10:11]
	s_waitcnt lgkmcnt(0)
	v_cndmask_b32_e64 v33, v35, v19, s[8:9]
	v_cndmask_b32_e64 v34, v36, v19, s[10:11]
	v_cvt_f16_f32_e32 v35, v1
	v_cvt_f16_f32_sdwa v36, v0 dst_sel:WORD_1 dst_unused:UNUSED_PAD src0_sel:DWORD
	scratch_load_dwordx2 v[0:1], off, off offset:172 ; 8-byte Folded Reload
	v_cvt_f16_f32_e32 v24, v24
	v_cvt_f16_f32_sdwa v23, v23 dst_sel:WORD_1 dst_unused:UNUSED_PAD src0_sel:DWORD
	v_cvt_f16_f32_e32 v37, v15
	v_cvt_f16_f32_sdwa v38, v14 dst_sel:WORD_1 dst_unused:UNUSED_PAD src0_sel:DWORD
	;; [unrolled: 2-line block ×3, first 2 shown]
	v_or_b32_e32 v14, v36, v35
	v_or_b32_e32 v23, v23, v24
	;; [unrolled: 1-line block ×3, first 2 shown]
	v_cvt_f16_f32_sdwa v24, v30 dst_sel:WORD_1 dst_unused:UNUSED_PAD src0_sel:DWORD
	v_cmp_eq_u32_e64 s[6:7], 2, v94
	v_cmp_gt_u32_e64 s[8:9], 62, v32
	s_waitcnt vmcnt(0)
	v_lshl_add_u64 v[0:1], v[0:1], 1, s[54:55]
	;;#ASMSTART
	global_atomic_pk_add_f16 v[0:1], v14, off
	
	;;#ASMEND
	v_lshl_add_u64 v[14:15], v[0:1], 0, 32
	;;#ASMSTART
	global_atomic_pk_add_f16 v[14:15], v35, off
	
	;;#ASMEND
	;; [unrolled: 5-line block ×3, first 2 shown]
	v_or_b32_e32 v23, v28, v29
	v_lshl_add_u64 v[14:15], v[0:1], 0, s[30:31]
	;;#ASMSTART
	global_atomic_pk_add_f16 v[14:15], v23, off
	
	;;#ASMEND
	v_cvt_f16_f32_e32 v23, v31
	v_cvt_f16_f32_e32 v28, v34
	v_cvt_f16_f32_sdwa v29, v33 dst_sel:WORD_1 dst_unused:UNUSED_PAD src0_sel:DWORD
	v_lshl_add_u64 v[14:15], v[0:1], 0, s[34:35]
	v_or_b32_e32 v23, v24, v23
	;;#ASMSTART
	global_atomic_pk_add_f16 v[14:15], v23, off
	
	;;#ASMEND
	v_lshl_add_u64 v[14:15], v[0:1], 0, s[44:45]
	v_or_b32_e32 v23, v29, v28
	;;#ASMSTART
	global_atomic_pk_add_f16 v[14:15], v23, off
	
	;;#ASMEND
	s_and_b64 exec, exec, s[8:9]
	s_cbranch_execz .LBB378_53
; %bb.52:                               ;   in Loop: Header=BB378_7 Depth=1
	v_cndmask_b32_e32 v3, v3, v5, vcc
	v_cndmask_b32_e64 v4, v4, v5, s[6:7]
	v_cndmask_b32_e32 v5, v6, v8, vcc
	v_cndmask_b32_e64 v6, v7, v8, s[6:7]
	v_cvt_f16_f32_e32 v4, v4
	v_cvt_f16_f32_sdwa v3, v3 dst_sel:WORD_1 dst_unused:UNUSED_PAD src0_sel:DWORD
	v_cndmask_b32_e32 v14, v26, v16, vcc
	v_cndmask_b32_e64 v15, v27, v16, s[6:7]
	v_cndmask_b32_e32 v16, v17, v19, vcc
	v_cndmask_b32_e64 v17, v18, v19, s[6:7]
	v_cvt_f16_f32_e32 v6, v6
	v_cvt_f16_f32_sdwa v18, v5 dst_sel:WORD_1 dst_unused:UNUSED_PAD src0_sel:DWORD
	v_or_b32_e32 v3, v3, v4
	v_cndmask_b32_e32 v7, v9, v20, vcc
	v_cndmask_b32_e64 v8, v13, v20, s[6:7]
	v_lshl_add_u64 v[0:1], s[28:29], 2, v[0:1]
	;;#ASMSTART
	global_atomic_pk_add_f16 v[0:1], v3, off
	
	;;#ASMEND
	v_or_b32_e32 v3, v18, v6
	v_cndmask_b32_e32 v9, v21, v25, vcc
	v_cndmask_b32_e64 v13, v22, v25, s[6:7]
	v_lshl_add_u64 v[4:5], v[0:1], 0, 32
	;;#ASMSTART
	global_atomic_pk_add_f16 v[4:5], v3, off
	
	;;#ASMEND
	v_cvt_f16_f32_e32 v3, v8
	v_cvt_f16_f32_sdwa v6, v7 dst_sel:WORD_1 dst_unused:UNUSED_PAD src0_sel:DWORD
	v_cvt_f16_f32_e32 v7, v13
	v_cvt_f16_f32_sdwa v8, v9 dst_sel:WORD_1 dst_unused:UNUSED_PAD src0_sel:DWORD
	v_lshl_add_u64 v[4:5], v[0:1], 0, 64
	v_or_b32_e32 v3, v6, v3
	;;#ASMSTART
	global_atomic_pk_add_f16 v[4:5], v3, off
	
	;;#ASMEND
	v_or_b32_e32 v3, v8, v7
	v_lshl_add_u64 v[4:5], v[0:1], 0, s[30:31]
	;;#ASMSTART
	global_atomic_pk_add_f16 v[4:5], v3, off
	
	;;#ASMEND
	v_cvt_f16_f32_e32 v3, v15
	v_cvt_f16_f32_sdwa v6, v14 dst_sel:WORD_1 dst_unused:UNUSED_PAD src0_sel:DWORD
	v_cvt_f16_f32_e32 v7, v17
	v_cvt_f16_f32_sdwa v8, v16 dst_sel:WORD_1 dst_unused:UNUSED_PAD src0_sel:DWORD
	v_lshl_add_u64 v[4:5], v[0:1], 0, s[34:35]
	v_or_b32_e32 v3, v6, v3
	;;#ASMSTART
	global_atomic_pk_add_f16 v[4:5], v3, off
	
	;;#ASMEND
	v_lshl_add_u64 v[0:1], v[0:1], 0, s[44:45]
	v_or_b32_e32 v3, v8, v7
	;;#ASMSTART
	global_atomic_pk_add_f16 v[0:1], v3, off
	
	;;#ASMEND
.LBB378_53:                             ;   in Loop: Header=BB378_7 Depth=1
	s_or_b64 exec, exec, s[18:19]
	scratch_load_dword v17, off, off offset:112 ; 4-byte Folded Reload
	s_waitcnt lgkmcnt(0)
	scratch_load_dwordx2 v[18:19], off, off offset:128 ; 8-byte Folded Reload
	scratch_load_dword v20, off, off offset:136 ; 4-byte Folded Reload
	v_subrev_u32_e32 v12, s72, v12
	v_mov_b32_e32 v30, v98
.LBB378_54:                             ;   in Loop: Header=BB378_7 Depth=1
	s_or_b64 exec, exec, s[52:53]
.LBB378_55:                             ;   in Loop: Header=BB378_7 Depth=1
	s_andn2_saveexec_b64 s[6:7], s[50:51]
	s_cbranch_execz .LBB378_64
; %bb.56:                               ;   in Loop: Header=BB378_7 Depth=1
	s_mul_i32 s16, s72, 6
	v_cmp_gt_i32_e32 vcc, s16, v12
	s_and_saveexec_b64 s[8:9], vcc
	s_cbranch_execz .LBB378_63
; %bb.57:                               ;   in Loop: Header=BB378_7 Depth=1
	scratch_load_dwordx2 v[0:1], off, off offset:140 ; 8-byte Folded Reload
	s_mul_i32 s10, s48, s23
	s_ashr_i32 s11, s10, 31
	s_waitcnt lgkmcnt(0)
	s_add_u32 s10, s38, s10
	s_addc_u32 s11, s39, s11
	s_ashr_i32 s12, s70, 31
	s_add_u32 s10, s10, s70
	s_addc_u32 s11, s11, s12
	s_waitcnt vmcnt(0)
	v_lshl_add_u64 v[0:1], s[10:11], 0, v[0:1]
	v_lshl_add_u64 v[8:9], v[0:1], 0, v[18:19]
	s_mov_b64 s[10:11], 0
	s_branch .LBB378_59
.LBB378_58:                             ;   in Loop: Header=BB378_59 Depth=2
	s_or_b64 exec, exec, s[12:13]
	v_lshl_or_b32 v15, v13, 11, v11
	;;#ASMSTART
	s_waitcnt vmcnt(1)
	;;#ASMEND
	ds_write2_b32 v15, v4, v5 offset1:32
	ds_write2_b32 v15, v6, v7 offset0:64 offset1:96
	v_add_u32_e32 v4, 0x400, v15
	v_add_u32_e32 v12, s26, v12
	;;#ASMSTART
	s_waitcnt vmcnt(0)
	;;#ASMEND
	ds_write2_b32 v4, v0, v1 offset1:32
	ds_write2_b32 v4, v2, v3 offset0:64 offset1:96
	v_add_u32_e32 v0, 1, v10
	v_add_u32_e32 v2, s26, v13
	v_cmp_le_i32_e32 vcc, s16, v12
	ds_write_b32 v14, v0 offset:32
	v_add_u32_e32 v0, 2, v10
	s_or_b64 s[10:11], vcc, s[10:11]
	v_cmp_lt_i32_e32 vcc, 11, v2
	s_nop 1
	v_cndmask_b32_e32 v10, v10, v0, vcc
	s_andn2_b64 exec, exec, s[10:11]
	s_cbranch_execz .LBB378_62
.LBB378_59:                             ;   Parent Loop BB378_7 Depth=1
                                        ; =>  This Loop Header: Depth=2
                                        ;       Child Loop BB378_61 Depth 3
	v_cmp_gt_i32_e32 vcc, 12, v2
	s_nop 1
	v_cndmask_b32_e64 v0, -12, 0, vcc
	v_add_u32_e32 v13, v0, v2
	v_mul_hi_i32 v0, v12, s58
	v_lshrrev_b32_e32 v1, 31, v0
	v_add_u32_e32 v0, v0, v1
	v_mul_lo_u32 v1, v0, 6
	v_sub_u32_e32 v2, v12, v1
	v_lshlrev_b32_e32 v0, 7, v0
	v_ashrrev_i32_e32 v1, 31, v0
	v_mul_lo_u32 v2, s62, v2
	v_lshl_add_u64 v[0:1], v[8:9], 0, v[0:1]
	v_ashrrev_i32_e32 v3, 31, v2
	v_lshl_add_u64 v[0:1], v[0:1], 0, v[2:3]
	v_lshlrev_b32_e32 v14, 2, v13
	;;#ASMSTART
	global_load_dwordx4 v[4:7], v[0:1], off offset:0   sc0 sc1 nt  
	global_load_dwordx4 v[0:3], v[0:1], off offset:64  sc0 sc1 nt  
	
	;;#ASMEND
	ds_read_b32 v15, v14 offset:40992
	v_add_u32_e32 v14, 0xa000, v14
	s_waitcnt lgkmcnt(0)
	v_cmp_ne_u32_e32 vcc, v15, v10
	s_and_saveexec_b64 s[12:13], vcc
	s_cbranch_execz .LBB378_58
; %bb.60:                               ;   in Loop: Header=BB378_59 Depth=2
	s_mov_b64 s[14:15], 0
.LBB378_61:                             ;   Parent Loop BB378_7 Depth=1
                                        ;     Parent Loop BB378_59 Depth=2
                                        ; =>    This Inner Loop Header: Depth=3
	;;#ASMSTART
	s_sleep 0
	;;#ASMEND
	ds_read_b32 v15, v14 offset:32
	s_waitcnt lgkmcnt(0)
	v_cmp_eq_u32_e32 vcc, v15, v10
	s_or_b64 s[14:15], vcc, s[14:15]
	s_andn2_b64 exec, exec, s[14:15]
	s_cbranch_execnz .LBB378_61
	s_branch .LBB378_58
.LBB378_62:                             ;   in Loop: Header=BB378_7 Depth=1
	s_or_b64 exec, exec, s[10:11]
.LBB378_63:                             ;   in Loop: Header=BB378_7 Depth=1
	s_or_b64 exec, exec, s[8:9]
	v_subrev_u32_e32 v12, s16, v12
.LBB378_64:                             ;   in Loop: Header=BB378_7 Depth=1
	s_or_b64 exec, exec, s[6:7]
.LBB378_65:                             ;   in Loop: Header=BB378_7 Depth=1
	s_andn2_saveexec_b64 s[6:7], s[46:47]
	s_cbranch_execz .LBB378_6
; %bb.66:                               ;   in Loop: Header=BB378_7 Depth=1
	s_lshl_b32 s16, s72, 2
	v_cmp_gt_i32_e32 vcc, s16, v12
	s_and_saveexec_b64 s[8:9], vcc
	s_cbranch_execz .LBB378_5
; %bb.67:                               ;   in Loop: Header=BB378_7 Depth=1
	s_mul_i32 s69, s69, s22
	s_ashr_i32 s10, s69, 31
	s_waitcnt lgkmcnt(0)
	s_add_u32 s11, s36, s69
	s_waitcnt vmcnt(0)
	v_add_u32_e32 v3, s71, v20
	s_addc_u32 s12, s37, s10
	s_ashr_i32 s13, s70, 31
	v_mul_lo_u32 v0, s22, v20
	v_cmp_gt_u32_e32 vcc, 64, v3
	s_add_u32 s10, s11, s70
	s_addc_u32 s11, s12, s13
	v_cndmask_b32_e32 v0, 0, v0, vcc
	v_ashrrev_i32_e32 v1, 31, v0
	v_lshl_add_u64 v[0:1], s[10:11], 0, v[0:1]
	v_lshl_add_u64 v[8:9], v[0:1], 0, v[18:19]
	v_sub_u32_e32 v13, 63, v3
	s_mov_b64 s[10:11], 0
	s_branch .LBB378_69
.LBB378_68:                             ;   in Loop: Header=BB378_69 Depth=2
	s_or_b64 exec, exec, s[12:13]
	v_or_b32_e32 v16, 0x6000, v11
	v_lshl_add_u32 v16, v14, 11, v16
	;;#ASMSTART
	s_waitcnt vmcnt(1)
	;;#ASMEND
	ds_write2_b32 v16, v4, v5 offset1:32
	ds_write2_b32 v16, v6, v7 offset0:64 offset1:96
	v_add_u32_e32 v4, 0x400, v16
	v_add_u32_e32 v12, s25, v12
	;;#ASMSTART
	s_waitcnt vmcnt(0)
	;;#ASMEND
	ds_write2_b32 v4, v0, v1 offset1:32
	ds_write2_b32 v4, v2, v3 offset0:64 offset1:96
	v_add_u32_e32 v0, 1, v10
	v_add_u32_e32 v2, s25, v14
	v_cmp_le_i32_e32 vcc, s16, v12
	ds_write_b32 v15, v0
	v_add_u32_e32 v0, 2, v10
	s_or_b64 s[10:11], vcc, s[10:11]
	v_cmp_lt_i32_e32 vcc, 7, v2
	s_nop 1
	v_cndmask_b32_e32 v10, v10, v0, vcc
	s_andn2_b64 exec, exec, s[10:11]
	s_cbranch_execz .LBB378_4
.LBB378_69:                             ;   Parent Loop BB378_7 Depth=1
                                        ; =>  This Loop Header: Depth=2
                                        ;       Child Loop BB378_71 Depth 3
	v_cmp_gt_i32_e32 vcc, 8, v2
	s_nop 1
	v_cndmask_b32_e64 v0, -8, 0, vcc
	v_add_u32_e32 v14, v0, v2
	v_ashrrev_i32_e32 v0, 31, v12
	v_lshrrev_b32_e32 v0, 30, v0
	v_add_u32_e32 v0, v12, v0
	v_and_b32_e32 v1, 0xffffffc, v0
	v_sub_u32_e32 v1, v12, v1
	v_lshlrev_b32_e32 v1, 4, v1
	v_cmp_le_i32_e32 vcc, v1, v13
	v_lshlrev_b32_e32 v0, 5, v0
	v_and_b32_e32 v0, 0xffffff80, v0
	v_cndmask_b32_e32 v2, 0, v1, vcc
	v_ashrrev_i32_e32 v1, 31, v0
	v_mul_lo_u32 v2, v2, s22
	v_lshl_add_u64 v[0:1], v[8:9], 0, v[0:1]
	v_ashrrev_i32_e32 v3, 31, v2
	v_lshl_add_u64 v[0:1], v[0:1], 0, v[2:3]
	v_lshlrev_b32_e32 v15, 2, v14
	;;#ASMSTART
	global_load_dwordx4 v[4:7], v[0:1], off offset:0   
	global_load_dwordx4 v[0:3], v[0:1], off offset:64  
	
	;;#ASMEND
	ds_read_b32 v16, v15 offset:40960
	v_add_u32_e32 v15, 0xa000, v15
	s_waitcnt lgkmcnt(0)
	v_cmp_ne_u32_e32 vcc, v16, v10
	s_and_saveexec_b64 s[12:13], vcc
	s_cbranch_execz .LBB378_68
; %bb.70:                               ;   in Loop: Header=BB378_69 Depth=2
	s_mov_b64 s[14:15], 0
.LBB378_71:                             ;   Parent Loop BB378_7 Depth=1
                                        ;     Parent Loop BB378_69 Depth=2
                                        ; =>    This Inner Loop Header: Depth=3
	;;#ASMSTART
	s_sleep 0
	;;#ASMEND
	ds_read_b32 v16, v15
	s_waitcnt lgkmcnt(0)
	v_cmp_eq_u32_e32 vcc, v16, v10
	s_or_b64 s[14:15], vcc, s[14:15]
	s_andn2_b64 exec, exec, s[14:15]
	s_cbranch_execnz .LBB378_71
	s_branch .LBB378_68
.LBB378_72:
	s_endpgm
	.section	.rodata,"a",@progbits
	.p2align	6, 0x0
	.amdhsa_kernel _Z19_skinny_gemm_kernelILi4ELi6ELi2ELi16ELi4EEvPKhS1_P6__halfPKfiiiiiiii
		.amdhsa_group_segment_fixed_size 41040
		.amdhsa_private_segment_fixed_size 184
		.amdhsa_kernarg_size 64
		.amdhsa_user_sgpr_count 2
		.amdhsa_user_sgpr_dispatch_ptr 0
		.amdhsa_user_sgpr_queue_ptr 0
		.amdhsa_user_sgpr_kernarg_segment_ptr 1
		.amdhsa_user_sgpr_dispatch_id 0
		.amdhsa_user_sgpr_kernarg_preload_length 0
		.amdhsa_user_sgpr_kernarg_preload_offset 0
		.amdhsa_user_sgpr_private_segment_size 0
		.amdhsa_uses_dynamic_stack 0
		.amdhsa_enable_private_segment 1
		.amdhsa_system_sgpr_workgroup_id_x 1
		.amdhsa_system_sgpr_workgroup_id_y 0
		.amdhsa_system_sgpr_workgroup_id_z 0
		.amdhsa_system_sgpr_workgroup_info 0
		.amdhsa_system_vgpr_workitem_id 0
		.amdhsa_next_free_vgpr 128
		.amdhsa_next_free_sgpr 73
		.amdhsa_accum_offset 128
		.amdhsa_reserve_vcc 1
		.amdhsa_float_round_mode_32 0
		.amdhsa_float_round_mode_16_64 0
		.amdhsa_float_denorm_mode_32 3
		.amdhsa_float_denorm_mode_16_64 3
		.amdhsa_dx10_clamp 1
		.amdhsa_ieee_mode 1
		.amdhsa_fp16_overflow 0
		.amdhsa_tg_split 0
		.amdhsa_exception_fp_ieee_invalid_op 0
		.amdhsa_exception_fp_denorm_src 0
		.amdhsa_exception_fp_ieee_div_zero 0
		.amdhsa_exception_fp_ieee_overflow 0
		.amdhsa_exception_fp_ieee_underflow 0
		.amdhsa_exception_fp_ieee_inexact 0
		.amdhsa_exception_int_div_zero 0
	.end_amdhsa_kernel
	.section	.text._Z19_skinny_gemm_kernelILi4ELi6ELi2ELi16ELi4EEvPKhS1_P6__halfPKfiiiiiiii,"axG",@progbits,_Z19_skinny_gemm_kernelILi4ELi6ELi2ELi16ELi4EEvPKhS1_P6__halfPKfiiiiiiii,comdat
.Lfunc_end378:
	.size	_Z19_skinny_gemm_kernelILi4ELi6ELi2ELi16ELi4EEvPKhS1_P6__halfPKfiiiiiiii, .Lfunc_end378-_Z19_skinny_gemm_kernelILi4ELi6ELi2ELi16ELi4EEvPKhS1_P6__halfPKfiiiiiiii
                                        ; -- End function
	.set _Z19_skinny_gemm_kernelILi4ELi6ELi2ELi16ELi4EEvPKhS1_P6__halfPKfiiiiiiii.num_vgpr, 128
	.set _Z19_skinny_gemm_kernelILi4ELi6ELi2ELi16ELi4EEvPKhS1_P6__halfPKfiiiiiiii.num_agpr, 0
	.set _Z19_skinny_gemm_kernelILi4ELi6ELi2ELi16ELi4EEvPKhS1_P6__halfPKfiiiiiiii.numbered_sgpr, 73
	.set _Z19_skinny_gemm_kernelILi4ELi6ELi2ELi16ELi4EEvPKhS1_P6__halfPKfiiiiiiii.num_named_barrier, 0
	.set _Z19_skinny_gemm_kernelILi4ELi6ELi2ELi16ELi4EEvPKhS1_P6__halfPKfiiiiiiii.private_seg_size, 184
	.set _Z19_skinny_gemm_kernelILi4ELi6ELi2ELi16ELi4EEvPKhS1_P6__halfPKfiiiiiiii.uses_vcc, 1
	.set _Z19_skinny_gemm_kernelILi4ELi6ELi2ELi16ELi4EEvPKhS1_P6__halfPKfiiiiiiii.uses_flat_scratch, 0
	.set _Z19_skinny_gemm_kernelILi4ELi6ELi2ELi16ELi4EEvPKhS1_P6__halfPKfiiiiiiii.has_dyn_sized_stack, 0
	.set _Z19_skinny_gemm_kernelILi4ELi6ELi2ELi16ELi4EEvPKhS1_P6__halfPKfiiiiiiii.has_recursion, 0
	.set _Z19_skinny_gemm_kernelILi4ELi6ELi2ELi16ELi4EEvPKhS1_P6__halfPKfiiiiiiii.has_indirect_call, 0
	.section	.AMDGPU.csdata,"",@progbits
; Kernel info:
; codeLenInByte = 11716
; TotalNumSgprs: 79
; NumVgprs: 128
; NumAgprs: 0
; TotalNumVgprs: 128
; ScratchSize: 184
; MemoryBound: 0
; FloatMode: 240
; IeeeMode: 1
; LDSByteSize: 41040 bytes/workgroup (compile time only)
; SGPRBlocks: 9
; VGPRBlocks: 15
; NumSGPRsForWavesPerEU: 79
; NumVGPRsForWavesPerEU: 128
; AccumOffset: 128
; Occupancy: 4
; WaveLimiterHint : 0
; COMPUTE_PGM_RSRC2:SCRATCH_EN: 1
; COMPUTE_PGM_RSRC2:USER_SGPR: 2
; COMPUTE_PGM_RSRC2:TRAP_HANDLER: 0
; COMPUTE_PGM_RSRC2:TGID_X_EN: 1
; COMPUTE_PGM_RSRC2:TGID_Y_EN: 0
; COMPUTE_PGM_RSRC2:TGID_Z_EN: 0
; COMPUTE_PGM_RSRC2:TIDIG_COMP_CNT: 0
; COMPUTE_PGM_RSRC3_GFX90A:ACCUM_OFFSET: 31
; COMPUTE_PGM_RSRC3_GFX90A:TG_SPLIT: 0
	.section	.text._Z19_skinny_gemm_kernelILi4ELi6ELi2ELi32ELi4EEvPKhS1_P6__halfPKfiiiiiiii,"axG",@progbits,_Z19_skinny_gemm_kernelILi4ELi6ELi2ELi32ELi4EEvPKhS1_P6__halfPKfiiiiiiii,comdat
	.protected	_Z19_skinny_gemm_kernelILi4ELi6ELi2ELi32ELi4EEvPKhS1_P6__halfPKfiiiiiiii ; -- Begin function _Z19_skinny_gemm_kernelILi4ELi6ELi2ELi32ELi4EEvPKhS1_P6__halfPKfiiiiiiii
	.globl	_Z19_skinny_gemm_kernelILi4ELi6ELi2ELi32ELi4EEvPKhS1_P6__halfPKfiiiiiiii
	.p2align	8
	.type	_Z19_skinny_gemm_kernelILi4ELi6ELi2ELi32ELi4EEvPKhS1_P6__halfPKfiiiiiiii,@function
_Z19_skinny_gemm_kernelILi4ELi6ELi2ELi32ELi4EEvPKhS1_P6__halfPKfiiiiiiii: ; @_Z19_skinny_gemm_kernelILi4ELi6ELi2ELi32ELi4EEvPKhS1_P6__halfPKfiiiiiiii
; %bb.0:
	v_cmp_gt_u32_e32 vcc, 20, v0
	s_and_saveexec_b64 s[4:5], vcc
; %bb.1:
	v_lshlrev_b32_e32 v1, 2, v0
	v_mov_b32_e32 v2, 0
	ds_write_b32 v1, v2 offset:40960
; %bb.2:
	s_or_b64 exec, exec, s[4:5]
	s_load_dwordx8 s[52:59], s[0:1], 0x20
	s_waitcnt lgkmcnt(0)
	s_barrier
	s_add_i32 s3, s52, 0x7f
	s_ashr_i32 s5, s3, 31
	s_add_i32 s4, s53, 0xbf
	s_lshr_b32 s5, s5, 25
	s_mul_hi_i32 s4, s4, 0x2aaaaaab
	s_add_i32 s3, s3, s5
	s_ashr_i32 s11, s3, 7
	s_lshr_b32 s3, s4, 31
	s_ashr_i32 s4, s4, 5
	s_add_i32 s12, s4, s3
	s_mul_i32 s3, s12, s11
	s_mul_i32 s3, s3, s56
	s_add_i32 s4, s3, 0x12f
	s_mul_hi_i32 s4, s4, 0x6bca1af3
	s_lshr_b32 s5, s4, 31
	s_ashr_i32 s4, s4, 7
	s_add_i32 s4, s4, s5
	s_add_i32 s5, s2, 1
	s_mul_i32 s5, s4, s5
	v_cvt_f64_i32_e32 v[2:3], s3
	v_cvt_f64_u32_e32 v[4:5], s5
	v_min_f64 v[2:3], v[2:3], v[4:5]
	v_cvt_i32_f64_e32 v14, v[2:3]
	s_mul_i32 s33, s4, s2
	v_cmp_ge_i32_e32 vcc, s33, v14
	s_cbranch_vccnz .LBB379_58
; %bb.3:
	s_load_dwordx8 s[16:23], s[0:1], 0x0
	v_lshrrev_b32_e32 v1, 6, v0
	s_add_i32 s0, s58, s57
	v_cmp_le_i32_e64 s[14:15], s0, v1
	v_mov_b32_e32 v2, s57
	v_cmp_le_i32_e64 s[24:25], s57, v1
	v_mov_b32_e32 v3, s58
	v_cndmask_b32_e64 v3, 0, v3, s[14:15]
	v_cndmask_b32_e64 v2, 0, v2, s[24:25]
	s_abs_i32 s1, s56
	v_add_u32_e32 v2, v2, v3
	v_cvt_f32_u32_e32 v3, s1
	v_sub_u32_e32 v104, v1, v2
	s_ashr_i32 s2, s54, 31
	s_lshr_b32 s2, s2, 26
	v_rcp_iflag_f32_e32 v2, v3
	s_sub_i32 s5, 0, s1
	s_add_i32 s2, s54, s2
	s_ashr_i32 s2, s2, 6
	v_mul_f32_e32 v2, 0x4f7ffffe, v2
	v_cvt_u32_f32_e32 v2, v2
	s_abs_i32 s4, s2
	s_xor_b32 s3, s2, s56
	s_ashr_i32 s3, s3, 31
	v_readfirstlane_b32 s6, v2
	s_mul_i32 s5, s5, s6
	s_mul_hi_u32 s5, s6, s5
	s_add_i32 s6, s6, s5
	s_mul_hi_u32 s5, s4, s6
	s_mul_i32 s6, s5, s1
	s_sub_i32 s4, s4, s6
	s_add_i32 s6, s5, 1
	s_sub_i32 s7, s4, s1
	s_cmp_ge_u32 s4, s1
	s_cselect_b32 s5, s6, s5
	s_cselect_b32 s4, s7, s4
	s_add_i32 s6, s5, 1
	s_cmp_ge_u32 s4, s1
	s_cselect_b32 s1, s6, s5
	s_add_i32 s0, s0, s59
	v_and_b32_e32 v100, 31, v0
	v_lshrrev_b32_e32 v2, 3, v0
	v_cmp_gt_i32_e64 s[28:29], s0, v1
	v_lshlrev_b32_e32 v1, 2, v100
	v_and_b32_e32 v3, 4, v2
	v_lshlrev_b32_e32 v2, 6, v3
	v_or_b32_e32 v4, 0x6000, v1
	v_and_b32_e32 v5, 1, v0
	v_or_b32_e32 v116, v4, v2
	v_or_b32_e32 v117, v1, v2
	v_lshlrev_b32_e32 v2, 1, v5
	v_sub_u32_e32 v2, v0, v2
	v_add_u32_e32 v2, 1, v2
	v_and_b32_e32 v6, 63, v2
	v_bitop3_b32 v2, v0, 1, v0 bitop3:0xc
	scratch_store_dword off, v2, off offset:48 ; 4-byte Folded Spill
	v_bitop3_b32 v2, v0, 3, 1 bitop3:0x6c
	scratch_store_dword off, v2, off offset:52 ; 4-byte Folded Spill
	v_bitop3_b32 v2, v0, 5, 1 bitop3:0x6c
	scratch_store_dword off, v2, off offset:56 ; 4-byte Folded Spill
	v_bitop3_b32 v2, v0, 7, 1 bitop3:0x6c
	scratch_store_dword off, v2, off offset:60 ; 4-byte Folded Spill
	v_bitop3_b32 v2, v0, 9, 1 bitop3:0x6c
	scratch_store_dword off, v2, off offset:64 ; 4-byte Folded Spill
	v_bitop3_b32 v2, v0, 11, 1 bitop3:0x6c
	v_lshrrev_b32_e32 v7, 1, v0
	s_abs_i32 s30, s11
                                        ; implicit-def: $vgpr126 : SGPR spill to VGPR lane
	scratch_store_dword off, v2, off offset:68 ; 4-byte Folded Spill
	v_bitop3_b32 v2, v0, 13, 1 bitop3:0x6c
	v_and_b32_e32 v16, 16, v7
	v_cvt_f32_u32_e32 v7, s30
	v_writelane_b32 v126, s11, 0
	scratch_store_dword off, v2, off offset:72 ; 4-byte Folded Spill
	v_bitop3_b32 v2, v0, 15, 1 bitop3:0x6c
	v_writelane_b32 v126, s12, 1
	scratch_store_dword off, v2, off offset:76 ; 4-byte Folded Spill
	v_and_b32_e32 v2, 30, v0
	v_lshlrev_b32_e32 v0, 4, v0
	s_waitcnt lgkmcnt(0)
	v_writelane_b32 v126, s16, 2
	v_and_b32_e32 v0, 0x200, v0
	v_or_b32_e32 v15, v1, v0
	v_writelane_b32 v126, s17, 3
	v_rcp_iflag_f32_e32 v1, v7
	v_writelane_b32 v126, s18, 4
	v_writelane_b32 v126, s19, 5
	;; [unrolled: 1-line block ×3, first 2 shown]
	s_abs_i32 s34, s12
	v_writelane_b32 v126, s21, 7
	v_or_b32_e32 v124, v4, v0
	v_mul_f32_e32 v0, 0x4f7ffffe, v1
	v_cvt_f32_u32_e32 v1, s34
	v_writelane_b32 v126, s22, 8
	v_writelane_b32 v126, s23, 9
	v_cndmask_b32_e64 v111, 0, 1, s[14:15]
	v_writelane_b32 v126, s14, 10
	s_xor_b32 s1, s1, s3
	v_cvt_u32_f32_e32 v0, v0
	v_writelane_b32 v126, s15, 11
	v_rcp_iflag_f32_e32 v1, v1
	v_writelane_b32 v126, s24, 12
	s_sub_i32 s13, s1, s3
	s_add_i32 s26, s56, -1
	v_writelane_b32 v126, s25, 13
	s_mul_i32 s1, s13, s26
	v_writelane_b32 v126, s13, 14
	s_sub_i32 s27, s2, s1
	v_writelane_b32 v126, s26, 15
	v_readfirstlane_b32 s1, v0
	v_mul_f32_e32 v0, 0x4f7ffffe, v1
	v_writelane_b32 v126, s27, 16
	v_cvt_u32_f32_e32 v0, v0
	v_writelane_b32 v126, s28, 17
	s_sub_i32 s0, 0, s30
	s_lshl_b32 s31, s55, 5
	v_writelane_b32 v126, s29, 18
	s_mul_i32 s0, s0, s1
	v_writelane_b32 v126, s30, 19
	s_mul_hi_u32 s0, s1, s0
	v_writelane_b32 v126, s31, 20
	s_ashr_i32 s35, s11, 31
	s_add_i32 s36, s1, s0
	s_sub_i32 s0, 0, s34
	v_readfirstlane_b32 s1, v0
	v_writelane_b32 v126, s34, 21
	s_mul_i32 s0, s0, s1
	v_writelane_b32 v126, s35, 22
	s_ashr_i32 s37, s12, 31
	s_mul_hi_u32 s0, s1, s0
	v_writelane_b32 v126, s36, 23
	s_add_i32 s38, s1, s0
	v_writelane_b32 v126, s37, 24
	v_writelane_b32 v126, s38, 25
	v_mul_lo_u32 v8, s55, v100
	v_writelane_b32 v126, s52, 26
	v_mbcnt_lo_u32_b32 v0, -1, 0
	v_mbcnt_hi_u32_b32 v0, -1, v0
	v_writelane_b32 v126, s53, 27
	v_writelane_b32 v126, s54, 28
	;; [unrolled: 1-line block ×5, first 2 shown]
	v_mov_b32_e32 v119, 0
	v_and_or_b32 v0, v0, 64, v6
	v_writelane_b32 v126, s58, 32
	v_ashrrev_i32_e32 v9, 31, v8
	v_mov_b32_e32 v17, v119
	v_lshlrev_b32_e32 v118, 1, v2
	v_lshlrev_b32_e32 v120, 2, v0
	v_mov_b32_e32 v101, v104
	v_writelane_b32 v126, s59, 33
	scratch_store_dwordx2 off, v[8:9], off offset:88 ; 8-byte Folded Spill
	v_or_b32_e32 v121, v5, v3
	scratch_store_dword off, v14, off offset:32 ; 4-byte Folded Spill
	scratch_store_dword off, v100, off offset:36 ; 4-byte Folded Spill
	;; [unrolled: 1-line block ×4, first 2 shown]
	scratch_store_dwordx2 off, v[16:17], off offset:80 ; 8-byte Folded Spill
	scratch_store_dword off, v15, off offset:96 ; 4-byte Folded Spill
	scratch_store_dword off, v121, off offset:100 ; 4-byte Folded Spill
	s_branch .LBB379_7
.LBB379_4:                              ;   in Loop: Header=BB379_7 Depth=1
	s_or_b64 exec, exec, s[4:5]
.LBB379_5:                              ;   in Loop: Header=BB379_7 Depth=1
	s_or_b64 exec, exec, s[2:3]
	v_subrev_u32_e32 v101, s10, v101
.LBB379_6:                              ;   in Loop: Header=BB379_7 Depth=1
	s_or_b64 exec, exec, s[0:1]
	s_add_i32 s33, s33, 1
	s_waitcnt vmcnt(3)
	v_cmp_ge_i32_e32 vcc, s33, v14
	s_cbranch_vccnz .LBB379_58
.LBB379_7:                              ; =>This Loop Header: Depth=1
                                        ;     Child Loop BB379_13 Depth 2
                                        ;       Child Loop BB379_15 Depth 3
                                        ;       Child Loop BB379_18 Depth 3
	;; [unrolled: 1-line block ×7, first 2 shown]
                                        ;     Child Loop BB379_37 Depth 2
                                        ;     Child Loop BB379_45 Depth 2
                                        ;       Child Loop BB379_47 Depth 3
                                        ;     Child Loop BB379_55 Depth 2
                                        ;       Child Loop BB379_57 Depth 3
	s_abs_i32 s1, s33
	s_mul_hi_u32 s2, s1, s36
	s_mul_i32 s3, s2, s30
	s_ashr_i32 s0, s33, 31
	s_sub_i32 s1, s1, s3
	s_xor_b32 s0, s0, s35
	s_add_i32 s3, s2, 1
	s_sub_i32 s4, s1, s30
	s_cmp_ge_u32 s1, s30
	s_cselect_b32 s2, s3, s2
	s_cselect_b32 s1, s4, s1
	s_add_i32 s3, s2, 1
	s_cmp_ge_u32 s1, s30
	s_cselect_b32 s1, s3, s2
	s_xor_b32 s1, s1, s0
	s_sub_i32 s0, s1, s0
	s_abs_i32 s2, s0
	s_mul_i32 s1, s0, s11
	s_mul_hi_u32 s3, s2, s38
	s_sub_i32 s1, s33, s1
	s_mul_i32 s4, s3, s34
	s_lshl_b32 s39, s1, 7
	s_ashr_i32 s1, s0, 31
	s_sub_i32 s2, s2, s4
	s_xor_b32 s1, s1, s37
	s_add_i32 s4, s3, 1
	s_sub_i32 s5, s2, s34
	s_cmp_ge_u32 s2, s34
	s_cselect_b32 s3, s4, s3
	s_cselect_b32 s2, s5, s2
	s_add_i32 s4, s3, 1
	s_cmp_ge_u32 s2, s34
	s_cselect_b32 s2, s4, s3
	s_xor_b32 s2, s2, s1
	s_sub_i32 s1, s2, s1
	s_mul_i32 s2, s1, s13
	s_lshl_b32 s40, s2, 6
	s_cmp_eq_u32 s1, s26
	s_cselect_b32 s41, s27, s13
	s_sub_i32 s2, s39, s52
	s_addk_i32 s2, 0x80
	s_max_i32 s92, s2, 0
	s_and_saveexec_b64 s[2:3], s[24:25]
	s_xor_b64 s[42:43], exec, s[2:3]
	s_cbranch_execz .LBB379_51
; %bb.8:                                ;   in Loop: Header=BB379_7 Depth=1
	s_mul_i32 s1, s1, s12
	s_sub_i32 s0, s0, s1
	s_mulk_i32 s0, 0xc0
	s_sub_i32 s8, s0, s53
	s_addk_i32 s8, 0xc0
	s_max_i32 s1, s8, 0
	s_sub_i32 s44, s0, s1
	s_and_saveexec_b64 s[0:1], s[14:15]
	s_xor_b64 s[46:47], exec, s[0:1]
	s_cbranch_execz .LBB379_41
; %bb.9:                                ;   in Loop: Header=BB379_7 Depth=1
	s_and_saveexec_b64 s[48:49], s[28:29]
	s_cbranch_execz .LBB379_40
; %bb.10:                               ;   in Loop: Header=BB379_7 Depth=1
	global_load_dword v96, v119, s[22:23]
	v_mov_b32_e32 v95, 0
	v_cmp_gt_i32_e32 vcc, s41, v101
	v_mov_b32_e32 v94, v95
	v_mov_b32_e32 v93, v95
	;; [unrolled: 1-line block ×77, first 2 shown]
	s_waitcnt vmcnt(2)
	v_mov_b32_e32 v17, v95
	v_mov_b32_e32 v16, v95
	s_waitcnt vmcnt(1)
	v_mov_b32_e32 v15, v95
	v_mov_b32_e32 v14, v95
	;; [unrolled: 1-line block ×16, first 2 shown]
	s_and_saveexec_b64 s[0:1], vcc
	s_cbranch_execz .LBB379_35
; %bb.11:                               ;   in Loop: Header=BB379_7 Depth=1
	v_mov_b32_e32 v0, 0
	s_mov_b64 s[2:3], 0
	v_mov_b32_e32 v1, v0
	v_mov_b32_e32 v2, v0
	;; [unrolled: 1-line block ×95, first 2 shown]
	s_branch .LBB379_13
.LBB379_12:                             ;   in Loop: Header=BB379_13 Depth=2
	s_or_b64 exec, exec, s[4:5]
	v_add_u32_e32 v114, 0x2800, v110
	ds_read2_b32 v[112:113], v114 offset1:32
	v_add_u32_e32 v101, s59, v101
	s_waitcnt lgkmcnt(0)
	v_mfma_f32_32x32x16_fp8_fp8 v[0:15], v[108:109], v[112:113], v[0:15]
	ds_read2_b32 v[108:109], v114 offset0:128 offset1:160
	s_waitcnt lgkmcnt(0)
	v_mfma_f32_32x32x16_fp8_fp8 v[0:15], v[106:107], v[108:109], v[0:15]
	v_add_u32_e32 v108, 0x2c00, v110
	ds_read2_b32 v[106:107], v108 offset1:32
	ds_read2_b32 v[108:109], v108 offset0:128 offset1:160
	ds_write_b32 v98, v99 offset:41004
	s_waitcnt lgkmcnt(2)
	v_mfma_f32_32x32x16_fp8_fp8 v[0:15], v[104:105], v[106:107], v[0:15]
	v_add_u32_e32 v104, s59, v97
	v_add_u32_e32 v97, 2, v111
	v_cmp_lt_i32_e32 vcc, 1, v104
	s_nop 1
	v_cndmask_b32_e32 v111, v111, v97, vcc
	v_cmp_le_i32_e32 vcc, s41, v101
	s_waitcnt lgkmcnt(1)
	v_mfma_f32_32x32x16_fp8_fp8 v[0:15], v[102:103], v[108:109], v[0:15]
	s_or_b64 s[2:3], vcc, s[2:3]
	s_andn2_b64 exec, exec, s[2:3]
	s_cbranch_execz .LBB379_34
.LBB379_13:                             ;   Parent Loop BB379_7 Depth=1
                                        ; =>  This Loop Header: Depth=2
                                        ;       Child Loop BB379_15 Depth 3
                                        ;       Child Loop BB379_18 Depth 3
	;; [unrolled: 1-line block ×7, first 2 shown]
	v_cmp_gt_i32_e32 vcc, 2, v104
	s_nop 1
	v_cndmask_b32_e64 v97, -2, 0, vcc
	v_add_u32_e32 v97, v97, v104
	v_mul_lo_u32 v98, v97, 48
	ds_read_b32 v99, v98 offset:40960
	s_waitcnt lgkmcnt(0)
	v_cmp_ne_u32_e32 vcc, v99, v111
	s_and_saveexec_b64 s[4:5], vcc
	s_cbranch_execz .LBB379_16
; %bb.14:                               ;   in Loop: Header=BB379_13 Depth=2
	s_mov_b64 s[6:7], 0
.LBB379_15:                             ;   Parent Loop BB379_7 Depth=1
                                        ;     Parent Loop BB379_13 Depth=2
                                        ; =>    This Inner Loop Header: Depth=3
	;;#ASMSTART
	s_sleep 0
	;;#ASMEND
	ds_read_b32 v99, v98 offset:40960
	s_waitcnt lgkmcnt(0)
	v_cmp_eq_u32_e32 vcc, v99, v111
	s_or_b64 s[6:7], vcc, s[6:7]
	s_andn2_b64 exec, exec, s[6:7]
	s_cbranch_execnz .LBB379_15
.LBB379_16:                             ;   in Loop: Header=BB379_13 Depth=2
	s_or_b64 exec, exec, s[4:5]
	v_lshl_add_u32 v99, v97, 11, v116
	ds_read2_b32 v[108:109], v99 offset1:32
	ds_read2_b32 v[106:107], v99 offset0:128 offset1:160
	v_add_u32_e32 v99, 0x400, v99
	ds_read2_b32 v[104:105], v99 offset1:32
	ds_read_b32 v110, v98 offset:40964
	ds_read2_b32 v[102:103], v99 offset0:128 offset1:160
	v_add_u32_e32 v99, 1, v111
	ds_write_b32 v98, v99 offset:40960
	s_waitcnt lgkmcnt(2)
	v_cmp_ne_u32_e32 vcc, v110, v111
	s_and_saveexec_b64 s[4:5], vcc
	s_cbranch_execz .LBB379_19
; %bb.17:                               ;   in Loop: Header=BB379_13 Depth=2
	s_mov_b64 s[6:7], 0
.LBB379_18:                             ;   Parent Loop BB379_7 Depth=1
                                        ;     Parent Loop BB379_13 Depth=2
                                        ; =>    This Inner Loop Header: Depth=3
	;;#ASMSTART
	s_sleep 0
	;;#ASMEND
	ds_read_b32 v110, v98 offset:40964
	s_waitcnt lgkmcnt(0)
	v_cmp_eq_u32_e32 vcc, v110, v111
	s_or_b64 s[6:7], vcc, s[6:7]
	s_andn2_b64 exec, exec, s[6:7]
	s_cbranch_execnz .LBB379_18
.LBB379_19:                             ;   in Loop: Header=BB379_13 Depth=2
	s_or_b64 exec, exec, s[4:5]
	s_movk_i32 s4, 0x3000
	v_mul_lo_u32 v110, v97, s4
	v_or_b32_e32 v114, v117, v110
	ds_read2_b32 v[112:113], v114 offset1:32
	ds_write_b32 v98, v99 offset:40964
	s_waitcnt lgkmcnt(1)
	v_mfma_f32_32x32x16_fp8_fp8 v[80:95], v[108:109], v[112:113], v[80:95]
	ds_read2_b32 v[112:113], v114 offset0:128 offset1:160
	v_add_u32_e32 v114, 0x400, v114
	s_waitcnt lgkmcnt(0)
	v_mfma_f32_32x32x16_fp8_fp8 v[80:95], v[106:107], v[112:113], v[80:95]
	ds_read2_b32 v[112:113], v114 offset1:32
	s_waitcnt lgkmcnt(0)
	v_mfma_f32_32x32x16_fp8_fp8 v[80:95], v[104:105], v[112:113], v[80:95]
	ds_read2_b32 v[112:113], v114 offset0:128 offset1:160
	ds_read_b32 v114, v98 offset:40972
	s_waitcnt lgkmcnt(0)
	v_cmp_ne_u32_e32 vcc, v114, v111
	v_mfma_f32_32x32x16_fp8_fp8 v[80:95], v[102:103], v[112:113], v[80:95]
	s_and_saveexec_b64 s[4:5], vcc
	s_cbranch_execz .LBB379_22
; %bb.20:                               ;   in Loop: Header=BB379_13 Depth=2
	s_mov_b64 s[6:7], 0
.LBB379_21:                             ;   Parent Loop BB379_7 Depth=1
                                        ;     Parent Loop BB379_13 Depth=2
                                        ; =>    This Inner Loop Header: Depth=3
	;;#ASMSTART
	s_sleep 0
	;;#ASMEND
	ds_read_b32 v112, v98 offset:40972
	s_waitcnt lgkmcnt(0)
	v_cmp_eq_u32_e32 vcc, v112, v111
	s_or_b64 s[6:7], vcc, s[6:7]
	s_andn2_b64 exec, exec, s[6:7]
	s_cbranch_execnz .LBB379_21
.LBB379_22:                             ;   in Loop: Header=BB379_13 Depth=2
	s_or_b64 exec, exec, s[4:5]
	v_add_u32_e32 v110, v117, v110
	v_add_u32_e32 v114, 0x800, v110
	ds_read2_b32 v[112:113], v114 offset1:32
	ds_write_b32 v98, v99 offset:40972
	s_waitcnt lgkmcnt(1)
	v_mfma_f32_32x32x16_fp8_fp8 v[64:79], v[108:109], v[112:113], v[64:79]
	ds_read2_b32 v[112:113], v114 offset0:128 offset1:160
	v_add_u32_e32 v114, 0xc00, v110
	s_waitcnt lgkmcnt(0)
	v_mfma_f32_32x32x16_fp8_fp8 v[64:79], v[106:107], v[112:113], v[64:79]
	ds_read2_b32 v[112:113], v114 offset1:32
	s_waitcnt lgkmcnt(0)
	v_mfma_f32_32x32x16_fp8_fp8 v[64:79], v[104:105], v[112:113], v[64:79]
	ds_read2_b32 v[112:113], v114 offset0:128 offset1:160
	ds_read_b32 v114, v98 offset:40980
	s_waitcnt lgkmcnt(0)
	v_cmp_ne_u32_e32 vcc, v114, v111
	v_mfma_f32_32x32x16_fp8_fp8 v[64:79], v[102:103], v[112:113], v[64:79]
	s_and_saveexec_b64 s[4:5], vcc
	s_cbranch_execz .LBB379_25
; %bb.23:                               ;   in Loop: Header=BB379_13 Depth=2
	s_mov_b64 s[6:7], 0
.LBB379_24:                             ;   Parent Loop BB379_7 Depth=1
                                        ;     Parent Loop BB379_13 Depth=2
                                        ; =>    This Inner Loop Header: Depth=3
	;;#ASMSTART
	s_sleep 0
	;;#ASMEND
	ds_read_b32 v112, v98 offset:40980
	s_waitcnt lgkmcnt(0)
	v_cmp_eq_u32_e32 vcc, v112, v111
	s_or_b64 s[6:7], vcc, s[6:7]
	s_andn2_b64 exec, exec, s[6:7]
	s_cbranch_execnz .LBB379_24
.LBB379_25:                             ;   in Loop: Header=BB379_13 Depth=2
	s_or_b64 exec, exec, s[4:5]
	v_add_u32_e32 v114, 0x1000, v110
	ds_read2_b32 v[112:113], v114 offset1:32
	s_waitcnt lgkmcnt(0)
	v_mfma_f32_32x32x16_fp8_fp8 v[48:63], v[108:109], v[112:113], v[48:63]
	ds_read2_b32 v[112:113], v114 offset0:128 offset1:160
	v_add_u32_e32 v114, 0x1400, v110
	s_waitcnt lgkmcnt(0)
	v_mfma_f32_32x32x16_fp8_fp8 v[48:63], v[106:107], v[112:113], v[48:63]
	ds_read2_b32 v[112:113], v114 offset1:32
	s_waitcnt lgkmcnt(0)
	v_mfma_f32_32x32x16_fp8_fp8 v[48:63], v[104:105], v[112:113], v[48:63]
	ds_read_b32 v115, v98 offset:40988
	ds_read2_b32 v[112:113], v114 offset0:128 offset1:160
	ds_write_b32 v98, v99 offset:40980
	s_waitcnt lgkmcnt(2)
	v_cmp_ne_u32_e32 vcc, v115, v111
	s_waitcnt lgkmcnt(1)
	v_mfma_f32_32x32x16_fp8_fp8 v[48:63], v[102:103], v[112:113], v[48:63]
	s_and_saveexec_b64 s[4:5], vcc
	s_cbranch_execz .LBB379_28
; %bb.26:                               ;   in Loop: Header=BB379_13 Depth=2
	s_mov_b64 s[6:7], 0
.LBB379_27:                             ;   Parent Loop BB379_7 Depth=1
                                        ;     Parent Loop BB379_13 Depth=2
                                        ; =>    This Inner Loop Header: Depth=3
	;;#ASMSTART
	s_sleep 0
	;;#ASMEND
	ds_read_b32 v112, v98 offset:40988
	s_waitcnt lgkmcnt(0)
	v_cmp_eq_u32_e32 vcc, v112, v111
	s_or_b64 s[6:7], vcc, s[6:7]
	s_andn2_b64 exec, exec, s[6:7]
	s_cbranch_execnz .LBB379_27
.LBB379_28:                             ;   in Loop: Header=BB379_13 Depth=2
	s_or_b64 exec, exec, s[4:5]
	v_add_u32_e32 v114, 0x1800, v110
	ds_read2_b32 v[112:113], v114 offset1:32
	s_waitcnt lgkmcnt(0)
	v_mfma_f32_32x32x16_fp8_fp8 v[32:47], v[108:109], v[112:113], v[32:47]
	ds_read2_b32 v[112:113], v114 offset0:128 offset1:160
	v_add_u32_e32 v114, 0x1c00, v110
	s_waitcnt lgkmcnt(0)
	v_mfma_f32_32x32x16_fp8_fp8 v[32:47], v[106:107], v[112:113], v[32:47]
	ds_read2_b32 v[112:113], v114 offset1:32
	s_waitcnt lgkmcnt(0)
	v_mfma_f32_32x32x16_fp8_fp8 v[32:47], v[104:105], v[112:113], v[32:47]
	ds_read_b32 v115, v98 offset:40996
	ds_read2_b32 v[112:113], v114 offset0:128 offset1:160
	ds_write_b32 v98, v99 offset:40988
	s_waitcnt lgkmcnt(2)
	v_cmp_ne_u32_e32 vcc, v115, v111
	s_waitcnt lgkmcnt(1)
	;; [unrolled: 36-line block ×3, first 2 shown]
	v_mfma_f32_32x32x16_fp8_fp8 v[16:31], v[102:103], v[112:113], v[16:31]
	s_and_saveexec_b64 s[4:5], vcc
	s_cbranch_execz .LBB379_12
; %bb.32:                               ;   in Loop: Header=BB379_13 Depth=2
	s_mov_b64 s[6:7], 0
.LBB379_33:                             ;   Parent Loop BB379_7 Depth=1
                                        ;     Parent Loop BB379_13 Depth=2
                                        ; =>    This Inner Loop Header: Depth=3
	;;#ASMSTART
	s_sleep 0
	;;#ASMEND
	ds_read_b32 v112, v98 offset:41004
	s_waitcnt lgkmcnt(0)
	v_cmp_eq_u32_e32 vcc, v112, v111
	s_or_b64 s[6:7], vcc, s[6:7]
	s_andn2_b64 exec, exec, s[6:7]
	s_cbranch_execnz .LBB379_33
	s_branch .LBB379_12
.LBB379_34:                             ;   in Loop: Header=BB379_7 Depth=1
	s_or_b64 exec, exec, s[2:3]
.LBB379_35:                             ;   in Loop: Header=BB379_7 Depth=1
	v_writelane_b32 v126, s48, 34
	s_nop 1
	v_writelane_b32 v126, s49, 35
	v_writelane_b32 v126, s46, 36
	s_nop 1
	v_writelane_b32 v126, s47, 37
	;; [unrolled: 3-line block ×4, first 2 shown]
	v_writelane_b32 v126, s41, 42
	v_writelane_b32 v126, s40, 43
	;; [unrolled: 1-line block ×3, first 2 shown]
	s_or_b64 exec, exec, s[0:1]
	v_cmp_le_i32_e32 vcc, s8, v100
	v_or_b32_e32 v97, 32, v100
	scratch_store_dwordx2 off, v[118:119], off ; 8-byte Folded Spill
	s_waitcnt vmcnt(1)
	v_cndmask_b32_e32 v98, 0, v96, vcc
	v_cmp_le_i32_e32 vcc, s8, v97
	v_or_b32_e32 v97, 64, v100
	v_pk_mul_f32 v[112:113], v[98:99], v[94:95] op_sel_hi:[0,1]
	v_pk_mul_f32 v[92:93], v[98:99], v[92:93] op_sel_hi:[0,1]
	;; [unrolled: 1-line block ×8, first 2 shown]
	v_cndmask_b32_e32 v98, 0, v96, vcc
	v_cmp_le_i32_e32 vcc, s8, v97
	v_or_b32_e32 v97, 0x60, v100
	v_pk_mul_f32 v[102:103], v[98:99], v[66:67] op_sel_hi:[0,1]
	v_cndmask_b32_e32 v66, 0, v96, vcc
	v_cmp_le_i32_e32 vcc, s8, v97
	v_or_b32_e32 v97, 0x80, v100
	v_pk_mul_f32 v[116:117], v[66:67], v[48:49] op_sel_hi:[0,1]
	v_cndmask_b32_e32 v48, 0, v96, vcc
	v_cmp_le_i32_e32 vcc, s8, v97
	v_or_b32_e32 v97, 0xa0, v100
	scratch_load_dword v100, off, off offset:48 ; 4-byte Folded Reload
	scratch_load_dword v118, off, off offset:56 ; 4-byte Folded Reload
	v_pk_mul_f32 v[46:47], v[48:49], v[46:47] op_sel_hi:[0,1]
	v_pk_mul_f32 v[44:45], v[48:49], v[44:45] op_sel_hi:[0,1]
	;; [unrolled: 1-line block ×8, first 2 shown]
	v_cndmask_b32_e32 v48, 0, v96, vcc
	v_cmp_le_i32_e32 vcc, s8, v97
	v_pk_mul_f32 v[30:31], v[48:49], v[30:31] op_sel_hi:[0,1]
	v_pk_mul_f32 v[28:29], v[48:49], v[28:29] op_sel_hi:[0,1]
	;; [unrolled: 1-line block ×8, first 2 shown]
	v_cndmask_b32_e32 v48, 0, v96, vcc
	v_pk_mul_f32 v[14:15], v[48:49], v[14:15] op_sel_hi:[0,1]
	v_pk_mul_f32 v[12:13], v[48:49], v[12:13] op_sel_hi:[0,1]
	;; [unrolled: 1-line block ×22, first 2 shown]
                                        ; implicit-def: $vgpr127 : SGPR spill to VGPR lane
	s_waitcnt vmcnt(1)
	v_cmp_eq_u32_e64 s[6:7], 1, v100
	s_nop 1
	v_cndmask_b32_e64 v48, v80, v81, s[6:7]
	v_cmp_eq_u32_e64 s[40:41], 2, v100
	v_cmp_eq_u32_e64 s[42:43], 3, v100
	v_cmp_eq_u32_e32 vcc, 4, v100
	v_cndmask_b32_e64 v48, v48, v82, s[40:41]
	v_cndmask_b32_e64 v48, v48, v83, s[42:43]
	v_cndmask_b32_e32 v48, v48, v84, vcc
	v_cmp_eq_u32_e64 s[0:1], 5, v100
	v_cmp_eq_u32_e64 s[2:3], 6, v100
	v_cmp_eq_u32_e64 s[30:31], 7, v100
	v_cndmask_b32_e64 v48, v48, v85, s[0:1]
	v_cndmask_b32_e64 v48, v48, v86, s[2:3]
	v_cndmask_b32_e64 v48, v48, v87, s[30:31]
	v_cmp_eq_u32_e64 s[26:27], 8, v100
	v_cmp_eq_u32_e64 s[24:25], 9, v100
	v_cmp_eq_u32_e64 s[22:23], 10, v100
	v_cndmask_b32_e64 v48, v48, v88, s[26:27]
	v_cndmask_b32_e64 v48, v48, v89, s[24:25]
	v_cndmask_b32_e64 v48, v48, v90, s[22:23]
	;; [unrolled: 6-line block ×3, first 2 shown]
	v_cmp_eq_u32_e64 s[12:13], 14, v100
	v_cmp_eq_u32_e64 s[10:11], 15, v100
	;; [unrolled: 1-line block ×3, first 2 shown]
	v_cndmask_b32_e64 v48, v48, v112, s[12:13]
	v_cndmask_b32_e64 v48, v48, v113, s[10:11]
	ds_bpermute_b32 v48, v120, v48
	s_waitcnt vmcnt(0)
	v_cmp_eq_u32_e64 s[44:45], 1, v118
	v_cmp_eq_u32_e64 s[8:9], 3, v118
	s_waitcnt lgkmcnt(0)
	v_cndmask_b32_e64 v75, v87, v48, s[30:31]
	scratch_load_dword v87, off, off offset:52 ; 4-byte Folded Reload
	v_cndmask_b32_e64 v81, v81, v48, s[6:7]
	v_cndmask_b32_e64 v80, v80, v48, s[46:47]
	;; [unrolled: 1-line block ×12, first 2 shown]
	v_cndmask_b32_e32 v84, v84, v48, vcc
	v_cndmask_b32_e64 v83, v83, v48, s[42:43]
	v_cndmask_b32_e64 v82, v82, v48, s[40:41]
	s_waitcnt vmcnt(0)
	v_cmp_eq_u32_e64 s[4:5], 1, v87
	s_nop 1
	v_cndmask_b32_e64 v48, v80, v81, s[4:5]
	v_cmp_eq_u32_e64 s[28:29], 2, v87
	v_cmp_eq_u32_e64 s[34:35], 3, v87
	v_cmp_eq_u32_e64 s[36:37], 4, v87
	v_cndmask_b32_e64 v48, v48, v82, s[28:29]
	v_cndmask_b32_e64 v48, v48, v83, s[34:35]
	v_cndmask_b32_e64 v48, v48, v84, s[36:37]
	v_cmp_eq_u32_e64 s[38:39], 5, v87
	v_cmp_eq_u32_e64 s[48:49], 6, v87
	v_cmp_eq_u32_e64 s[52:53], 7, v87
	v_cndmask_b32_e64 v48, v48, v85, s[38:39]
	v_cndmask_b32_e64 v48, v48, v77, s[48:49]
	;; [unrolled: 6-line block ×5, first 2 shown]
	ds_bpermute_b32 v86, v120, v48
	s_waitcnt lgkmcnt(0)
	v_cndmask_b32_e64 v121, v50, v86, s[80:81]
	v_cndmask_b32_e64 v50, v94, v95, s[6:7]
	;; [unrolled: 1-line block ×4, first 2 shown]
	v_cndmask_b32_e32 v50, v50, v114, vcc
	v_cndmask_b32_e64 v50, v50, v115, s[0:1]
	v_cndmask_b32_e64 v50, v50, v70, s[2:3]
	;; [unrolled: 1-line block ×13, first 2 shown]
	ds_bpermute_b32 v82, v120, v50
	v_cndmask_b32_e64 v76, v74, v86, s[56:57]
	v_cndmask_b32_e64 v74, v75, v86, s[52:53]
	;; [unrolled: 1-line block ×4, first 2 shown]
	s_waitcnt lgkmcnt(0)
	v_cndmask_b32_e64 v112, v70, v82, s[2:3]
	v_cndmask_b32_e64 v70, v116, v117, s[6:7]
	;; [unrolled: 1-line block ×4, first 2 shown]
	v_cndmask_b32_e32 v70, v70, v52, vcc
	v_cndmask_b32_e64 v70, v70, v53, s[0:1]
	v_cndmask_b32_e64 v70, v70, v54, s[2:3]
	;; [unrolled: 1-line block ×11, first 2 shown]
	ds_bpermute_b32 v70, v120, v70
	v_cndmask_b32_e64 v77, v107, v82, s[14:15]
	v_cndmask_b32_e64 v107, v108, v82, s[22:23]
	;; [unrolled: 1-line block ×4, first 2 shown]
	s_waitcnt lgkmcnt(0)
	v_cndmask_b32_e32 v96, v52, v70, vcc
	v_cndmask_b32_e64 v52, v32, v33, s[6:7]
	v_cndmask_b32_e64 v52, v52, v34, s[40:41]
	;; [unrolled: 1-line block ×3, first 2 shown]
	v_cndmask_b32_e32 v52, v52, v36, vcc
	v_cndmask_b32_e64 v52, v52, v37, s[0:1]
	v_cndmask_b32_e64 v52, v52, v38, s[2:3]
	;; [unrolled: 1-line block ×12, first 2 shown]
	ds_bpermute_b32 v59, v120, v52
	v_cndmask_b32_e64 v125, v67, v86, s[68:69]
	v_cndmask_b32_e64 v66, v68, v86, s[64:65]
	v_cndmask_b32_e64 v67, v69, v86, s[60:61]
	v_cndmask_b32_e64 v68, v85, v86, s[38:39]
	s_waitcnt lgkmcnt(0)
	v_cndmask_b32_e64 v73, v33, v59, s[6:7]
	scratch_load_dword v33, off, off offset:60 ; 4-byte Folded Reload
	v_cndmask_b32_e64 v69, v84, v86, s[36:37]
	v_cndmask_b32_e64 v48, v83, v86, s[34:35]
	;; [unrolled: 1-line block ×11, first 2 shown]
	v_cndmask_b32_e32 v114, v114, v82, vcc
	v_cndmask_b32_e64 v85, v103, v82, s[42:43]
	v_cndmask_b32_e64 v86, v102, v82, s[40:41]
	;; [unrolled: 1-line block ×8, first 2 shown]
	v_cndmask_b32_e32 v35, v35, v20, vcc
	v_cndmask_b32_e64 v35, v35, v21, s[0:1]
	v_cndmask_b32_e64 v35, v35, v22, s[2:3]
	;; [unrolled: 1-line block ×11, first 2 shown]
	ds_bpermute_b32 v35, v120, v35
	v_cndmask_b32_e64 v102, v117, v70, s[6:7]
	v_cndmask_b32_e64 v72, v32, v59, s[46:47]
	;; [unrolled: 1-line block ×4, first 2 shown]
	s_waitcnt lgkmcnt(0)
	v_cndmask_b32_e64 v80, v16, v35, s[46:47]
	v_cndmask_b32_e64 v16, v0, v1, s[6:7]
	;; [unrolled: 1-line block ×4, first 2 shown]
	v_cndmask_b32_e32 v16, v16, v4, vcc
	v_cndmask_b32_e64 v16, v16, v5, s[0:1]
	v_cndmask_b32_e64 v16, v16, v6, s[2:3]
	;; [unrolled: 1-line block ×11, first 2 shown]
	ds_bpermute_b32 v16, v120, v16
	v_cndmask_b32_e64 v17, v17, v35, s[6:7]
	v_cmp_eq_u32_e64 s[6:7], 2, v118
	scratch_store_dword off, v17, off offset:28 ; 4-byte Folded Spill
	v_cndmask_b32_e64 v47, v47, v59, s[10:11]
	v_cndmask_b32_e64 v17, v32, v49, s[6:7]
	;; [unrolled: 1-line block ×4, first 2 shown]
	s_waitcnt lgkmcnt(0)
	v_cndmask_b32_e64 v15, v15, v16, s[10:11]
	v_cmp_eq_u32_e64 s[10:11], 4, v118
	v_cndmask_b32_e64 v90, v62, v70, s[12:13]
	v_cndmask_b32_e64 v46, v46, v59, s[12:13]
	;; [unrolled: 1-line block ×6, first 2 shown]
	v_cmp_eq_u32_e64 s[12:13], 5, v118
	v_cndmask_b32_e64 v91, v61, v70, s[14:15]
	v_cndmask_b32_e64 v45, v45, v59, s[14:15]
	scratch_store_dword off, v37, off offset:8 ; 4-byte Folded Spill
	v_cndmask_b32_e64 v37, v29, v35, s[14:15]
	v_cndmask_b32_e64 v17, v17, v68, s[12:13]
	;; [unrolled: 1-line block ×3, first 2 shown]
	v_cmp_eq_u32_e64 s[14:15], 6, v118
	v_cndmask_b32_e64 v92, v60, v70, s[18:19]
	v_cndmask_b32_e64 v99, v64, v70, s[40:41]
	;; [unrolled: 1-line block ×7, first 2 shown]
	v_cmp_eq_u32_e64 s[18:19], 7, v118
	v_cndmask_b32_e64 v95, v57, v70, s[24:25]
	v_cndmask_b32_e64 v57, v43, v59, s[20:21]
	;; [unrolled: 1-line block ×5, first 2 shown]
	v_cmp_eq_u32_e64 s[20:21], 8, v118
	v_cndmask_b32_e64 v94, v58, v70, s[22:23]
	v_cndmask_b32_e64 v58, v42, v59, s[22:23]
	;; [unrolled: 1-line block ×5, first 2 shown]
	v_cmp_eq_u32_e64 s[22:23], 9, v118
	v_cndmask_b32_e64 v52, v41, v59, s[24:25]
	v_cndmask_b32_e64 v60, v40, v59, s[26:27]
	;; [unrolled: 1-line block ×3, first 2 shown]
	v_cndmask_b32_e32 v36, v36, v59, vcc
	v_cndmask_b32_e64 v81, v34, v59, s[40:41]
	v_cndmask_b32_e64 v59, v25, v35, s[24:25]
	;; [unrolled: 1-line block ×4, first 2 shown]
	v_cmp_eq_u32_e64 s[24:25], 10, v118
	v_cndmask_b32_e64 v56, v56, v70, s[26:27]
	v_cndmask_b32_e64 v61, v24, v35, s[26:27]
	;; [unrolled: 1-line block ×4, first 2 shown]
	v_cmp_eq_u32_e64 s[26:27], 11, v118
	v_cndmask_b32_e64 v55, v55, v70, s[30:31]
	v_cndmask_b32_e64 v103, v116, v70, s[46:47]
	;; [unrolled: 1-line block ×5, first 2 shown]
	v_cmp_eq_u32_e64 s[30:31], 12, v118
	v_cndmask_b32_e64 v54, v54, v70, s[2:3]
	v_cndmask_b32_e64 v63, v22, v35, s[2:3]
	;; [unrolled: 1-line block ×4, first 2 shown]
	v_cmp_eq_u32_e64 s[2:3], 13, v118
	v_cndmask_b32_e64 v53, v53, v70, s[0:1]
	v_cndmask_b32_e64 v97, v65, v70, s[42:43]
	;; [unrolled: 1-line block ×5, first 2 shown]
	v_cmp_eq_u32_e64 s[0:1], 14, v118
	v_cndmask_b32_e32 v20, v20, v35, vcc
	v_cndmask_b32_e32 v4, v4, v16, vcc
	v_cndmask_b32_e64 v6, v6, v121, s[0:1]
	v_cmp_eq_u32_e32 vcc, 15, v118
	v_cndmask_b32_e64 v19, v19, v35, s[42:43]
	v_cndmask_b32_e64 v18, v18, v35, s[40:41]
	v_cndmask_b32_e32 v6, v6, v98, vcc
	ds_bpermute_b32 v7, v120, v6
	v_cndmask_b32_e64 v6, v3, v16, s[42:43]
	v_cmp_eq_u32_e64 s[42:43], 0, v118
	s_waitcnt vmcnt(2)
	v_cmp_eq_u32_e64 s[58:59], 1, v33
	v_cndmask_b32_e64 v71, v0, v16, s[46:47]
	s_waitcnt lgkmcnt(0)
	v_cndmask_b32_e32 v8, v98, v7, vcc
	v_cndmask_b32_e64 v27, v51, v7, s[44:45]
	v_writelane_b32 v126, s42, 45
	v_cndmask_b32_e64 v98, v2, v16, s[40:41]
	v_cmp_ne_u32_e64 s[40:41], 0, v100
	v_cndmask_b32_e64 v32, v50, v7, s[42:43]
	v_cndmask_b32_e64 v26, v49, v7, s[6:7]
	;; [unrolled: 1-line block ×4, first 2 shown]
	v_cmp_eq_u32_e64 s[40:41], 2, v33
	v_cndmask_b32_e64 v25, v48, v7, s[8:9]
	v_cmp_eq_u32_e64 s[46:47], 3, v33
	v_cndmask_b32_e64 v0, v1, v26, s[40:41]
	v_cndmask_b32_e64 v24, v69, v7, s[10:11]
	;; [unrolled: 1-line block ×3, first 2 shown]
	v_cmp_eq_u32_e64 s[50:51], 4, v33
	v_cndmask_b32_e64 v23, v68, v7, s[12:13]
	v_cmp_eq_u32_e64 s[54:55], 5, v33
	v_cndmask_b32_e64 v0, v0, v24, s[50:51]
	v_cndmask_b32_e64 v22, v75, v7, s[14:15]
	;; [unrolled: 1-line block ×3, first 2 shown]
	v_cmp_eq_u32_e64 s[62:63], 6, v33
	v_cndmask_b32_e64 v21, v74, v7, s[18:19]
	v_cmp_eq_u32_e64 s[66:67], 7, v33
	v_cndmask_b32_e64 v0, v0, v22, s[62:63]
	scratch_store_dword off, v20, off offset:16 ; 4-byte Folded Spill
	v_cndmask_b32_e64 v20, v76, v7, s[20:21]
	v_cndmask_b32_e64 v0, v0, v21, s[66:67]
	v_cmp_eq_u32_e64 s[70:71], 8, v33
	scratch_store_dword off, v19, off offset:20 ; 4-byte Folded Spill
	v_cndmask_b32_e64 v19, v67, v7, s[22:23]
	v_cndmask_b32_e64 v0, v0, v20, s[70:71]
	v_cmp_eq_u32_e64 s[74:75], 9, v33
	scratch_store_dword off, v18, off offset:24 ; 4-byte Folded Spill
	v_cndmask_b32_e64 v18, v66, v7, s[24:25]
	v_cndmask_b32_e64 v0, v0, v19, s[74:75]
	v_cmp_eq_u32_e64 s[78:79], 10, v33
	v_cndmask_b32_e64 v17, v125, v7, s[26:27]
	v_cmp_eq_u32_e64 s[82:83], 11, v33
	v_cndmask_b32_e64 v0, v0, v18, s[78:79]
	v_cndmask_b32_e64 v11, v123, v7, s[30:31]
	;; [unrolled: 1-line block ×3, first 2 shown]
	v_cmp_eq_u32_e64 s[86:87], 12, v33
	v_cndmask_b32_e64 v10, v122, v7, s[2:3]
	s_mov_b64 s[96:97], s[40:41]
	v_cndmask_b32_e64 v0, v0, v11, s[86:87]
	v_cmp_eq_u32_e64 s[40:41], 13, v33
	v_cndmask_b32_e64 v9, v121, v7, s[0:1]
	v_writelane_b32 v126, s43, 46
	v_cndmask_b32_e64 v0, v0, v10, s[40:41]
	v_cmp_eq_u32_e64 s[42:43], 14, v33
	v_cmp_eq_u32_e64 s[98:99], 15, v33
	v_writelane_b32 v126, s96, 47
	v_cndmask_b32_e64 v0, v0, v9, s[42:43]
	v_cndmask_b32_e64 v0, v0, v8, s[98:99]
	ds_bpermute_b32 v16, v120, v0
	v_writelane_b32 v126, s97, 48
	scratch_store_dword off, v36, off offset:12 ; 4-byte Folded Spill
	s_waitcnt lgkmcnt(0)
	v_cndmask_b32_e64 v2, v9, v16, s[42:43]
	v_cndmask_b32_e64 v9, v17, v16, s[82:83]
	;; [unrolled: 1-line block ×4, first 2 shown]
	v_cmp_eq_u32_e64 s[96:97], 0, v33
	v_cndmask_b32_e64 v1, v8, v16, s[98:99]
	v_cndmask_b32_e64 v7, v10, v16, s[40:41]
	;; [unrolled: 1-line block ×13, first 2 shown]
	v_writelane_b32 v126, s96, 49
	v_cndmask_b32_e64 v17, v17, v85, s[34:35]
	v_cndmask_b32_e64 v17, v17, v114, s[36:37]
	;; [unrolled: 1-line block ×28, first 2 shown]
	ds_bpermute_b32 v18, v120, v17
	v_cndmask_b32_e64 v16, v16, v89, s[84:85]
	ds_bpermute_b32 v42, v120, v16
	v_writelane_b32 v126, s97, 50
	s_waitcnt lgkmcnt(1)
	v_cndmask_b32_e64 v121, v88, v18, s[16:17]
	scratch_load_dword v88, off, off offset:12 ; 4-byte Folded Reload
	s_waitcnt lgkmcnt(0)
	v_cndmask_b32_e64 v122, v89, v42, s[84:85]
	v_cndmask_b32_e64 v32, v90, v42, s[80:81]
	;; [unrolled: 1-line block ×5, first 2 shown]
	scratch_load_dword v89, off, off offset:28 ; 4-byte Folded Reload
	scratch_load_dword v90, off, off offset:24 ; 4-byte Folded Reload
	;; [unrolled: 1-line block ×5, first 2 shown]
	v_cndmask_b32_e64 v21, v53, v42, s[38:39]
	v_cndmask_b32_e64 v53, v72, v73, s[4:5]
	;; [unrolled: 1-line block ×29, first 2 shown]
	s_waitcnt vmcnt(5)
	v_cndmask_b32_e64 v53, v53, v88, s[36:37]
	s_waitcnt vmcnt(0)
	v_cndmask_b32_e64 v53, v53, v93, s[38:39]
	v_cndmask_b32_e64 v53, v53, v64, s[48:49]
	;; [unrolled: 1-line block ×11, first 2 shown]
	ds_bpermute_b32 v85, v120, v53
	v_cndmask_b32_e64 v53, v80, v89, s[4:5]
	v_cndmask_b32_e64 v53, v53, v90, s[28:29]
	;; [unrolled: 1-line block ×15, first 2 shown]
	ds_bpermute_b32 v86, v120, v53
	v_cndmask_b32_e64 v53, v71, v3, s[4:5]
	v_cndmask_b32_e64 v53, v53, v98, s[28:29]
	;; [unrolled: 1-line block ×15, first 2 shown]
	ds_bpermute_b32 v87, v120, v53
	s_waitcnt lgkmcnt(1)
	v_cndmask_b32_e64 v55, v37, v86, s[76:77]
	v_cndmask_b32_e64 v56, v38, v86, s[72:73]
	;; [unrolled: 1-line block ×4, first 2 shown]
	s_waitcnt lgkmcnt(0)
	v_cndmask_b32_e64 v107, v13, v87, s[76:77]
	scratch_load_dword v13, off, off offset:64 ; 4-byte Folded Reload
	v_cndmask_b32_e64 v114, v116, v87, s[52:53]
	v_cndmask_b32_e64 v64, v65, v86, s[38:39]
	;; [unrolled: 1-line block ×40, first 2 shown]
	v_readlane_b32 s84, v126, 45
	v_cndmask_b32_e64 v52, v52, v85, s[60:61]
	v_cndmask_b32_e64 v59, v59, v86, s[60:61]
	v_cndmask_b32_e64 v112, v29, v87, s[60:61]
	v_readlane_b32 s85, v126, 46
	s_waitcnt vmcnt(0)
	v_cmp_eq_u32_e64 s[38:39], 1, v13
	s_nop 1
	v_cndmask_b32_e64 v12, v74, v51, s[38:39]
	v_cmp_eq_u32_e64 s[28:29], 2, v13
	v_cmp_eq_u32_e64 s[48:49], 3, v13
	v_cmp_eq_u32_e64 s[52:53], 4, v13
	v_cndmask_b32_e64 v12, v12, v50, s[28:29]
	v_cndmask_b32_e64 v12, v12, v49, s[48:49]
	v_cndmask_b32_e64 v12, v12, v48, s[52:53]
	v_cmp_eq_u32_e64 s[56:57], 5, v13
	v_cmp_eq_u32_e64 s[64:65], 6, v13
	v_cmp_eq_u32_e64 s[68:69], 7, v13
	v_cndmask_b32_e64 v12, v12, v68, s[56:57]
	v_cndmask_b32_e64 v12, v12, v70, s[64:65]
	;; [unrolled: 6-line block ×5, first 2 shown]
	ds_bpermute_b32 v12, v120, v12
	s_waitcnt lgkmcnt(0)
	v_cndmask_b32_e64 v81, v1, v12, s[4:5]
	v_cndmask_b32_e64 v1, v42, v41, s[44:45]
	;; [unrolled: 1-line block ×15, first 2 shown]
	v_cndmask_b32_e32 v1, v1, v122, vcc
	ds_bpermute_b32 v1, v120, v1
	v_cndmask_b32_e64 v90, v0, v12, s[72:73]
	v_cndmask_b32_e64 v0, v121, v27, s[44:45]
	;; [unrolled: 1-line block ×4, first 2 shown]
	s_waitcnt lgkmcnt(0)
	v_cndmask_b32_e64 v14, v35, v1, s[30:31]
	scratch_load_dword v35, off, off offset:68 ; 4-byte Folded Reload
	v_cndmask_b32_e64 v0, v0, v43, s[10:11]
	v_cndmask_b32_e64 v0, v0, v24, s[12:13]
	;; [unrolled: 1-line block ×11, first 2 shown]
	v_cndmask_b32_e32 v0, v0, v75, vcc
	ds_bpermute_b32 v0, v120, v0
	v_cndmask_b32_e64 v87, v9, v12, s[36:37]
	v_cndmask_b32_e64 v88, v10, v12, s[80:81]
	;; [unrolled: 1-line block ×6, first 2 shown]
	s_waitcnt lgkmcnt(0)
	v_cndmask_b32_e32 v68, v75, v0, vcc
	v_cndmask_b32_e64 v69, v76, v0, s[0:1]
	v_cndmask_b32_e64 v70, v77, v0, s[2:3]
	;; [unrolled: 1-line block ×29, first 2 shown]
	v_cndmask_b32_e32 v0, v0, v47, vcc
	v_cndmask_b32_e64 v82, v2, v12, s[96:97]
	v_cndmask_b32_e64 v83, v7, v12, s[34:35]
	;; [unrolled: 1-line block ×8, first 2 shown]
	v_cndmask_b32_e32 v11, v122, v1, vcc
	v_cndmask_b32_e64 v12, v32, v1, s[0:1]
	v_cndmask_b32_e64 v13, v33, v1, s[2:3]
	;; [unrolled: 1-line block ×14, first 2 shown]
	ds_bpermute_b32 v1, v120, v0
	v_cndmask_b32_e64 v0, v3, v103, s[44:45]
	v_cndmask_b32_e64 v0, v0, v102, s[6:7]
	;; [unrolled: 1-line block ×14, first 2 shown]
	v_cndmask_b32_e32 v0, v0, v53, vcc
	ds_bpermute_b32 v32, v120, v0
	v_cndmask_b32_e64 v0, v6, v119, s[44:45]
	v_cndmask_b32_e64 v0, v0, v118, s[6:7]
	v_cndmask_b32_e64 v0, v0, v100, s[8:9]
	v_cndmask_b32_e64 v0, v0, v117, s[10:11]
	v_cndmask_b32_e64 v0, v0, v116, s[12:13]
	v_cndmask_b32_e64 v0, v0, v115, s[14:15]
	v_cndmask_b32_e64 v0, v0, v114, s[18:19]
	v_cndmask_b32_e64 v0, v0, v113, s[20:21]
	v_cndmask_b32_e64 v0, v0, v112, s[22:23]
	v_cndmask_b32_e64 v0, v0, v110, s[24:25]
	v_cndmask_b32_e64 v0, v0, v109, s[26:27]
	v_cndmask_b32_e64 v0, v0, v108, s[30:31]
	v_cndmask_b32_e64 v0, v0, v107, s[2:3]
	v_cndmask_b32_e64 v0, v0, v106, s[0:1]
	v_cndmask_b32_e32 v0, v0, v105, vcc
	ds_bpermute_b32 v33, v120, v0
	s_waitcnt lgkmcnt(2)
	v_cndmask_b32_e64 v28, v31, v1, s[0:1]
	s_waitcnt lgkmcnt(1)
	v_cndmask_b32_e64 v41, v54, v32, s[0:1]
	v_cndmask_b32_e32 v27, v47, v1, vcc
	v_cndmask_b32_e64 v29, v30, v1, s[2:3]
	s_waitcnt lgkmcnt(0)
	v_cndmask_b32_e64 v54, v106, v33, s[0:1]
	s_waitcnt vmcnt(0)
	v_cmp_eq_u32_e64 s[0:1], 1, v35
	v_cndmask_b32_e64 v42, v55, v32, s[2:3]
	v_cndmask_b32_e64 v55, v107, v33, s[2:3]
	;; [unrolled: 1-line block ×9, first 2 shown]
	s_mov_b64 s[2:3], s[84:85]
	v_cndmask_b32_e64 v34, v80, v86, s[0:1]
	s_mov_b64 s[10:11], s[0:1]
	v_cmp_eq_u32_e64 s[0:1], 2, v35
	v_cndmask_b32_e32 v40, v53, v32, vcc
	v_cndmask_b32_e64 v30, v44, v1, s[30:31]
	v_cndmask_b32_e64 v43, v56, v32, s[30:31]
	;; [unrolled: 1-line block ×20, first 2 shown]
	s_mov_b64 s[6:7], s[0:1]
	v_cmp_eq_u32_e64 s[0:1], 3, v35
	v_cndmask_b32_e64 v37, v37, v1, s[12:13]
	v_cndmask_b32_e64 v63, v116, v33, s[12:13]
	;; [unrolled: 1-line block ×3, first 2 shown]
	s_mov_b64 s[12:13], s[0:1]
	v_cmp_eq_u32_e64 s[0:1], 4, v35
	v_cndmask_b32_e64 v62, v115, v33, s[14:15]
	s_mov_b64 s[14:15], s[0:1]
	v_cndmask_b32_e64 v32, v32, v94, s[0:1]
	v_cmp_eq_u32_e64 s[0:1], 5, v35
	s_mov_b64 s[18:19], s[0:1]
	v_cndmask_b32_e64 v56, v108, v33, s[30:31]
	v_cndmask_b32_e64 v32, v32, v93, s[0:1]
	v_cmp_eq_u32_e64 s[0:1], 6, v35
	v_cndmask_b32_e64 v108, v60, v1, s[20:21]
	v_cndmask_b32_e64 v60, v113, v33, s[20:21]
	;; [unrolled: 1-line block ×3, first 2 shown]
	s_mov_b64 s[20:21], s[0:1]
	v_cmp_eq_u32_e64 s[0:1], 7, v35
	v_cndmask_b32_e64 v59, v112, v33, s[22:23]
	s_mov_b64 s[22:23], s[0:1]
	v_cndmask_b32_e64 v32, v32, v91, s[0:1]
	v_cmp_eq_u32_e64 s[0:1], 8, v35
	v_cndmask_b32_e64 v58, v110, v33, s[24:25]
	s_mov_b64 s[24:25], s[0:1]
	v_cndmask_b32_e64 v32, v32, v90, s[0:1]
	v_cmp_eq_u32_e64 s[0:1], 9, v35
	s_mov_b64 s[26:27], s[0:1]
	v_cndmask_b32_e64 v0, v98, v1, s[44:45]
	v_cndmask_b32_e64 v32, v32, v89, s[0:1]
	v_cmp_eq_u32_e64 s[0:1], 10, v35
	s_mov_b64 s[30:31], s[0:1]
	v_cndmask_b32_e64 v5, v119, v33, s[44:45]
	v_cndmask_b32_e64 v32, v32, v88, s[0:1]
	v_cmp_eq_u32_e64 s[0:1], 11, v35
	s_mov_b64 s[44:45], s[0:1]
	v_writelane_b32 v126, s44, 51
	v_cndmask_b32_e64 v32, v32, v87, s[0:1]
	v_cmp_eq_u32_e64 s[0:1], 12, v35
	v_writelane_b32 v126, s45, 52
	s_mov_b64 s[84:85], s[0:1]
	v_writelane_b32 v126, s84, 53
	v_cndmask_b32_e64 v32, v32, v84, s[0:1]
	v_cmp_eq_u32_e64 s[0:1], 13, v35
	v_writelane_b32 v126, s85, 54
	v_cndmask_b32_e64 v1, v96, v1, s[2:3]
	v_writelane_b32 v126, s0, 55
	v_cndmask_b32_e64 v6, v6, v33, s[2:3]
	v_cmp_eq_u32_e64 s[2:3], 14, v35
	v_writelane_b32 v126, s1, 56
	v_cndmask_b32_e64 v32, v32, v83, s[0:1]
	;; [unrolled: 5-line block ×3, first 2 shown]
	v_writelane_b32 v126, s8, 57
	v_cndmask_b32_e32 v53, v105, v33, vcc
	v_cndmask_b32_e64 v33, v10, v9, s[58:59]
	v_cndmask_b32_e64 v32, v32, v81, s[8:9]
	ds_bpermute_b32 v32, v120, v32
	v_writelane_b32 v126, s9, 58
	s_waitcnt lgkmcnt(0)
	v_cndmask_b32_e64 v82, v82, v32, s[2:3]
	v_readlane_b32 s2, v126, 47
	v_readlane_b32 s3, v126, 48
	v_cndmask_b32_e64 v83, v83, v32, s[0:1]
	v_cmp_eq_u32_e64 s[0:1], 0, v35
	v_cndmask_b32_e64 v33, v33, v67, s[2:3]
	v_cndmask_b32_e64 v33, v33, v66, s[46:47]
	;; [unrolled: 1-line block ×4, first 2 shown]
	v_writelane_b32 v126, s0, 59
	v_cndmask_b32_e64 v81, v81, v32, s[8:9]
	v_cndmask_b32_e64 v84, v84, v32, s[84:85]
	;; [unrolled: 1-line block ×14, first 2 shown]
	v_writelane_b32 v126, s1, 60
	v_cndmask_b32_e64 v80, v80, v32, s[0:1]
	v_cndmask_b32_e64 v32, v26, v25, s[58:59]
	s_mov_b64 s[0:1], s[2:3]
	v_cndmask_b32_e64 v33, v33, v76, s[66:67]
	v_cndmask_b32_e64 v32, v32, v24, s[0:1]
	;; [unrolled: 1-line block ×18, first 2 shown]
	ds_bpermute_b32 v33, v120, v33
	v_cndmask_b32_e64 v32, v32, v15, s[82:83]
	v_cndmask_b32_e64 v32, v32, v14, s[86:87]
	;; [unrolled: 1-line block ×5, first 2 shown]
	s_waitcnt lgkmcnt(0)
	v_cndmask_b32_e64 v123, v73, v33, s[78:79]
	ds_bpermute_b32 v73, v120, v32
	v_cndmask_b32_e64 v32, v9, v33, s[58:59]
	v_cndmask_b32_e64 v9, v1, v0, s[58:59]
	;; [unrolled: 1-line block ×4, first 2 shown]
	s_waitcnt lgkmcnt(0)
	v_cndmask_b32_e64 v36, v19, v73, s[66:67]
	scratch_load_dword v19, off, off offset:72 ; 4-byte Folded Reload
	v_cndmask_b32_e64 v9, v9, v38, s[50:51]
	v_cndmask_b32_e64 v9, v9, v37, s[54:55]
	;; [unrolled: 1-line block ×10, first 2 shown]
	v_readlane_b32 s2, v126, 49
	v_cndmask_b32_e64 v9, v9, v28, s[42:43]
	v_readlane_b32 s3, v126, 50
	v_cndmask_b32_e64 v9, v9, v27, s[98:99]
	v_cndmask_b32_e64 v68, v68, v33, s[98:99]
	v_cndmask_b32_e64 v69, v69, v33, s[42:43]
	v_cndmask_b32_e64 v70, v70, v33, s[40:41]
	v_cndmask_b32_e64 v71, v71, v33, s[86:87]
	v_cndmask_b32_e64 v72, v72, v33, s[82:83]
	v_cndmask_b32_e64 v125, v74, v33, s[74:75]
	v_cndmask_b32_e64 v75, v75, v33, s[70:71]
	v_cndmask_b32_e64 v76, v76, v33, s[66:67]
	v_cndmask_b32_e64 v77, v77, v33, s[62:63]
	v_cndmask_b32_e64 v78, v78, v33, s[54:55]
	v_cndmask_b32_e64 v79, v79, v33, s[50:51]
	v_cndmask_b32_e64 v66, v66, v33, s[46:47]
	v_cndmask_b32_e64 v67, v67, v33, s[0:1]
	v_cndmask_b32_e64 v10, v10, v33, s[2:3]
	v_cndmask_b32_e64 v33, v16, v73, s[78:79]
	ds_bpermute_b32 v16, v120, v9
	v_cndmask_b32_e64 v9, v3, v2, s[58:59]
	v_cndmask_b32_e64 v9, v9, v8, s[0:1]
	v_cndmask_b32_e64 v9, v9, v52, s[46:47]
	v_cndmask_b32_e64 v9, v9, v51, s[50:51]
	v_cndmask_b32_e64 v9, v9, v50, s[54:55]
	v_cndmask_b32_e64 v9, v9, v49, s[62:63]
	v_cndmask_b32_e64 v9, v9, v48, s[66:67]
	v_cndmask_b32_e64 v9, v9, v47, s[70:71]
	v_cndmask_b32_e64 v9, v9, v46, s[74:75]
	v_cndmask_b32_e64 v9, v9, v45, s[78:79]
	v_cndmask_b32_e64 v9, v9, v44, s[82:83]
	v_cndmask_b32_e64 v9, v9, v43, s[86:87]
	v_cndmask_b32_e64 v9, v9, v42, s[40:41]
	v_cndmask_b32_e64 v9, v9, v41, s[42:43]
	v_cndmask_b32_e64 v9, v9, v40, s[98:99]
	v_cndmask_b32_e64 v34, v17, v73, s[74:75]
	ds_bpermute_b32 v17, v120, v9
	;; [unrolled: 17-line block ×3, first 2 shown]
	v_cndmask_b32_e64 v24, v24, v73, s[0:1]
	s_waitcnt lgkmcnt(2)
	v_cndmask_b32_e64 v9, v7, v16, s[0:1]
	s_waitcnt lgkmcnt(1)
	v_cndmask_b32_e64 v8, v8, v17, s[0:1]
	v_cndmask_b32_e64 v7, v2, v17, s[58:59]
	s_waitcnt lgkmcnt(0)
	v_cndmask_b32_e64 v113, v56, v18, s[86:87]
	v_cndmask_b32_e64 v56, v109, v16, s[66:67]
	;; [unrolled: 1-line block ×4, first 2 shown]
	s_mov_b64 s[0:1], s[2:3]
	v_cndmask_b32_e64 v4, v0, v16, s[58:59]
	v_cndmask_b32_e64 v2, v1, v16, s[0:1]
	v_cndmask_b32_e64 v3, v3, v17, s[0:1]
	v_cndmask_b32_e64 v6, v6, v18, s[0:1]
	v_cndmask_b32_e64 v22, v22, v73, s[50:51]
	v_cndmask_b32_e64 v100, v59, v18, s[74:75]
	s_waitcnt vmcnt(0)
	v_cmp_eq_u32_e64 s[8:9], 1, v19
	v_cmp_eq_u32_e64 s[0:1], 2, v19
	v_cndmask_b32_e64 v122, v63, v18, s[54:55]
	v_cndmask_b32_e64 v0, v80, v86, s[8:9]
	;; [unrolled: 1-line block ×6, first 2 shown]
	s_mov_b64 s[50:51], s[0:1]
	v_cmp_eq_u32_e64 s[0:1], 3, v19
	v_cndmask_b32_e64 v21, v21, v73, s[54:55]
	v_cndmask_b32_e64 v117, v58, v18, s[78:79]
	;; [unrolled: 1-line block ×6, first 2 shown]
	s_mov_b64 s[54:55], s[0:1]
	v_cmp_eq_u32_e64 s[0:1], 4, v19
	v_cndmask_b32_e64 v25, v25, v73, s[58:59]
	v_cndmask_b32_e64 v5, v5, v18, s[58:59]
	;; [unrolled: 1-line block ×3, first 2 shown]
	s_mov_b64 s[58:59], s[0:1]
	v_cmp_eq_u32_e64 s[0:1], 5, v19
	v_cndmask_b32_e64 v20, v20, v73, s[62:63]
	v_cndmask_b32_e64 v116, v57, v18, s[82:83]
	;; [unrolled: 1-line block ×6, first 2 shown]
	s_mov_b64 s[62:63], s[0:1]
	v_cmp_eq_u32_e64 s[0:1], 6, v19
	s_mov_b64 s[66:67], s[0:1]
	v_cndmask_b32_e64 v112, v55, v18, s[40:41]
	v_cndmask_b32_e64 v0, v0, v92, s[0:1]
	v_cmp_eq_u32_e64 s[0:1], 7, v19
	v_cndmask_b32_e64 v55, v108, v16, s[70:71]
	v_cndmask_b32_e64 v108, v47, v17, s[70:71]
	v_cndmask_b32_e64 v118, v60, v18, s[70:71]
	v_cndmask_b32_e64 v0, v0, v91, s[0:1]
	s_mov_b64 s[70:71], s[0:1]
	v_cmp_eq_u32_e64 s[0:1], 8, v19
	v_cndmask_b32_e64 v110, v54, v18, s[42:43]
	v_cndmask_b32_e64 v54, v107, v16, s[74:75]
	v_cndmask_b32_e64 v107, v46, v17, s[74:75]
	v_cndmask_b32_e64 v0, v0, v90, s[0:1]
	s_mov_b64 s[74:75], s[0:1]
	;; [unrolled: 6-line block ×4, first 2 shown]
	v_cmp_eq_u32_e64 s[0:1], 11, v19
	s_mov_b64 s[84:85], s[0:1]
	v_cndmask_b32_e64 v14, v14, v73, s[86:87]
	v_cndmask_b32_e64 v0, v0, v87, s[0:1]
	v_cmp_eq_u32_e64 s[0:1], 12, v19
	v_cndmask_b32_e64 v30, v30, v16, s[86:87]
	v_cndmask_b32_e64 v103, v43, v17, s[86:87]
	;; [unrolled: 1-line block ×3, first 2 shown]
	s_mov_b64 s[86:87], s[0:1]
	v_cmp_eq_u32_e64 s[0:1], 13, v19
	v_cndmask_b32_e64 v11, v11, v73, s[98:99]
	v_cndmask_b32_e64 v27, v27, v16, s[98:99]
	;; [unrolled: 1-line block ×3, first 2 shown]
	v_writelane_b32 v126, s0, 47
	v_cmp_eq_u32_e64 s[98:99], 14, v19
	v_cndmask_b32_e64 v23, v23, v73, s[46:47]
	v_cndmask_b32_e64 v0, v0, v83, s[0:1]
	;; [unrolled: 1-line block ×5, first 2 shown]
	s_mov_b64 s[46:47], s[8:9]
	v_writelane_b32 v126, s1, 48
	v_cndmask_b32_e64 v0, v0, v82, s[98:99]
	v_cmp_eq_u32_e64 s[8:9], 15, v19
	v_cndmask_b32_e64 v28, v28, v16, s[42:43]
	v_cndmask_b32_e64 v29, v29, v16, s[40:41]
	v_writelane_b32 v126, s8, 49
	v_cndmask_b32_e64 v26, v26, v73, s[2:3]
	v_cndmask_b32_e64 v13, v13, v73, s[40:41]
	;; [unrolled: 1-line block ×3, first 2 shown]
	ds_bpermute_b32 v16, v120, v0
	v_cndmask_b32_e64 v0, v10, v32, s[38:39]
	v_cndmask_b32_e64 v0, v0, v67, s[28:29]
	;; [unrolled: 1-line block ×14, first 2 shown]
	v_writelane_b32 v126, s9, 50
	s_waitcnt lgkmcnt(0)
	v_cndmask_b32_e64 v83, v83, v16, s[0:1]
	v_cndmask_b32_e64 v0, v0, v68, s[4:5]
	v_cmp_eq_u32_e64 s[0:1], 0, v19
	v_cndmask_b32_e64 v81, v81, v16, s[8:9]
	v_cndmask_b32_e64 v82, v82, v16, s[98:99]
	;; [unrolled: 1-line block ×12, first 2 shown]
	ds_bpermute_b32 v37, v120, v0
	v_cndmask_b32_e64 v0, v85, v16, s[50:51]
	v_cndmask_b32_e64 v1, v86, v16, s[46:47]
	v_writelane_b32 v126, s0, 61
	v_cndmask_b32_e64 v12, v12, v73, s[42:43]
	v_cndmask_b32_e64 v102, v42, v17, s[40:41]
	;; [unrolled: 1-line block ×18, first 2 shown]
	ds_bpermute_b32 v49, v120, v16
	v_cndmask_b32_e64 v97, v41, v17, s[42:43]
	s_waitcnt lgkmcnt(1)
	v_cndmask_b32_e64 v18, v68, v37, s[4:5]
	v_cndmask_b32_e64 v74, v69, v37, s[96:97]
	;; [unrolled: 1-line block ×3, first 2 shown]
	s_waitcnt lgkmcnt(0)
	v_cndmask_b32_e64 v47, v11, v49, s[4:5]
	v_cndmask_b32_e64 v46, v12, v49, s[96:97]
	;; [unrolled: 1-line block ×32, first 2 shown]
	ds_bpermute_b32 v11, v120, v11
	ds_bpermute_b32 v12, v120, v12
	v_cndmask_b32_e64 v75, v10, v37, s[60:61]
	v_cndmask_b32_e64 v10, v2, v4, s[38:39]
	;; [unrolled: 1-line block ×3, first 2 shown]
	s_waitcnt lgkmcnt(1)
	v_cndmask_b32_e64 v68, v105, v11, s[36:37]
	s_waitcnt lgkmcnt(0)
	v_cndmask_b32_e64 v105, v119, v12, s[68:69]
	scratch_load_dword v119, off, off offset:76 ; 4-byte Folded Reload
	v_cndmask_b32_e64 v10, v10, v60, s[48:49]
	v_cndmask_b32_e64 v10, v10, v59, s[52:53]
	;; [unrolled: 1-line block ×13, first 2 shown]
	ds_bpermute_b32 v10, v120, v10
	v_cndmask_b32_e64 v45, v13, v49, s[34:35]
	v_cndmask_b32_e64 v13, v99, v12, s[4:5]
	;; [unrolled: 1-line block ×4, first 2 shown]
	scratch_store_dword off, v13, off offset:8 ; 4-byte Folded Spill
	v_cndmask_b32_e64 v13, v110, v12, s[96:97]
	v_cndmask_b32_e64 v110, v102, v11, s[34:35]
	s_waitcnt lgkmcnt(0)
	v_cndmask_b32_e64 v52, v31, v10, s[36:37]
	v_cndmask_b32_e64 v102, v116, v12, s[36:37]
	;; [unrolled: 1-line block ×58, first 2 shown]
	s_waitcnt vmcnt(1)
	v_cmp_eq_u32_e64 s[36:37], 1, v119
	v_cmp_eq_u32_e64 s[38:39], 2, v119
	v_cmp_eq_u32_e64 s[40:41], 3, v119
	v_cndmask_b32_e64 v2, v65, v1, s[36:37]
	v_cndmask_b32_e64 v2, v2, v0, s[38:39]
	v_cndmask_b32_e64 v2, v2, v114, s[40:41]
	v_cmp_eq_u32_e64 s[42:43], 4, v119
	v_cmp_eq_u32_e64 s[44:45], 5, v119
	v_cmp_eq_u32_e64 s[48:49], 6, v119
	v_cndmask_b32_e64 v2, v2, v94, s[42:43]
	v_cndmask_b32_e64 v2, v2, v93, s[44:45]
	v_cndmask_b32_e64 v2, v2, v92, s[48:49]
	;; [unrolled: 6-line block ×4, first 2 shown]
	v_cmp_eq_u32_e64 s[76:77], 13, v119
	v_cndmask_b32_e64 v53, v53, v10, s[80:81]
	v_cmp_eq_u32_e64 s[80:81], 14, v119
	v_cndmask_b32_e64 v2, v2, v83, s[76:77]
	v_cmp_eq_u32_e32 vcc, 15, v119
	v_cndmask_b32_e64 v2, v2, v82, s[80:81]
	v_cndmask_b32_e64 v51, v30, v10, s[16:17]
	v_cndmask_b32_e32 v2, v2, v81, vcc
	ds_bpermute_b32 v20, v120, v2
	s_mov_b64 s[16:17], s[10:11]
	s_mov_b64 s[8:9], s[6:7]
	v_cndmask_b32_e64 v61, v9, v10, s[28:29]
	v_cndmask_b32_e64 v77, v8, v11, s[28:29]
	s_waitcnt lgkmcnt(0)
	v_cndmask_b32_e64 v2, v0, v20, s[38:39]
	v_cndmask_b32_e64 v0, v75, v78, s[16:17]
	;; [unrolled: 1-line block ×3, first 2 shown]
	s_mov_b64 s[28:29], s[12:13]
	v_cndmask_b32_e64 v50, v29, v10, s[34:35]
	v_cndmask_b32_e64 v0, v0, v16, s[28:29]
	s_mov_b64 s[34:35], s[14:15]
	v_cndmask_b32_e64 v32, v28, v10, s[96:97]
	v_cndmask_b32_e64 v0, v0, v123, s[34:35]
	s_mov_b64 s[96:97], s[18:19]
	v_cndmask_b32_e64 v0, v0, v125, s[96:97]
	s_mov_b64 s[6:7], s[20:21]
	;; [unrolled: 2-line block ×4, first 2 shown]
	v_writelane_b32 v126, s1, 62
	v_cndmask_b32_e64 v0, v0, v69, s[12:13]
	s_mov_b64 s[14:15], s[26:27]
	v_cndmask_b32_e64 v0, v0, v70, s[14:15]
	s_mov_b64 s[18:19], s[30:31]
	v_readlane_b32 s20, v126, 51
	v_cndmask_b32_e64 v0, v0, v71, s[18:19]
	v_readlane_b32 s21, v126, 52
	v_readlane_b32 s22, v126, 53
	v_readlane_b32 s23, v126, 54
	v_cndmask_b32_e64 v0, v0, v72, s[20:21]
	v_readlane_b32 s88, v126, 55
	v_cndmask_b32_e64 v0, v0, v19, s[22:23]
	v_readlane_b32 s89, v126, 56
	v_readlane_b32 s26, v126, 45
	v_readlane_b32 s27, v126, 46
	v_cndmask_b32_e64 v0, v0, v73, s[88:89]
	v_readlane_b32 s30, v126, 57
	v_cndmask_b32_e64 v0, v0, v74, s[26:27]
	v_readlane_b32 s31, v126, 58
	v_readlane_b32 s2, v126, 59
	v_readlane_b32 s3, v126, 60
	v_cndmask_b32_e64 v0, v0, v18, s[30:31]
	ds_bpermute_b32 v0, v120, v0
	v_cndmask_b32_e64 v66, v27, v10, s[4:5]
	v_cndmask_b32_e64 v96, v96, v11, s[4:5]
	s_mov_b64 s[4:5], s[46:47]
	s_mov_b64 s[46:47], s[50:51]
	s_waitcnt lgkmcnt(0)
	v_cndmask_b32_e64 v18, v18, v0, s[30:31]
	v_cndmask_b32_e64 v21, v74, v0, s[26:27]
	;; [unrolled: 1-line block ×18, first 2 shown]
	s_mov_b64 s[50:51], s[54:55]
	v_cndmask_b32_e64 v69, v69, v16, s[50:51]
	s_mov_b64 s[54:55], s[58:59]
	v_cndmask_b32_e64 v69, v69, v30, s[54:55]
	;; [unrolled: 2-line block ×9, first 2 shown]
	s_mov_b64 s[84:85], s[86:87]
	v_readlane_b32 s86, v126, 47
	v_cndmask_b32_e64 v69, v69, v19, s[84:85]
	v_readlane_b32 s87, v126, 48
	v_readlane_b32 s0, v126, 49
	;; [unrolled: 1-line block ×3, first 2 shown]
	v_cndmask_b32_e64 v69, v69, v22, s[86:87]
	v_cndmask_b32_e64 v69, v69, v21, s[98:99]
	;; [unrolled: 1-line block ×3, first 2 shown]
	ds_bpermute_b32 v69, v120, v69
	s_mov_b64 s[24:25], s[18:19]
	s_mov_b64 s[18:19], s[10:11]
	v_readlane_b32 s10, v126, 61
	v_readlane_b32 s11, v126, 62
	s_waitcnt lgkmcnt(0)
	v_cndmask_b32_e64 v18, v18, v69, s[0:1]
	v_cndmask_b32_e64 v21, v21, v69, s[98:99]
	;; [unrolled: 1-line block ×30, first 2 shown]
	v_cndmask_b32_e32 v0, v0, v18, vcc
	ds_bpermute_b32 v78, v120, v0
	s_mov_b64 s[94:95], s[26:27]
	s_mov_b64 s[26:27], s[20:21]
	;; [unrolled: 1-line block ×4, first 2 shown]
	s_waitcnt lgkmcnt(0)
	v_cndmask_b32_e64 v28, v19, v78, s[72:73]
	v_cndmask_b32_e64 v19, v16, v78, s[40:41]
	;; [unrolled: 1-line block ×9, first 2 shown]
	s_mov_b64 s[90:91], s[30:31]
	s_mov_b64 s[30:31], s[22:23]
	;; [unrolled: 1-line block ×3, first 2 shown]
	v_cndmask_b32_e64 v16, v16, v42, s[20:21]
	v_cndmask_b32_e64 v16, v16, v41, s[22:23]
	;; [unrolled: 1-line block ×6, first 2 shown]
	s_mov_b64 s[14:15], s[94:95]
	v_cndmask_b32_e64 v16, v16, v46, s[14:15]
	s_mov_b64 s[94:95], s[90:91]
	v_cndmask_b32_e64 v16, v16, v47, s[94:95]
	ds_bpermute_b32 v16, v120, v16
	s_mov_b64 s[8:9], s[2:3]
	v_cmp_eq_u32_e64 s[0:1], 0, v119
	v_cndmask_b32_e64 v27, v23, v78, s[68:69]
	v_cndmask_b32_e64 v26, v24, v78, s[64:65]
	s_waitcnt lgkmcnt(0)
	v_cndmask_b32_e64 v47, v47, v16, s[94:95]
	v_cndmask_b32_e64 v46, v46, v16, s[14:15]
	;; [unrolled: 1-line block ×16, first 2 shown]
	s_mov_b64 s[2:3], s[4:5]
	v_cndmask_b32_e64 v49, v16, v33, s[2:3]
	v_cndmask_b32_e64 v49, v49, v34, s[46:47]
	;; [unrolled: 1-line block ×13, first 2 shown]
	v_readlane_b32 s4, v126, 49
	v_cndmask_b32_e64 v49, v49, v46, s[98:99]
	v_readlane_b32 s5, v126, 50
	s_mov_b64 s[14:15], s[6:7]
	s_mov_b64 s[6:7], s[10:11]
	v_cndmask_b32_e64 v49, v49, v47, s[4:5]
	ds_bpermute_b32 v49, v120, v49
	v_cndmask_b32_e64 v0, v65, v20, s[0:1]
	v_cndmask_b32_e64 v24, v70, v78, s[56:57]
	;; [unrolled: 1-line block ×3, first 2 shown]
	s_mov_b64 s[88:89], s[98:99]
	s_waitcnt lgkmcnt(0)
	v_cndmask_b32_e64 v47, v47, v49, s[4:5]
	v_cndmask_b32_e64 v46, v46, v49, s[98:99]
	;; [unrolled: 1-line block ×21, first 2 shown]
	s_mov_b64 s[98:99], s[86:87]
	s_mov_b64 s[86:87], s[84:85]
	;; [unrolled: 1-line block ×10, first 2 shown]
	v_cndmask_b32_e64 v16, v16, v71, s[48:49]
	s_mov_b64 s[54:55], s[52:53]
	v_cndmask_b32_e64 v16, v16, v70, s[54:55]
	v_cndmask_b32_e64 v16, v16, v65, s[56:57]
	;; [unrolled: 1-line block ×8, first 2 shown]
	v_cndmask_b32_e32 v15, v81, v20, vcc
	v_cndmask_b32_e32 v31, v18, v78, vcc
	v_writelane_b32 v126, vcc_lo, 63
	v_cndmask_b32_e64 v29, v22, v78, s[76:77]
	v_cndmask_b32_e64 v22, v72, v78, s[48:49]
	v_cndmask_b32_e32 v16, v16, v47, vcc
	ds_bpermute_b32 v72, v120, v16
	s_mov_b64 s[4:5], s[2:3]
	s_mov_b64 s[2:3], s[12:13]
	v_cndmask_b32_e64 v16, v69, v78, s[0:1]
	s_mov_b64 s[90:91], s[0:1]
	s_waitcnt lgkmcnt(0)
	v_cndmask_b32_e64 v42, v40, v72, s[64:65]
	v_cndmask_b32_e64 v40, v65, v72, s[56:57]
	;; [unrolled: 1-line block ×7, first 2 shown]
	s_mov_b64 s[0:1], s[14:15]
	v_cndmask_b32_e64 v65, v65, v57, s[0:1]
	s_mov_b64 s[10:11], s[18:19]
	v_cndmask_b32_e64 v65, v65, v56, s[10:11]
	;; [unrolled: 2-line block ×6, first 2 shown]
	s_mov_b64 s[22:23], s[30:31]
	v_readlane_b32 s24, v126, 55
	scratch_store_dword off, v13, off offset:12 ; 4-byte Folded Spill
	v_cndmask_b32_e64 v14, v82, v20, s[80:81]
	v_cndmask_b32_e64 v13, v83, v20, s[76:77]
	;; [unrolled: 1-line block ×19, first 2 shown]
	s_mov_b64 s[52:53], s[44:45]
	v_cndmask_b32_e64 v36, v36, v72, s[42:43]
	s_mov_b64 s[44:45], s[42:43]
	v_cndmask_b32_e64 v35, v35, v72, s[40:41]
	;; [unrolled: 2-line block ×5, first 2 shown]
	v_readlane_b32 s25, v126, 56
	v_readlane_b32 s36, v126, 45
	;; [unrolled: 1-line block ×3, first 2 shown]
	v_cndmask_b32_e64 v65, v65, v50, s[24:25]
	s_mov_b64 s[26:27], s[22:23]
	v_cndmask_b32_e64 v65, v65, v32, s[36:37]
	v_cndmask_b32_e64 v65, v65, v66, s[94:95]
	ds_bpermute_b32 v65, v120, v65
	v_cndmask_b32_e64 v25, v25, v78, s[60:61]
	v_cndmask_b32_e64 v44, v38, v72, s[72:73]
	;; [unrolled: 1-line block ×4, first 2 shown]
	s_waitcnt lgkmcnt(0)
	v_cndmask_b32_e64 v62, v62, v65, s[16:17]
	v_cndmask_b32_e64 v63, v63, v65, s[8:9]
	;; [unrolled: 1-line block ×28, first 2 shown]
	s_mov_b64 s[22:23], s[18:19]
	s_mov_b64 s[18:19], s[12:13]
	s_mov_b64 s[12:13], s[0:1]
	s_mov_b64 s[0:1], s[8:9]
	v_cndmask_b32_e64 v65, v65, v50, s[98:99]
	v_readlane_b32 s8, v126, 49
	v_cndmask_b32_e64 v65, v65, v32, s[88:89]
	v_readlane_b32 s9, v126, 50
	v_cndmask_b32_e64 v38, v71, v72, s[48:49]
	v_writelane_b32 v127, vcc_hi, 0
	v_cndmask_b32_e64 v65, v65, v66, s[8:9]
	ds_bpermute_b32 v65, v120, v65
	v_cndmask_b32_e32 v47, v47, v72, vcc
	v_cndmask_b32_e64 v46, v46, v72, s[80:81]
	s_mov_b64 vcc, s[80:81]
	v_cndmask_b32_e64 v45, v45, v72, s[76:77]
	s_waitcnt lgkmcnt(0)
	v_cndmask_b32_e64 v66, v66, v65, s[8:9]
	v_cndmask_b32_e64 v69, v32, v65, s[88:89]
	;; [unrolled: 1-line block ×22, first 2 shown]
	s_mov_b64 s[80:81], s[76:77]
	s_mov_b64 s[76:77], s[72:73]
	;; [unrolled: 1-line block ×4, first 2 shown]
	v_cndmask_b32_e64 v41, v41, v72, s[60:61]
	s_mov_b64 s[64:65], s[60:61]
	s_mov_b64 s[60:61], s[56:57]
	v_cndmask_b32_e64 v32, v32, v70, s[54:55]
	v_cndmask_b32_e64 v32, v32, v55, s[60:61]
	;; [unrolled: 1-line block ×7, first 2 shown]
	v_readlane_b32 s56, v126, 63
	v_cndmask_b32_e32 v32, v32, v69, vcc
	v_readlane_b32 s57, v127, 0
	s_mov_b64 s[30:31], s[24:25]
	s_mov_b64 s[24:25], s[20:21]
	v_cndmask_b32_e64 v32, v32, v66, s[56:57]
	ds_bpermute_b32 v82, v120, v32
	s_mov_b64 s[20:21], s[14:15]
	s_mov_b64 s[14:15], s[10:11]
	;; [unrolled: 1-line block ×4, first 2 shown]
	s_waitcnt lgkmcnt(0)
	v_cndmask_b32_e64 v63, v66, v82, s[56:57]
	v_cndmask_b32_e64 v66, v79, v48, s[16:17]
	v_cndmask_b32_e64 v66, v66, v77, s[10:11]
	v_cndmask_b32_e64 v66, v66, v76, s[28:29]
	v_cndmask_b32_e64 v66, v66, v122, s[34:35]
	s_mov_b64 s[6:7], s[90:91]
	s_mov_b64 s[90:91], s[56:57]
	v_cndmask_b32_e64 v66, v66, v121, s[96:97]
	s_mov_b64 s[56:57], s[12:13]
	v_cndmask_b32_e64 v66, v66, v80, s[56:57]
	;; [unrolled: 2-line block ×10, first 2 shown]
	v_cndmask_b32_e64 v66, v66, v96, s[94:95]
	ds_bpermute_b32 v66, v120, v66
	v_writelane_b32 v127, s6, 1
	v_cndmask_b32_e32 v62, v69, v82, vcc
	v_cndmask_b32_e64 v61, v50, v82, s[80:81]
	v_writelane_b32 v127, s7, 2
	v_cndmask_b32_e64 v32, v49, v72, s[6:7]
	v_cndmask_b32_e64 v60, v51, v82, s[76:77]
	;; [unrolled: 1-line block ×13, first 2 shown]
	s_waitcnt lgkmcnt(0)
	v_cndmask_b32_e64 v69, v96, v66, s[94:95]
	v_cndmask_b32_e64 v70, v95, v66, s[30:31]
	;; [unrolled: 1-line block ×16, first 2 shown]
	v_writelane_b32 v127, s4, 3
	s_mov_b64 s[0:1], s[88:89]
	scratch_load_dwordx2 v[118:119], off, off ; 8-byte Folded Reload
	v_writelane_b32 v127, s5, 4
	v_cndmask_b32_e64 v79, v66, v48, s[4:5]
	v_writelane_b32 v127, s46, 5
	v_readlane_b32 s36, v126, 23
	v_readlane_b32 s37, v126, 24
	v_cndmask_b32_e64 v79, v79, v77, s[46:47]
	v_cndmask_b32_e64 v79, v79, v76, s[50:51]
	;; [unrolled: 1-line block ×14, first 2 shown]
	ds_bpermute_b32 v79, v120, v79
	v_writelane_b32 v127, s47, 6
	s_waitcnt lgkmcnt(0)
	v_cndmask_b32_e64 v86, v80, v79, s[62:63]
	v_cndmask_b32_e64 v90, v48, v79, s[4:5]
	;; [unrolled: 1-line block ×10, first 2 shown]
	s_mov_b64 s[46:47], s[52:53]
	v_cndmask_b32_e64 v85, v78, v79, s[66:67]
	v_cndmask_b32_e64 v48, v48, v86, s[46:47]
	;; [unrolled: 1-line block ×19, first 2 shown]
	v_cndmask_b32_e32 v48, v48, v70, vcc
	v_cndmask_b32_e64 v48, v48, v69, s[90:91]
	ds_bpermute_b32 v81, v120, v48
	v_cndmask_b32_e64 v48, v65, v82, s[6:7]
	v_cndmask_b32_e64 v82, v115, v109, s[16:17]
	;; [unrolled: 1-line block ×4, first 2 shown]
	s_waitcnt lgkmcnt(0)
	v_cndmask_b32_e64 v77, v71, v81, s[80:81]
	v_cndmask_b32_e64 v71, v84, v81, s[54:55]
	scratch_load_dword v84, off, off offset:12 ; 4-byte Folded Reload
	v_cndmask_b32_e64 v74, v72, v81, s[68:69]
	v_cndmask_b32_e64 v72, v83, v81, s[60:61]
	scratch_load_dword v83, off, off offset:8 ; 4-byte Folded Reload
	scratch_load_dword v116, off, off offset:40 ; 4-byte Folded Reload
	;; [unrolled: 1-line block ×4, first 2 shown]
	v_cndmask_b32_e64 v82, v82, v108, s[34:35]
	v_cndmask_b32_e64 v82, v82, v107, s[96:97]
	;; [unrolled: 1-line block ×11, first 2 shown]
	v_cndmask_b32_e32 v78, v70, v81, vcc
	v_cndmask_b32_e64 v76, v67, v81, s[76:77]
	v_cndmask_b32_e64 v75, v68, v81, s[72:73]
	;; [unrolled: 1-line block ×8, first 2 shown]
	s_mov_b64 s[52:53], s[60:61]
	s_mov_b64 s[60:61], s[38:39]
	v_readlane_b32 s39, v126, 44
	v_cndmask_b32_e64 v73, v73, v81, s[64:65]
	s_mov_b32 s6, 0
	s_mov_b32 s7, 0
	v_readlane_b32 s38, v126, 25
	s_waitcnt vmcnt(4)
	v_cndmask_b32_e64 v82, v82, v84, s[30:31]
	s_waitcnt vmcnt(3)
	v_cndmask_b32_e64 v82, v82, v83, s[94:95]
	ds_bpermute_b32 v82, v120, v82
	s_waitcnt lgkmcnt(0)
	v_cndmask_b32_e64 v95, v98, v82, s[10:11]
	v_readlane_b32 s10, v126, 59
	v_cndmask_b32_e64 v91, v105, v82, s[12:13]
	v_readlane_b32 s11, v126, 60
	v_readlane_b32 s12, v127, 3
	v_cndmask_b32_e64 v83, v83, v82, s[94:95]
	v_cndmask_b32_e64 v84, v84, v82, s[30:31]
	;; [unrolled: 1-line block ×14, first 2 shown]
	v_readlane_b32 s13, v127, 4
	v_readlane_b32 s10, v127, 5
	;; [unrolled: 1-line block ×3, first 2 shown]
	v_cndmask_b32_e64 v97, v82, v96, s[12:13]
	v_readlane_b32 s16, v126, 2
	v_cndmask_b32_e64 v97, v97, v95, s[10:11]
	v_cndmask_b32_e64 v97, v97, v64, s[50:51]
	;; [unrolled: 1-line block ×14, first 2 shown]
	ds_bpermute_b32 v97, v120, v97
	v_readlane_b32 s20, v126, 6
	v_readlane_b32 s21, v126, 7
	;; [unrolled: 1-line block ×4, first 2 shown]
	s_waitcnt lgkmcnt(0)
	v_cndmask_b32_e64 v83, v83, v97, s[8:9]
	v_cndmask_b32_e64 v84, v84, v97, s[0:1]
	;; [unrolled: 1-line block ×29, first 2 shown]
	v_cndmask_b32_e32 v64, v64, v84, vcc
	v_cndmask_b32_e64 v64, v64, v83, s[90:91]
	ds_bpermute_b32 v108, v120, v64
	v_readlane_b32 s8, v127, 1
	v_readlane_b32 s9, v127, 2
	;; [unrolled: 1-line block ×4, first 2 shown]
	s_waitcnt lgkmcnt(0)
	v_cndmask_b32_e64 v91, v87, v108, s[72:73]
	v_cndmask_b32_e64 v90, v88, v108, s[68:69]
	v_cndmask_b32_e64 v88, v98, v108, s[52:53]
	v_cndmask_b32_e64 v87, v99, v108, s[54:55]
	v_readlane_b32 s52, v126, 26
	v_readlane_b32 s53, v126, 27
	s_mul_i32 s0, s39, s53
	s_ashr_i32 s1, s0, 31
	v_cndmask_b32_e32 v94, v84, v108, vcc
	v_cndmask_b32_e64 v84, v105, v108, s[44:45]
	s_lshl_b64 s[0:1], s[0:1], 1
	v_readlane_b32 s44, v126, 38
	s_add_u32 s2, s20, s0
	v_readlane_b32 s45, v126, 39
	s_addc_u32 s3, s21, s1
	s_ashr_i32 s45, s44, 31
	s_lshl_b64 s[0:1], s[44:45], 1
	s_add_u32 s0, s2, s0
	v_cndmask_b32_e64 v95, v83, v108, s[90:91]
	v_cndmask_b32_e64 v93, v85, v108, s[80:81]
	;; [unrolled: 1-line block ×7, first 2 shown]
	s_addc_u32 s1, s3, s1
	v_readlane_b32 s41, v126, 42
	v_readlane_b32 s42, v126, 40
	;; [unrolled: 1-line block ×4, first 2 shown]
	v_cndmask_b32_e64 v64, v80, v81, s[8:9]
	v_cndmask_b32_e64 v89, v89, v108, s[64:65]
	v_readlane_b32 s54, v126, 28
	v_readlane_b32 s55, v126, 29
	;; [unrolled: 1-line block ×9, first 2 shown]
	v_subrev_u32_e32 v101, s41, v101
	v_cndmask_b32_e64 v81, v96, v108, s[60:61]
	v_cndmask_b32_e64 v80, v97, v108, s[8:9]
	v_lshl_add_u64 v[102:103], s[0:1], 0, v[118:119]
	s_mov_b64 s[0:1], 0
	v_readlane_b32 s11, v126, 0
	v_readlane_b32 s12, v126, 1
	;; [unrolled: 1-line block ×17, first 2 shown]
                                        ; implicit-def: $sgpr2_sgpr3
	s_branch .LBB379_37
.LBB379_36:                             ;   in Loop: Header=BB379_37 Depth=2
	s_or_b64 exec, exec, s[4:5]
	s_and_b64 s[4:5], exec, s[2:3]
	s_or_b64 s[0:1], s[4:5], s[0:1]
	s_andn2_b64 exec, exec, s[0:1]
	s_cbranch_execz .LBB379_39
.LBB379_37:                             ;   Parent Loop BB379_7 Depth=1
                                        ; =>  This Inner Loop Header: Depth=2
	s_and_b32 s4, s7, 2
	s_and_b32 s5, s6, 24
	s_or_b32 s4, s5, s4
	s_waitcnt vmcnt(0)
	v_or_b32_e32 v96, s4, v121
	v_add_u32_e32 v97, s92, v96
	v_cmp_gt_u32_e32 vcc, 32, v97
	s_or_b64 s[2:3], s[2:3], exec
	s_and_saveexec_b64 s[4:5], vcc
	s_cbranch_execz .LBB379_36
; %bb.38:                               ;   in Loop: Header=BB379_37 Depth=2
	s_add_i32 s10, s7, 1
	s_set_gpr_idx_on s7, gpr_idx(SRC0)
	v_mov_b32_e32 v97, v0
	s_set_gpr_idx_off
	v_cvt_f16_f32_e32 v98, v97
	s_set_gpr_idx_on s10, gpr_idx(SRC0)
	v_mov_b32_e32 v97, v0
	s_set_gpr_idx_off
	v_cvt_f16_f32_sdwa v99, v97 dst_sel:WORD_1 dst_unused:UNUSED_PAD src0_sel:DWORD
	v_mul_lo_u32 v96, v96, s53
	v_ashrrev_i32_e32 v97, 31, v96
	v_lshl_add_u64 v[96:97], v[96:97], 1, v[102:103]
	v_or_b32_e32 v98, v99, v98
	;;#ASMSTART
	global_atomic_pk_add_f16 v[96:97], v98, off
	
	;;#ASMEND
	s_set_gpr_idx_on s7, gpr_idx(SRC0)
	v_mov_b32_e32 v98, v16
	s_set_gpr_idx_off
	v_cvt_f16_f32_e32 v105, v98
	s_set_gpr_idx_on s10, gpr_idx(SRC0)
	v_mov_b32_e32 v98, v16
	s_set_gpr_idx_off
	v_cvt_f16_f32_sdwa v106, v98 dst_sel:WORD_1 dst_unused:UNUSED_PAD src0_sel:DWORD
	v_lshl_add_u64 v[98:99], v[96:97], 0, 64
	s_mov_b64 s[8:9], 0x80
	s_add_i32 s6, s6, 4
	v_or_b32_e32 v105, v106, v105
	;;#ASMSTART
	global_atomic_pk_add_f16 v[98:99], v105, off
	
	;;#ASMEND
	s_set_gpr_idx_on s7, gpr_idx(SRC0)
	v_mov_b32_e32 v98, v32
	s_set_gpr_idx_off
	v_cvt_f16_f32_e32 v105, v98
	s_set_gpr_idx_on s10, gpr_idx(SRC0)
	v_mov_b32_e32 v98, v32
	s_set_gpr_idx_off
	v_cvt_f16_f32_sdwa v106, v98 dst_sel:WORD_1 dst_unused:UNUSED_PAD src0_sel:DWORD
	v_lshl_add_u64 v[98:99], v[96:97], 0, s[8:9]
	s_mov_b64 s[8:9], 0xc0
	v_or_b32_e32 v105, v106, v105
	;;#ASMSTART
	global_atomic_pk_add_f16 v[98:99], v105, off
	
	;;#ASMEND
	s_set_gpr_idx_on s7, gpr_idx(SRC0)
	v_mov_b32_e32 v98, v48
	s_set_gpr_idx_off
	v_cvt_f16_f32_e32 v105, v98
	s_set_gpr_idx_on s10, gpr_idx(SRC0)
	v_mov_b32_e32 v98, v48
	s_set_gpr_idx_off
	v_cvt_f16_f32_sdwa v106, v98 dst_sel:WORD_1 dst_unused:UNUSED_PAD src0_sel:DWORD
	v_lshl_add_u64 v[98:99], v[96:97], 0, s[8:9]
	s_mov_b64 s[8:9], 0x100
	;; [unrolled: 15-line block ×3, first 2 shown]
	v_lshl_add_u64 v[96:97], v[96:97], 0, s[8:9]
	v_or_b32_e32 v105, v106, v105
	;;#ASMSTART
	global_atomic_pk_add_f16 v[98:99], v105, off
	
	;;#ASMEND
	s_set_gpr_idx_on s7, gpr_idx(SRC0)
	v_mov_b32_e32 v98, v80
	s_set_gpr_idx_off
	v_cvt_f16_f32_e32 v98, v98
	s_set_gpr_idx_on s10, gpr_idx(SRC0)
	v_mov_b32_e32 v99, v80
	s_set_gpr_idx_off
	s_add_i32 s7, s7, 2
	v_cvt_f16_f32_sdwa v99, v99 dst_sel:WORD_1 dst_unused:UNUSED_PAD src0_sel:DWORD
	s_cmp_eq_u32 s7, 16
	s_cselect_b64 s[8:9], -1, 0
	s_andn2_b64 s[2:3], s[2:3], exec
	s_and_b64 s[8:9], s[8:9], exec
	s_or_b64 s[2:3], s[2:3], s[8:9]
	v_or_b32_e32 v98, v99, v98
	;;#ASMSTART
	global_atomic_pk_add_f16 v[96:97], v98, off
	
	;;#ASMEND
	s_branch .LBB379_36
.LBB379_39:                             ;   in Loop: Header=BB379_7 Depth=1
	s_or_b64 exec, exec, s[0:1]
	scratch_load_dword v14, off, off offset:32 ; 4-byte Folded Reload
	scratch_load_dword v100, off, off offset:36 ; 4-byte Folded Reload
	scratch_load_dwordx2 v[16:17], off, off offset:80 ; 8-byte Folded Reload
	scratch_load_dword v15, off, off offset:96 ; 4-byte Folded Reload
.LBB379_40:                             ;   in Loop: Header=BB379_7 Depth=1
	s_or_b64 exec, exec, s[48:49]
.LBB379_41:                             ;   in Loop: Header=BB379_7 Depth=1
	s_andn2_saveexec_b64 s[0:1], s[46:47]
	s_cbranch_execz .LBB379_50
; %bb.42:                               ;   in Loop: Header=BB379_7 Depth=1
	s_mul_i32 s10, s41, 6
	v_cmp_gt_i32_e32 vcc, s10, v101
	s_and_saveexec_b64 s[2:3], vcc
	s_cbranch_execz .LBB379_49
; %bb.43:                               ;   in Loop: Header=BB379_7 Depth=1
	scratch_load_dwordx2 v[0:1], off, off offset:88 ; 8-byte Folded Reload
	s_mul_i32 s4, s44, s55
	s_ashr_i32 s5, s4, 31
	s_add_u32 s4, s18, s4
	s_addc_u32 s5, s19, s5
	s_ashr_i32 s6, s40, 31
	s_add_u32 s4, s4, s40
	s_addc_u32 s5, s5, s6
	s_waitcnt vmcnt(0)
	v_lshl_add_u64 v[0:1], s[4:5], 0, v[0:1]
	v_lshl_add_u64 v[8:9], v[0:1], 0, v[16:17]
	s_mov_b64 s[4:5], 0
	s_branch .LBB379_45
.LBB379_44:                             ;   in Loop: Header=BB379_45 Depth=2
	s_or_b64 exec, exec, s[6:7]
	v_lshl_or_b32 v12, v10, 11, v15
	;;#ASMSTART
	s_waitcnt vmcnt(1)
	;;#ASMEND
	ds_write2_b32 v12, v4, v5 offset1:32
	ds_write2_b32 v12, v6, v7 offset0:64 offset1:96
	v_add_u32_e32 v4, 0x400, v12
	v_add_u32_e32 v101, s58, v101
	;;#ASMSTART
	s_waitcnt vmcnt(0)
	;;#ASMEND
	ds_write2_b32 v4, v0, v1 offset1:32
	ds_write2_b32 v4, v2, v3 offset0:64 offset1:96
	v_add_u32_e32 v0, 1, v111
	v_add_u32_e32 v104, s58, v10
	v_cmp_le_i32_e32 vcc, s10, v101
	ds_write_b32 v11, v0 offset:32
	v_add_u32_e32 v0, 2, v111
	s_or_b64 s[4:5], vcc, s[4:5]
	v_cmp_lt_i32_e32 vcc, 11, v104
	s_nop 1
	v_cndmask_b32_e32 v111, v111, v0, vcc
	s_andn2_b64 exec, exec, s[4:5]
	s_cbranch_execz .LBB379_48
.LBB379_45:                             ;   Parent Loop BB379_7 Depth=1
                                        ; =>  This Loop Header: Depth=2
                                        ;       Child Loop BB379_47 Depth 3
	v_cmp_gt_i32_e32 vcc, 12, v104
	s_mov_b32 s6, 0x2aaaaaab
	s_nop 0
	v_cndmask_b32_e64 v0, -12, 0, vcc
	v_add_u32_e32 v10, v0, v104
	v_mul_hi_i32 v0, v101, s6
	v_lshrrev_b32_e32 v1, 31, v0
	v_add_u32_e32 v0, v0, v1
	v_mul_lo_u32 v1, v0, 6
	v_sub_u32_e32 v2, v101, v1
	v_lshlrev_b32_e32 v0, 6, v0
	v_ashrrev_i32_e32 v1, 31, v0
	v_mul_lo_u32 v2, s31, v2
	v_lshl_add_u64 v[0:1], v[8:9], 0, v[0:1]
	v_ashrrev_i32_e32 v3, 31, v2
	v_lshl_add_u64 v[0:1], v[0:1], 0, v[2:3]
	v_lshlrev_b32_e32 v11, 2, v10
	;;#ASMSTART
	global_load_dwordx4 v[4:7], v[0:1], off offset:0   sc0 sc1 nt  
	global_load_dwordx4 v[0:3], v[0:1], off offset:32  sc0 sc1 nt  
	
	;;#ASMEND
	ds_read_b32 v12, v11 offset:40992
	v_add_u32_e32 v11, 0xa000, v11
	s_waitcnt lgkmcnt(0)
	v_cmp_ne_u32_e32 vcc, v12, v111
	s_and_saveexec_b64 s[6:7], vcc
	s_cbranch_execz .LBB379_44
; %bb.46:                               ;   in Loop: Header=BB379_45 Depth=2
	s_mov_b64 s[8:9], 0
.LBB379_47:                             ;   Parent Loop BB379_7 Depth=1
                                        ;     Parent Loop BB379_45 Depth=2
                                        ; =>    This Inner Loop Header: Depth=3
	;;#ASMSTART
	s_sleep 0
	;;#ASMEND
	ds_read_b32 v12, v11 offset:32
	s_waitcnt lgkmcnt(0)
	v_cmp_eq_u32_e32 vcc, v12, v111
	s_or_b64 s[8:9], vcc, s[8:9]
	s_andn2_b64 exec, exec, s[8:9]
	s_cbranch_execnz .LBB379_47
	s_branch .LBB379_44
.LBB379_48:                             ;   in Loop: Header=BB379_7 Depth=1
	s_or_b64 exec, exec, s[4:5]
.LBB379_49:                             ;   in Loop: Header=BB379_7 Depth=1
	s_or_b64 exec, exec, s[2:3]
	v_subrev_u32_e32 v101, s10, v101
.LBB379_50:                             ;   in Loop: Header=BB379_7 Depth=1
	s_or_b64 exec, exec, s[0:1]
.LBB379_51:                             ;   in Loop: Header=BB379_7 Depth=1
	s_andn2_saveexec_b64 s[0:1], s[42:43]
	s_cbranch_execz .LBB379_6
; %bb.52:                               ;   in Loop: Header=BB379_7 Depth=1
	s_lshl_b32 s10, s41, 2
	v_cmp_gt_i32_e32 vcc, s10, v101
	s_and_saveexec_b64 s[2:3], vcc
	s_cbranch_execz .LBB379_5
; %bb.53:                               ;   in Loop: Header=BB379_7 Depth=1
	s_mul_i32 s4, s39, s54
	s_ashr_i32 s5, s4, 31
	s_add_u32 s4, s16, s4
	s_addc_u32 s5, s17, s5
	s_ashr_i32 s6, s40, 31
	s_add_u32 s4, s4, s40
	s_addc_u32 s5, s5, s6
	s_waitcnt vmcnt(2)
	v_add_u32_e32 v2, s92, v100
	s_movk_i32 s6, 0x80
	v_mul_lo_u32 v0, s54, v100
	v_cmp_gt_u32_e32 vcc, s6, v2
	v_sub_u32_e32 v10, 0x7f, v2
	s_nop 0
	v_cndmask_b32_e32 v0, 0, v0, vcc
	v_ashrrev_i32_e32 v1, 31, v0
	v_lshl_add_u64 v[0:1], s[4:5], 0, v[0:1]
	s_waitcnt vmcnt(1)
	v_lshl_add_u64 v[8:9], v[0:1], 0, v[16:17]
	s_mov_b64 s[4:5], 0
	s_branch .LBB379_55
.LBB379_54:                             ;   in Loop: Header=BB379_55 Depth=2
	s_or_b64 exec, exec, s[6:7]
	v_lshl_add_u32 v13, v11, 11, v124
	;;#ASMSTART
	s_waitcnt vmcnt(1)
	;;#ASMEND
	ds_write2_b32 v13, v4, v5 offset1:32
	ds_write2_b32 v13, v6, v7 offset0:64 offset1:96
	v_add_u32_e32 v4, 0x400, v13
	v_add_u32_e32 v101, s57, v101
	;;#ASMSTART
	s_waitcnt vmcnt(0)
	;;#ASMEND
	ds_write2_b32 v4, v0, v1 offset1:32
	ds_write2_b32 v4, v2, v3 offset0:64 offset1:96
	v_add_u32_e32 v0, 1, v111
	v_add_u32_e32 v104, s57, v11
	v_cmp_le_i32_e32 vcc, s10, v101
	ds_write_b32 v12, v0
	v_add_u32_e32 v0, 2, v111
	s_or_b64 s[4:5], vcc, s[4:5]
	v_cmp_lt_i32_e32 vcc, 7, v104
	s_nop 1
	v_cndmask_b32_e32 v111, v111, v0, vcc
	s_andn2_b64 exec, exec, s[4:5]
	s_cbranch_execz .LBB379_4
.LBB379_55:                             ;   Parent Loop BB379_7 Depth=1
                                        ; =>  This Loop Header: Depth=2
                                        ;       Child Loop BB379_57 Depth 3
	v_cmp_gt_i32_e32 vcc, 8, v104
	s_nop 1
	v_cndmask_b32_e64 v0, -8, 0, vcc
	v_add_u32_e32 v11, v0, v104
	v_ashrrev_i32_e32 v0, 31, v101
	v_lshrrev_b32_e32 v0, 30, v0
	v_add_u32_e32 v0, v101, v0
	v_and_b32_e32 v1, 0x7fffffc, v0
	v_sub_u32_e32 v1, v101, v1
	v_lshlrev_b32_e32 v1, 5, v1
	v_cmp_le_i32_e32 vcc, v1, v10
	v_lshlrev_b32_e32 v0, 4, v0
	v_and_b32_e32 v0, 0xffffffc0, v0
	v_cndmask_b32_e32 v2, 0, v1, vcc
	v_ashrrev_i32_e32 v1, 31, v0
	v_mul_lo_u32 v2, v2, s54
	v_lshl_add_u64 v[0:1], v[8:9], 0, v[0:1]
	v_ashrrev_i32_e32 v3, 31, v2
	v_lshl_add_u64 v[0:1], v[0:1], 0, v[2:3]
	v_lshlrev_b32_e32 v12, 2, v11
	;;#ASMSTART
	global_load_dwordx4 v[4:7], v[0:1], off offset:0   
	global_load_dwordx4 v[0:3], v[0:1], off offset:32  
	
	;;#ASMEND
	ds_read_b32 v13, v12 offset:40960
	v_add_u32_e32 v12, 0xa000, v12
	s_waitcnt lgkmcnt(0)
	v_cmp_ne_u32_e32 vcc, v13, v111
	s_and_saveexec_b64 s[6:7], vcc
	s_cbranch_execz .LBB379_54
; %bb.56:                               ;   in Loop: Header=BB379_55 Depth=2
	s_mov_b64 s[8:9], 0
.LBB379_57:                             ;   Parent Loop BB379_7 Depth=1
                                        ;     Parent Loop BB379_55 Depth=2
                                        ; =>    This Inner Loop Header: Depth=3
	;;#ASMSTART
	s_sleep 0
	;;#ASMEND
	ds_read_b32 v13, v12
	s_waitcnt lgkmcnt(0)
	v_cmp_eq_u32_e32 vcc, v13, v111
	s_or_b64 s[8:9], vcc, s[8:9]
	s_andn2_b64 exec, exec, s[8:9]
	s_cbranch_execnz .LBB379_57
	s_branch .LBB379_54
.LBB379_58:
	s_endpgm
	.section	.rodata,"a",@progbits
	.p2align	6, 0x0
	.amdhsa_kernel _Z19_skinny_gemm_kernelILi4ELi6ELi2ELi32ELi4EEvPKhS1_P6__halfPKfiiiiiiii
		.amdhsa_group_segment_fixed_size 41040
		.amdhsa_private_segment_fixed_size 108
		.amdhsa_kernarg_size 64
		.amdhsa_user_sgpr_count 2
		.amdhsa_user_sgpr_dispatch_ptr 0
		.amdhsa_user_sgpr_queue_ptr 0
		.amdhsa_user_sgpr_kernarg_segment_ptr 1
		.amdhsa_user_sgpr_dispatch_id 0
		.amdhsa_user_sgpr_kernarg_preload_length 0
		.amdhsa_user_sgpr_kernarg_preload_offset 0
		.amdhsa_user_sgpr_private_segment_size 0
		.amdhsa_uses_dynamic_stack 0
		.amdhsa_enable_private_segment 1
		.amdhsa_system_sgpr_workgroup_id_x 1
		.amdhsa_system_sgpr_workgroup_id_y 0
		.amdhsa_system_sgpr_workgroup_id_z 0
		.amdhsa_system_sgpr_workgroup_info 0
		.amdhsa_system_vgpr_workitem_id 0
		.amdhsa_next_free_vgpr 128
		.amdhsa_next_free_sgpr 100
		.amdhsa_accum_offset 128
		.amdhsa_reserve_vcc 1
		.amdhsa_float_round_mode_32 0
		.amdhsa_float_round_mode_16_64 0
		.amdhsa_float_denorm_mode_32 3
		.amdhsa_float_denorm_mode_16_64 3
		.amdhsa_dx10_clamp 1
		.amdhsa_ieee_mode 1
		.amdhsa_fp16_overflow 0
		.amdhsa_tg_split 0
		.amdhsa_exception_fp_ieee_invalid_op 0
		.amdhsa_exception_fp_denorm_src 0
		.amdhsa_exception_fp_ieee_div_zero 0
		.amdhsa_exception_fp_ieee_overflow 0
		.amdhsa_exception_fp_ieee_underflow 0
		.amdhsa_exception_fp_ieee_inexact 0
		.amdhsa_exception_int_div_zero 0
	.end_amdhsa_kernel
	.section	.text._Z19_skinny_gemm_kernelILi4ELi6ELi2ELi32ELi4EEvPKhS1_P6__halfPKfiiiiiiii,"axG",@progbits,_Z19_skinny_gemm_kernelILi4ELi6ELi2ELi32ELi4EEvPKhS1_P6__halfPKfiiiiiiii,comdat
.Lfunc_end379:
	.size	_Z19_skinny_gemm_kernelILi4ELi6ELi2ELi32ELi4EEvPKhS1_P6__halfPKfiiiiiiii, .Lfunc_end379-_Z19_skinny_gemm_kernelILi4ELi6ELi2ELi32ELi4EEvPKhS1_P6__halfPKfiiiiiiii
                                        ; -- End function
	.set _Z19_skinny_gemm_kernelILi4ELi6ELi2ELi32ELi4EEvPKhS1_P6__halfPKfiiiiiiii.num_vgpr, 128
	.set _Z19_skinny_gemm_kernelILi4ELi6ELi2ELi32ELi4EEvPKhS1_P6__halfPKfiiiiiiii.num_agpr, 0
	.set _Z19_skinny_gemm_kernelILi4ELi6ELi2ELi32ELi4EEvPKhS1_P6__halfPKfiiiiiiii.numbered_sgpr, 100
	.set _Z19_skinny_gemm_kernelILi4ELi6ELi2ELi32ELi4EEvPKhS1_P6__halfPKfiiiiiiii.num_named_barrier, 0
	.set _Z19_skinny_gemm_kernelILi4ELi6ELi2ELi32ELi4EEvPKhS1_P6__halfPKfiiiiiiii.private_seg_size, 108
	.set _Z19_skinny_gemm_kernelILi4ELi6ELi2ELi32ELi4EEvPKhS1_P6__halfPKfiiiiiiii.uses_vcc, 1
	.set _Z19_skinny_gemm_kernelILi4ELi6ELi2ELi32ELi4EEvPKhS1_P6__halfPKfiiiiiiii.uses_flat_scratch, 0
	.set _Z19_skinny_gemm_kernelILi4ELi6ELi2ELi32ELi4EEvPKhS1_P6__halfPKfiiiiiiii.has_dyn_sized_stack, 0
	.set _Z19_skinny_gemm_kernelILi4ELi6ELi2ELi32ELi4EEvPKhS1_P6__halfPKfiiiiiiii.has_recursion, 0
	.set _Z19_skinny_gemm_kernelILi4ELi6ELi2ELi32ELi4EEvPKhS1_P6__halfPKfiiiiiiii.has_indirect_call, 0
	.section	.AMDGPU.csdata,"",@progbits
; Kernel info:
; codeLenInByte = 20708
; TotalNumSgprs: 106
; NumVgprs: 128
; NumAgprs: 0
; TotalNumVgprs: 128
; ScratchSize: 108
; MemoryBound: 0
; FloatMode: 240
; IeeeMode: 1
; LDSByteSize: 41040 bytes/workgroup (compile time only)
; SGPRBlocks: 13
; VGPRBlocks: 15
; NumSGPRsForWavesPerEU: 106
; NumVGPRsForWavesPerEU: 128
; AccumOffset: 128
; Occupancy: 4
; WaveLimiterHint : 0
; COMPUTE_PGM_RSRC2:SCRATCH_EN: 1
; COMPUTE_PGM_RSRC2:USER_SGPR: 2
; COMPUTE_PGM_RSRC2:TRAP_HANDLER: 0
; COMPUTE_PGM_RSRC2:TGID_X_EN: 1
; COMPUTE_PGM_RSRC2:TGID_Y_EN: 0
; COMPUTE_PGM_RSRC2:TGID_Z_EN: 0
; COMPUTE_PGM_RSRC2:TIDIG_COMP_CNT: 0
; COMPUTE_PGM_RSRC3_GFX90A:ACCUM_OFFSET: 31
; COMPUTE_PGM_RSRC3_GFX90A:TG_SPLIT: 0
	.section	.text._Z19_skinny_gemm_kernelILi4ELi6ELi3ELi16ELi4EEvPKhS1_P6__halfPKfiiiiiiii,"axG",@progbits,_Z19_skinny_gemm_kernelILi4ELi6ELi3ELi16ELi4EEvPKhS1_P6__halfPKfiiiiiiii,comdat
	.protected	_Z19_skinny_gemm_kernelILi4ELi6ELi3ELi16ELi4EEvPKhS1_P6__halfPKfiiiiiiii ; -- Begin function _Z19_skinny_gemm_kernelILi4ELi6ELi3ELi16ELi4EEvPKhS1_P6__halfPKfiiiiiiii
	.globl	_Z19_skinny_gemm_kernelILi4ELi6ELi3ELi16ELi4EEvPKhS1_P6__halfPKfiiiiiiii
	.p2align	8
	.type	_Z19_skinny_gemm_kernelILi4ELi6ELi3ELi16ELi4EEvPKhS1_P6__halfPKfiiiiiiii,@function
_Z19_skinny_gemm_kernelILi4ELi6ELi3ELi16ELi4EEvPKhS1_P6__halfPKfiiiiiiii: ; @_Z19_skinny_gemm_kernelILi4ELi6ELi3ELi16ELi4EEvPKhS1_P6__halfPKfiiiiiiii
; %bb.0:
	v_cmp_gt_u32_e32 vcc, 30, v0
	v_lshlrev_b32_e32 v1, 2, v0
	s_and_saveexec_b64 s[4:5], vcc
; %bb.1:
	v_mov_b32_e32 v2, 0
	ds_write_b32 v1, v2 offset:61440
; %bb.2:
	s_or_b64 exec, exec, s[4:5]
	s_load_dwordx8 s[20:27], s[0:1], 0x20
	s_mov_b32 s58, 0x2aaaaaab
	s_waitcnt lgkmcnt(0)
	s_barrier
	s_add_i32 s3, s20, 63
	s_ashr_i32 s5, s3, 31
	s_lshr_b32 s5, s5, 26
	s_add_i32 s4, s21, 0x5f
	s_add_i32 s3, s3, s5
	s_ashr_i32 s33, s3, 6
	s_mul_hi_i32 s3, s4, 0x2aaaaaab
	s_lshr_b32 s4, s3, 31
	s_ashr_i32 s56, s3, 4
	s_add_i32 s56, s56, s4
	s_mul_i32 s3, s56, s33
	s_mul_i32 s3, s3, s24
	s_add_i32 s4, s3, 0x12f
	s_mul_hi_i32 s4, s4, 0x6bca1af3
	s_lshr_b32 s5, s4, 31
	s_ashr_i32 s4, s4, 7
	s_add_i32 s4, s4, s5
	s_add_i32 s5, s2, 1
	s_mul_i32 s5, s4, s5
	v_cvt_f64_i32_e32 v[2:3], s3
	v_cvt_f64_u32_e32 v[4:5], s5
	v_min_f64 v[2:3], v[2:3], v[4:5]
	v_cvt_i32_f64_e32 v17, v[2:3]
	s_mul_i32 s57, s4, s2
	v_cmp_ge_i32_e32 vcc, s57, v17
	s_cbranch_vccnz .LBB380_72
; %bb.3:
	v_lshrrev_b32_e32 v3, 6, v0
	s_add_i32 s4, s26, s25
	s_load_dwordx8 s[36:43], s[0:1], 0x0
	v_cmp_le_i32_e64 s[0:1], s4, v3
	v_mov_b32_e32 v2, s25
	v_cmp_le_i32_e64 s[2:3], s25, v3
	v_mov_b32_e32 v4, s26
	v_cndmask_b32_e64 v4, 0, v4, s[0:1]
	v_cndmask_b32_e64 v2, 0, v2, s[2:3]
	s_abs_i32 s5, s24
	v_add_u32_e32 v2, v2, v4
	v_cvt_f32_u32_e32 v4, s5
	s_ashr_i32 s6, s22, 31
	s_lshr_b32 s6, s6, 25
	s_sub_i32 s9, 0, s5
	v_rcp_iflag_f32_e32 v4, v4
	s_add_i32 s6, s22, s6
	s_ashr_i32 s6, s6, 7
	s_abs_i32 s8, s6
	v_mul_f32_e32 v4, 0x4f7ffffe, v4
	v_cvt_u32_f32_e32 v4, v4
	s_xor_b32 s7, s6, s24
	s_ashr_i32 s7, s7, 31
	v_sub_u32_e32 v2, v3, v2
	v_readfirstlane_b32 s10, v4
	s_mul_i32 s9, s9, s10
	s_mul_hi_u32 s9, s10, s9
	s_add_i32 s10, s10, s9
	s_mul_hi_u32 s9, s8, s10
	s_mul_i32 s10, s9, s5
	s_sub_i32 s8, s8, s10
	s_add_i32 s10, s9, 1
	s_sub_i32 s11, s8, s5
	s_cmp_ge_u32 s8, s5
	s_cselect_b32 s9, s10, s9
	s_cselect_b32 s8, s11, s8
	s_add_i32 s10, s9, 1
	s_cmp_ge_u32 s8, s5
	s_cselect_b32 s5, s10, s9
	s_xor_b32 s5, s5, s7
	s_sub_i32 s59, s5, s7
	s_add_i32 s24, s24, -1
	s_mul_i32 s5, s59, s24
	s_add_i32 s4, s4, s27
	s_sub_i32 s60, s6, s5
	v_cmp_gt_i32_e64 s[4:5], s4, v3
	v_lshlrev_b32_e32 v3, 1, v0
	v_lshlrev_b32_e32 v4, 4, v0
	v_and_b32_e32 v1, 60, v1
	v_and_b32_e32 v3, 64, v3
	;; [unrolled: 1-line block ×3, first 2 shown]
	v_bfe_u32 v20, v0, 2, 4
	v_or3_b32 v30, v1, v3, v5
	v_and_b32_e32 v8, 14, v0
	v_and_b32_e32 v1, 1, v0
	v_lshrrev_b32_e32 v5, 2, v0
	v_bitop3_b32 v6, v0, 1, v0 bitop3:0xc
	v_and_b32_e32 v18, 48, v4
	v_mul_lo_u32 v4, s23, v20
	v_lshlrev_b32_e32 v3, 1, v1
	scratch_store_dword off, v6, off offset:100 ; 4-byte Folded Spill
	v_and_or_b32 v1, v5, 12, v1
	v_mov_b32_e32 v6, v8
	v_ashrrev_i32_e32 v5, 31, v4
	s_abs_i32 s61, s33
	scratch_store_dwordx2 off, v[6:7], off offset:116 ; 8-byte Folded Spill
	scratch_store_dword off, v1, off offset:104 ; 4-byte Folded Spill
	scratch_store_dwordx2 off, v[4:5], off offset:140 ; 8-byte Folded Spill
	v_cvt_f32_u32_e32 v4, s61
	v_sub_u32_e32 v3, v0, v3
	v_bitop3_b32 v94, v0, 3, 1 bitop3:0x6c
	v_mad_u64_u32 v[6:7], s[6:7], s21, v1, v[8:9]
	v_and_b32_e32 v1, 60, v0
	v_lshlrev_b32_e32 v5, 8, v0
	v_lshlrev_b32_e32 v0, 6, v0
	v_and_b32_e32 v5, 0x200, v5
	v_rcp_iflag_f32_e32 v4, v4
	v_and_b32_e32 v0, 64, v0
	s_abs_i32 s63, s56
	v_or3_b32 v11, v1, v5, v0
	v_cvt_f32_u32_e32 v1, s63
	v_mul_f32_e32 v0, 0x4f7ffffe, v4
	v_cvt_u32_f32_e32 v0, v0
	v_ashrrev_i32_e32 v7, 31, v6
	v_rcp_iflag_f32_e32 v1, v1
	s_lshl_b32 s6, s21, 4
	scratch_store_dwordx2 off, v[6:7], off offset:148 ; 8-byte Folded Spill
	v_add_u32_e32 v6, s6, v6
	v_ashrrev_i32_e32 v7, 31, v6
	scratch_store_dwordx2 off, v[6:7], off offset:156 ; 8-byte Folded Spill
	v_add_u32_e32 v6, s6, v6
	v_readfirstlane_b32 s7, v0
	v_mul_f32_e32 v0, 0x4f7ffffe, v1
	v_ashrrev_i32_e32 v7, 31, v6
	v_cvt_u32_f32_e32 v0, v0
	scratch_store_dwordx2 off, v[6:7], off offset:164 ; 8-byte Folded Spill
	v_add_u32_e32 v6, s6, v6
	s_sub_i32 s6, 0, s61
	s_mul_i32 s6, s6, s7
	s_mul_hi_u32 s6, s7, s6
	v_add_u32_e32 v3, 1, v3
	s_add_i32 s65, s7, s6
	s_sub_i32 s6, 0, s63
	v_readfirstlane_b32 s7, v0
	v_mbcnt_lo_u32_b32 v0, -1, 0
	v_and_b32_e32 v3, 63, v3
	s_mul_i32 s6, s6, s7
	v_mbcnt_hi_u32_b32 v0, -1, v0
	s_mul_hi_u32 s6, s7, s6
	v_and_or_b32 v0, v0, 64, v3
	v_cndmask_b32_e64 v10, 0, 1, s[0:1]
	s_ashr_i32 s29, s21, 31
	s_mov_b32 s28, s21
	v_ashrrev_i32_e32 v7, 31, v6
	v_mov_b32_e32 v19, 0
	s_lshl_b32 s62, s23, 4
	s_ashr_i32 s64, s33, 31
	s_ashr_i32 s66, s56, 31
	s_add_i32 s67, s7, s6
	s_movk_i32 s68, 0x3000
	s_mov_b64 s[30:31], 0x60
	s_mov_b64 s[34:35], 0x80
	;; [unrolled: 1-line block ×3, first 2 shown]
	v_lshlrev_b32_e32 v0, 2, v0
	v_mov_b32_e32 v12, v2
	scratch_store_dwordx2 off, v[6:7], off offset:172 ; 8-byte Folded Spill
	scratch_store_dword off, v0, off offset:108 ; 4-byte Folded Spill
	scratch_store_dword off, v17, off offset:112 ; 4-byte Folded Spill
	;; [unrolled: 1-line block ×3, first 2 shown]
	scratch_store_dwordx2 off, v[18:19], off offset:128 ; 8-byte Folded Spill
	scratch_store_dword off, v20, off offset:136 ; 4-byte Folded Spill
	s_branch .LBB380_7
.LBB380_4:                              ;   in Loop: Header=BB380_7 Depth=1
	s_or_b64 exec, exec, s[10:11]
.LBB380_5:                              ;   in Loop: Header=BB380_7 Depth=1
	s_or_b64 exec, exec, s[8:9]
	v_subrev_u32_e32 v12, s16, v12
.LBB380_6:                              ;   in Loop: Header=BB380_7 Depth=1
	s_or_b64 exec, exec, s[6:7]
	s_add_i32 s57, s57, 1
	s_waitcnt vmcnt(2)
	v_cmp_ge_i32_e32 vcc, s57, v17
	s_cbranch_vccnz .LBB380_72
.LBB380_7:                              ; =>This Loop Header: Depth=1
                                        ;     Child Loop BB380_13 Depth 2
                                        ;       Child Loop BB380_15 Depth 3
                                        ;       Child Loop BB380_18 Depth 3
	;; [unrolled: 1-line block ×10, first 2 shown]
                                        ;     Child Loop BB380_59 Depth 2
                                        ;       Child Loop BB380_61 Depth 3
                                        ;     Child Loop BB380_69 Depth 2
                                        ;       Child Loop BB380_71 Depth 3
	s_abs_i32 s7, s57
	s_mul_hi_u32 s8, s7, s65
	s_mul_i32 s9, s8, s61
	s_ashr_i32 s6, s57, 31
	s_sub_i32 s7, s7, s9
	s_xor_b32 s6, s6, s64
	s_add_i32 s9, s8, 1
	s_sub_i32 s10, s7, s61
	s_cmp_ge_u32 s7, s61
	s_cselect_b32 s8, s9, s8
	s_cselect_b32 s7, s10, s7
	s_add_i32 s9, s8, 1
	s_cmp_ge_u32 s7, s61
	s_cselect_b32 s7, s9, s8
	s_xor_b32 s7, s7, s6
	s_sub_i32 s6, s7, s6
	s_abs_i32 s8, s6
	s_mul_i32 s7, s6, s33
	s_mul_hi_u32 s9, s8, s67
	s_sub_i32 s7, s57, s7
	s_mul_i32 s10, s9, s63
	s_lshl_b32 s69, s7, 6
	s_ashr_i32 s7, s6, 31
	s_sub_i32 s8, s8, s10
	s_xor_b32 s7, s7, s66
	s_add_i32 s10, s9, 1
	s_sub_i32 s11, s8, s63
	s_cmp_ge_u32 s8, s63
	s_cselect_b32 s9, s10, s9
	s_cselect_b32 s8, s11, s8
	s_add_i32 s10, s9, 1
	s_cmp_ge_u32 s8, s63
	s_cselect_b32 s8, s10, s9
	s_xor_b32 s8, s8, s7
	s_sub_i32 s7, s8, s7
	s_mul_i32 s8, s7, s59
	s_lshl_b32 s70, s8, 7
	s_cmp_eq_u32 s7, s24
	s_cselect_b32 s72, s60, s59
	s_sub_i32 s8, s69, s20
	s_add_i32 s8, s8, 64
	s_max_i32 s71, s8, 0
	s_and_saveexec_b64 s[8:9], s[2:3]
	s_xor_b64 s[46:47], exec, s[8:9]
	s_cbranch_execz .LBB380_65
; %bb.8:                                ;   in Loop: Header=BB380_7 Depth=1
	s_mul_i32 s7, s7, s56
	s_sub_i32 s6, s6, s7
	s_mulk_i32 s6, 0x60
	s_sub_i32 s49, s6, s21
	s_addk_i32 s49, 0x60
	s_max_i32 s7, s49, 0
	s_sub_i32 s48, s6, s7
	s_and_saveexec_b64 s[6:7], s[0:1]
	s_xor_b64 s[50:51], exec, s[6:7]
	s_cbranch_execz .LBB380_55
; %bb.9:                                ;   in Loop: Header=BB380_7 Depth=1
	s_and_saveexec_b64 s[52:53], s[4:5]
	s_cbranch_execz .LBB380_54
; %bb.10:                               ;   in Loop: Header=BB380_7 Depth=1
	s_waitcnt vmcnt(1) lgkmcnt(0)
	global_load_dword v0, v19, s[42:43]
	v_mov_b32_e32 v91, 0
	v_cmp_gt_i32_e32 vcc, s72, v12
	v_mov_b32_e32 v90, v91
	v_mov_b32_e32 v89, v91
	;; [unrolled: 1-line block ×75, first 2 shown]
	scratch_store_dwordx4 off, v[4:7], off  ; 16-byte Folded Spill
	s_waitcnt vmcnt(1)
	scratch_store_dword off, v0, off offset:96 ; 4-byte Folded Spill
	scratch_store_dwordx4 off, v[4:7], off offset:80 ; 16-byte Folded Spill
	scratch_store_dwordx4 off, v[4:7], off offset:64 ; 16-byte Folded Spill
	;; [unrolled: 1-line block ×5, first 2 shown]
	s_and_saveexec_b64 s[6:7], vcc
	s_cbranch_execz .LBB380_44
; %bb.11:                               ;   in Loop: Header=BB380_7 Depth=1
	v_mov_b32_e32 v16, 0
	s_mov_b64 s[8:9], 0
	v_mov_b32_e32 v17, v16
	v_mov_b32_e32 v18, v16
	v_mov_b32_e32 v19, v16
	v_mov_b32_e32 v4, v16
	v_mov_b32_e32 v5, v16
	v_mov_b32_e32 v6, v16
	v_mov_b32_e32 v7, v16
	v_mov_b32_e32 v24, v16
	v_mov_b32_e32 v25, v16
	v_mov_b32_e32 v26, v16
	v_mov_b32_e32 v27, v16
	v_mov_b32_e32 v32, v16
	v_mov_b32_e32 v33, v16
	v_mov_b32_e32 v34, v16
	v_mov_b32_e32 v35, v16
	v_mov_b32_e32 v36, v16
	v_mov_b32_e32 v37, v16
	v_mov_b32_e32 v38, v16
	v_mov_b32_e32 v39, v16
	v_mov_b32_e32 v40, v16
	v_mov_b32_e32 v41, v16
	v_mov_b32_e32 v42, v16
	v_mov_b32_e32 v43, v16
	v_mov_b32_e32 v44, v16
	v_mov_b32_e32 v45, v16
	v_mov_b32_e32 v46, v16
	v_mov_b32_e32 v47, v16
	v_mov_b32_e32 v48, v16
	v_mov_b32_e32 v49, v16
	v_mov_b32_e32 v50, v16
	v_mov_b32_e32 v51, v16
	v_mov_b32_e32 v52, v16
	v_mov_b32_e32 v53, v16
	v_mov_b32_e32 v54, v16
	v_mov_b32_e32 v55, v16
	v_mov_b32_e32 v56, v16
	v_mov_b32_e32 v57, v16
	v_mov_b32_e32 v58, v16
	v_mov_b32_e32 v59, v16
	v_mov_b32_e32 v60, v16
	v_mov_b32_e32 v61, v16
	v_mov_b32_e32 v62, v16
	v_mov_b32_e32 v63, v16
	v_mov_b32_e32 v64, v16
	v_mov_b32_e32 v65, v16
	v_mov_b32_e32 v66, v16
	v_mov_b32_e32 v67, v16
	v_mov_b32_e32 v68, v16
	v_mov_b32_e32 v69, v16
	v_mov_b32_e32 v70, v16
	v_mov_b32_e32 v71, v16
	v_mov_b32_e32 v92, v16
	v_mov_b32_e32 v93, v16
	v_mov_b32_e32 v94, v16
	v_mov_b32_e32 v95, v16
	v_mov_b32_e32 v72, v16
	v_mov_b32_e32 v73, v16
	v_mov_b32_e32 v74, v16
	v_mov_b32_e32 v75, v16
	v_mov_b32_e32 v76, v16
	v_mov_b32_e32 v77, v16
	v_mov_b32_e32 v78, v16
	v_mov_b32_e32 v79, v16
	v_mov_b32_e32 v80, v16
	v_mov_b32_e32 v81, v16
	v_mov_b32_e32 v82, v16
	v_mov_b32_e32 v83, v16
	v_mov_b32_e32 v84, v16
	v_mov_b32_e32 v85, v16
	v_mov_b32_e32 v86, v16
	v_mov_b32_e32 v87, v16
	v_mov_b32_e32 v88, v16
	v_mov_b32_e32 v89, v16
	v_mov_b32_e32 v90, v16
	v_mov_b32_e32 v91, v16
	scratch_store_dwordx4 off, v[4:7], off offset:16 ; 16-byte Folded Spill
	scratch_store_dwordx4 off, v[4:7], off offset:32 ; 16-byte Folded Spill
	;; [unrolled: 1-line block ×5, first 2 shown]
	scratch_store_dwordx4 off, v[4:7], off  ; 16-byte Folded Spill
	s_branch .LBB380_13
.LBB380_12:                             ;   in Loop: Header=BB380_13 Depth=2
	s_or_b64 exec, exec, s[10:11]
	v_add_u32_e32 v1, 0x2800, v0
	ds_read2_b32 v[6:7], v1 offset1:32
	ds_read2_b32 v[20:21], v1 offset0:128 offset1:160
	v_add_u32_e32 v8, 0x2c00, v0
	ds_read2_b32 v[22:23], v8 offset1:32
	ds_read2_b32 v[28:29], v8 offset0:128 offset1:160
	s_waitcnt lgkmcnt(3)
	v_mfma_f32_16x16x32_fp8_fp8 v[2:5], v[116:117], v[6:7], v[92:95]
	v_add_u32_e32 v12, s27, v12
	;;#ASMSTART
	s_waitcnt lgkmcnt(0)
	;;#ASMEND
	ds_write_b32 v13, v14 offset:61508
	s_waitcnt lgkmcnt(3)
	v_mfma_f32_16x16x32_fp8_fp8 v[0:3], v[112:113], v[20:21], v[2:5]
	s_waitcnt lgkmcnt(2)
	v_mfma_f32_16x16x32_fp8_fp8 v[0:3], v[114:115], v[22:23], v[0:3]
	;; [unrolled: 2-line block ×3, first 2 shown]
	v_mfma_f32_16x16x32_fp8_fp8 v[0:3], v[118:119], v[6:7], v[48:51]
	v_mfma_f32_16x16x32_fp8_fp8 v[0:3], v[120:121], v[20:21], v[0:3]
	;; [unrolled: 1-line block ×11, first 2 shown]
	s_nop 5
	v_add_u32_e32 v2, s27, v9
	v_add_u32_e32 v0, 2, v10
	v_cmp_lt_i32_e32 vcc, 2, v2
	v_mfma_f32_16x16x32_fp8_fp8 v[16:19], v[98:99], v[28:29], v[4:7]
	s_nop 0
	v_cndmask_b32_e32 v10, v10, v0, vcc
	v_cmp_le_i32_e32 vcc, s72, v12
	s_or_b64 s[8:9], vcc, s[8:9]
	s_andn2_b64 exec, exec, s[8:9]
	s_cbranch_execz .LBB380_43
.LBB380_13:                             ;   Parent Loop BB380_7 Depth=1
                                        ; =>  This Loop Header: Depth=2
                                        ;       Child Loop BB380_15 Depth 3
                                        ;       Child Loop BB380_18 Depth 3
	;; [unrolled: 1-line block ×10, first 2 shown]
	v_cmp_gt_i32_e32 vcc, 3, v2
	s_nop 1
	v_cndmask_b32_e64 v0, -3, 0, vcc
	v_add_u32_e32 v9, v0, v2
	v_mul_lo_u32 v13, v9, 24
	ds_read_b32 v0, v13 offset:61488
	s_waitcnt lgkmcnt(0)
	v_cmp_ne_u32_e32 vcc, v0, v10
	s_and_saveexec_b64 s[10:11], vcc
	s_cbranch_execz .LBB380_16
; %bb.14:                               ;   in Loop: Header=BB380_13 Depth=2
	s_mov_b64 s[12:13], 0
.LBB380_15:                             ;   Parent Loop BB380_7 Depth=1
                                        ;     Parent Loop BB380_13 Depth=2
                                        ; =>    This Inner Loop Header: Depth=3
	;;#ASMSTART
	s_sleep 0
	;;#ASMEND
	ds_read_b32 v0, v13 offset:61488
	s_waitcnt lgkmcnt(0)
	v_cmp_eq_u32_e32 vcc, v0, v10
	s_or_b64 s[12:13], vcc, s[12:13]
	s_andn2_b64 exec, exec, s[12:13]
	s_cbranch_execnz .LBB380_15
.LBB380_16:                             ;   in Loop: Header=BB380_13 Depth=2
	s_or_b64 exec, exec, s[10:11]
	v_mul_lo_u32 v15, v9, s68
	v_or_b32_e32 v0, v30, v15
	ds_read2_b32 v[96:97], v0 offset1:32
	ds_read2_b32 v[98:99], v0 offset0:128 offset1:160
	v_add_u32_e32 v0, 0x400, v0
	v_add_u32_e32 v14, 1, v10
	ds_read2_b32 v[2:3], v0 offset1:32
	ds_read2_b32 v[0:1], v0 offset0:128 offset1:160
	;;#ASMSTART
	s_waitcnt lgkmcnt(0)
	;;#ASMEND
	ds_write_b32 v13, v14 offset:61488
	v_lshlrev_b32_e32 v8, 4, v9
	ds_read_b32 v4, v8 offset:61440
	s_waitcnt lgkmcnt(0)
	v_cmp_ne_u32_e32 vcc, v4, v10
	s_and_saveexec_b64 s[10:11], vcc
	s_cbranch_execz .LBB380_19
; %bb.17:                               ;   in Loop: Header=BB380_13 Depth=2
	s_mov_b64 s[12:13], 0
.LBB380_18:                             ;   Parent Loop BB380_7 Depth=1
                                        ;     Parent Loop BB380_13 Depth=2
                                        ; =>    This Inner Loop Header: Depth=3
	;;#ASMSTART
	s_sleep 0
	;;#ASMEND
	ds_read_b32 v4, v8 offset:61440
	s_waitcnt lgkmcnt(0)
	v_cmp_eq_u32_e32 vcc, v4, v10
	s_or_b64 s[12:13], vcc, s[12:13]
	s_andn2_b64 exec, exec, s[12:13]
	s_cbranch_execnz .LBB380_18
.LBB380_19:                             ;   in Loop: Header=BB380_13 Depth=2
	s_or_b64 exec, exec, s[10:11]
	v_lshlrev_b32_e32 v4, 13, v9
	v_or_b32_e32 v5, 0x9000, v30
	v_add_u32_e32 v4, v5, v4
	ds_read2_b32 v[116:117], v4 offset1:32
	ds_read2_b32 v[112:113], v4 offset0:128 offset1:160
	v_add_u32_e32 v5, 0x400, v4
	ds_read2_b32 v[114:115], v5 offset1:32
	ds_read2_b32 v[110:111], v5 offset0:128 offset1:160
	s_waitcnt lgkmcnt(3)
	v_mfma_f32_16x16x32_fp8_fp8 v[88:91], v[116:117], v[96:97], v[88:91]
	ds_read_b32 v5, v8 offset:61444
	ds_write_b32 v8, v14 offset:61440
	s_waitcnt lgkmcnt(1)
	v_cmp_ne_u32_e32 vcc, v5, v10
	v_mfma_f32_16x16x32_fp8_fp8 v[88:91], v[112:113], v[98:99], v[88:91]
	v_mfma_f32_16x16x32_fp8_fp8 v[88:91], v[114:115], v[2:3], v[88:91]
	;; [unrolled: 1-line block ×3, first 2 shown]
	s_and_saveexec_b64 s[10:11], vcc
	s_cbranch_execz .LBB380_22
; %bb.20:                               ;   in Loop: Header=BB380_13 Depth=2
	s_mov_b64 s[12:13], 0
.LBB380_21:                             ;   Parent Loop BB380_7 Depth=1
                                        ;     Parent Loop BB380_13 Depth=2
                                        ; =>    This Inner Loop Header: Depth=3
	;;#ASMSTART
	s_sleep 0
	;;#ASMEND
	ds_read_b32 v5, v8 offset:61444
	s_waitcnt lgkmcnt(0)
	v_cmp_eq_u32_e32 vcc, v5, v10
	s_or_b64 s[12:13], vcc, s[12:13]
	s_andn2_b64 exec, exec, s[12:13]
	s_cbranch_execnz .LBB380_21
.LBB380_22:                             ;   in Loop: Header=BB380_13 Depth=2
	s_or_b64 exec, exec, s[10:11]
	v_add_u32_e32 v5, 0x800, v4
	ds_read2_b32 v[118:119], v5 offset1:32
	ds_read2_b32 v[120:121], v5 offset0:128 offset1:160
	v_add_u32_e32 v5, 0xc00, v4
	ds_read2_b32 v[122:123], v5 offset1:32
	ds_read2_b32 v[124:125], v5 offset0:128 offset1:160
	ds_read_b32 v5, v8 offset:61448
	s_waitcnt lgkmcnt(4)
	v_mfma_f32_16x16x32_fp8_fp8 v[68:71], v[118:119], v[96:97], v[68:71]
	ds_write_b32 v8, v14 offset:61444
	s_waitcnt lgkmcnt(1)
	v_cmp_ne_u32_e32 vcc, v5, v10
	v_mfma_f32_16x16x32_fp8_fp8 v[68:71], v[120:121], v[98:99], v[68:71]
	v_mfma_f32_16x16x32_fp8_fp8 v[68:71], v[122:123], v[2:3], v[68:71]
	;; [unrolled: 1-line block ×3, first 2 shown]
	s_and_saveexec_b64 s[10:11], vcc
	s_cbranch_execz .LBB380_25
; %bb.23:                               ;   in Loop: Header=BB380_13 Depth=2
	s_mov_b64 s[12:13], 0
.LBB380_24:                             ;   Parent Loop BB380_7 Depth=1
                                        ;     Parent Loop BB380_13 Depth=2
                                        ; =>    This Inner Loop Header: Depth=3
	;;#ASMSTART
	s_sleep 0
	;;#ASMEND
	ds_read_b32 v5, v8 offset:61448
	s_waitcnt lgkmcnt(0)
	v_cmp_eq_u32_e32 vcc, v5, v10
	s_or_b64 s[12:13], vcc, s[12:13]
	s_andn2_b64 exec, exec, s[12:13]
	s_cbranch_execnz .LBB380_24
.LBB380_25:                             ;   in Loop: Header=BB380_13 Depth=2
	s_or_b64 exec, exec, s[10:11]
	v_add_u32_e32 v5, 0x1000, v4
	ds_read2_b32 v[126:127], v5 offset1:32
	ds_read2_b32 v[104:105], v5 offset0:128 offset1:160
	v_add_u32_e32 v5, 0x1400, v4
	ds_read2_b32 v[102:103], v5 offset1:32
	ds_read2_b32 v[100:101], v5 offset0:128 offset1:160
	ds_read_b32 v5, v8 offset:61452
	s_waitcnt lgkmcnt(4)
	v_mfma_f32_16x16x32_fp8_fp8 v[44:47], v[126:127], v[96:97], v[44:47]
	ds_write_b32 v8, v14 offset:61448
	s_waitcnt lgkmcnt(1)
	v_cmp_ne_u32_e32 vcc, v5, v10
	v_mfma_f32_16x16x32_fp8_fp8 v[44:47], v[104:105], v[98:99], v[44:47]
	v_mfma_f32_16x16x32_fp8_fp8 v[44:47], v[102:103], v[2:3], v[44:47]
	;; [unrolled: 1-line block ×3, first 2 shown]
	s_and_saveexec_b64 s[10:11], vcc
	s_cbranch_execz .LBB380_28
; %bb.26:                               ;   in Loop: Header=BB380_13 Depth=2
	s_mov_b64 s[12:13], 0
.LBB380_27:                             ;   Parent Loop BB380_7 Depth=1
                                        ;     Parent Loop BB380_13 Depth=2
                                        ; =>    This Inner Loop Header: Depth=3
	;;#ASMSTART
	s_sleep 0
	;;#ASMEND
	ds_read_b32 v5, v8 offset:61452
	s_waitcnt lgkmcnt(0)
	v_cmp_eq_u32_e32 vcc, v5, v10
	s_or_b64 s[12:13], vcc, s[12:13]
	s_andn2_b64 exec, exec, s[12:13]
	s_cbranch_execnz .LBB380_27
.LBB380_28:                             ;   in Loop: Header=BB380_13 Depth=2
	s_or_b64 exec, exec, s[10:11]
	v_add_u32_e32 v5, 0x1800, v4
	ds_read2_b32 v[108:109], v5 offset1:32
	ds_read2_b32 v[106:107], v5 offset0:128 offset1:160
	v_add_u32_e32 v20, 0x1c00, v4
	scratch_load_dwordx4 v[4:7], off, off offset:80 ; 16-byte Folded Reload
	ds_write_b32 v8, v14 offset:61452
	s_waitcnt vmcnt(0) lgkmcnt(2)
	v_mfma_f32_16x16x32_fp8_fp8 v[4:7], v[108:109], v[96:97], v[4:7]
	ds_read2_b32 v[96:97], v20 offset1:32
	s_waitcnt lgkmcnt(2)
	v_mfma_f32_16x16x32_fp8_fp8 v[4:7], v[106:107], v[98:99], v[4:7]
	ds_read2_b32 v[98:99], v20 offset0:128 offset1:160
	s_waitcnt lgkmcnt(1)
	v_mfma_f32_16x16x32_fp8_fp8 v[2:5], v[96:97], v[2:3], v[4:7]
	s_nop 4
	ds_read_b32 v6, v13 offset:61492
	s_waitcnt lgkmcnt(1)
	v_mfma_f32_16x16x32_fp8_fp8 v[0:3], v[98:99], v[0:1], v[2:5]
	s_waitcnt lgkmcnt(0)
	v_cmp_ne_u32_e32 vcc, v6, v10
	s_nop 5
	scratch_store_dwordx4 off, v[0:3], off offset:80 ; 16-byte Folded Spill
	s_and_saveexec_b64 s[10:11], vcc
	s_cbranch_execz .LBB380_31
; %bb.29:                               ;   in Loop: Header=BB380_13 Depth=2
	s_mov_b64 s[12:13], 0
.LBB380_30:                             ;   Parent Loop BB380_7 Depth=1
                                        ;     Parent Loop BB380_13 Depth=2
                                        ; =>    This Inner Loop Header: Depth=3
	;;#ASMSTART
	s_sleep 0
	;;#ASMEND
	ds_read_b32 v0, v13 offset:61492
	s_waitcnt lgkmcnt(0)
	v_cmp_eq_u32_e32 vcc, v0, v10
	s_or_b64 s[12:13], vcc, s[12:13]
	s_andn2_b64 exec, exec, s[12:13]
	s_cbranch_execnz .LBB380_30
.LBB380_31:                             ;   in Loop: Header=BB380_13 Depth=2
	s_or_b64 exec, exec, s[10:11]
	v_add_u32_e32 v0, v30, v15
	v_add_u32_e32 v1, 0x800, v0
	ds_read2_b32 v[6:7], v1 offset1:32
	ds_read2_b32 v[20:21], v1 offset0:128 offset1:160
	v_add_u32_e32 v1, 0xc00, v0
	ds_read2_b32 v[22:23], v1 offset1:32
	ds_read2_b32 v[28:29], v1 offset0:128 offset1:160
	s_waitcnt lgkmcnt(3)
	v_mfma_f32_16x16x32_fp8_fp8 v[2:5], v[116:117], v[6:7], v[84:87]
	s_waitcnt lgkmcnt(2)
	v_mfma_f32_16x16x32_fp8_fp8 v[2:5], v[112:113], v[20:21], v[2:5]
	v_mfma_f32_16x16x32_fp8_fp8 v[64:67], v[118:119], v[6:7], v[64:67]
	s_waitcnt lgkmcnt(1)
	v_mfma_f32_16x16x32_fp8_fp8 v[2:5], v[114:115], v[22:23], v[2:5]
	s_waitcnt lgkmcnt(0)
	v_mfma_f32_16x16x32_fp8_fp8 v[84:87], v[110:111], v[28:29], v[2:5]
	v_mfma_f32_16x16x32_fp8_fp8 v[2:5], v[120:121], v[20:21], v[64:67]
	v_mfma_f32_16x16x32_fp8_fp8 v[2:5], v[122:123], v[22:23], v[2:5]
	v_mfma_f32_16x16x32_fp8_fp8 v[64:67], v[124:125], v[28:29], v[2:5]
	v_mfma_f32_16x16x32_fp8_fp8 v[2:5], v[126:127], v[6:7], v[40:43]
	v_mfma_f32_16x16x32_fp8_fp8 v[2:5], v[104:105], v[20:21], v[2:5]
	v_mfma_f32_16x16x32_fp8_fp8 v[2:5], v[102:103], v[22:23], v[2:5]
	v_mfma_f32_16x16x32_fp8_fp8 v[40:43], v[100:101], v[28:29], v[2:5]
	s_nop 6
	scratch_load_dwordx4 v[2:5], off, off offset:64 ; 16-byte Folded Reload
	;;#ASMSTART
	s_waitcnt lgkmcnt(0)
	;;#ASMEND
	ds_read_b32 v1, v13 offset:61496
	ds_write_b32 v13, v14 offset:61492
	s_waitcnt vmcnt(0)
	v_mfma_f32_16x16x32_fp8_fp8 v[2:5], v[108:109], v[6:7], v[2:5]
	s_waitcnt lgkmcnt(1)
	v_cmp_ne_u32_e32 vcc, v1, v10
	v_mfma_f32_16x16x32_fp8_fp8 v[2:5], v[106:107], v[20:21], v[2:5]
	v_mfma_f32_16x16x32_fp8_fp8 v[2:5], v[96:97], v[22:23], v[2:5]
	v_mfma_f32_16x16x32_fp8_fp8 v[2:5], v[98:99], v[28:29], v[2:5]
	s_nop 7
	scratch_store_dwordx4 off, v[2:5], off offset:64 ; 16-byte Folded Spill
	s_and_saveexec_b64 s[10:11], vcc
	s_cbranch_execz .LBB380_34
; %bb.32:                               ;   in Loop: Header=BB380_13 Depth=2
	s_mov_b64 s[12:13], 0
.LBB380_33:                             ;   Parent Loop BB380_7 Depth=1
                                        ;     Parent Loop BB380_13 Depth=2
                                        ; =>    This Inner Loop Header: Depth=3
	;;#ASMSTART
	s_sleep 0
	;;#ASMEND
	ds_read_b32 v1, v13 offset:61496
	s_waitcnt lgkmcnt(0)
	v_cmp_eq_u32_e32 vcc, v1, v10
	s_or_b64 s[12:13], vcc, s[12:13]
	s_andn2_b64 exec, exec, s[12:13]
	s_cbranch_execnz .LBB380_33
.LBB380_34:                             ;   in Loop: Header=BB380_13 Depth=2
	s_or_b64 exec, exec, s[10:11]
	v_add_u32_e32 v1, 0x1000, v0
	ds_read2_b32 v[6:7], v1 offset1:32
	ds_read2_b32 v[20:21], v1 offset0:128 offset1:160
	v_add_u32_e32 v1, 0x1400, v0
	ds_read2_b32 v[22:23], v1 offset1:32
	ds_read2_b32 v[28:29], v1 offset0:128 offset1:160
	s_waitcnt lgkmcnt(3)
	v_mfma_f32_16x16x32_fp8_fp8 v[2:5], v[116:117], v[6:7], v[80:83]
	s_waitcnt lgkmcnt(2)
	v_mfma_f32_16x16x32_fp8_fp8 v[2:5], v[112:113], v[20:21], v[2:5]
	s_waitcnt lgkmcnt(1)
	v_mfma_f32_16x16x32_fp8_fp8 v[2:5], v[114:115], v[22:23], v[2:5]
	s_waitcnt lgkmcnt(0)
	v_mfma_f32_16x16x32_fp8_fp8 v[80:83], v[110:111], v[28:29], v[2:5]
	v_mfma_f32_16x16x32_fp8_fp8 v[2:5], v[118:119], v[6:7], v[60:63]
	v_mfma_f32_16x16x32_fp8_fp8 v[2:5], v[120:121], v[20:21], v[2:5]
	v_mfma_f32_16x16x32_fp8_fp8 v[2:5], v[122:123], v[22:23], v[2:5]
	v_mfma_f32_16x16x32_fp8_fp8 v[60:63], v[124:125], v[28:29], v[2:5]
	v_mfma_f32_16x16x32_fp8_fp8 v[2:5], v[126:127], v[6:7], v[36:39]
	v_mfma_f32_16x16x32_fp8_fp8 v[2:5], v[104:105], v[20:21], v[2:5]
	v_mfma_f32_16x16x32_fp8_fp8 v[2:5], v[102:103], v[22:23], v[2:5]
	v_mfma_f32_16x16x32_fp8_fp8 v[36:39], v[100:101], v[28:29], v[2:5]
	s_nop 6
	scratch_load_dwordx4 v[2:5], off, off offset:48 ; 16-byte Folded Reload
	;;#ASMSTART
	s_waitcnt lgkmcnt(0)
	;;#ASMEND
	ds_read_b32 v1, v13 offset:61500
	ds_write_b32 v13, v14 offset:61496
	s_waitcnt vmcnt(0)
	v_mfma_f32_16x16x32_fp8_fp8 v[2:5], v[108:109], v[6:7], v[2:5]
	s_waitcnt lgkmcnt(1)
	v_cmp_ne_u32_e32 vcc, v1, v10
	v_mfma_f32_16x16x32_fp8_fp8 v[2:5], v[106:107], v[20:21], v[2:5]
	v_mfma_f32_16x16x32_fp8_fp8 v[2:5], v[96:97], v[22:23], v[2:5]
	v_mfma_f32_16x16x32_fp8_fp8 v[2:5], v[98:99], v[28:29], v[2:5]
	s_nop 7
	scratch_store_dwordx4 off, v[2:5], off offset:48 ; 16-byte Folded Spill
	s_and_saveexec_b64 s[10:11], vcc
	s_cbranch_execz .LBB380_37
; %bb.35:                               ;   in Loop: Header=BB380_13 Depth=2
	s_mov_b64 s[12:13], 0
.LBB380_36:                             ;   Parent Loop BB380_7 Depth=1
                                        ;     Parent Loop BB380_13 Depth=2
                                        ; =>    This Inner Loop Header: Depth=3
	;;#ASMSTART
	s_sleep 0
	;;#ASMEND
	ds_read_b32 v1, v13 offset:61500
	s_waitcnt lgkmcnt(0)
	v_cmp_eq_u32_e32 vcc, v1, v10
	s_or_b64 s[12:13], vcc, s[12:13]
	s_andn2_b64 exec, exec, s[12:13]
	s_cbranch_execnz .LBB380_36
.LBB380_37:                             ;   in Loop: Header=BB380_13 Depth=2
	s_or_b64 exec, exec, s[10:11]
	v_add_u32_e32 v1, 0x1800, v0
	ds_read2_b32 v[6:7], v1 offset1:32
	ds_read2_b32 v[20:21], v1 offset0:128 offset1:160
	v_add_u32_e32 v1, 0x1c00, v0
	ds_read2_b32 v[22:23], v1 offset1:32
	ds_read2_b32 v[28:29], v1 offset0:128 offset1:160
	s_waitcnt lgkmcnt(3)
	v_mfma_f32_16x16x32_fp8_fp8 v[2:5], v[116:117], v[6:7], v[76:79]
	s_waitcnt lgkmcnt(2)
	v_mfma_f32_16x16x32_fp8_fp8 v[2:5], v[112:113], v[20:21], v[2:5]
	s_waitcnt lgkmcnt(1)
	v_mfma_f32_16x16x32_fp8_fp8 v[2:5], v[114:115], v[22:23], v[2:5]
	s_waitcnt lgkmcnt(0)
	v_mfma_f32_16x16x32_fp8_fp8 v[76:79], v[110:111], v[28:29], v[2:5]
	;; [unrolled: 56-line block ×3, first 2 shown]
	v_mfma_f32_16x16x32_fp8_fp8 v[2:5], v[118:119], v[6:7], v[52:55]
	v_mfma_f32_16x16x32_fp8_fp8 v[2:5], v[120:121], v[20:21], v[2:5]
	;; [unrolled: 1-line block ×4, first 2 shown]
	s_nop 6
	scratch_load_dwordx4 v[2:5], off, off   ; 16-byte Folded Reload
	s_waitcnt vmcnt(0)
	v_mfma_f32_16x16x32_fp8_fp8 v[2:5], v[126:127], v[6:7], v[2:5]
	v_mfma_f32_16x16x32_fp8_fp8 v[2:5], v[104:105], v[20:21], v[2:5]
	;; [unrolled: 1-line block ×4, first 2 shown]
	s_nop 7
	scratch_store_dwordx4 off, v[2:5], off  ; 16-byte Folded Spill
	scratch_load_dwordx4 v[2:5], off, off offset:16 ; 16-byte Folded Reload
	;;#ASMSTART
	s_waitcnt lgkmcnt(0)
	;;#ASMEND
	ds_read_b32 v1, v13 offset:61508
	ds_write_b32 v13, v14 offset:61504
	s_waitcnt vmcnt(0)
	v_mfma_f32_16x16x32_fp8_fp8 v[2:5], v[108:109], v[6:7], v[2:5]
	s_waitcnt lgkmcnt(1)
	v_cmp_ne_u32_e32 vcc, v1, v10
	v_mfma_f32_16x16x32_fp8_fp8 v[2:5], v[106:107], v[20:21], v[2:5]
	v_mfma_f32_16x16x32_fp8_fp8 v[2:5], v[96:97], v[22:23], v[2:5]
	;; [unrolled: 1-line block ×3, first 2 shown]
	s_nop 7
	scratch_store_dwordx4 off, v[2:5], off offset:16 ; 16-byte Folded Spill
	s_and_saveexec_b64 s[10:11], vcc
	s_cbranch_execz .LBB380_12
; %bb.41:                               ;   in Loop: Header=BB380_13 Depth=2
	s_mov_b64 s[12:13], 0
.LBB380_42:                             ;   Parent Loop BB380_7 Depth=1
                                        ;     Parent Loop BB380_13 Depth=2
                                        ; =>    This Inner Loop Header: Depth=3
	;;#ASMSTART
	s_sleep 0
	;;#ASMEND
	ds_read_b32 v1, v13 offset:61508
	s_waitcnt lgkmcnt(0)
	v_cmp_eq_u32_e32 vcc, v1, v10
	s_or_b64 s[12:13], vcc, s[12:13]
	s_andn2_b64 exec, exec, s[12:13]
	s_cbranch_execnz .LBB380_42
	s_branch .LBB380_12
.LBB380_43:                             ;   in Loop: Header=BB380_7 Depth=1
	s_or_b64 exec, exec, s[8:9]
.LBB380_44:                             ;   in Loop: Header=BB380_7 Depth=1
	s_or_b64 exec, exec, s[6:7]
	v_mov_b32_e32 v98, v30
	scratch_load_dwordx2 v[30:31], off, off offset:116 ; 8-byte Folded Reload
	scratch_load_dword v100, off, off offset:96 ; 4-byte Folded Reload
	scratch_load_dword v31, off, off offset:100 ; 4-byte Folded Reload
	;; [unrolled: 1-line block ×3, first 2 shown]
	s_waitcnt vmcnt(3)
	v_cmp_le_i32_e32 vcc, s49, v30
	s_waitcnt vmcnt(2)
	s_nop 0
	v_cndmask_b32_e32 v110, 0, v100, vcc
	v_pk_mul_f32 v[0:1], v[110:111], v[90:91] op_sel_hi:[0,1]
	scratch_load_dword v90, off, off offset:124 ; 4-byte Folded Reload
	v_pk_mul_f32 v[6:7], v[110:111], v[88:89] op_sel_hi:[0,1]
	s_waitcnt vmcnt(2)
	v_cmp_eq_u32_e64 s[12:13], 1, v31
	v_cmp_eq_u32_e32 vcc, 2, v31
	v_cmp_eq_u32_e64 s[6:7], 3, v31
	v_cndmask_b32_e64 v3, v6, v7, s[12:13]
	v_cndmask_b32_e32 v3, v3, v0, vcc
	v_cndmask_b32_e64 v3, v3, v1, s[6:7]
	s_waitcnt vmcnt(1)
	ds_bpermute_b32 v5, v99, v3
	v_cmp_eq_u32_e64 s[8:9], 0, v31
	s_waitcnt lgkmcnt(0)
	v_cndmask_b32_e64 v3, v1, v5, s[6:7]
	v_cndmask_b32_e64 v1, v6, v5, s[8:9]
	v_or_b32_e32 v6, 16, v30
	v_cmp_le_i32_e64 s[14:15], s49, v6
	v_cndmask_b32_e32 v4, v0, v5, vcc
	v_cndmask_b32_e64 v0, v7, v5, s[12:13]
	v_cndmask_b32_e64 v88, 0, v100, s[14:15]
	v_pk_mul_f32 v[14:15], v[88:89], v[84:85] op_sel_hi:[0,1]
	v_pk_mul_f32 v[8:9], v[88:89], v[86:87] op_sel_hi:[0,1]
	v_cndmask_b32_e64 v6, v14, v15, s[12:13]
	v_cndmask_b32_e32 v6, v6, v8, vcc
	v_cndmask_b32_e64 v6, v6, v9, s[6:7]
	ds_bpermute_b32 v13, v99, v6
	s_waitcnt lgkmcnt(0)
	v_cndmask_b32_e32 v7, v8, v13, vcc
	v_or_b32_e32 v8, 32, v30
	v_cmp_le_i32_e64 s[18:19], s49, v8
	v_cndmask_b32_e64 v85, v15, v13, s[12:13]
	v_cndmask_b32_e64 v86, v14, v13, s[8:9]
	;; [unrolled: 1-line block ×3, first 2 shown]
	v_pk_mul_f32 v[20:21], v[84:85], v[80:81] op_sel_hi:[0,1]
	v_pk_mul_f32 v[14:15], v[84:85], v[82:83] op_sel_hi:[0,1]
	v_cndmask_b32_e64 v8, v20, v21, s[12:13]
	v_cndmask_b32_e32 v8, v8, v14, vcc
	v_cndmask_b32_e64 v8, v8, v15, s[6:7]
	ds_bpermute_b32 v22, v99, v8
	v_cndmask_b32_e64 v6, v9, v13, s[6:7]
	s_waitcnt lgkmcnt(0)
	v_cndmask_b32_e32 v13, v14, v22, vcc
	v_or_b32_e32 v14, 48, v30
	v_cmp_le_i32_e64 s[18:19], s49, v14
	v_cndmask_b32_e64 v81, v21, v22, s[12:13]
	v_cndmask_b32_e64 v9, v15, v22, s[6:7]
	;; [unrolled: 1-line block ×4, first 2 shown]
	v_pk_mul_f32 v[22:23], v[80:81], v[76:77] op_sel_hi:[0,1]
	v_pk_mul_f32 v[20:21], v[80:81], v[78:79] op_sel_hi:[0,1]
	v_cndmask_b32_e64 v14, v22, v23, s[12:13]
	v_cndmask_b32_e32 v14, v14, v20, vcc
	v_cndmask_b32_e64 v14, v14, v21, s[6:7]
	ds_bpermute_b32 v28, v99, v14
	s_waitcnt lgkmcnt(0)
	v_cndmask_b32_e32 v78, v20, v28, vcc
	v_or_b32_e32 v20, 64, v30
	v_cmp_le_i32_e64 s[18:19], s49, v20
	v_cndmask_b32_e64 v77, v23, v28, s[12:13]
	v_cndmask_b32_e64 v91, v22, v28, s[8:9]
	;; [unrolled: 1-line block ×3, first 2 shown]
	v_pk_mul_f32 v[22:23], v[76:77], v[72:73] op_sel_hi:[0,1]
	v_cndmask_b32_e64 v15, v21, v28, s[6:7]
	v_pk_mul_f32 v[20:21], v[76:77], v[74:75] op_sel_hi:[0,1]
	v_cndmask_b32_e64 v28, v22, v23, s[12:13]
	v_cndmask_b32_e32 v28, v28, v20, vcc
	v_cndmask_b32_e64 v28, v28, v21, s[6:7]
	ds_bpermute_b32 v28, v99, v28
	s_waitcnt lgkmcnt(0)
	v_cndmask_b32_e32 v79, v20, v28, vcc
	v_or_b32_e32 v20, 0x50, v30
	v_cmp_le_i32_e64 s[18:19], s49, v20
	v_cndmask_b32_e64 v96, v23, v28, s[12:13]
	v_cndmask_b32_e64 v97, v22, v28, s[8:9]
	;; [unrolled: 1-line block ×3, first 2 shown]
	v_pk_mul_f32 v[22:23], v[72:73], v[92:93] op_sel_hi:[0,1]
	v_cndmask_b32_e64 v75, v21, v28, s[6:7]
	v_pk_mul_f32 v[20:21], v[72:73], v[94:95] op_sel_hi:[0,1]
	v_cndmask_b32_e64 v28, v22, v23, s[12:13]
	v_cndmask_b32_e32 v28, v28, v20, vcc
	v_cndmask_b32_e64 v28, v28, v21, s[6:7]
	ds_bpermute_b32 v28, v99, v28
	s_waitcnt vmcnt(0)
	v_cmp_eq_u32_e64 s[10:11], 1, v90
	v_cmp_eq_u32_e64 s[14:15], 2, v90
	;; [unrolled: 1-line block ×3, first 2 shown]
	v_mov_b32_e32 v94, v90
	s_waitcnt lgkmcnt(0)
	v_cndmask_b32_e32 v87, v20, v28, vcc
	v_cmp_ne_u32_e32 vcc, 0, v31
	v_cndmask_b32_e64 v93, v22, v28, s[8:9]
	v_cndmask_b32_e64 v83, v21, v28, s[6:7]
	v_cndmask_b32_e32 v92, v23, v28, vcc
	v_cndmask_b32_e64 v20, v93, v92, s[10:11]
	v_cndmask_b32_e64 v20, v20, v87, s[14:15]
	;; [unrolled: 1-line block ×3, first 2 shown]
	ds_bpermute_b32 v90, v99, v20
	scratch_load_dword v20, off, off offset:104 ; 4-byte Folded Reload
	v_cndmask_b32_e64 v29, v91, v77, s[10:11]
	v_cndmask_b32_e64 v29, v29, v78, s[14:15]
	;; [unrolled: 1-line block ×6, first 2 shown]
	ds_bpermute_b32 v74, v99, v29
	v_cndmask_b32_e64 v29, v97, v96, s[10:11]
	v_cndmask_b32_e64 v5, v5, v4, s[14:15]
	v_cndmask_b32_e64 v8, v8, v7, s[14:15]
	v_cndmask_b32_e64 v14, v14, v13, s[14:15]
	v_cndmask_b32_e64 v29, v29, v79, s[14:15]
	v_cndmask_b32_e64 v5, v5, v3, s[16:17]
	v_cndmask_b32_e64 v8, v8, v6, s[16:17]
	v_cndmask_b32_e64 v14, v14, v9, s[16:17]
	v_cndmask_b32_e64 v29, v29, v75, s[16:17]
	ds_bpermute_b32 v5, v99, v5
	ds_bpermute_b32 v8, v99, v8
	;; [unrolled: 1-line block ×4, first 2 shown]
	s_waitcnt vmcnt(0)
	v_add_u32_e32 v73, s71, v20
	v_cmp_gt_u32_e32 vcc, 64, v73
	s_and_saveexec_b64 s[18:19], vcc
	s_cbranch_execz .LBB380_53
; %bb.45:                               ;   in Loop: Header=BB380_7 Depth=1
	v_cmp_eq_u32_e64 s[8:9], 1, v94
	v_cmp_eq_u32_e64 s[10:11], 0, v94
	v_cmp_eq_u32_e32 vcc, 3, v94
	s_waitcnt lgkmcnt(3)
	v_cndmask_b32_e64 v0, v0, v5, s[8:9]
	v_cndmask_b32_e64 v1, v1, v5, s[10:11]
	s_waitcnt lgkmcnt(2)
	v_cndmask_b32_e64 v20, v85, v8, s[8:9]
	v_cndmask_b32_e64 v21, v86, v8, s[10:11]
	v_cvt_f16_f32_e32 v85, v1
	v_cvt_f16_f32_sdwa v86, v0 dst_sel:WORD_1 dst_unused:UNUSED_PAD src0_sel:DWORD
	scratch_load_dwordx2 v[0:1], off, off offset:148 ; 8-byte Folded Reload
	s_waitcnt lgkmcnt(1)
	v_cndmask_b32_e64 v22, v81, v14, s[8:9]
	v_cndmask_b32_e64 v28, v77, v74, s[8:9]
	s_waitcnt lgkmcnt(0)
	v_cndmask_b32_e64 v30, v96, v82, s[8:9]
	v_cndmask_b32_e64 v77, v92, v90, s[8:9]
	s_mul_i32 s8, s69, s21
	s_ashr_i32 s9, s8, 31
	s_lshl_b64 s[8:9], s[8:9], 1
	v_cndmask_b32_e64 v23, v89, v14, s[10:11]
	v_cndmask_b32_e64 v29, v91, v74, s[10:11]
	;; [unrolled: 1-line block ×4, first 2 shown]
	s_add_u32 s10, s40, s8
	s_addc_u32 s11, s41, s9
	s_ashr_i32 s49, s48, 31
	s_lshl_b64 s[8:9], s[48:49], 1
	v_cvt_f16_f32_e32 v23, v23
	v_cvt_f16_f32_sdwa v22, v22 dst_sel:WORD_1 dst_unused:UNUSED_PAD src0_sel:DWORD
	s_add_u32 s54, s10, s8
	v_cvt_f16_f32_e32 v89, v21
	v_cvt_f16_f32_sdwa v91, v20 dst_sel:WORD_1 dst_unused:UNUSED_PAD src0_sel:DWORD
	v_cvt_f16_f32_e32 v29, v29
	v_cvt_f16_f32_sdwa v28, v28 dst_sel:WORD_1 dst_unused:UNUSED_PAD src0_sel:DWORD
	s_addc_u32 s55, s11, s9
	v_or_b32_e32 v20, v86, v85
	v_or_b32_e32 v22, v22, v23
	;; [unrolled: 1-line block ×3, first 2 shown]
	v_cvt_f16_f32_sdwa v23, v30 dst_sel:WORD_1 dst_unused:UNUSED_PAD src0_sel:DWORD
	v_cmp_eq_u32_e64 s[6:7], 2, v94
	v_cmp_gt_u32_e64 s[8:9], 62, v73
	s_waitcnt vmcnt(0)
	v_lshl_add_u64 v[0:1], v[0:1], 1, s[54:55]
	;;#ASMSTART
	global_atomic_pk_add_f16 v[0:1], v20, off
	
	;;#ASMEND
	v_lshl_add_u64 v[20:21], v[0:1], 0, 32
	;;#ASMSTART
	global_atomic_pk_add_f16 v[20:21], v85, off
	
	;;#ASMEND
	;; [unrolled: 5-line block ×3, first 2 shown]
	v_or_b32_e32 v22, v28, v29
	v_lshl_add_u64 v[20:21], v[0:1], 0, s[30:31]
	;;#ASMSTART
	global_atomic_pk_add_f16 v[20:21], v22, off
	
	;;#ASMEND
	v_cvt_f16_f32_e32 v22, v31
	v_cvt_f16_f32_e32 v28, v81
	v_cvt_f16_f32_sdwa v29, v77 dst_sel:WORD_1 dst_unused:UNUSED_PAD src0_sel:DWORD
	v_lshl_add_u64 v[20:21], v[0:1], 0, s[34:35]
	v_or_b32_e32 v22, v23, v22
	;;#ASMSTART
	global_atomic_pk_add_f16 v[20:21], v22, off
	
	;;#ASMEND
	v_lshl_add_u64 v[20:21], v[0:1], 0, s[44:45]
	v_or_b32_e32 v22, v29, v28
	;;#ASMSTART
	global_atomic_pk_add_f16 v[20:21], v22, off
	
	;;#ASMEND
	s_and_b64 exec, exec, s[8:9]
	s_cbranch_execz .LBB380_53
; %bb.46:                               ;   in Loop: Header=BB380_7 Depth=1
	v_cndmask_b32_e32 v3, v3, v5, vcc
	v_cndmask_b32_e64 v4, v4, v5, s[6:7]
	v_cvt_f16_f32_e32 v4, v4
	v_cvt_f16_f32_sdwa v3, v3 dst_sel:WORD_1 dst_unused:UNUSED_PAD src0_sel:DWORD
	v_cndmask_b32_e32 v5, v6, v8, vcc
	v_cndmask_b32_e64 v6, v7, v8, s[6:7]
	v_lshl_add_u64 v[0:1], s[28:29], 2, v[0:1]
	v_or_b32_e32 v3, v3, v4
	;;#ASMSTART
	global_atomic_pk_add_f16 v[0:1], v3, off
	
	;;#ASMEND
	v_cvt_f16_f32_e32 v3, v6
	v_cvt_f16_f32_sdwa v6, v5 dst_sel:WORD_1 dst_unused:UNUSED_PAD src0_sel:DWORD
	v_cndmask_b32_e32 v7, v9, v14, vcc
	v_cndmask_b32_e64 v8, v13, v14, s[6:7]
	v_lshl_add_u64 v[4:5], v[0:1], 0, 32
	v_or_b32_e32 v3, v6, v3
	;;#ASMSTART
	global_atomic_pk_add_f16 v[4:5], v3, off
	
	;;#ASMEND
	;; [unrolled: 10-line block ×5, first 2 shown]
	v_cvt_f16_f32_e32 v3, v21
	v_cvt_f16_f32_sdwa v4, v20 dst_sel:WORD_1 dst_unused:UNUSED_PAD src0_sel:DWORD
	v_lshl_add_u64 v[0:1], v[0:1], 0, s[44:45]
	v_mov_b32_e32 v111, v110
	v_cmp_eq_u32_e64 s[12:13], 1, v94
	v_or_b32_e32 v3, v4, v3
	;;#ASMSTART
	global_atomic_pk_add_f16 v[0:1], v3, off
	
	;;#ASMEND
	scratch_load_dword v29, off, off offset:100 ; 4-byte Folded Reload
	scratch_load_dword v30, off, off offset:108 ; 4-byte Folded Reload
	v_mov_b32_e32 v0, v110
	v_mov_b32_e32 v1, v110
	v_pk_mul_f32 v[4:5], v[110:111], v[68:69]
	v_pk_mul_f32 v[0:1], v[0:1], v[70:71]
	v_cmp_eq_u32_e64 s[14:15], 2, v94
	v_cmp_eq_u32_e64 s[16:17], 3, v94
	v_mov_b32_e32 v89, v88
	v_pk_mul_f32 v[14:15], v[88:89], v[64:65]
	v_mov_b32_e32 v85, v84
	v_mov_b32_e32 v20, v84
	;; [unrolled: 1-line block ×3, first 2 shown]
	v_pk_mul_f32 v[22:23], v[84:85], v[60:61]
	v_pk_mul_f32 v[20:21], v[20:21], v[62:63]
	v_mov_b32_e32 v81, v80
	v_mov_b32_e32 v77, v76
	;; [unrolled: 1-line block ×3, first 2 shown]
	s_waitcnt vmcnt(1)
	v_cmp_eq_u32_e64 s[8:9], 1, v29
	s_nop 1
	v_cndmask_b32_e64 v3, v4, v5, s[8:9]
	v_cmp_eq_u32_e32 vcc, 2, v29
	v_cmp_eq_u32_e64 s[6:7], 3, v29
	v_cmp_eq_u32_e64 s[10:11], 0, v29
	v_cndmask_b32_e32 v3, v3, v0, vcc
	v_cndmask_b32_e64 v3, v3, v1, s[6:7]
	s_waitcnt vmcnt(0)
	ds_bpermute_b32 v6, v30, v3
	s_waitcnt lgkmcnt(0)
	v_cndmask_b32_e64 v3, v1, v6, s[6:7]
	v_cndmask_b32_e32 v8, v0, v6, vcc
	v_cndmask_b32_e64 v0, v5, v6, s[8:9]
	v_cndmask_b32_e64 v1, v4, v6, s[10:11]
	;; [unrolled: 1-line block ×5, first 2 shown]
	ds_bpermute_b32 v9, v30, v4
	v_mov_b32_e32 v4, v88
	v_mov_b32_e32 v5, v88
	v_pk_mul_f32 v[6:7], v[4:5], v[66:67]
	v_cndmask_b32_e64 v4, v14, v15, s[8:9]
	v_cndmask_b32_e32 v4, v4, v6, vcc
	v_cndmask_b32_e64 v4, v4, v7, s[6:7]
	ds_bpermute_b32 v13, v30, v4
	s_waitcnt lgkmcnt(0)
	v_cndmask_b32_e64 v4, v7, v13, s[6:7]
	v_cndmask_b32_e64 v7, v22, v23, s[8:9]
	v_cndmask_b32_e32 v7, v7, v20, vcc
	v_cndmask_b32_e64 v7, v7, v21, s[6:7]
	v_cndmask_b32_e64 v64, v14, v13, s[10:11]
	ds_bpermute_b32 v14, v30, v7
	v_cndmask_b32_e32 v5, v6, v13, vcc
	v_cndmask_b32_e64 v15, v15, v13, s[8:9]
	v_cndmask_b32_e64 v6, v64, v15, s[12:13]
	;; [unrolled: 1-line block ×3, first 2 shown]
	s_waitcnt lgkmcnt(0)
	v_cndmask_b32_e64 v7, v21, v14, s[6:7]
	v_cndmask_b32_e32 v13, v20, v14, vcc
	v_cndmask_b32_e64 v60, v23, v14, s[8:9]
	v_cndmask_b32_e64 v61, v22, v14, s[10:11]
	v_mov_b32_e32 v20, v80
	v_mov_b32_e32 v21, v80
	v_pk_mul_f32 v[22:23], v[80:81], v[56:57]
	v_pk_mul_f32 v[20:21], v[20:21], v[58:59]
	v_cndmask_b32_e64 v28, v22, v23, s[8:9]
	v_cndmask_b32_e32 v28, v28, v20, vcc
	v_cndmask_b32_e64 v28, v28, v21, s[6:7]
	ds_bpermute_b32 v28, v30, v28
	v_cndmask_b32_e64 v14, v61, v60, s[12:13]
	v_cndmask_b32_e64 v14, v14, v13, s[14:15]
	;; [unrolled: 1-line block ×4, first 2 shown]
	s_waitcnt lgkmcnt(0)
	v_cndmask_b32_e64 v59, v23, v28, s[8:9]
	v_cndmask_b32_e64 v62, v22, v28, s[10:11]
	v_cndmask_b32_e32 v57, v20, v28, vcc
	v_cndmask_b32_e64 v20, v62, v59, s[12:13]
	v_cndmask_b32_e64 v56, v21, v28, s[6:7]
	v_cndmask_b32_e64 v20, v20, v57, s[14:15]
	v_cndmask_b32_e64 v20, v20, v56, s[16:17]
	ds_bpermute_b32 v58, v30, v20
	v_mov_b32_e32 v20, v76
	v_mov_b32_e32 v21, v76
	v_pk_mul_f32 v[22:23], v[76:77], v[52:53]
	v_pk_mul_f32 v[20:21], v[20:21], v[54:55]
	v_cndmask_b32_e64 v28, v22, v23, s[8:9]
	v_cndmask_b32_e32 v28, v28, v20, vcc
	v_cndmask_b32_e64 v28, v28, v21, s[6:7]
	ds_bpermute_b32 v28, v30, v28
	ds_bpermute_b32 v6, v30, v6
	;; [unrolled: 1-line block ×3, first 2 shown]
	s_waitcnt lgkmcnt(2)
	v_cndmask_b32_e64 v55, v23, v28, s[8:9]
	v_cndmask_b32_e64 v63, v22, v28, s[10:11]
	v_cndmask_b32_e32 v53, v20, v28, vcc
	v_cndmask_b32_e64 v20, v63, v55, s[12:13]
	v_cndmask_b32_e64 v52, v21, v28, s[6:7]
	v_cndmask_b32_e64 v20, v20, v53, s[14:15]
	v_cndmask_b32_e64 v20, v20, v52, s[16:17]
	ds_bpermute_b32 v54, v30, v20
	v_mov_b32_e32 v20, v72
	v_mov_b32_e32 v21, v72
	v_pk_mul_f32 v[22:23], v[72:73], v[48:49]
	v_pk_mul_f32 v[20:21], v[20:21], v[50:51]
	v_cndmask_b32_e64 v28, v22, v23, s[8:9]
	v_cndmask_b32_e32 v28, v28, v20, vcc
	v_cndmask_b32_e64 v28, v28, v21, s[6:7]
	ds_bpermute_b32 v28, v30, v28
	s_waitcnt lgkmcnt(0)
	v_cndmask_b32_e32 v49, v20, v28, vcc
	v_cmp_ne_u32_e32 vcc, 0, v29
	v_cndmask_b32_e64 v66, v22, v28, s[10:11]
	v_cndmask_b32_e64 v48, v21, v28, s[6:7]
	v_cndmask_b32_e32 v65, v23, v28, vcc
	v_cndmask_b32_e64 v20, v66, v65, s[12:13]
	v_cndmask_b32_e64 v20, v20, v49, s[14:15]
	;; [unrolled: 1-line block ×3, first 2 shown]
	ds_bpermute_b32 v50, v30, v20
	scratch_load_dword v20, off, off offset:104 ; 4-byte Folded Reload
	s_waitcnt vmcnt(0)
	v_or_b32_e32 v20, 16, v20
	v_add_u32_e32 v51, s71, v20
	v_cmp_gt_u32_e32 vcc, 64, v51
	s_and_b64 exec, exec, vcc
	s_cbranch_execz .LBB380_53
; %bb.47:                               ;   in Loop: Header=BB380_7 Depth=1
	v_cmp_eq_u32_e64 s[8:9], 1, v94
	v_cmp_eq_u32_e64 s[10:11], 0, v94
	v_cmp_eq_u32_e32 vcc, 3, v94
	v_cndmask_b32_e64 v0, v0, v9, s[8:9]
	v_cndmask_b32_e64 v1, v1, v9, s[10:11]
	;; [unrolled: 1-line block ×3, first 2 shown]
	v_cvt_f16_f32_e32 v21, v1
	v_cvt_f16_f32_sdwa v60, v0 dst_sel:WORD_1 dst_unused:UNUSED_PAD src0_sel:DWORD
	scratch_load_dwordx2 v[0:1], off, off offset:156 ; 8-byte Folded Reload
	v_cndmask_b32_e64 v15, v15, v6, s[8:9]
	v_cndmask_b32_e64 v20, v64, v6, s[10:11]
	;; [unrolled: 1-line block ×3, first 2 shown]
	v_cvt_f16_f32_e32 v61, v20
	v_cvt_f16_f32_sdwa v15, v15 dst_sel:WORD_1 dst_unused:UNUSED_PAD src0_sel:DWORD
	v_or_b32_e32 v20, v60, v21
	v_cndmask_b32_e64 v28, v59, v58, s[8:9]
	v_cndmask_b32_e64 v29, v62, v58, s[10:11]
	v_or_b32_e32 v15, v15, v61
	v_cvt_f16_f32_sdwa v22, v22 dst_sel:WORD_1 dst_unused:UNUSED_PAD src0_sel:DWORD
	v_cvt_f16_f32_sdwa v28, v28 dst_sel:WORD_1 dst_unused:UNUSED_PAD src0_sel:DWORD
	v_cndmask_b32_e64 v30, v55, v54, s[8:9]
	v_cndmask_b32_e64 v31, v63, v54, s[10:11]
	s_waitcnt lgkmcnt(0)
	v_cndmask_b32_e64 v55, v65, v50, s[8:9]
	v_cndmask_b32_e64 v59, v66, v50, s[10:11]
	v_cmp_eq_u32_e64 s[6:7], 2, v94
	v_cmp_gt_u32_e64 s[8:9], 62, v51
	s_waitcnt vmcnt(0)
	v_lshl_add_u64 v[0:1], v[0:1], 1, s[54:55]
	;;#ASMSTART
	global_atomic_pk_add_f16 v[0:1], v20, off
	
	;;#ASMEND
	v_lshl_add_u64 v[20:21], v[0:1], 0, 32
	;;#ASMSTART
	global_atomic_pk_add_f16 v[20:21], v15, off
	
	;;#ASMEND
	v_cvt_f16_f32_e32 v15, v23
	v_cvt_f16_f32_e32 v23, v29
	v_lshl_add_u64 v[20:21], v[0:1], 0, 64
	v_or_b32_e32 v15, v22, v15
	;;#ASMSTART
	global_atomic_pk_add_f16 v[20:21], v15, off
	
	;;#ASMEND
	v_or_b32_e32 v15, v28, v23
	v_lshl_add_u64 v[20:21], v[0:1], 0, s[30:31]
	;;#ASMSTART
	global_atomic_pk_add_f16 v[20:21], v15, off
	
	;;#ASMEND
	v_cvt_f16_f32_e32 v15, v31
	v_cvt_f16_f32_sdwa v22, v30 dst_sel:WORD_1 dst_unused:UNUSED_PAD src0_sel:DWORD
	v_cvt_f16_f32_e32 v23, v59
	v_cvt_f16_f32_sdwa v28, v55 dst_sel:WORD_1 dst_unused:UNUSED_PAD src0_sel:DWORD
	v_lshl_add_u64 v[20:21], v[0:1], 0, s[34:35]
	v_or_b32_e32 v15, v22, v15
	;;#ASMSTART
	global_atomic_pk_add_f16 v[20:21], v15, off
	
	;;#ASMEND
	v_lshl_add_u64 v[20:21], v[0:1], 0, s[44:45]
	v_or_b32_e32 v15, v28, v23
	;;#ASMSTART
	global_atomic_pk_add_f16 v[20:21], v15, off
	
	;;#ASMEND
	s_and_b64 exec, exec, s[8:9]
	s_cbranch_execz .LBB380_53
; %bb.48:                               ;   in Loop: Header=BB380_7 Depth=1
	v_cndmask_b32_e32 v3, v3, v9, vcc
	v_cndmask_b32_e64 v8, v8, v9, s[6:7]
	v_cvt_f16_f32_e32 v8, v8
	v_cvt_f16_f32_sdwa v3, v3 dst_sel:WORD_1 dst_unused:UNUSED_PAD src0_sel:DWORD
	v_cndmask_b32_e32 v4, v4, v6, vcc
	v_cndmask_b32_e64 v5, v5, v6, s[6:7]
	v_cndmask_b32_e32 v6, v7, v14, vcc
	v_or_b32_e32 v3, v3, v8
	v_cndmask_b32_e64 v7, v13, v14, s[6:7]
	v_lshl_add_u64 v[0:1], s[28:29], 2, v[0:1]
	;;#ASMSTART
	global_atomic_pk_add_f16 v[0:1], v3, off
	
	;;#ASMEND
	v_cvt_f16_f32_e32 v3, v5
	v_cvt_f16_f32_sdwa v8, v4 dst_sel:WORD_1 dst_unused:UNUSED_PAD src0_sel:DWORD
	v_cvt_f16_f32_e32 v7, v7
	v_cvt_f16_f32_sdwa v6, v6 dst_sel:WORD_1 dst_unused:UNUSED_PAD src0_sel:DWORD
	v_cndmask_b32_e32 v9, v56, v58, vcc
	v_or_b32_e32 v3, v8, v3
	v_cndmask_b32_e64 v13, v57, v58, s[6:7]
	v_lshl_add_u64 v[4:5], v[0:1], 0, 32
	;;#ASMSTART
	global_atomic_pk_add_f16 v[4:5], v3, off
	
	;;#ASMEND
	v_or_b32_e32 v3, v6, v7
	v_cndmask_b32_e32 v14, v52, v54, vcc
	v_cndmask_b32_e64 v15, v53, v54, s[6:7]
	v_lshl_add_u64 v[4:5], v[0:1], 0, 64
	;;#ASMSTART
	global_atomic_pk_add_f16 v[4:5], v3, off
	
	;;#ASMEND
	v_cvt_f16_f32_e32 v3, v13
	v_cvt_f16_f32_sdwa v6, v9 dst_sel:WORD_1 dst_unused:UNUSED_PAD src0_sel:DWORD
	v_cvt_f16_f32_e32 v7, v15
	v_cvt_f16_f32_sdwa v8, v14 dst_sel:WORD_1 dst_unused:UNUSED_PAD src0_sel:DWORD
	v_lshl_add_u64 v[4:5], v[0:1], 0, s[30:31]
	v_or_b32_e32 v3, v6, v3
	;;#ASMSTART
	global_atomic_pk_add_f16 v[4:5], v3, off
	
	;;#ASMEND
	v_or_b32_e32 v3, v8, v7
	v_pk_mul_f32 v[8:9], v[110:111], v[44:45]
	scratch_load_dword v44, off, off offset:100 ; 4-byte Folded Reload
	v_mov_b32_e32 v6, v110
	v_mov_b32_e32 v7, v110
	v_pk_mul_f32 v[6:7], v[6:7], v[46:47]
	scratch_load_dword v46, off, off offset:108 ; 4-byte Folded Reload
	v_cndmask_b32_e32 v20, v48, v50, vcc
	v_cndmask_b32_e64 v21, v49, v50, s[6:7]
	v_lshl_add_u64 v[4:5], v[0:1], 0, s[34:35]
	;;#ASMSTART
	global_atomic_pk_add_f16 v[4:5], v3, off
	
	;;#ASMEND
	scratch_load_dwordx4 v[48:51], off, off ; 16-byte Folded Reload
	v_cvt_f16_f32_e32 v31, v21
	v_cvt_f16_f32_sdwa v45, v20 dst_sel:WORD_1 dst_unused:UNUSED_PAD src0_sel:DWORD
	v_pk_mul_f32 v[20:21], v[88:89], v[40:41]
	v_pk_mul_f32 v[22:23], v[84:85], v[36:37]
	v_cmp_eq_u32_e64 s[12:13], 1, v94
	v_cmp_eq_u32_e64 s[14:15], 2, v94
	;; [unrolled: 1-line block ×3, first 2 shown]
	v_lshl_add_u64 v[0:1], v[0:1], 0, s[44:45]
	s_waitcnt vmcnt(2)
	v_cmp_eq_u32_e64 s[8:9], 1, v44
	s_nop 1
	v_cndmask_b32_e64 v13, v8, v9, s[8:9]
	v_cmp_eq_u32_e32 vcc, 2, v44
	v_cmp_eq_u32_e64 s[6:7], 3, v44
	v_cmp_eq_u32_e64 s[10:11], 0, v44
	v_cndmask_b32_e32 v13, v13, v6, vcc
	v_cndmask_b32_e64 v13, v13, v7, s[6:7]
	s_waitcnt vmcnt(1)
	ds_bpermute_b32 v13, v46, v13
	s_waitcnt lgkmcnt(0)
	v_cndmask_b32_e64 v3, v7, v13, s[6:7]
	v_cndmask_b32_e32 v4, v6, v13, vcc
	v_mov_b32_e32 v6, v88
	v_mov_b32_e32 v7, v88
	v_cndmask_b32_e64 v14, v9, v13, s[8:9]
	v_cndmask_b32_e64 v15, v8, v13, s[10:11]
	v_pk_mul_f32 v[8:9], v[6:7], v[42:43]
	v_cndmask_b32_e64 v6, v20, v21, s[8:9]
	v_cndmask_b32_e32 v6, v6, v8, vcc
	v_cndmask_b32_e64 v6, v6, v9, s[6:7]
	ds_bpermute_b32 v13, v46, v6
	v_cndmask_b32_e64 v5, v15, v14, s[12:13]
	v_cndmask_b32_e64 v5, v5, v4, s[14:15]
	;; [unrolled: 1-line block ×3, first 2 shown]
	ds_bpermute_b32 v5, v46, v5
	s_waitcnt lgkmcnt(1)
	v_cndmask_b32_e64 v6, v9, v13, s[6:7]
	v_cndmask_b32_e32 v7, v8, v13, vcc
	v_mov_b32_e32 v8, v84
	v_mov_b32_e32 v9, v84
	v_cndmask_b32_e64 v40, v21, v13, s[8:9]
	v_cndmask_b32_e64 v41, v20, v13, s[10:11]
	v_pk_mul_f32 v[20:21], v[8:9], v[38:39]
	v_cndmask_b32_e64 v8, v22, v23, s[8:9]
	v_cndmask_b32_e32 v8, v8, v20, vcc
	v_cndmask_b32_e64 v8, v8, v21, s[6:7]
	ds_bpermute_b32 v28, v46, v8
	v_cndmask_b32_e64 v8, v41, v40, s[12:13]
	v_cndmask_b32_e64 v8, v8, v7, s[14:15]
	;; [unrolled: 1-line block ×3, first 2 shown]
	ds_bpermute_b32 v8, v46, v8
	s_waitcnt lgkmcnt(1)
	v_cndmask_b32_e64 v9, v21, v28, s[6:7]
	v_cndmask_b32_e32 v13, v20, v28, vcc
	v_cndmask_b32_e64 v36, v23, v28, s[8:9]
	v_cndmask_b32_e64 v37, v22, v28, s[10:11]
	v_mov_b32_e32 v20, v80
	v_mov_b32_e32 v21, v80
	v_pk_mul_f32 v[22:23], v[80:81], v[32:33]
	v_pk_mul_f32 v[20:21], v[20:21], v[34:35]
	v_cndmask_b32_e64 v28, v22, v23, s[8:9]
	v_cndmask_b32_e32 v28, v28, v20, vcc
	v_cndmask_b32_e64 v28, v28, v21, s[6:7]
	ds_bpermute_b32 v28, v46, v28
	v_cndmask_b32_e64 v29, v37, v36, s[12:13]
	v_cndmask_b32_e64 v29, v29, v13, s[14:15]
	v_cndmask_b32_e64 v29, v29, v9, s[16:17]
	ds_bpermute_b32 v32, v46, v29
	s_waitcnt lgkmcnt(1)
	v_cndmask_b32_e64 v33, v21, v28, s[6:7]
	v_cndmask_b32_e32 v34, v20, v28, vcc
	v_cndmask_b32_e64 v35, v23, v28, s[8:9]
	v_cndmask_b32_e64 v38, v22, v28, s[10:11]
	v_mov_b32_e32 v20, v76
	v_mov_b32_e32 v21, v76
	s_waitcnt vmcnt(0)
	v_pk_mul_f32 v[22:23], v[76:77], v[48:49]
	v_pk_mul_f32 v[20:21], v[20:21], v[50:51]
	v_cndmask_b32_e64 v28, v22, v23, s[8:9]
	v_cndmask_b32_e32 v28, v28, v20, vcc
	v_cndmask_b32_e64 v28, v28, v21, s[6:7]
	ds_bpermute_b32 v42, v46, v28
	v_cndmask_b32_e64 v28, v38, v35, s[12:13]
	v_cndmask_b32_e64 v28, v28, v34, s[14:15]
	v_cndmask_b32_e64 v28, v28, v33, s[16:17]
	ds_bpermute_b32 v28, v46, v28
	s_waitcnt lgkmcnt(1)
	v_cndmask_b32_e64 v29, v21, v42, s[6:7]
	v_cndmask_b32_e32 v30, v20, v42, vcc
	v_cndmask_b32_e64 v39, v23, v42, s[8:9]
	v_cndmask_b32_e64 v42, v22, v42, s[10:11]
	v_mov_b32_e32 v20, v72
	v_mov_b32_e32 v21, v72
	v_pk_mul_f32 v[22:23], v[72:73], v[24:25]
	v_pk_mul_f32 v[20:21], v[20:21], v[26:27]
	v_cndmask_b32_e64 v24, v22, v23, s[8:9]
	v_cndmask_b32_e32 v24, v24, v20, vcc
	v_cndmask_b32_e64 v24, v24, v21, s[6:7]
	ds_bpermute_b32 v27, v46, v24
	v_cndmask_b32_e64 v24, v42, v39, s[12:13]
	v_cndmask_b32_e64 v24, v24, v30, s[14:15]
	;; [unrolled: 1-line block ×3, first 2 shown]
	ds_bpermute_b32 v26, v46, v24
	s_waitcnt lgkmcnt(1)
	v_cndmask_b32_e32 v25, v20, v27, vcc
	v_cmp_ne_u32_e32 vcc, 0, v44
	v_cndmask_b32_e64 v44, v22, v27, s[10:11]
	v_cndmask_b32_e64 v24, v21, v27, s[6:7]
	v_cndmask_b32_e32 v43, v23, v27, vcc
	v_cndmask_b32_e64 v20, v44, v43, s[12:13]
	v_cndmask_b32_e64 v20, v20, v25, s[14:15]
	;; [unrolled: 1-line block ×3, first 2 shown]
	ds_bpermute_b32 v27, v46, v20
	v_or_b32_e32 v20, v45, v31
	;;#ASMSTART
	global_atomic_pk_add_f16 v[0:1], v20, off
	
	;;#ASMEND
	scratch_load_dword v0, off, off offset:104 ; 4-byte Folded Reload
	s_waitcnt vmcnt(0)
	v_or_b32_e32 v0, 32, v0
	v_add_u32_e32 v31, s71, v0
	v_cmp_gt_u32_e32 vcc, 64, v31
	s_and_b64 exec, exec, vcc
	s_cbranch_execz .LBB380_53
; %bb.49:                               ;   in Loop: Header=BB380_7 Depth=1
	v_cmp_eq_u32_e64 s[8:9], 1, v94
	v_cmp_eq_u32_e64 s[10:11], 0, v94
	v_cmp_eq_u32_e32 vcc, 3, v94
	v_cndmask_b32_e64 v0, v14, v5, s[8:9]
	v_cndmask_b32_e64 v1, v15, v5, s[10:11]
	;; [unrolled: 1-line block ×4, first 2 shown]
	s_waitcnt lgkmcnt(1)
	v_cndmask_b32_e64 v35, v39, v26, s[8:9]
	v_cvt_f16_f32_e32 v39, v1
	v_cvt_f16_f32_sdwa v40, v0 dst_sel:WORD_1 dst_unused:UNUSED_PAD src0_sel:DWORD
	scratch_load_dwordx2 v[0:1], off, off offset:164 ; 8-byte Folded Reload
	v_cndmask_b32_e64 v20, v36, v32, s[8:9]
	v_cndmask_b32_e64 v21, v37, v32, s[10:11]
	v_cndmask_b32_e64 v15, v41, v8, s[10:11]
	v_cndmask_b32_e64 v23, v38, v28, s[10:11]
	v_cvt_f16_f32_e32 v21, v21
	v_cvt_f16_f32_sdwa v20, v20 dst_sel:WORD_1 dst_unused:UNUSED_PAD src0_sel:DWORD
	v_cndmask_b32_e64 v36, v42, v26, s[10:11]
	v_cvt_f16_f32_e32 v41, v15
	v_cvt_f16_f32_sdwa v42, v14 dst_sel:WORD_1 dst_unused:UNUSED_PAD src0_sel:DWORD
	v_cvt_f16_f32_e32 v23, v23
	v_cvt_f16_f32_sdwa v22, v22 dst_sel:WORD_1 dst_unused:UNUSED_PAD src0_sel:DWORD
	v_or_b32_e32 v14, v40, v39
	v_or_b32_e32 v20, v20, v21
	;; [unrolled: 1-line block ×3, first 2 shown]
	s_waitcnt lgkmcnt(0)
	v_cndmask_b32_e64 v37, v43, v27, s[8:9]
	v_cndmask_b32_e64 v38, v44, v27, s[10:11]
	v_cvt_f16_f32_sdwa v21, v35 dst_sel:WORD_1 dst_unused:UNUSED_PAD src0_sel:DWORD
	v_cmp_eq_u32_e64 s[6:7], 2, v94
	v_cmp_gt_u32_e64 s[8:9], 62, v31
	s_waitcnt vmcnt(0)
	v_lshl_add_u64 v[0:1], v[0:1], 1, s[54:55]
	;;#ASMSTART
	global_atomic_pk_add_f16 v[0:1], v14, off
	
	;;#ASMEND
	v_lshl_add_u64 v[14:15], v[0:1], 0, 32
	;;#ASMSTART
	global_atomic_pk_add_f16 v[14:15], v39, off
	
	;;#ASMEND
	;; [unrolled: 5-line block ×3, first 2 shown]
	v_or_b32_e32 v20, v22, v23
	v_lshl_add_u64 v[14:15], v[0:1], 0, s[30:31]
	;;#ASMSTART
	global_atomic_pk_add_f16 v[14:15], v20, off
	
	;;#ASMEND
	v_cvt_f16_f32_e32 v20, v36
	v_cvt_f16_f32_e32 v22, v38
	v_cvt_f16_f32_sdwa v23, v37 dst_sel:WORD_1 dst_unused:UNUSED_PAD src0_sel:DWORD
	v_lshl_add_u64 v[14:15], v[0:1], 0, s[34:35]
	v_or_b32_e32 v20, v21, v20
	;;#ASMSTART
	global_atomic_pk_add_f16 v[14:15], v20, off
	
	;;#ASMEND
	v_lshl_add_u64 v[14:15], v[0:1], 0, s[44:45]
	v_or_b32_e32 v20, v23, v22
	;;#ASMSTART
	global_atomic_pk_add_f16 v[14:15], v20, off
	
	;;#ASMEND
	s_and_b64 exec, exec, s[8:9]
	s_cbranch_execz .LBB380_53
; %bb.50:                               ;   in Loop: Header=BB380_7 Depth=1
	v_cndmask_b32_e32 v3, v3, v5, vcc
	v_cndmask_b32_e64 v4, v4, v5, s[6:7]
	v_cvt_f16_f32_e32 v4, v4
	v_cvt_f16_f32_sdwa v3, v3 dst_sel:WORD_1 dst_unused:UNUSED_PAD src0_sel:DWORD
	v_cndmask_b32_e32 v5, v6, v8, vcc
	v_cndmask_b32_e64 v6, v7, v8, s[6:7]
	v_cndmask_b32_e32 v7, v9, v32, vcc
	v_or_b32_e32 v3, v3, v4
	v_cndmask_b32_e64 v8, v13, v32, s[6:7]
	v_lshl_add_u64 v[0:1], s[28:29], 2, v[0:1]
	;;#ASMSTART
	global_atomic_pk_add_f16 v[0:1], v3, off
	
	;;#ASMEND
	v_cvt_f16_f32_e32 v3, v6
	v_cvt_f16_f32_sdwa v6, v5 dst_sel:WORD_1 dst_unused:UNUSED_PAD src0_sel:DWORD
	v_cvt_f16_f32_e32 v8, v8
	v_cvt_f16_f32_sdwa v7, v7 dst_sel:WORD_1 dst_unused:UNUSED_PAD src0_sel:DWORD
	v_cndmask_b32_e32 v9, v33, v28, vcc
	v_or_b32_e32 v3, v6, v3
	v_cndmask_b32_e64 v13, v34, v28, s[6:7]
	v_lshl_add_u64 v[4:5], v[0:1], 0, 32
	;;#ASMSTART
	global_atomic_pk_add_f16 v[4:5], v3, off
	
	;;#ASMEND
	v_or_b32_e32 v3, v7, v8
	v_lshl_add_u64 v[4:5], v[0:1], 0, 64
	;;#ASMSTART
	global_atomic_pk_add_f16 v[4:5], v3, off
	
	;;#ASMEND
	v_cvt_f16_f32_e32 v3, v13
	v_cvt_f16_f32_sdwa v6, v9 dst_sel:WORD_1 dst_unused:UNUSED_PAD src0_sel:DWORD
	v_cndmask_b32_e32 v20, v24, v27, vcc
	v_cndmask_b32_e64 v21, v25, v27, s[6:7]
	v_lshl_add_u64 v[4:5], v[0:1], 0, s[30:31]
	v_or_b32_e32 v3, v6, v3
	;;#ASMSTART
	global_atomic_pk_add_f16 v[4:5], v3, off
	
	;;#ASMEND
	scratch_load_dwordx4 v[22:25], off, off offset:80 ; 16-byte Folded Reload
	scratch_load_dword v40, off, off offset:100 ; 4-byte Folded Reload
	scratch_load_dword v41, off, off offset:108 ; 4-byte Folded Reload
	v_cndmask_b32_e32 v14, v29, v26, vcc
	v_cndmask_b32_e64 v15, v30, v26, s[6:7]
	v_cvt_f16_f32_e32 v7, v15
	v_cvt_f16_f32_sdwa v8, v14 dst_sel:WORD_1 dst_unused:UNUSED_PAD src0_sel:DWORD
	v_lshl_add_u64 v[4:5], v[0:1], 0, s[34:35]
	v_cvt_f16_f32_e32 v38, v21
	v_cvt_f16_f32_sdwa v39, v20 dst_sel:WORD_1 dst_unused:UNUSED_PAD src0_sel:DWORD
	v_or_b32_e32 v3, v8, v7
	;;#ASMSTART
	global_atomic_pk_add_f16 v[4:5], v3, off
	
	;;#ASMEND
	scratch_load_dwordx4 v[30:33], off, off offset:32 ; 16-byte Folded Reload
	scratch_load_dwordx4 v[34:37], off, off offset:16 ; 16-byte Folded Reload
	v_mov_b32_e32 v6, v110
	v_mov_b32_e32 v7, v110
	v_lshl_add_u64 v[0:1], v[0:1], 0, s[44:45]
	v_cmp_eq_u32_e64 s[12:13], 1, v94
	v_cmp_eq_u32_e64 s[14:15], 2, v94
	;; [unrolled: 1-line block ×3, first 2 shown]
	scratch_load_dwordx4 v[26:29], off, off offset:48 ; 16-byte Folded Reload
	s_waitcnt vmcnt(5)
	v_pk_mul_f32 v[8:9], v[110:111], v[22:23]
	scratch_load_dwordx4 v[20:23], off, off offset:64 ; 16-byte Folded Reload
	s_waitcnt vmcnt(5)
	v_cmp_eq_u32_e64 s[8:9], 1, v40
	v_pk_mul_f32 v[6:7], v[6:7], v[24:25]
	v_cmp_eq_u32_e32 vcc, 2, v40
	v_cndmask_b32_e64 v13, v8, v9, s[8:9]
	v_cmp_eq_u32_e64 s[6:7], 3, v40
	v_cndmask_b32_e32 v13, v13, v6, vcc
	v_cmp_eq_u32_e64 s[10:11], 0, v40
	v_cndmask_b32_e64 v13, v13, v7, s[6:7]
	s_waitcnt vmcnt(4)
	ds_bpermute_b32 v13, v41, v13
	s_waitcnt vmcnt(2)
	v_pk_mul_f32 v[34:35], v[76:77], v[34:35]
	s_waitcnt lgkmcnt(0)
	v_cndmask_b32_e64 v3, v7, v13, s[6:7]
	v_cndmask_b32_e32 v4, v6, v13, vcc
	v_mov_b32_e32 v6, v88
	v_mov_b32_e32 v7, v88
	v_cndmask_b32_e64 v14, v9, v13, s[8:9]
	v_cndmask_b32_e64 v15, v8, v13, s[10:11]
	;; [unrolled: 1-line block ×5, first 2 shown]
	ds_bpermute_b32 v5, v41, v5
	s_waitcnt vmcnt(1)
	v_pk_mul_f32 v[26:27], v[84:85], v[26:27]
	s_waitcnt vmcnt(0)
	v_pk_mul_f32 v[20:21], v[88:89], v[20:21]
	v_pk_mul_f32 v[8:9], v[6:7], v[22:23]
	v_cndmask_b32_e64 v6, v20, v21, s[8:9]
	v_cndmask_b32_e32 v6, v6, v8, vcc
	v_cndmask_b32_e64 v6, v6, v9, s[6:7]
	ds_bpermute_b32 v13, v41, v6
	s_waitcnt lgkmcnt(0)
	v_cndmask_b32_e64 v6, v9, v13, s[6:7]
	v_cndmask_b32_e32 v7, v8, v13, vcc
	v_mov_b32_e32 v8, v84
	v_mov_b32_e32 v9, v84
	v_cndmask_b32_e64 v23, v21, v13, s[8:9]
	v_cndmask_b32_e64 v24, v20, v13, s[10:11]
	v_pk_mul_f32 v[20:21], v[8:9], v[28:29]
	v_cndmask_b32_e64 v8, v26, v27, s[8:9]
	v_cndmask_b32_e32 v8, v8, v20, vcc
	v_cndmask_b32_e64 v8, v8, v21, s[6:7]
	ds_bpermute_b32 v22, v41, v8
	v_cndmask_b32_e64 v8, v24, v23, s[12:13]
	v_cndmask_b32_e64 v8, v8, v7, s[14:15]
	;; [unrolled: 1-line block ×3, first 2 shown]
	ds_bpermute_b32 v8, v41, v8
	s_waitcnt lgkmcnt(1)
	v_cndmask_b32_e64 v9, v21, v22, s[6:7]
	v_cndmask_b32_e32 v13, v20, v22, vcc
	v_mov_b32_e32 v20, v80
	v_mov_b32_e32 v21, v80
	v_cndmask_b32_e64 v28, v27, v22, s[8:9]
	v_cndmask_b32_e64 v29, v26, v22, s[10:11]
	v_pk_mul_f32 v[26:27], v[20:21], v[32:33]
	v_pk_mul_f32 v[32:33], v[80:81], v[30:31]
	s_nop 0
	v_cndmask_b32_e64 v20, v32, v33, s[8:9]
	v_cndmask_b32_e32 v20, v20, v26, vcc
	v_cndmask_b32_e64 v20, v20, v27, s[6:7]
	ds_bpermute_b32 v25, v41, v20
	v_cndmask_b32_e64 v20, v29, v28, s[12:13]
	v_cndmask_b32_e64 v20, v20, v13, s[14:15]
	;; [unrolled: 1-line block ×3, first 2 shown]
	ds_bpermute_b32 v20, v41, v20
	s_waitcnt lgkmcnt(1)
	v_cndmask_b32_e64 v21, v27, v25, s[6:7]
	v_cndmask_b32_e32 v22, v26, v25, vcc
	v_mov_b32_e32 v26, v76
	v_mov_b32_e32 v27, v76
	v_cndmask_b32_e64 v30, v33, v25, s[8:9]
	v_cndmask_b32_e64 v31, v32, v25, s[10:11]
	v_pk_mul_f32 v[32:33], v[26:27], v[36:37]
	v_cndmask_b32_e64 v25, v34, v35, s[8:9]
	v_cndmask_b32_e32 v25, v25, v32, vcc
	v_cndmask_b32_e64 v25, v25, v33, s[6:7]
	ds_bpermute_b32 v36, v41, v25
	v_mov_b32_e32 v37, v72
	v_cndmask_b32_e64 v25, v31, v30, s[12:13]
	v_cndmask_b32_e64 v25, v25, v22, s[14:15]
	;; [unrolled: 1-line block ×3, first 2 shown]
	s_waitcnt lgkmcnt(0)
	v_cndmask_b32_e64 v26, v33, v36, s[6:7]
	v_cndmask_b32_e32 v27, v32, v36, vcc
	v_cndmask_b32_e64 v33, v35, v36, s[8:9]
	v_cndmask_b32_e64 v34, v34, v36, s[10:11]
	v_mov_b32_e32 v36, v72
	v_pk_mul_f32 v[18:19], v[36:37], v[18:19]
	v_pk_mul_f32 v[36:37], v[72:73], v[16:17]
	ds_bpermute_b32 v25, v41, v25
	v_cndmask_b32_e64 v16, v36, v37, s[8:9]
	v_cndmask_b32_e32 v16, v16, v18, vcc
	v_cndmask_b32_e64 v16, v16, v19, s[6:7]
	ds_bpermute_b32 v32, v41, v16
	v_cndmask_b32_e64 v16, v34, v33, s[12:13]
	v_cndmask_b32_e64 v16, v16, v27, s[14:15]
	;; [unrolled: 1-line block ×3, first 2 shown]
	ds_bpermute_b32 v16, v41, v16
	s_waitcnt lgkmcnt(1)
	v_cndmask_b32_e32 v18, v18, v32, vcc
	v_cmp_ne_u32_e32 vcc, 0, v40
	v_cndmask_b32_e64 v17, v19, v32, s[6:7]
	v_cndmask_b32_e64 v36, v36, v32, s[10:11]
	v_cndmask_b32_e32 v35, v37, v32, vcc
	v_or_b32_e32 v32, v39, v38
	;;#ASMSTART
	global_atomic_pk_add_f16 v[0:1], v32, off
	
	;;#ASMEND
	scratch_load_dword v0, off, off offset:104 ; 4-byte Folded Reload
	v_cndmask_b32_e64 v19, v36, v35, s[12:13]
	v_cndmask_b32_e64 v19, v19, v18, s[14:15]
	;; [unrolled: 1-line block ×3, first 2 shown]
	ds_bpermute_b32 v19, v41, v19
	s_waitcnt vmcnt(0)
	v_or_b32_e32 v0, 48, v0
	v_add_u32_e32 v32, s71, v0
	v_cmp_gt_u32_e32 vcc, 64, v32
	s_and_b64 exec, exec, vcc
	s_cbranch_execz .LBB380_53
; %bb.51:                               ;   in Loop: Header=BB380_7 Depth=1
	v_cmp_eq_u32_e64 s[8:9], 1, v94
	v_cmp_eq_u32_e64 s[10:11], 0, v94
	v_cmp_eq_u32_e32 vcc, 3, v94
	v_cndmask_b32_e64 v0, v14, v5, s[8:9]
	v_cndmask_b32_e64 v1, v15, v5, s[10:11]
	v_cndmask_b32_e64 v14, v23, v8, s[8:9]
	v_cndmask_b32_e64 v15, v24, v8, s[10:11]
	v_cndmask_b32_e64 v23, v28, v20, s[8:9]
	v_cndmask_b32_e64 v24, v29, v20, s[10:11]
	v_cndmask_b32_e64 v28, v30, v25, s[8:9]
	v_cndmask_b32_e64 v29, v31, v25, s[10:11]
	s_waitcnt lgkmcnt(1)
	v_cndmask_b32_e64 v30, v33, v16, s[8:9]
	v_cndmask_b32_e64 v31, v34, v16, s[10:11]
	s_waitcnt lgkmcnt(0)
	v_cndmask_b32_e64 v33, v35, v19, s[8:9]
	v_cndmask_b32_e64 v34, v36, v19, s[10:11]
	v_cvt_f16_f32_e32 v35, v1
	v_cvt_f16_f32_sdwa v36, v0 dst_sel:WORD_1 dst_unused:UNUSED_PAD src0_sel:DWORD
	scratch_load_dwordx2 v[0:1], off, off offset:172 ; 8-byte Folded Reload
	v_cvt_f16_f32_e32 v24, v24
	v_cvt_f16_f32_sdwa v23, v23 dst_sel:WORD_1 dst_unused:UNUSED_PAD src0_sel:DWORD
	v_cvt_f16_f32_e32 v37, v15
	v_cvt_f16_f32_sdwa v38, v14 dst_sel:WORD_1 dst_unused:UNUSED_PAD src0_sel:DWORD
	;; [unrolled: 2-line block ×3, first 2 shown]
	v_or_b32_e32 v14, v36, v35
	v_or_b32_e32 v23, v23, v24
	;; [unrolled: 1-line block ×3, first 2 shown]
	v_cvt_f16_f32_sdwa v24, v30 dst_sel:WORD_1 dst_unused:UNUSED_PAD src0_sel:DWORD
	v_cmp_eq_u32_e64 s[6:7], 2, v94
	v_cmp_gt_u32_e64 s[8:9], 62, v32
	s_waitcnt vmcnt(0)
	v_lshl_add_u64 v[0:1], v[0:1], 1, s[54:55]
	;;#ASMSTART
	global_atomic_pk_add_f16 v[0:1], v14, off
	
	;;#ASMEND
	v_lshl_add_u64 v[14:15], v[0:1], 0, 32
	;;#ASMSTART
	global_atomic_pk_add_f16 v[14:15], v35, off
	
	;;#ASMEND
	;; [unrolled: 5-line block ×3, first 2 shown]
	v_or_b32_e32 v23, v28, v29
	v_lshl_add_u64 v[14:15], v[0:1], 0, s[30:31]
	;;#ASMSTART
	global_atomic_pk_add_f16 v[14:15], v23, off
	
	;;#ASMEND
	v_cvt_f16_f32_e32 v23, v31
	v_cvt_f16_f32_e32 v28, v34
	v_cvt_f16_f32_sdwa v29, v33 dst_sel:WORD_1 dst_unused:UNUSED_PAD src0_sel:DWORD
	v_lshl_add_u64 v[14:15], v[0:1], 0, s[34:35]
	v_or_b32_e32 v23, v24, v23
	;;#ASMSTART
	global_atomic_pk_add_f16 v[14:15], v23, off
	
	;;#ASMEND
	v_lshl_add_u64 v[14:15], v[0:1], 0, s[44:45]
	v_or_b32_e32 v23, v29, v28
	;;#ASMSTART
	global_atomic_pk_add_f16 v[14:15], v23, off
	
	;;#ASMEND
	s_and_b64 exec, exec, s[8:9]
	s_cbranch_execz .LBB380_53
; %bb.52:                               ;   in Loop: Header=BB380_7 Depth=1
	v_cndmask_b32_e32 v3, v3, v5, vcc
	v_cndmask_b32_e64 v4, v4, v5, s[6:7]
	v_cndmask_b32_e32 v5, v6, v8, vcc
	v_cndmask_b32_e64 v6, v7, v8, s[6:7]
	v_cvt_f16_f32_e32 v4, v4
	v_cvt_f16_f32_sdwa v3, v3 dst_sel:WORD_1 dst_unused:UNUSED_PAD src0_sel:DWORD
	v_cndmask_b32_e32 v14, v26, v16, vcc
	v_cndmask_b32_e64 v15, v27, v16, s[6:7]
	v_cndmask_b32_e32 v16, v17, v19, vcc
	v_cndmask_b32_e64 v17, v18, v19, s[6:7]
	v_cvt_f16_f32_e32 v6, v6
	v_cvt_f16_f32_sdwa v18, v5 dst_sel:WORD_1 dst_unused:UNUSED_PAD src0_sel:DWORD
	v_or_b32_e32 v3, v3, v4
	v_cndmask_b32_e32 v7, v9, v20, vcc
	v_cndmask_b32_e64 v8, v13, v20, s[6:7]
	v_lshl_add_u64 v[0:1], s[28:29], 2, v[0:1]
	;;#ASMSTART
	global_atomic_pk_add_f16 v[0:1], v3, off
	
	;;#ASMEND
	v_or_b32_e32 v3, v18, v6
	v_cndmask_b32_e32 v9, v21, v25, vcc
	v_cndmask_b32_e64 v13, v22, v25, s[6:7]
	v_lshl_add_u64 v[4:5], v[0:1], 0, 32
	;;#ASMSTART
	global_atomic_pk_add_f16 v[4:5], v3, off
	
	;;#ASMEND
	v_cvt_f16_f32_e32 v3, v8
	v_cvt_f16_f32_sdwa v6, v7 dst_sel:WORD_1 dst_unused:UNUSED_PAD src0_sel:DWORD
	v_cvt_f16_f32_e32 v7, v13
	v_cvt_f16_f32_sdwa v8, v9 dst_sel:WORD_1 dst_unused:UNUSED_PAD src0_sel:DWORD
	v_lshl_add_u64 v[4:5], v[0:1], 0, 64
	v_or_b32_e32 v3, v6, v3
	;;#ASMSTART
	global_atomic_pk_add_f16 v[4:5], v3, off
	
	;;#ASMEND
	v_or_b32_e32 v3, v8, v7
	v_lshl_add_u64 v[4:5], v[0:1], 0, s[30:31]
	;;#ASMSTART
	global_atomic_pk_add_f16 v[4:5], v3, off
	
	;;#ASMEND
	v_cvt_f16_f32_e32 v3, v15
	v_cvt_f16_f32_sdwa v6, v14 dst_sel:WORD_1 dst_unused:UNUSED_PAD src0_sel:DWORD
	v_cvt_f16_f32_e32 v7, v17
	v_cvt_f16_f32_sdwa v8, v16 dst_sel:WORD_1 dst_unused:UNUSED_PAD src0_sel:DWORD
	v_lshl_add_u64 v[4:5], v[0:1], 0, s[34:35]
	v_or_b32_e32 v3, v6, v3
	;;#ASMSTART
	global_atomic_pk_add_f16 v[4:5], v3, off
	
	;;#ASMEND
	v_lshl_add_u64 v[0:1], v[0:1], 0, s[44:45]
	v_or_b32_e32 v3, v8, v7
	;;#ASMSTART
	global_atomic_pk_add_f16 v[0:1], v3, off
	
	;;#ASMEND
.LBB380_53:                             ;   in Loop: Header=BB380_7 Depth=1
	s_or_b64 exec, exec, s[18:19]
	scratch_load_dword v17, off, off offset:112 ; 4-byte Folded Reload
	s_waitcnt lgkmcnt(0)
	scratch_load_dwordx2 v[18:19], off, off offset:128 ; 8-byte Folded Reload
	scratch_load_dword v20, off, off offset:136 ; 4-byte Folded Reload
	v_subrev_u32_e32 v12, s72, v12
	v_mov_b32_e32 v30, v98
.LBB380_54:                             ;   in Loop: Header=BB380_7 Depth=1
	s_or_b64 exec, exec, s[52:53]
.LBB380_55:                             ;   in Loop: Header=BB380_7 Depth=1
	s_andn2_saveexec_b64 s[6:7], s[50:51]
	s_cbranch_execz .LBB380_64
; %bb.56:                               ;   in Loop: Header=BB380_7 Depth=1
	s_mul_i32 s16, s72, 6
	v_cmp_gt_i32_e32 vcc, s16, v12
	s_and_saveexec_b64 s[8:9], vcc
	s_cbranch_execz .LBB380_63
; %bb.57:                               ;   in Loop: Header=BB380_7 Depth=1
	scratch_load_dwordx2 v[0:1], off, off offset:140 ; 8-byte Folded Reload
	s_mul_i32 s10, s48, s23
	s_ashr_i32 s11, s10, 31
	s_waitcnt lgkmcnt(0)
	s_add_u32 s10, s38, s10
	s_addc_u32 s11, s39, s11
	s_ashr_i32 s12, s70, 31
	s_add_u32 s10, s10, s70
	s_addc_u32 s11, s11, s12
	s_waitcnt vmcnt(0)
	v_lshl_add_u64 v[0:1], s[10:11], 0, v[0:1]
	v_lshl_add_u64 v[8:9], v[0:1], 0, v[18:19]
	s_mov_b64 s[10:11], 0
	s_branch .LBB380_59
.LBB380_58:                             ;   in Loop: Header=BB380_59 Depth=2
	s_or_b64 exec, exec, s[12:13]
	v_lshl_or_b32 v15, v13, 11, v11
	;;#ASMSTART
	s_waitcnt vmcnt(1)
	;;#ASMEND
	ds_write2_b32 v15, v4, v5 offset1:32
	ds_write2_b32 v15, v6, v7 offset0:64 offset1:96
	v_add_u32_e32 v4, 0x400, v15
	v_add_u32_e32 v12, s26, v12
	;;#ASMSTART
	s_waitcnt vmcnt(0)
	;;#ASMEND
	ds_write2_b32 v4, v0, v1 offset1:32
	ds_write2_b32 v4, v2, v3 offset0:64 offset1:96
	v_add_u32_e32 v0, 1, v10
	v_add_u32_e32 v2, s26, v13
	v_cmp_le_i32_e32 vcc, s16, v12
	ds_write_b32 v14, v0 offset:48
	v_add_u32_e32 v0, 2, v10
	s_or_b64 s[10:11], vcc, s[10:11]
	v_cmp_lt_i32_e32 vcc, 17, v2
	s_nop 1
	v_cndmask_b32_e32 v10, v10, v0, vcc
	s_andn2_b64 exec, exec, s[10:11]
	s_cbranch_execz .LBB380_62
.LBB380_59:                             ;   Parent Loop BB380_7 Depth=1
                                        ; =>  This Loop Header: Depth=2
                                        ;       Child Loop BB380_61 Depth 3
	v_not_b32_e32 v0, 17
	v_cmp_gt_i32_e32 vcc, 18, v2
	s_nop 1
	v_cndmask_b32_e64 v0, v0, 0, vcc
	v_add_u32_e32 v13, v0, v2
	v_mul_hi_i32 v0, v12, s58
	v_lshrrev_b32_e32 v1, 31, v0
	v_add_u32_e32 v0, v0, v1
	v_mul_lo_u32 v1, v0, 6
	v_sub_u32_e32 v2, v12, v1
	v_lshlrev_b32_e32 v0, 7, v0
	v_ashrrev_i32_e32 v1, 31, v0
	v_mul_lo_u32 v2, s62, v2
	v_lshl_add_u64 v[0:1], v[8:9], 0, v[0:1]
	v_ashrrev_i32_e32 v3, 31, v2
	v_lshl_add_u64 v[0:1], v[0:1], 0, v[2:3]
	v_lshlrev_b32_e32 v14, 2, v13
	;;#ASMSTART
	global_load_dwordx4 v[4:7], v[0:1], off offset:0   sc0 sc1 nt  
	global_load_dwordx4 v[0:3], v[0:1], off offset:64  sc0 sc1 nt  
	
	;;#ASMEND
	ds_read_b32 v15, v14 offset:61488
	v_add_u32_e32 v14, 0xf000, v14
	s_waitcnt lgkmcnt(0)
	v_cmp_ne_u32_e32 vcc, v15, v10
	s_and_saveexec_b64 s[12:13], vcc
	s_cbranch_execz .LBB380_58
; %bb.60:                               ;   in Loop: Header=BB380_59 Depth=2
	s_mov_b64 s[14:15], 0
.LBB380_61:                             ;   Parent Loop BB380_7 Depth=1
                                        ;     Parent Loop BB380_59 Depth=2
                                        ; =>    This Inner Loop Header: Depth=3
	;;#ASMSTART
	s_sleep 0
	;;#ASMEND
	ds_read_b32 v15, v14 offset:48
	s_waitcnt lgkmcnt(0)
	v_cmp_eq_u32_e32 vcc, v15, v10
	s_or_b64 s[14:15], vcc, s[14:15]
	s_andn2_b64 exec, exec, s[14:15]
	s_cbranch_execnz .LBB380_61
	s_branch .LBB380_58
.LBB380_62:                             ;   in Loop: Header=BB380_7 Depth=1
	s_or_b64 exec, exec, s[10:11]
.LBB380_63:                             ;   in Loop: Header=BB380_7 Depth=1
	s_or_b64 exec, exec, s[8:9]
	v_subrev_u32_e32 v12, s16, v12
.LBB380_64:                             ;   in Loop: Header=BB380_7 Depth=1
	s_or_b64 exec, exec, s[6:7]
.LBB380_65:                             ;   in Loop: Header=BB380_7 Depth=1
	s_andn2_saveexec_b64 s[6:7], s[46:47]
	s_cbranch_execz .LBB380_6
; %bb.66:                               ;   in Loop: Header=BB380_7 Depth=1
	s_lshl_b32 s16, s72, 2
	v_cmp_gt_i32_e32 vcc, s16, v12
	s_and_saveexec_b64 s[8:9], vcc
	s_cbranch_execz .LBB380_5
; %bb.67:                               ;   in Loop: Header=BB380_7 Depth=1
	s_mul_i32 s69, s69, s22
	s_ashr_i32 s10, s69, 31
	s_waitcnt lgkmcnt(0)
	s_add_u32 s11, s36, s69
	s_waitcnt vmcnt(0)
	v_add_u32_e32 v3, s71, v20
	s_addc_u32 s12, s37, s10
	s_ashr_i32 s13, s70, 31
	v_mul_lo_u32 v0, s22, v20
	v_cmp_gt_u32_e32 vcc, 64, v3
	s_add_u32 s10, s11, s70
	s_addc_u32 s11, s12, s13
	v_cndmask_b32_e32 v0, 0, v0, vcc
	v_ashrrev_i32_e32 v1, 31, v0
	v_lshl_add_u64 v[0:1], s[10:11], 0, v[0:1]
	v_lshl_add_u64 v[8:9], v[0:1], 0, v[18:19]
	v_sub_u32_e32 v13, 63, v3
	s_mov_b64 s[10:11], 0
	s_branch .LBB380_69
.LBB380_68:                             ;   in Loop: Header=BB380_69 Depth=2
	s_or_b64 exec, exec, s[12:13]
	v_or_b32_e32 v16, 0x9000, v11
	v_lshl_add_u32 v16, v14, 11, v16
	;;#ASMSTART
	s_waitcnt vmcnt(1)
	;;#ASMEND
	ds_write2_b32 v16, v4, v5 offset1:32
	ds_write2_b32 v16, v6, v7 offset0:64 offset1:96
	v_add_u32_e32 v4, 0x400, v16
	v_add_u32_e32 v12, s25, v12
	;;#ASMSTART
	s_waitcnt vmcnt(0)
	;;#ASMEND
	ds_write2_b32 v4, v0, v1 offset1:32
	ds_write2_b32 v4, v2, v3 offset0:64 offset1:96
	v_add_u32_e32 v0, 1, v10
	v_add_u32_e32 v2, s25, v14
	v_cmp_le_i32_e32 vcc, s16, v12
	ds_write_b32 v15, v0
	v_add_u32_e32 v0, 2, v10
	s_or_b64 s[10:11], vcc, s[10:11]
	v_cmp_lt_i32_e32 vcc, 11, v2
	s_nop 1
	v_cndmask_b32_e32 v10, v10, v0, vcc
	s_andn2_b64 exec, exec, s[10:11]
	s_cbranch_execz .LBB380_4
.LBB380_69:                             ;   Parent Loop BB380_7 Depth=1
                                        ; =>  This Loop Header: Depth=2
                                        ;       Child Loop BB380_71 Depth 3
	v_cmp_gt_i32_e32 vcc, 12, v2
	s_nop 1
	v_cndmask_b32_e64 v0, -12, 0, vcc
	v_add_u32_e32 v14, v0, v2
	v_ashrrev_i32_e32 v0, 31, v12
	v_lshrrev_b32_e32 v0, 30, v0
	v_add_u32_e32 v0, v12, v0
	v_and_b32_e32 v1, 0xffffffc, v0
	v_sub_u32_e32 v1, v12, v1
	v_lshlrev_b32_e32 v1, 4, v1
	v_cmp_le_i32_e32 vcc, v1, v13
	v_lshlrev_b32_e32 v0, 5, v0
	v_and_b32_e32 v0, 0xffffff80, v0
	v_cndmask_b32_e32 v2, 0, v1, vcc
	v_ashrrev_i32_e32 v1, 31, v0
	v_mul_lo_u32 v2, v2, s22
	v_lshl_add_u64 v[0:1], v[8:9], 0, v[0:1]
	v_ashrrev_i32_e32 v3, 31, v2
	v_lshl_add_u64 v[0:1], v[0:1], 0, v[2:3]
	v_lshlrev_b32_e32 v15, 2, v14
	;;#ASMSTART
	global_load_dwordx4 v[4:7], v[0:1], off offset:0   
	global_load_dwordx4 v[0:3], v[0:1], off offset:64  
	
	;;#ASMEND
	ds_read_b32 v16, v15 offset:61440
	v_add_u32_e32 v15, 0xf000, v15
	s_waitcnt lgkmcnt(0)
	v_cmp_ne_u32_e32 vcc, v16, v10
	s_and_saveexec_b64 s[12:13], vcc
	s_cbranch_execz .LBB380_68
; %bb.70:                               ;   in Loop: Header=BB380_69 Depth=2
	s_mov_b64 s[14:15], 0
.LBB380_71:                             ;   Parent Loop BB380_7 Depth=1
                                        ;     Parent Loop BB380_69 Depth=2
                                        ; =>    This Inner Loop Header: Depth=3
	;;#ASMSTART
	s_sleep 0
	;;#ASMEND
	ds_read_b32 v16, v15
	s_waitcnt lgkmcnt(0)
	v_cmp_eq_u32_e32 vcc, v16, v10
	s_or_b64 s[14:15], vcc, s[14:15]
	s_andn2_b64 exec, exec, s[14:15]
	s_cbranch_execnz .LBB380_71
	s_branch .LBB380_68
.LBB380_72:
	s_endpgm
	.section	.rodata,"a",@progbits
	.p2align	6, 0x0
	.amdhsa_kernel _Z19_skinny_gemm_kernelILi4ELi6ELi3ELi16ELi4EEvPKhS1_P6__halfPKfiiiiiiii
		.amdhsa_group_segment_fixed_size 61560
		.amdhsa_private_segment_fixed_size 184
		.amdhsa_kernarg_size 64
		.amdhsa_user_sgpr_count 2
		.amdhsa_user_sgpr_dispatch_ptr 0
		.amdhsa_user_sgpr_queue_ptr 0
		.amdhsa_user_sgpr_kernarg_segment_ptr 1
		.amdhsa_user_sgpr_dispatch_id 0
		.amdhsa_user_sgpr_kernarg_preload_length 0
		.amdhsa_user_sgpr_kernarg_preload_offset 0
		.amdhsa_user_sgpr_private_segment_size 0
		.amdhsa_uses_dynamic_stack 0
		.amdhsa_enable_private_segment 1
		.amdhsa_system_sgpr_workgroup_id_x 1
		.amdhsa_system_sgpr_workgroup_id_y 0
		.amdhsa_system_sgpr_workgroup_id_z 0
		.amdhsa_system_sgpr_workgroup_info 0
		.amdhsa_system_vgpr_workitem_id 0
		.amdhsa_next_free_vgpr 128
		.amdhsa_next_free_sgpr 73
		.amdhsa_accum_offset 128
		.amdhsa_reserve_vcc 1
		.amdhsa_float_round_mode_32 0
		.amdhsa_float_round_mode_16_64 0
		.amdhsa_float_denorm_mode_32 3
		.amdhsa_float_denorm_mode_16_64 3
		.amdhsa_dx10_clamp 1
		.amdhsa_ieee_mode 1
		.amdhsa_fp16_overflow 0
		.amdhsa_tg_split 0
		.amdhsa_exception_fp_ieee_invalid_op 0
		.amdhsa_exception_fp_denorm_src 0
		.amdhsa_exception_fp_ieee_div_zero 0
		.amdhsa_exception_fp_ieee_overflow 0
		.amdhsa_exception_fp_ieee_underflow 0
		.amdhsa_exception_fp_ieee_inexact 0
		.amdhsa_exception_int_div_zero 0
	.end_amdhsa_kernel
	.section	.text._Z19_skinny_gemm_kernelILi4ELi6ELi3ELi16ELi4EEvPKhS1_P6__halfPKfiiiiiiii,"axG",@progbits,_Z19_skinny_gemm_kernelILi4ELi6ELi3ELi16ELi4EEvPKhS1_P6__halfPKfiiiiiiii,comdat
.Lfunc_end380:
	.size	_Z19_skinny_gemm_kernelILi4ELi6ELi3ELi16ELi4EEvPKhS1_P6__halfPKfiiiiiiii, .Lfunc_end380-_Z19_skinny_gemm_kernelILi4ELi6ELi3ELi16ELi4EEvPKhS1_P6__halfPKfiiiiiiii
                                        ; -- End function
	.set _Z19_skinny_gemm_kernelILi4ELi6ELi3ELi16ELi4EEvPKhS1_P6__halfPKfiiiiiiii.num_vgpr, 128
	.set _Z19_skinny_gemm_kernelILi4ELi6ELi3ELi16ELi4EEvPKhS1_P6__halfPKfiiiiiiii.num_agpr, 0
	.set _Z19_skinny_gemm_kernelILi4ELi6ELi3ELi16ELi4EEvPKhS1_P6__halfPKfiiiiiiii.numbered_sgpr, 73
	.set _Z19_skinny_gemm_kernelILi4ELi6ELi3ELi16ELi4EEvPKhS1_P6__halfPKfiiiiiiii.num_named_barrier, 0
	.set _Z19_skinny_gemm_kernelILi4ELi6ELi3ELi16ELi4EEvPKhS1_P6__halfPKfiiiiiiii.private_seg_size, 184
	.set _Z19_skinny_gemm_kernelILi4ELi6ELi3ELi16ELi4EEvPKhS1_P6__halfPKfiiiiiiii.uses_vcc, 1
	.set _Z19_skinny_gemm_kernelILi4ELi6ELi3ELi16ELi4EEvPKhS1_P6__halfPKfiiiiiiii.uses_flat_scratch, 0
	.set _Z19_skinny_gemm_kernelILi4ELi6ELi3ELi16ELi4EEvPKhS1_P6__halfPKfiiiiiiii.has_dyn_sized_stack, 0
	.set _Z19_skinny_gemm_kernelILi4ELi6ELi3ELi16ELi4EEvPKhS1_P6__halfPKfiiiiiiii.has_recursion, 0
	.set _Z19_skinny_gemm_kernelILi4ELi6ELi3ELi16ELi4EEvPKhS1_P6__halfPKfiiiiiiii.has_indirect_call, 0
	.section	.AMDGPU.csdata,"",@progbits
; Kernel info:
; codeLenInByte = 11720
; TotalNumSgprs: 79
; NumVgprs: 128
; NumAgprs: 0
; TotalNumVgprs: 128
; ScratchSize: 184
; MemoryBound: 0
; FloatMode: 240
; IeeeMode: 1
; LDSByteSize: 61560 bytes/workgroup (compile time only)
; SGPRBlocks: 9
; VGPRBlocks: 15
; NumSGPRsForWavesPerEU: 79
; NumVGPRsForWavesPerEU: 128
; AccumOffset: 128
; Occupancy: 4
; WaveLimiterHint : 0
; COMPUTE_PGM_RSRC2:SCRATCH_EN: 1
; COMPUTE_PGM_RSRC2:USER_SGPR: 2
; COMPUTE_PGM_RSRC2:TRAP_HANDLER: 0
; COMPUTE_PGM_RSRC2:TGID_X_EN: 1
; COMPUTE_PGM_RSRC2:TGID_Y_EN: 0
; COMPUTE_PGM_RSRC2:TGID_Z_EN: 0
; COMPUTE_PGM_RSRC2:TIDIG_COMP_CNT: 0
; COMPUTE_PGM_RSRC3_GFX90A:ACCUM_OFFSET: 31
; COMPUTE_PGM_RSRC3_GFX90A:TG_SPLIT: 0
	.section	.text._Z19_skinny_gemm_kernelILi4ELi6ELi3ELi32ELi4EEvPKhS1_P6__halfPKfiiiiiiii,"axG",@progbits,_Z19_skinny_gemm_kernelILi4ELi6ELi3ELi32ELi4EEvPKhS1_P6__halfPKfiiiiiiii,comdat
	.protected	_Z19_skinny_gemm_kernelILi4ELi6ELi3ELi32ELi4EEvPKhS1_P6__halfPKfiiiiiiii ; -- Begin function _Z19_skinny_gemm_kernelILi4ELi6ELi3ELi32ELi4EEvPKhS1_P6__halfPKfiiiiiiii
	.globl	_Z19_skinny_gemm_kernelILi4ELi6ELi3ELi32ELi4EEvPKhS1_P6__halfPKfiiiiiiii
	.p2align	8
	.type	_Z19_skinny_gemm_kernelILi4ELi6ELi3ELi32ELi4EEvPKhS1_P6__halfPKfiiiiiiii,@function
_Z19_skinny_gemm_kernelILi4ELi6ELi3ELi32ELi4EEvPKhS1_P6__halfPKfiiiiiiii: ; @_Z19_skinny_gemm_kernelILi4ELi6ELi3ELi32ELi4EEvPKhS1_P6__halfPKfiiiiiiii
; %bb.0:
	v_cmp_gt_u32_e32 vcc, 30, v0
	s_and_saveexec_b64 s[4:5], vcc
; %bb.1:
	v_lshlrev_b32_e32 v1, 2, v0
	v_mov_b32_e32 v2, 0
	ds_write_b32 v1, v2 offset:61440
; %bb.2:
	s_or_b64 exec, exec, s[4:5]
	s_load_dwordx8 s[52:59], s[0:1], 0x20
	s_waitcnt lgkmcnt(0)
	s_barrier
	s_add_i32 s3, s52, 0x7f
	s_ashr_i32 s5, s3, 31
	s_add_i32 s4, s53, 0xbf
	s_lshr_b32 s5, s5, 25
	s_mul_hi_i32 s4, s4, 0x2aaaaaab
	s_add_i32 s3, s3, s5
	s_ashr_i32 s11, s3, 7
	s_lshr_b32 s3, s4, 31
	s_ashr_i32 s4, s4, 5
	s_add_i32 s12, s4, s3
	s_mul_i32 s3, s12, s11
	s_mul_i32 s3, s3, s56
	s_add_i32 s4, s3, 0x12f
	s_mul_hi_i32 s4, s4, 0x6bca1af3
	s_lshr_b32 s5, s4, 31
	s_ashr_i32 s4, s4, 7
	s_add_i32 s4, s4, s5
	s_add_i32 s5, s2, 1
	s_mul_i32 s5, s4, s5
	v_cvt_f64_i32_e32 v[2:3], s3
	v_cvt_f64_u32_e32 v[4:5], s5
	v_min_f64 v[2:3], v[2:3], v[4:5]
	v_cvt_i32_f64_e32 v14, v[2:3]
	s_mul_i32 s33, s4, s2
	v_cmp_ge_i32_e32 vcc, s33, v14
	s_cbranch_vccnz .LBB381_58
; %bb.3:
	s_load_dwordx8 s[16:23], s[0:1], 0x0
	v_lshrrev_b32_e32 v1, 6, v0
	s_add_i32 s0, s58, s57
	v_cmp_le_i32_e64 s[14:15], s0, v1
	v_mov_b32_e32 v2, s57
	v_cmp_le_i32_e64 s[24:25], s57, v1
	v_mov_b32_e32 v3, s58
	v_cndmask_b32_e64 v3, 0, v3, s[14:15]
	v_cndmask_b32_e64 v2, 0, v2, s[24:25]
	s_abs_i32 s1, s56
	v_add_u32_e32 v2, v2, v3
	v_cvt_f32_u32_e32 v3, s1
	v_sub_u32_e32 v104, v1, v2
	s_ashr_i32 s2, s54, 31
	s_lshr_b32 s2, s2, 26
	v_rcp_iflag_f32_e32 v2, v3
	s_sub_i32 s5, 0, s1
	s_add_i32 s2, s54, s2
	s_ashr_i32 s2, s2, 6
	v_mul_f32_e32 v2, 0x4f7ffffe, v2
	v_cvt_u32_f32_e32 v2, v2
	s_abs_i32 s4, s2
	s_xor_b32 s3, s2, s56
	s_ashr_i32 s3, s3, 31
	v_readfirstlane_b32 s6, v2
	s_mul_i32 s5, s5, s6
	s_mul_hi_u32 s5, s6, s5
	s_add_i32 s6, s6, s5
	s_mul_hi_u32 s5, s4, s6
	s_mul_i32 s6, s5, s1
	s_sub_i32 s4, s4, s6
	s_add_i32 s6, s5, 1
	s_sub_i32 s7, s4, s1
	s_cmp_ge_u32 s4, s1
	s_cselect_b32 s5, s6, s5
	s_cselect_b32 s4, s7, s4
	s_add_i32 s6, s5, 1
	s_cmp_ge_u32 s4, s1
	s_cselect_b32 s1, s6, s5
	s_add_i32 s0, s0, s59
	v_and_b32_e32 v120, 31, v0
	v_lshrrev_b32_e32 v2, 3, v0
	v_cmp_gt_i32_e64 s[28:29], s0, v1
	v_lshlrev_b32_e32 v1, 2, v120
	v_and_b32_e32 v3, 4, v2
	v_lshlrev_b32_e32 v2, 6, v3
	v_or_b32_e32 v4, 0x9000, v1
	v_and_b32_e32 v5, 1, v0
	v_or_b32_e32 v116, v4, v2
	v_or_b32_e32 v117, v1, v2
	v_lshlrev_b32_e32 v2, 1, v5
	v_sub_u32_e32 v2, v0, v2
	v_add_u32_e32 v2, 1, v2
	v_and_b32_e32 v6, 63, v2
	v_bitop3_b32 v2, v0, 1, v0 bitop3:0xc
	scratch_store_dword off, v2, off offset:48 ; 4-byte Folded Spill
	v_bitop3_b32 v2, v0, 3, 1 bitop3:0x6c
	scratch_store_dword off, v2, off offset:52 ; 4-byte Folded Spill
	;; [unrolled: 2-line block ×5, first 2 shown]
	v_bitop3_b32 v2, v0, 11, 1 bitop3:0x6c
	v_lshrrev_b32_e32 v7, 1, v0
	s_abs_i32 s30, s11
                                        ; implicit-def: $vgpr126 : SGPR spill to VGPR lane
	scratch_store_dword off, v2, off offset:68 ; 4-byte Folded Spill
	v_bitop3_b32 v2, v0, 13, 1 bitop3:0x6c
	v_and_b32_e32 v16, 16, v7
	v_cvt_f32_u32_e32 v7, s30
	v_writelane_b32 v126, s11, 0
	scratch_store_dword off, v2, off offset:72 ; 4-byte Folded Spill
	v_bitop3_b32 v2, v0, 15, 1 bitop3:0x6c
	v_writelane_b32 v126, s12, 1
	scratch_store_dword off, v2, off offset:76 ; 4-byte Folded Spill
	v_and_b32_e32 v2, 30, v0
	v_lshlrev_b32_e32 v0, 4, v0
	s_waitcnt lgkmcnt(0)
	v_writelane_b32 v126, s16, 2
	v_and_b32_e32 v0, 0x200, v0
	v_or_b32_e32 v15, v1, v0
	v_writelane_b32 v126, s17, 3
	v_rcp_iflag_f32_e32 v1, v7
	v_writelane_b32 v126, s18, 4
	v_writelane_b32 v126, s19, 5
	;; [unrolled: 1-line block ×3, first 2 shown]
	s_abs_i32 s34, s12
	v_writelane_b32 v126, s21, 7
	v_or_b32_e32 v124, v4, v0
	v_mul_f32_e32 v0, 0x4f7ffffe, v1
	v_cvt_f32_u32_e32 v1, s34
	v_writelane_b32 v126, s22, 8
	v_writelane_b32 v126, s23, 9
	v_cndmask_b32_e64 v111, 0, 1, s[14:15]
	v_writelane_b32 v126, s14, 10
	s_xor_b32 s1, s1, s3
	v_cvt_u32_f32_e32 v0, v0
	v_writelane_b32 v126, s15, 11
	v_rcp_iflag_f32_e32 v1, v1
	v_writelane_b32 v126, s24, 12
	s_sub_i32 s13, s1, s3
	s_add_i32 s26, s56, -1
	v_writelane_b32 v126, s25, 13
	s_mul_i32 s1, s13, s26
	v_writelane_b32 v126, s13, 14
	s_sub_i32 s27, s2, s1
	v_writelane_b32 v126, s26, 15
	v_readfirstlane_b32 s1, v0
	v_mul_f32_e32 v0, 0x4f7ffffe, v1
	v_writelane_b32 v126, s27, 16
	v_cvt_u32_f32_e32 v0, v0
	v_writelane_b32 v126, s28, 17
	s_sub_i32 s0, 0, s30
	s_lshl_b32 s31, s55, 5
	v_writelane_b32 v126, s29, 18
	s_mul_i32 s0, s0, s1
	v_writelane_b32 v126, s30, 19
	s_mul_hi_u32 s0, s1, s0
	v_writelane_b32 v126, s31, 20
	s_ashr_i32 s35, s11, 31
	s_add_i32 s36, s1, s0
	s_sub_i32 s0, 0, s34
	v_readfirstlane_b32 s1, v0
	v_writelane_b32 v126, s34, 21
	s_mul_i32 s0, s0, s1
	v_writelane_b32 v126, s35, 22
	s_ashr_i32 s37, s12, 31
	s_mul_hi_u32 s0, s1, s0
	v_writelane_b32 v126, s36, 23
	s_add_i32 s38, s1, s0
	v_writelane_b32 v126, s37, 24
	v_writelane_b32 v126, s38, 25
	v_mul_lo_u32 v8, s55, v120
	v_writelane_b32 v126, s52, 26
	v_mbcnt_lo_u32_b32 v0, -1, 0
	v_mbcnt_hi_u32_b32 v0, -1, v0
	v_writelane_b32 v126, s53, 27
	v_writelane_b32 v126, s54, 28
	;; [unrolled: 1-line block ×5, first 2 shown]
	v_mov_b32_e32 v119, 0
	v_and_or_b32 v0, v0, 64, v6
	v_writelane_b32 v126, s58, 32
	v_ashrrev_i32_e32 v9, 31, v8
	v_mov_b32_e32 v17, v119
	v_lshlrev_b32_e32 v118, 1, v2
	v_lshlrev_b32_e32 v0, 2, v0
	v_mov_b32_e32 v101, v104
	v_writelane_b32 v126, s59, 33
	scratch_store_dwordx2 off, v[8:9], off offset:88 ; 8-byte Folded Spill
	v_or_b32_e32 v100, v5, v3
	scratch_store_dword off, v0, off offset:104 ; 4-byte Folded Spill
	scratch_store_dword off, v14, off offset:32 ; 4-byte Folded Spill
	;; [unrolled: 1-line block ×5, first 2 shown]
	scratch_store_dwordx2 off, v[16:17], off offset:80 ; 8-byte Folded Spill
	scratch_store_dword off, v15, off offset:96 ; 4-byte Folded Spill
	scratch_store_dword off, v100, off offset:100 ; 4-byte Folded Spill
	s_branch .LBB381_7
.LBB381_4:                              ;   in Loop: Header=BB381_7 Depth=1
	s_or_b64 exec, exec, s[4:5]
.LBB381_5:                              ;   in Loop: Header=BB381_7 Depth=1
	s_or_b64 exec, exec, s[2:3]
	v_subrev_u32_e32 v101, s10, v101
.LBB381_6:                              ;   in Loop: Header=BB381_7 Depth=1
	s_or_b64 exec, exec, s[0:1]
	s_add_i32 s33, s33, 1
	s_waitcnt vmcnt(3)
	v_cmp_ge_i32_e32 vcc, s33, v14
	s_cbranch_vccnz .LBB381_58
.LBB381_7:                              ; =>This Loop Header: Depth=1
                                        ;     Child Loop BB381_13 Depth 2
                                        ;       Child Loop BB381_15 Depth 3
                                        ;       Child Loop BB381_18 Depth 3
	;; [unrolled: 1-line block ×7, first 2 shown]
                                        ;     Child Loop BB381_37 Depth 2
                                        ;     Child Loop BB381_45 Depth 2
                                        ;       Child Loop BB381_47 Depth 3
                                        ;     Child Loop BB381_55 Depth 2
                                        ;       Child Loop BB381_57 Depth 3
	s_abs_i32 s1, s33
	s_mul_hi_u32 s2, s1, s36
	s_mul_i32 s3, s2, s30
	s_ashr_i32 s0, s33, 31
	s_sub_i32 s1, s1, s3
	s_xor_b32 s0, s0, s35
	s_add_i32 s3, s2, 1
	s_sub_i32 s4, s1, s30
	s_cmp_ge_u32 s1, s30
	s_cselect_b32 s2, s3, s2
	s_cselect_b32 s1, s4, s1
	s_add_i32 s3, s2, 1
	s_cmp_ge_u32 s1, s30
	s_cselect_b32 s1, s3, s2
	s_xor_b32 s1, s1, s0
	s_sub_i32 s0, s1, s0
	s_abs_i32 s2, s0
	s_mul_i32 s1, s0, s11
	s_mul_hi_u32 s3, s2, s38
	s_sub_i32 s1, s33, s1
	s_mul_i32 s4, s3, s34
	s_lshl_b32 s39, s1, 7
	s_ashr_i32 s1, s0, 31
	s_sub_i32 s2, s2, s4
	s_xor_b32 s1, s1, s37
	s_add_i32 s4, s3, 1
	s_sub_i32 s5, s2, s34
	s_cmp_ge_u32 s2, s34
	s_cselect_b32 s3, s4, s3
	s_cselect_b32 s2, s5, s2
	s_add_i32 s4, s3, 1
	s_cmp_ge_u32 s2, s34
	s_cselect_b32 s2, s4, s3
	s_xor_b32 s2, s2, s1
	s_sub_i32 s1, s2, s1
	s_mul_i32 s2, s1, s13
	s_lshl_b32 s40, s2, 6
	s_cmp_eq_u32 s1, s26
	s_cselect_b32 s41, s27, s13
	s_sub_i32 s2, s39, s52
	s_addk_i32 s2, 0x80
	s_max_i32 s92, s2, 0
	s_and_saveexec_b64 s[2:3], s[24:25]
	s_xor_b64 s[42:43], exec, s[2:3]
	s_cbranch_execz .LBB381_51
; %bb.8:                                ;   in Loop: Header=BB381_7 Depth=1
	s_mul_i32 s1, s1, s12
	s_sub_i32 s0, s0, s1
	s_mulk_i32 s0, 0xc0
	s_sub_i32 s8, s0, s53
	s_addk_i32 s8, 0xc0
	s_max_i32 s1, s8, 0
	s_sub_i32 s44, s0, s1
	s_and_saveexec_b64 s[0:1], s[14:15]
	s_xor_b64 s[46:47], exec, s[0:1]
	s_cbranch_execz .LBB381_41
; %bb.9:                                ;   in Loop: Header=BB381_7 Depth=1
	s_and_saveexec_b64 s[48:49], s[28:29]
	s_cbranch_execz .LBB381_40
; %bb.10:                               ;   in Loop: Header=BB381_7 Depth=1
	global_load_dword v96, v119, s[22:23]
	v_mov_b32_e32 v95, 0
	v_cmp_gt_i32_e32 vcc, s41, v101
	v_mov_b32_e32 v94, v95
	v_mov_b32_e32 v93, v95
	;; [unrolled: 1-line block ×77, first 2 shown]
	s_waitcnt vmcnt(2)
	v_mov_b32_e32 v17, v95
	v_mov_b32_e32 v16, v95
	s_waitcnt vmcnt(1)
	v_mov_b32_e32 v15, v95
	v_mov_b32_e32 v14, v95
	;; [unrolled: 1-line block ×16, first 2 shown]
	s_and_saveexec_b64 s[0:1], vcc
	s_cbranch_execz .LBB381_35
; %bb.11:                               ;   in Loop: Header=BB381_7 Depth=1
	v_mov_b32_e32 v0, 0
	s_mov_b64 s[2:3], 0
	v_mov_b32_e32 v1, v0
	v_mov_b32_e32 v2, v0
	;; [unrolled: 1-line block ×95, first 2 shown]
	s_branch .LBB381_13
.LBB381_12:                             ;   in Loop: Header=BB381_13 Depth=2
	s_or_b64 exec, exec, s[4:5]
	v_add_u32_e32 v114, 0x2800, v110
	ds_read2_b32 v[112:113], v114 offset1:32
	v_add_u32_e32 v101, s59, v101
	s_waitcnt lgkmcnt(0)
	v_mfma_f32_32x32x16_fp8_fp8 v[0:15], v[108:109], v[112:113], v[0:15]
	ds_read2_b32 v[108:109], v114 offset0:128 offset1:160
	s_waitcnt lgkmcnt(0)
	v_mfma_f32_32x32x16_fp8_fp8 v[0:15], v[106:107], v[108:109], v[0:15]
	v_add_u32_e32 v108, 0x2c00, v110
	ds_read2_b32 v[106:107], v108 offset1:32
	ds_read2_b32 v[108:109], v108 offset0:128 offset1:160
	ds_write_b32 v98, v99 offset:61484
	s_waitcnt lgkmcnt(2)
	v_mfma_f32_32x32x16_fp8_fp8 v[0:15], v[104:105], v[106:107], v[0:15]
	v_add_u32_e32 v104, s59, v97
	v_add_u32_e32 v97, 2, v111
	v_cmp_lt_i32_e32 vcc, 2, v104
	s_nop 1
	v_cndmask_b32_e32 v111, v111, v97, vcc
	v_cmp_le_i32_e32 vcc, s41, v101
	s_waitcnt lgkmcnt(1)
	v_mfma_f32_32x32x16_fp8_fp8 v[0:15], v[102:103], v[108:109], v[0:15]
	s_or_b64 s[2:3], vcc, s[2:3]
	s_andn2_b64 exec, exec, s[2:3]
	s_cbranch_execz .LBB381_34
.LBB381_13:                             ;   Parent Loop BB381_7 Depth=1
                                        ; =>  This Loop Header: Depth=2
                                        ;       Child Loop BB381_15 Depth 3
                                        ;       Child Loop BB381_18 Depth 3
	;; [unrolled: 1-line block ×7, first 2 shown]
	v_cmp_gt_i32_e32 vcc, 3, v104
	s_nop 1
	v_cndmask_b32_e64 v97, -3, 0, vcc
	v_add_u32_e32 v97, v97, v104
	v_mul_lo_u32 v98, v97, 48
	ds_read_b32 v99, v98 offset:61440
	s_waitcnt lgkmcnt(0)
	v_cmp_ne_u32_e32 vcc, v99, v111
	s_and_saveexec_b64 s[4:5], vcc
	s_cbranch_execz .LBB381_16
; %bb.14:                               ;   in Loop: Header=BB381_13 Depth=2
	s_mov_b64 s[6:7], 0
.LBB381_15:                             ;   Parent Loop BB381_7 Depth=1
                                        ;     Parent Loop BB381_13 Depth=2
                                        ; =>    This Inner Loop Header: Depth=3
	;;#ASMSTART
	s_sleep 0
	;;#ASMEND
	ds_read_b32 v99, v98 offset:61440
	s_waitcnt lgkmcnt(0)
	v_cmp_eq_u32_e32 vcc, v99, v111
	s_or_b64 s[6:7], vcc, s[6:7]
	s_andn2_b64 exec, exec, s[6:7]
	s_cbranch_execnz .LBB381_15
.LBB381_16:                             ;   in Loop: Header=BB381_13 Depth=2
	s_or_b64 exec, exec, s[4:5]
	v_lshl_add_u32 v99, v97, 11, v116
	ds_read2_b32 v[108:109], v99 offset1:32
	ds_read2_b32 v[106:107], v99 offset0:128 offset1:160
	v_add_u32_e32 v99, 0x400, v99
	ds_read2_b32 v[104:105], v99 offset1:32
	ds_read_b32 v110, v98 offset:61444
	ds_read2_b32 v[102:103], v99 offset0:128 offset1:160
	v_add_u32_e32 v99, 1, v111
	ds_write_b32 v98, v99 offset:61440
	s_waitcnt lgkmcnt(2)
	v_cmp_ne_u32_e32 vcc, v110, v111
	s_and_saveexec_b64 s[4:5], vcc
	s_cbranch_execz .LBB381_19
; %bb.17:                               ;   in Loop: Header=BB381_13 Depth=2
	s_mov_b64 s[6:7], 0
.LBB381_18:                             ;   Parent Loop BB381_7 Depth=1
                                        ;     Parent Loop BB381_13 Depth=2
                                        ; =>    This Inner Loop Header: Depth=3
	;;#ASMSTART
	s_sleep 0
	;;#ASMEND
	ds_read_b32 v110, v98 offset:61444
	s_waitcnt lgkmcnt(0)
	v_cmp_eq_u32_e32 vcc, v110, v111
	s_or_b64 s[6:7], vcc, s[6:7]
	s_andn2_b64 exec, exec, s[6:7]
	s_cbranch_execnz .LBB381_18
.LBB381_19:                             ;   in Loop: Header=BB381_13 Depth=2
	s_or_b64 exec, exec, s[4:5]
	s_movk_i32 s4, 0x3000
	v_mul_lo_u32 v110, v97, s4
	v_or_b32_e32 v114, v117, v110
	ds_read2_b32 v[112:113], v114 offset1:32
	ds_write_b32 v98, v99 offset:61444
	s_waitcnt lgkmcnt(1)
	v_mfma_f32_32x32x16_fp8_fp8 v[80:95], v[108:109], v[112:113], v[80:95]
	ds_read2_b32 v[112:113], v114 offset0:128 offset1:160
	v_add_u32_e32 v114, 0x400, v114
	s_waitcnt lgkmcnt(0)
	v_mfma_f32_32x32x16_fp8_fp8 v[80:95], v[106:107], v[112:113], v[80:95]
	ds_read2_b32 v[112:113], v114 offset1:32
	s_waitcnt lgkmcnt(0)
	v_mfma_f32_32x32x16_fp8_fp8 v[80:95], v[104:105], v[112:113], v[80:95]
	ds_read2_b32 v[112:113], v114 offset0:128 offset1:160
	ds_read_b32 v114, v98 offset:61452
	s_waitcnt lgkmcnt(0)
	v_cmp_ne_u32_e32 vcc, v114, v111
	v_mfma_f32_32x32x16_fp8_fp8 v[80:95], v[102:103], v[112:113], v[80:95]
	s_and_saveexec_b64 s[4:5], vcc
	s_cbranch_execz .LBB381_22
; %bb.20:                               ;   in Loop: Header=BB381_13 Depth=2
	s_mov_b64 s[6:7], 0
.LBB381_21:                             ;   Parent Loop BB381_7 Depth=1
                                        ;     Parent Loop BB381_13 Depth=2
                                        ; =>    This Inner Loop Header: Depth=3
	;;#ASMSTART
	s_sleep 0
	;;#ASMEND
	ds_read_b32 v112, v98 offset:61452
	s_waitcnt lgkmcnt(0)
	v_cmp_eq_u32_e32 vcc, v112, v111
	s_or_b64 s[6:7], vcc, s[6:7]
	s_andn2_b64 exec, exec, s[6:7]
	s_cbranch_execnz .LBB381_21
.LBB381_22:                             ;   in Loop: Header=BB381_13 Depth=2
	s_or_b64 exec, exec, s[4:5]
	v_add_u32_e32 v110, v117, v110
	v_add_u32_e32 v114, 0x800, v110
	ds_read2_b32 v[112:113], v114 offset1:32
	ds_write_b32 v98, v99 offset:61452
	s_waitcnt lgkmcnt(1)
	v_mfma_f32_32x32x16_fp8_fp8 v[64:79], v[108:109], v[112:113], v[64:79]
	ds_read2_b32 v[112:113], v114 offset0:128 offset1:160
	v_add_u32_e32 v114, 0xc00, v110
	s_waitcnt lgkmcnt(0)
	v_mfma_f32_32x32x16_fp8_fp8 v[64:79], v[106:107], v[112:113], v[64:79]
	ds_read2_b32 v[112:113], v114 offset1:32
	s_waitcnt lgkmcnt(0)
	v_mfma_f32_32x32x16_fp8_fp8 v[64:79], v[104:105], v[112:113], v[64:79]
	ds_read2_b32 v[112:113], v114 offset0:128 offset1:160
	ds_read_b32 v114, v98 offset:61460
	s_waitcnt lgkmcnt(0)
	v_cmp_ne_u32_e32 vcc, v114, v111
	v_mfma_f32_32x32x16_fp8_fp8 v[64:79], v[102:103], v[112:113], v[64:79]
	s_and_saveexec_b64 s[4:5], vcc
	s_cbranch_execz .LBB381_25
; %bb.23:                               ;   in Loop: Header=BB381_13 Depth=2
	s_mov_b64 s[6:7], 0
.LBB381_24:                             ;   Parent Loop BB381_7 Depth=1
                                        ;     Parent Loop BB381_13 Depth=2
                                        ; =>    This Inner Loop Header: Depth=3
	;;#ASMSTART
	s_sleep 0
	;;#ASMEND
	ds_read_b32 v112, v98 offset:61460
	s_waitcnt lgkmcnt(0)
	v_cmp_eq_u32_e32 vcc, v112, v111
	s_or_b64 s[6:7], vcc, s[6:7]
	s_andn2_b64 exec, exec, s[6:7]
	s_cbranch_execnz .LBB381_24
.LBB381_25:                             ;   in Loop: Header=BB381_13 Depth=2
	s_or_b64 exec, exec, s[4:5]
	v_add_u32_e32 v114, 0x1000, v110
	ds_read2_b32 v[112:113], v114 offset1:32
	s_waitcnt lgkmcnt(0)
	v_mfma_f32_32x32x16_fp8_fp8 v[48:63], v[108:109], v[112:113], v[48:63]
	ds_read2_b32 v[112:113], v114 offset0:128 offset1:160
	v_add_u32_e32 v114, 0x1400, v110
	s_waitcnt lgkmcnt(0)
	v_mfma_f32_32x32x16_fp8_fp8 v[48:63], v[106:107], v[112:113], v[48:63]
	ds_read2_b32 v[112:113], v114 offset1:32
	s_waitcnt lgkmcnt(0)
	v_mfma_f32_32x32x16_fp8_fp8 v[48:63], v[104:105], v[112:113], v[48:63]
	ds_read_b32 v115, v98 offset:61468
	ds_read2_b32 v[112:113], v114 offset0:128 offset1:160
	ds_write_b32 v98, v99 offset:61460
	s_waitcnt lgkmcnt(2)
	v_cmp_ne_u32_e32 vcc, v115, v111
	s_waitcnt lgkmcnt(1)
	v_mfma_f32_32x32x16_fp8_fp8 v[48:63], v[102:103], v[112:113], v[48:63]
	s_and_saveexec_b64 s[4:5], vcc
	s_cbranch_execz .LBB381_28
; %bb.26:                               ;   in Loop: Header=BB381_13 Depth=2
	s_mov_b64 s[6:7], 0
.LBB381_27:                             ;   Parent Loop BB381_7 Depth=1
                                        ;     Parent Loop BB381_13 Depth=2
                                        ; =>    This Inner Loop Header: Depth=3
	;;#ASMSTART
	s_sleep 0
	;;#ASMEND
	ds_read_b32 v112, v98 offset:61468
	s_waitcnt lgkmcnt(0)
	v_cmp_eq_u32_e32 vcc, v112, v111
	s_or_b64 s[6:7], vcc, s[6:7]
	s_andn2_b64 exec, exec, s[6:7]
	s_cbranch_execnz .LBB381_27
.LBB381_28:                             ;   in Loop: Header=BB381_13 Depth=2
	s_or_b64 exec, exec, s[4:5]
	v_add_u32_e32 v114, 0x1800, v110
	ds_read2_b32 v[112:113], v114 offset1:32
	s_waitcnt lgkmcnt(0)
	v_mfma_f32_32x32x16_fp8_fp8 v[32:47], v[108:109], v[112:113], v[32:47]
	ds_read2_b32 v[112:113], v114 offset0:128 offset1:160
	v_add_u32_e32 v114, 0x1c00, v110
	s_waitcnt lgkmcnt(0)
	v_mfma_f32_32x32x16_fp8_fp8 v[32:47], v[106:107], v[112:113], v[32:47]
	ds_read2_b32 v[112:113], v114 offset1:32
	s_waitcnt lgkmcnt(0)
	v_mfma_f32_32x32x16_fp8_fp8 v[32:47], v[104:105], v[112:113], v[32:47]
	ds_read_b32 v115, v98 offset:61476
	ds_read2_b32 v[112:113], v114 offset0:128 offset1:160
	ds_write_b32 v98, v99 offset:61468
	s_waitcnt lgkmcnt(2)
	v_cmp_ne_u32_e32 vcc, v115, v111
	s_waitcnt lgkmcnt(1)
	;; [unrolled: 36-line block ×3, first 2 shown]
	v_mfma_f32_32x32x16_fp8_fp8 v[16:31], v[102:103], v[112:113], v[16:31]
	s_and_saveexec_b64 s[4:5], vcc
	s_cbranch_execz .LBB381_12
; %bb.32:                               ;   in Loop: Header=BB381_13 Depth=2
	s_mov_b64 s[6:7], 0
.LBB381_33:                             ;   Parent Loop BB381_7 Depth=1
                                        ;     Parent Loop BB381_13 Depth=2
                                        ; =>    This Inner Loop Header: Depth=3
	;;#ASMSTART
	s_sleep 0
	;;#ASMEND
	ds_read_b32 v112, v98 offset:61484
	s_waitcnt lgkmcnt(0)
	v_cmp_eq_u32_e32 vcc, v112, v111
	s_or_b64 s[6:7], vcc, s[6:7]
	s_andn2_b64 exec, exec, s[6:7]
	s_cbranch_execnz .LBB381_33
	s_branch .LBB381_12
.LBB381_34:                             ;   in Loop: Header=BB381_7 Depth=1
	s_or_b64 exec, exec, s[2:3]
.LBB381_35:                             ;   in Loop: Header=BB381_7 Depth=1
	v_writelane_b32 v126, s48, 34
	s_nop 1
	v_writelane_b32 v126, s49, 35
	v_writelane_b32 v126, s46, 36
	s_nop 1
	v_writelane_b32 v126, s47, 37
	;; [unrolled: 3-line block ×4, first 2 shown]
	v_writelane_b32 v126, s41, 42
	v_writelane_b32 v126, s40, 43
	;; [unrolled: 1-line block ×3, first 2 shown]
	s_or_b64 exec, exec, s[0:1]
	scratch_load_dword v100, off, off offset:48 ; 4-byte Folded Reload
	scratch_load_dword v108, off, off offset:104 ; 4-byte Folded Reload
	v_cmp_le_i32_e32 vcc, s8, v120
	v_or_b32_e32 v97, 32, v120
	scratch_store_dwordx2 off, v[118:119], off ; 8-byte Folded Spill
	s_waitcnt vmcnt(3)
	v_cndmask_b32_e32 v98, 0, v96, vcc
	v_cmp_le_i32_e32 vcc, s8, v97
	v_or_b32_e32 v97, 64, v120
	v_pk_mul_f32 v[118:119], v[98:99], v[94:95] op_sel_hi:[0,1]
	v_pk_mul_f32 v[92:93], v[98:99], v[92:93] op_sel_hi:[0,1]
	;; [unrolled: 1-line block ×8, first 2 shown]
	v_cndmask_b32_e32 v98, 0, v96, vcc
	v_cmp_le_i32_e32 vcc, s8, v97
	v_or_b32_e32 v97, 0x60, v120
	v_pk_mul_f32 v[102:103], v[98:99], v[66:67] op_sel_hi:[0,1]
	v_cndmask_b32_e32 v66, 0, v96, vcc
	v_cmp_le_i32_e32 vcc, s8, v97
	v_or_b32_e32 v97, 0x80, v120
	v_pk_mul_f32 v[116:117], v[66:67], v[48:49] op_sel_hi:[0,1]
	v_cndmask_b32_e32 v48, 0, v96, vcc
	v_cmp_le_i32_e32 vcc, s8, v97
	v_or_b32_e32 v97, 0xa0, v120
	v_pk_mul_f32 v[46:47], v[48:49], v[46:47] op_sel_hi:[0,1]
	v_pk_mul_f32 v[44:45], v[48:49], v[44:45] op_sel_hi:[0,1]
	v_pk_mul_f32 v[42:43], v[48:49], v[42:43] op_sel_hi:[0,1]
	;; [unrolled: 1-line block ×7, first 2 shown]
	v_cndmask_b32_e32 v48, 0, v96, vcc
	v_cmp_le_i32_e32 vcc, s8, v97
	v_pk_mul_f32 v[30:31], v[48:49], v[30:31] op_sel_hi:[0,1]
	v_pk_mul_f32 v[28:29], v[48:49], v[28:29] op_sel_hi:[0,1]
	;; [unrolled: 1-line block ×8, first 2 shown]
	v_cndmask_b32_e32 v48, 0, v96, vcc
	v_pk_mul_f32 v[14:15], v[48:49], v[14:15] op_sel_hi:[0,1]
	v_pk_mul_f32 v[12:13], v[48:49], v[12:13] op_sel_hi:[0,1]
	;; [unrolled: 1-line block ×22, first 2 shown]
                                        ; implicit-def: $vgpr127 : SGPR spill to VGPR lane
	s_waitcnt vmcnt(2)
	v_cmp_eq_u32_e64 s[6:7], 1, v100
	s_nop 1
	v_cndmask_b32_e64 v48, v80, v81, s[6:7]
	v_cmp_eq_u32_e64 s[40:41], 2, v100
	v_cmp_eq_u32_e64 s[42:43], 3, v100
	v_cmp_eq_u32_e32 vcc, 4, v100
	v_cndmask_b32_e64 v48, v48, v82, s[40:41]
	v_cndmask_b32_e64 v48, v48, v83, s[42:43]
	v_cndmask_b32_e32 v48, v48, v84, vcc
	v_cmp_eq_u32_e64 s[0:1], 5, v100
	v_cmp_eq_u32_e64 s[2:3], 6, v100
	v_cmp_eq_u32_e64 s[30:31], 7, v100
	v_cndmask_b32_e64 v48, v48, v85, s[0:1]
	v_cndmask_b32_e64 v48, v48, v86, s[2:3]
	v_cndmask_b32_e64 v48, v48, v87, s[30:31]
	v_cmp_eq_u32_e64 s[26:27], 8, v100
	v_cmp_eq_u32_e64 s[24:25], 9, v100
	v_cmp_eq_u32_e64 s[22:23], 10, v100
	v_cndmask_b32_e64 v48, v48, v88, s[26:27]
	v_cndmask_b32_e64 v48, v48, v89, s[24:25]
	v_cndmask_b32_e64 v48, v48, v90, s[22:23]
	;; [unrolled: 6-line block ×3, first 2 shown]
	v_cmp_eq_u32_e64 s[12:13], 14, v100
	v_cmp_eq_u32_e64 s[10:11], 15, v100
	;; [unrolled: 1-line block ×3, first 2 shown]
	v_cndmask_b32_e64 v48, v48, v118, s[12:13]
	v_cndmask_b32_e64 v48, v48, v119, s[10:11]
	s_waitcnt vmcnt(1)
	ds_bpermute_b32 v48, v108, v48
	s_waitcnt lgkmcnt(0)
	v_cndmask_b32_e64 v75, v87, v48, s[30:31]
	scratch_load_dword v87, off, off offset:52 ; 4-byte Folded Reload
	v_cndmask_b32_e64 v50, v118, v48, s[12:13]
	v_cndmask_b32_e64 v81, v81, v48, s[6:7]
	v_cndmask_b32_e64 v80, v80, v48, s[46:47]
	scratch_load_dword v118, off, off offset:56 ; 4-byte Folded Reload
	v_cndmask_b32_e64 v49, v119, v48, s[10:11]
	v_cndmask_b32_e64 v51, v93, v48, s[14:15]
	;; [unrolled: 1-line block ×9, first 2 shown]
	v_cndmask_b32_e32 v84, v84, v48, vcc
	v_cndmask_b32_e64 v83, v83, v48, s[42:43]
	v_cndmask_b32_e64 v82, v82, v48, s[40:41]
	s_waitcnt vmcnt(1)
	v_cmp_eq_u32_e64 s[4:5], 1, v87
	s_nop 1
	v_cndmask_b32_e64 v48, v80, v81, s[4:5]
	v_cmp_eq_u32_e64 s[28:29], 2, v87
	v_cmp_eq_u32_e64 s[34:35], 3, v87
	v_cmp_eq_u32_e64 s[36:37], 4, v87
	v_cndmask_b32_e64 v48, v48, v82, s[28:29]
	v_cndmask_b32_e64 v48, v48, v83, s[34:35]
	v_cndmask_b32_e64 v48, v48, v84, s[36:37]
	v_cmp_eq_u32_e64 s[38:39], 5, v87
	v_cmp_eq_u32_e64 s[48:49], 6, v87
	v_cmp_eq_u32_e64 s[52:53], 7, v87
	v_cndmask_b32_e64 v48, v48, v85, s[38:39]
	v_cndmask_b32_e64 v48, v48, v77, s[48:49]
	;; [unrolled: 6-line block ×5, first 2 shown]
	ds_bpermute_b32 v86, v108, v48
	s_waitcnt vmcnt(0)
	v_cmp_eq_u32_e64 s[44:45], 1, v118
	v_cmp_eq_u32_e64 s[8:9], 3, v118
	s_waitcnt lgkmcnt(0)
	v_cndmask_b32_e64 v121, v50, v86, s[80:81]
	v_cndmask_b32_e64 v50, v94, v95, s[6:7]
	v_cndmask_b32_e64 v50, v50, v102, s[40:41]
	v_cndmask_b32_e64 v50, v50, v103, s[42:43]
	v_cndmask_b32_e32 v50, v50, v114, vcc
	v_cndmask_b32_e64 v50, v50, v115, s[0:1]
	v_cndmask_b32_e64 v50, v50, v70, s[2:3]
	;; [unrolled: 1-line block ×13, first 2 shown]
	ds_bpermute_b32 v82, v108, v50
	v_cndmask_b32_e64 v76, v74, v86, s[56:57]
	v_cndmask_b32_e64 v74, v75, v86, s[52:53]
	;; [unrolled: 1-line block ×4, first 2 shown]
	s_waitcnt lgkmcnt(0)
	v_cndmask_b32_e64 v77, v107, v82, s[14:15]
	v_cndmask_b32_e64 v107, v112, v82, s[22:23]
	;; [unrolled: 1-line block ×6, first 2 shown]
	v_cndmask_b32_e32 v70, v70, v52, vcc
	v_cndmask_b32_e64 v70, v70, v53, s[0:1]
	v_cndmask_b32_e64 v70, v70, v54, s[2:3]
	;; [unrolled: 1-line block ×11, first 2 shown]
	ds_bpermute_b32 v70, v108, v70
	v_cndmask_b32_e64 v119, v73, v82, s[24:25]
	v_cndmask_b32_e64 v123, v66, v86, s[72:73]
	;; [unrolled: 1-line block ×4, first 2 shown]
	s_waitcnt lgkmcnt(0)
	v_cndmask_b32_e32 v96, v52, v70, vcc
	v_cndmask_b32_e64 v52, v32, v33, s[6:7]
	v_cndmask_b32_e64 v52, v52, v34, s[40:41]
	;; [unrolled: 1-line block ×3, first 2 shown]
	v_cndmask_b32_e32 v52, v52, v36, vcc
	v_cndmask_b32_e64 v52, v52, v37, s[0:1]
	v_cndmask_b32_e64 v52, v52, v38, s[2:3]
	;; [unrolled: 1-line block ×12, first 2 shown]
	ds_bpermute_b32 v59, v108, v52
	v_cndmask_b32_e64 v67, v69, v86, s[60:61]
	v_cndmask_b32_e64 v68, v85, v86, s[38:39]
	v_cndmask_b32_e64 v69, v84, v86, s[36:37]
	v_cndmask_b32_e64 v48, v83, v86, s[34:35]
	s_waitcnt lgkmcnt(0)
	v_cndmask_b32_e64 v73, v33, v59, s[6:7]
	scratch_load_dword v33, off, off offset:60 ; 4-byte Folded Reload
	v_cndmask_b32_e64 v51, v81, v86, s[4:5]
	v_cndmask_b32_e64 v50, v80, v86, s[16:17]
	;; [unrolled: 1-line block ×9, first 2 shown]
	v_cndmask_b32_e32 v114, v114, v82, vcc
	v_cndmask_b32_e64 v85, v103, v82, s[42:43]
	v_cndmask_b32_e64 v86, v102, v82, s[40:41]
	;; [unrolled: 1-line block ×8, first 2 shown]
	v_cndmask_b32_e32 v35, v35, v20, vcc
	v_cndmask_b32_e64 v35, v35, v21, s[0:1]
	v_cndmask_b32_e64 v35, v35, v22, s[2:3]
	;; [unrolled: 1-line block ×11, first 2 shown]
	ds_bpermute_b32 v35, v108, v35
	v_cndmask_b32_e64 v102, v117, v70, s[6:7]
	v_cndmask_b32_e64 v72, v32, v59, s[46:47]
	;; [unrolled: 1-line block ×4, first 2 shown]
	s_waitcnt lgkmcnt(0)
	v_cndmask_b32_e64 v80, v16, v35, s[46:47]
	v_cndmask_b32_e64 v16, v0, v1, s[6:7]
	;; [unrolled: 1-line block ×4, first 2 shown]
	v_cndmask_b32_e32 v16, v16, v4, vcc
	v_cndmask_b32_e64 v16, v16, v5, s[0:1]
	v_cndmask_b32_e64 v16, v16, v6, s[2:3]
	;; [unrolled: 1-line block ×11, first 2 shown]
	ds_bpermute_b32 v16, v108, v16
	v_cndmask_b32_e64 v17, v17, v35, s[6:7]
	v_cmp_eq_u32_e64 s[6:7], 2, v118
	scratch_store_dword off, v17, off offset:28 ; 4-byte Folded Spill
	v_cndmask_b32_e64 v47, v47, v59, s[10:11]
	v_cndmask_b32_e64 v17, v32, v49, s[6:7]
	;; [unrolled: 1-line block ×4, first 2 shown]
	s_waitcnt lgkmcnt(0)
	v_cndmask_b32_e64 v15, v15, v16, s[10:11]
	v_cmp_eq_u32_e64 s[10:11], 4, v118
	v_cndmask_b32_e64 v90, v62, v70, s[12:13]
	v_cndmask_b32_e64 v46, v46, v59, s[12:13]
	v_cndmask_b32_e64 v37, v37, v59, s[0:1]
	v_cndmask_b32_e64 v30, v30, v35, s[12:13]
	v_cndmask_b32_e64 v17, v17, v69, s[10:11]
	v_cndmask_b32_e64 v14, v14, v16, s[12:13]
	v_cmp_eq_u32_e64 s[12:13], 5, v118
	v_cndmask_b32_e64 v91, v61, v70, s[14:15]
	v_cndmask_b32_e64 v45, v45, v59, s[14:15]
	scratch_store_dword off, v37, off offset:8 ; 4-byte Folded Spill
	v_cndmask_b32_e64 v37, v29, v35, s[14:15]
	v_cndmask_b32_e64 v17, v17, v68, s[12:13]
	;; [unrolled: 1-line block ×3, first 2 shown]
	v_cmp_eq_u32_e64 s[14:15], 6, v118
	v_cndmask_b32_e64 v92, v60, v70, s[18:19]
	v_cndmask_b32_e64 v99, v64, v70, s[40:41]
	v_cndmask_b32_e64 v44, v44, v59, s[18:19]
	v_cndmask_b32_e64 v64, v38, v59, s[2:3]
	v_cndmask_b32_e64 v38, v28, v35, s[18:19]
	v_cndmask_b32_e64 v17, v17, v75, s[14:15]
	v_cndmask_b32_e64 v12, v12, v16, s[18:19]
	v_cmp_eq_u32_e64 s[18:19], 7, v118
	v_cndmask_b32_e64 v95, v57, v70, s[24:25]
	v_cndmask_b32_e64 v57, v43, v59, s[20:21]
	;; [unrolled: 1-line block ×5, first 2 shown]
	v_cmp_eq_u32_e64 s[20:21], 8, v118
	v_cndmask_b32_e64 v94, v58, v70, s[22:23]
	v_cndmask_b32_e64 v58, v42, v59, s[22:23]
	;; [unrolled: 1-line block ×5, first 2 shown]
	v_cmp_eq_u32_e64 s[22:23], 9, v118
	v_cndmask_b32_e64 v52, v41, v59, s[24:25]
	v_cndmask_b32_e64 v60, v40, v59, s[26:27]
	;; [unrolled: 1-line block ×3, first 2 shown]
	v_cndmask_b32_e32 v36, v36, v59, vcc
	v_cndmask_b32_e64 v81, v34, v59, s[40:41]
	v_cndmask_b32_e64 v59, v25, v35, s[24:25]
	v_cndmask_b32_e64 v10, v11, v67, s[22:23]
	v_cndmask_b32_e64 v29, v9, v16, s[24:25]
	v_cmp_eq_u32_e64 s[24:25], 10, v118
	v_cndmask_b32_e64 v56, v56, v70, s[26:27]
	v_cndmask_b32_e64 v61, v24, v35, s[26:27]
	;; [unrolled: 1-line block ×4, first 2 shown]
	v_cmp_eq_u32_e64 s[26:27], 11, v118
	v_cndmask_b32_e64 v55, v55, v70, s[30:31]
	v_cndmask_b32_e64 v103, v116, v70, s[46:47]
	;; [unrolled: 1-line block ×5, first 2 shown]
	v_cmp_eq_u32_e64 s[30:31], 12, v118
	v_cndmask_b32_e64 v54, v54, v70, s[2:3]
	v_cndmask_b32_e64 v63, v22, v35, s[2:3]
	;; [unrolled: 1-line block ×4, first 2 shown]
	v_cmp_eq_u32_e64 s[2:3], 13, v118
	v_cndmask_b32_e64 v53, v53, v70, s[0:1]
	v_cndmask_b32_e64 v97, v65, v70, s[42:43]
	;; [unrolled: 1-line block ×5, first 2 shown]
	v_cmp_eq_u32_e64 s[0:1], 14, v118
	v_cndmask_b32_e32 v20, v20, v35, vcc
	v_cndmask_b32_e32 v4, v4, v16, vcc
	v_cndmask_b32_e64 v6, v6, v121, s[0:1]
	v_cmp_eq_u32_e32 vcc, 15, v118
	v_cndmask_b32_e64 v19, v19, v35, s[42:43]
	v_cndmask_b32_e64 v18, v18, v35, s[40:41]
	v_cndmask_b32_e32 v6, v6, v98, vcc
	ds_bpermute_b32 v7, v108, v6
	v_cndmask_b32_e64 v6, v3, v16, s[42:43]
	v_cmp_eq_u32_e64 s[42:43], 0, v118
	s_waitcnt vmcnt(2)
	v_cmp_eq_u32_e64 s[58:59], 1, v33
	v_cndmask_b32_e64 v71, v0, v16, s[46:47]
	s_waitcnt lgkmcnt(0)
	v_cndmask_b32_e32 v8, v98, v7, vcc
	v_cndmask_b32_e64 v27, v51, v7, s[44:45]
	v_writelane_b32 v126, s42, 45
	v_cndmask_b32_e64 v98, v2, v16, s[40:41]
	v_cmp_ne_u32_e64 s[40:41], 0, v100
	v_cndmask_b32_e64 v32, v50, v7, s[42:43]
	v_cndmask_b32_e64 v26, v49, v7, s[6:7]
	;; [unrolled: 1-line block ×4, first 2 shown]
	v_cmp_eq_u32_e64 s[40:41], 2, v33
	v_cndmask_b32_e64 v25, v48, v7, s[8:9]
	v_cmp_eq_u32_e64 s[46:47], 3, v33
	v_cndmask_b32_e64 v0, v1, v26, s[40:41]
	v_cndmask_b32_e64 v24, v69, v7, s[10:11]
	;; [unrolled: 1-line block ×3, first 2 shown]
	v_cmp_eq_u32_e64 s[50:51], 4, v33
	v_cndmask_b32_e64 v23, v68, v7, s[12:13]
	v_cmp_eq_u32_e64 s[54:55], 5, v33
	v_cndmask_b32_e64 v0, v0, v24, s[50:51]
	v_cndmask_b32_e64 v22, v75, v7, s[14:15]
	;; [unrolled: 1-line block ×3, first 2 shown]
	v_cmp_eq_u32_e64 s[62:63], 6, v33
	v_cndmask_b32_e64 v21, v74, v7, s[18:19]
	v_cmp_eq_u32_e64 s[66:67], 7, v33
	v_cndmask_b32_e64 v0, v0, v22, s[62:63]
	scratch_store_dword off, v20, off offset:16 ; 4-byte Folded Spill
	v_cndmask_b32_e64 v20, v76, v7, s[20:21]
	v_cndmask_b32_e64 v0, v0, v21, s[66:67]
	v_cmp_eq_u32_e64 s[70:71], 8, v33
	scratch_store_dword off, v19, off offset:20 ; 4-byte Folded Spill
	v_cndmask_b32_e64 v19, v67, v7, s[22:23]
	v_cndmask_b32_e64 v0, v0, v20, s[70:71]
	v_cmp_eq_u32_e64 s[74:75], 9, v33
	;; [unrolled: 4-line block ×3, first 2 shown]
	v_cndmask_b32_e64 v17, v125, v7, s[26:27]
	v_cmp_eq_u32_e64 s[82:83], 11, v33
	v_cndmask_b32_e64 v0, v0, v18, s[78:79]
	v_cndmask_b32_e64 v11, v123, v7, s[30:31]
	;; [unrolled: 1-line block ×3, first 2 shown]
	v_cmp_eq_u32_e64 s[86:87], 12, v33
	v_cndmask_b32_e64 v10, v122, v7, s[2:3]
	s_mov_b64 s[96:97], s[40:41]
	v_cndmask_b32_e64 v0, v0, v11, s[86:87]
	v_cmp_eq_u32_e64 s[40:41], 13, v33
	v_cndmask_b32_e64 v9, v121, v7, s[0:1]
	v_writelane_b32 v126, s43, 46
	v_cndmask_b32_e64 v0, v0, v10, s[40:41]
	v_cmp_eq_u32_e64 s[42:43], 14, v33
	v_cmp_eq_u32_e64 s[98:99], 15, v33
	v_writelane_b32 v126, s96, 47
	v_cndmask_b32_e64 v0, v0, v9, s[42:43]
	v_cndmask_b32_e64 v0, v0, v8, s[98:99]
	ds_bpermute_b32 v16, v108, v0
	v_writelane_b32 v126, s97, 48
	scratch_store_dword off, v36, off offset:12 ; 4-byte Folded Spill
	s_waitcnt lgkmcnt(0)
	v_cndmask_b32_e64 v2, v9, v16, s[42:43]
	v_cndmask_b32_e64 v9, v17, v16, s[82:83]
	;; [unrolled: 1-line block ×4, first 2 shown]
	v_cmp_eq_u32_e64 s[96:97], 0, v33
	v_cndmask_b32_e64 v1, v8, v16, s[98:99]
	v_cndmask_b32_e64 v7, v10, v16, s[40:41]
	;; [unrolled: 1-line block ×13, first 2 shown]
	v_writelane_b32 v126, s96, 49
	v_cndmask_b32_e64 v17, v17, v85, s[34:35]
	v_cndmask_b32_e64 v17, v17, v114, s[36:37]
	;; [unrolled: 1-line block ×28, first 2 shown]
	ds_bpermute_b32 v18, v108, v17
	v_cndmask_b32_e64 v16, v16, v89, s[84:85]
	ds_bpermute_b32 v42, v108, v16
	v_writelane_b32 v126, s97, 50
	s_waitcnt lgkmcnt(1)
	v_cndmask_b32_e64 v121, v88, v18, s[16:17]
	scratch_load_dword v88, off, off offset:12 ; 4-byte Folded Reload
	s_waitcnt lgkmcnt(0)
	v_cndmask_b32_e64 v122, v89, v42, s[84:85]
	v_cndmask_b32_e64 v32, v90, v42, s[80:81]
	;; [unrolled: 1-line block ×5, first 2 shown]
	scratch_load_dword v89, off, off offset:28 ; 4-byte Folded Reload
	scratch_load_dword v90, off, off offset:24 ; 4-byte Folded Reload
	;; [unrolled: 1-line block ×5, first 2 shown]
	v_cndmask_b32_e64 v21, v53, v42, s[38:39]
	v_cndmask_b32_e64 v53, v72, v73, s[4:5]
	;; [unrolled: 1-line block ×29, first 2 shown]
	s_waitcnt vmcnt(5)
	v_cndmask_b32_e64 v53, v53, v88, s[36:37]
	s_waitcnt vmcnt(0)
	v_cndmask_b32_e64 v53, v53, v93, s[38:39]
	v_cndmask_b32_e64 v53, v53, v64, s[48:49]
	;; [unrolled: 1-line block ×11, first 2 shown]
	ds_bpermute_b32 v85, v108, v53
	v_cndmask_b32_e64 v53, v80, v89, s[4:5]
	v_cndmask_b32_e64 v53, v53, v90, s[28:29]
	;; [unrolled: 1-line block ×15, first 2 shown]
	ds_bpermute_b32 v86, v108, v53
	v_cndmask_b32_e64 v53, v71, v3, s[4:5]
	v_cndmask_b32_e64 v53, v53, v98, s[28:29]
	;; [unrolled: 1-line block ×15, first 2 shown]
	ds_bpermute_b32 v87, v108, v53
	s_waitcnt lgkmcnt(1)
	v_cndmask_b32_e64 v55, v37, v86, s[76:77]
	v_cndmask_b32_e64 v56, v38, v86, s[72:73]
	;; [unrolled: 1-line block ×4, first 2 shown]
	s_waitcnt lgkmcnt(0)
	v_cndmask_b32_e64 v107, v13, v87, s[76:77]
	scratch_load_dword v13, off, off offset:64 ; 4-byte Folded Reload
	v_cndmask_b32_e64 v114, v116, v87, s[52:53]
	v_cndmask_b32_e64 v64, v65, v86, s[38:39]
	;; [unrolled: 1-line block ×40, first 2 shown]
	v_readlane_b32 s84, v126, 45
	v_cndmask_b32_e64 v52, v52, v85, s[60:61]
	v_cndmask_b32_e64 v59, v59, v86, s[60:61]
	;; [unrolled: 1-line block ×3, first 2 shown]
	v_readlane_b32 s85, v126, 46
	s_waitcnt vmcnt(0)
	v_cmp_eq_u32_e64 s[38:39], 1, v13
	s_nop 1
	v_cndmask_b32_e64 v12, v74, v51, s[38:39]
	v_cmp_eq_u32_e64 s[28:29], 2, v13
	v_cmp_eq_u32_e64 s[48:49], 3, v13
	v_cmp_eq_u32_e64 s[52:53], 4, v13
	v_cndmask_b32_e64 v12, v12, v50, s[28:29]
	v_cndmask_b32_e64 v12, v12, v49, s[48:49]
	v_cndmask_b32_e64 v12, v12, v48, s[52:53]
	v_cmp_eq_u32_e64 s[56:57], 5, v13
	v_cmp_eq_u32_e64 s[64:65], 6, v13
	v_cmp_eq_u32_e64 s[68:69], 7, v13
	v_cndmask_b32_e64 v12, v12, v68, s[56:57]
	v_cndmask_b32_e64 v12, v12, v70, s[64:65]
	;; [unrolled: 6-line block ×5, first 2 shown]
	ds_bpermute_b32 v12, v108, v12
	s_waitcnt lgkmcnt(0)
	v_cndmask_b32_e64 v81, v1, v12, s[4:5]
	v_cndmask_b32_e64 v1, v42, v41, s[44:45]
	;; [unrolled: 1-line block ×15, first 2 shown]
	v_cndmask_b32_e32 v1, v1, v122, vcc
	ds_bpermute_b32 v1, v108, v1
	v_cndmask_b32_e64 v90, v0, v12, s[72:73]
	v_cndmask_b32_e64 v0, v121, v27, s[44:45]
	;; [unrolled: 1-line block ×4, first 2 shown]
	s_waitcnt lgkmcnt(0)
	v_cndmask_b32_e64 v14, v35, v1, s[30:31]
	scratch_load_dword v35, off, off offset:68 ; 4-byte Folded Reload
	v_cndmask_b32_e64 v0, v0, v43, s[10:11]
	v_cndmask_b32_e64 v0, v0, v24, s[12:13]
	;; [unrolled: 1-line block ×11, first 2 shown]
	v_cndmask_b32_e32 v0, v0, v75, vcc
	ds_bpermute_b32 v0, v108, v0
	v_cndmask_b32_e64 v87, v9, v12, s[36:37]
	v_cndmask_b32_e64 v88, v10, v12, s[80:81]
	;; [unrolled: 1-line block ×6, first 2 shown]
	s_waitcnt lgkmcnt(0)
	v_cndmask_b32_e32 v68, v75, v0, vcc
	v_cndmask_b32_e64 v69, v76, v0, s[0:1]
	v_cndmask_b32_e64 v70, v77, v0, s[2:3]
	;; [unrolled: 1-line block ×29, first 2 shown]
	v_cndmask_b32_e32 v0, v0, v47, vcc
	v_cndmask_b32_e64 v82, v2, v12, s[96:97]
	v_cndmask_b32_e64 v83, v7, v12, s[34:35]
	;; [unrolled: 1-line block ×8, first 2 shown]
	v_cndmask_b32_e32 v11, v122, v1, vcc
	v_cndmask_b32_e64 v12, v32, v1, s[0:1]
	v_cndmask_b32_e64 v13, v33, v1, s[2:3]
	;; [unrolled: 1-line block ×14, first 2 shown]
	ds_bpermute_b32 v1, v108, v0
	v_cndmask_b32_e64 v0, v3, v103, s[44:45]
	v_cndmask_b32_e64 v0, v0, v102, s[6:7]
	;; [unrolled: 1-line block ×14, first 2 shown]
	v_cndmask_b32_e32 v0, v0, v53, vcc
	ds_bpermute_b32 v32, v108, v0
	v_cndmask_b32_e64 v0, v6, v120, s[44:45]
	v_cndmask_b32_e64 v0, v0, v118, s[6:7]
	;; [unrolled: 1-line block ×14, first 2 shown]
	v_cndmask_b32_e32 v0, v0, v105, vcc
	ds_bpermute_b32 v33, v108, v0
	s_waitcnt lgkmcnt(2)
	v_cndmask_b32_e64 v28, v31, v1, s[0:1]
	s_waitcnt lgkmcnt(1)
	v_cndmask_b32_e64 v41, v54, v32, s[0:1]
	v_cndmask_b32_e32 v27, v47, v1, vcc
	v_cndmask_b32_e64 v29, v30, v1, s[2:3]
	s_waitcnt lgkmcnt(0)
	v_cndmask_b32_e64 v54, v106, v33, s[0:1]
	s_waitcnt vmcnt(0)
	v_cmp_eq_u32_e64 s[0:1], 1, v35
	v_cndmask_b32_e64 v42, v55, v32, s[2:3]
	v_cndmask_b32_e64 v55, v107, v33, s[2:3]
	;; [unrolled: 1-line block ×9, first 2 shown]
	s_mov_b64 s[2:3], s[84:85]
	v_cndmask_b32_e64 v34, v80, v86, s[0:1]
	s_mov_b64 s[10:11], s[0:1]
	v_cmp_eq_u32_e64 s[0:1], 2, v35
	v_cndmask_b32_e32 v40, v53, v32, vcc
	v_cndmask_b32_e64 v30, v44, v1, s[30:31]
	v_cndmask_b32_e64 v43, v56, v32, s[30:31]
	;; [unrolled: 1-line block ×20, first 2 shown]
	s_mov_b64 s[6:7], s[0:1]
	v_cmp_eq_u32_e64 s[0:1], 3, v35
	v_cndmask_b32_e64 v37, v37, v1, s[12:13]
	v_cndmask_b32_e64 v63, v116, v33, s[12:13]
	;; [unrolled: 1-line block ×3, first 2 shown]
	s_mov_b64 s[12:13], s[0:1]
	v_cmp_eq_u32_e64 s[0:1], 4, v35
	v_cndmask_b32_e64 v62, v115, v33, s[14:15]
	s_mov_b64 s[14:15], s[0:1]
	v_cndmask_b32_e64 v32, v32, v94, s[0:1]
	v_cmp_eq_u32_e64 s[0:1], 5, v35
	s_mov_b64 s[18:19], s[0:1]
	v_cndmask_b32_e64 v56, v119, v33, s[30:31]
	v_cndmask_b32_e64 v32, v32, v93, s[0:1]
	v_cmp_eq_u32_e64 s[0:1], 6, v35
	v_cndmask_b32_e64 v119, v60, v1, s[20:21]
	v_cndmask_b32_e64 v60, v113, v33, s[20:21]
	;; [unrolled: 1-line block ×3, first 2 shown]
	s_mov_b64 s[20:21], s[0:1]
	v_cmp_eq_u32_e64 s[0:1], 7, v35
	v_cndmask_b32_e64 v59, v112, v33, s[22:23]
	s_mov_b64 s[22:23], s[0:1]
	v_cndmask_b32_e64 v32, v32, v91, s[0:1]
	v_cmp_eq_u32_e64 s[0:1], 8, v35
	v_cndmask_b32_e64 v58, v110, v33, s[24:25]
	s_mov_b64 s[24:25], s[0:1]
	v_cndmask_b32_e64 v32, v32, v90, s[0:1]
	v_cmp_eq_u32_e64 s[0:1], 9, v35
	s_mov_b64 s[26:27], s[0:1]
	v_cndmask_b32_e64 v0, v98, v1, s[44:45]
	v_cndmask_b32_e64 v32, v32, v89, s[0:1]
	v_cmp_eq_u32_e64 s[0:1], 10, v35
	s_mov_b64 s[30:31], s[0:1]
	v_cndmask_b32_e64 v5, v120, v33, s[44:45]
	v_cndmask_b32_e64 v32, v32, v88, s[0:1]
	v_cmp_eq_u32_e64 s[0:1], 11, v35
	s_mov_b64 s[44:45], s[0:1]
	v_writelane_b32 v126, s44, 51
	v_cndmask_b32_e64 v32, v32, v87, s[0:1]
	v_cmp_eq_u32_e64 s[0:1], 12, v35
	v_writelane_b32 v126, s45, 52
	s_mov_b64 s[84:85], s[0:1]
	v_writelane_b32 v126, s84, 53
	v_cndmask_b32_e64 v32, v32, v84, s[0:1]
	v_cmp_eq_u32_e64 s[0:1], 13, v35
	v_writelane_b32 v126, s85, 54
	v_cndmask_b32_e64 v1, v96, v1, s[2:3]
	v_writelane_b32 v126, s0, 55
	v_cndmask_b32_e64 v6, v6, v33, s[2:3]
	v_cmp_eq_u32_e64 s[2:3], 14, v35
	v_writelane_b32 v126, s1, 56
	v_cndmask_b32_e64 v32, v32, v83, s[0:1]
	;; [unrolled: 5-line block ×3, first 2 shown]
	v_writelane_b32 v126, s8, 57
	v_cndmask_b32_e32 v53, v105, v33, vcc
	v_cndmask_b32_e64 v33, v10, v9, s[58:59]
	v_cndmask_b32_e64 v32, v32, v81, s[8:9]
	ds_bpermute_b32 v32, v108, v32
	v_writelane_b32 v126, s9, 58
	s_waitcnt lgkmcnt(0)
	v_cndmask_b32_e64 v82, v82, v32, s[2:3]
	v_readlane_b32 s2, v126, 47
	v_readlane_b32 s3, v126, 48
	v_cndmask_b32_e64 v83, v83, v32, s[0:1]
	v_cmp_eq_u32_e64 s[0:1], 0, v35
	v_cndmask_b32_e64 v33, v33, v67, s[2:3]
	v_cndmask_b32_e64 v33, v33, v66, s[46:47]
	;; [unrolled: 1-line block ×4, first 2 shown]
	v_writelane_b32 v126, s0, 59
	v_cndmask_b32_e64 v81, v81, v32, s[8:9]
	v_cndmask_b32_e64 v84, v84, v32, s[84:85]
	;; [unrolled: 1-line block ×14, first 2 shown]
	v_writelane_b32 v126, s1, 60
	v_cndmask_b32_e64 v80, v80, v32, s[0:1]
	v_cndmask_b32_e64 v32, v26, v25, s[58:59]
	s_mov_b64 s[0:1], s[2:3]
	v_cndmask_b32_e64 v33, v33, v76, s[66:67]
	v_cndmask_b32_e64 v32, v32, v24, s[0:1]
	;; [unrolled: 1-line block ×18, first 2 shown]
	ds_bpermute_b32 v33, v108, v33
	v_cndmask_b32_e64 v32, v32, v15, s[82:83]
	v_cndmask_b32_e64 v32, v32, v14, s[86:87]
	;; [unrolled: 1-line block ×5, first 2 shown]
	s_waitcnt lgkmcnt(0)
	v_cndmask_b32_e64 v123, v73, v33, s[78:79]
	ds_bpermute_b32 v73, v108, v32
	v_cndmask_b32_e64 v32, v9, v33, s[58:59]
	v_cndmask_b32_e64 v9, v1, v0, s[58:59]
	;; [unrolled: 1-line block ×4, first 2 shown]
	s_waitcnt lgkmcnt(0)
	v_cndmask_b32_e64 v36, v19, v73, s[66:67]
	scratch_load_dword v19, off, off offset:72 ; 4-byte Folded Reload
	v_cndmask_b32_e64 v9, v9, v38, s[50:51]
	v_cndmask_b32_e64 v9, v9, v37, s[54:55]
	;; [unrolled: 1-line block ×10, first 2 shown]
	v_readlane_b32 s2, v126, 49
	v_cndmask_b32_e64 v9, v9, v28, s[42:43]
	v_readlane_b32 s3, v126, 50
	v_cndmask_b32_e64 v9, v9, v27, s[98:99]
	v_cndmask_b32_e64 v68, v68, v33, s[98:99]
	v_cndmask_b32_e64 v69, v69, v33, s[42:43]
	v_cndmask_b32_e64 v70, v70, v33, s[40:41]
	v_cndmask_b32_e64 v71, v71, v33, s[86:87]
	v_cndmask_b32_e64 v72, v72, v33, s[82:83]
	v_cndmask_b32_e64 v125, v74, v33, s[74:75]
	v_cndmask_b32_e64 v75, v75, v33, s[70:71]
	v_cndmask_b32_e64 v76, v76, v33, s[66:67]
	v_cndmask_b32_e64 v77, v77, v33, s[62:63]
	v_cndmask_b32_e64 v78, v78, v33, s[54:55]
	v_cndmask_b32_e64 v79, v79, v33, s[50:51]
	v_cndmask_b32_e64 v66, v66, v33, s[46:47]
	v_cndmask_b32_e64 v67, v67, v33, s[0:1]
	v_cndmask_b32_e64 v10, v10, v33, s[2:3]
	v_cndmask_b32_e64 v33, v16, v73, s[78:79]
	ds_bpermute_b32 v16, v108, v9
	v_cndmask_b32_e64 v9, v3, v2, s[58:59]
	v_cndmask_b32_e64 v9, v9, v8, s[0:1]
	v_cndmask_b32_e64 v9, v9, v52, s[46:47]
	v_cndmask_b32_e64 v9, v9, v51, s[50:51]
	v_cndmask_b32_e64 v9, v9, v50, s[54:55]
	v_cndmask_b32_e64 v9, v9, v49, s[62:63]
	v_cndmask_b32_e64 v9, v9, v48, s[66:67]
	v_cndmask_b32_e64 v9, v9, v47, s[70:71]
	v_cndmask_b32_e64 v9, v9, v46, s[74:75]
	v_cndmask_b32_e64 v9, v9, v45, s[78:79]
	v_cndmask_b32_e64 v9, v9, v44, s[82:83]
	v_cndmask_b32_e64 v9, v9, v43, s[86:87]
	v_cndmask_b32_e64 v9, v9, v42, s[40:41]
	v_cndmask_b32_e64 v9, v9, v41, s[42:43]
	v_cndmask_b32_e64 v9, v9, v40, s[98:99]
	v_cndmask_b32_e64 v34, v17, v73, s[74:75]
	ds_bpermute_b32 v17, v108, v9
	;; [unrolled: 17-line block ×3, first 2 shown]
	v_cndmask_b32_e64 v24, v24, v73, s[0:1]
	s_waitcnt lgkmcnt(2)
	v_cndmask_b32_e64 v9, v7, v16, s[0:1]
	s_waitcnt lgkmcnt(1)
	v_cndmask_b32_e64 v8, v8, v17, s[0:1]
	v_cndmask_b32_e64 v7, v2, v17, s[58:59]
	s_waitcnt lgkmcnt(0)
	v_cndmask_b32_e64 v113, v56, v18, s[86:87]
	v_cndmask_b32_e64 v56, v109, v16, s[66:67]
	;; [unrolled: 1-line block ×4, first 2 shown]
	s_mov_b64 s[0:1], s[2:3]
	v_cndmask_b32_e64 v4, v0, v16, s[58:59]
	v_cndmask_b32_e64 v2, v1, v16, s[0:1]
	;; [unrolled: 1-line block ×6, first 2 shown]
	s_waitcnt vmcnt(0)
	v_cmp_eq_u32_e64 s[8:9], 1, v19
	v_cmp_eq_u32_e64 s[0:1], 2, v19
	v_cndmask_b32_e64 v122, v63, v18, s[54:55]
	v_cndmask_b32_e64 v0, v80, v86, s[8:9]
	;; [unrolled: 1-line block ×6, first 2 shown]
	s_mov_b64 s[50:51], s[0:1]
	v_cmp_eq_u32_e64 s[0:1], 3, v19
	v_cndmask_b32_e64 v21, v21, v73, s[54:55]
	v_cndmask_b32_e64 v117, v58, v18, s[78:79]
	;; [unrolled: 1-line block ×6, first 2 shown]
	s_mov_b64 s[54:55], s[0:1]
	v_cmp_eq_u32_e64 s[0:1], 4, v19
	v_cndmask_b32_e64 v25, v25, v73, s[58:59]
	v_cndmask_b32_e64 v5, v5, v18, s[58:59]
	;; [unrolled: 1-line block ×3, first 2 shown]
	s_mov_b64 s[58:59], s[0:1]
	v_cmp_eq_u32_e64 s[0:1], 5, v19
	v_cndmask_b32_e64 v20, v20, v73, s[62:63]
	v_cndmask_b32_e64 v116, v57, v18, s[82:83]
	v_cndmask_b32_e64 v120, v61, v18, s[66:67]
	v_cndmask_b32_e64 v57, v114, v16, s[62:63]
	v_cndmask_b32_e64 v61, v49, v17, s[62:63]
	v_cndmask_b32_e64 v0, v0, v93, s[0:1]
	s_mov_b64 s[62:63], s[0:1]
	v_cmp_eq_u32_e64 s[0:1], 6, v19
	s_mov_b64 s[66:67], s[0:1]
	v_cndmask_b32_e64 v112, v55, v18, s[40:41]
	v_cndmask_b32_e64 v0, v0, v92, s[0:1]
	v_cmp_eq_u32_e64 s[0:1], 7, v19
	v_cndmask_b32_e64 v55, v119, v16, s[70:71]
	v_cndmask_b32_e64 v119, v47, v17, s[70:71]
	v_cndmask_b32_e64 v118, v60, v18, s[70:71]
	v_cndmask_b32_e64 v0, v0, v91, s[0:1]
	s_mov_b64 s[70:71], s[0:1]
	v_cmp_eq_u32_e64 s[0:1], 8, v19
	v_cndmask_b32_e64 v110, v54, v18, s[42:43]
	v_cndmask_b32_e64 v54, v107, v16, s[74:75]
	v_cndmask_b32_e64 v107, v46, v17, s[74:75]
	v_cndmask_b32_e64 v0, v0, v90, s[0:1]
	s_mov_b64 s[74:75], s[0:1]
	;; [unrolled: 6-line block ×4, first 2 shown]
	v_cmp_eq_u32_e64 s[0:1], 11, v19
	s_mov_b64 s[84:85], s[0:1]
	v_cndmask_b32_e64 v14, v14, v73, s[86:87]
	v_cndmask_b32_e64 v0, v0, v87, s[0:1]
	v_cmp_eq_u32_e64 s[0:1], 12, v19
	v_cndmask_b32_e64 v30, v30, v16, s[86:87]
	v_cndmask_b32_e64 v103, v43, v17, s[86:87]
	;; [unrolled: 1-line block ×3, first 2 shown]
	s_mov_b64 s[86:87], s[0:1]
	v_cmp_eq_u32_e64 s[0:1], 13, v19
	v_cndmask_b32_e64 v11, v11, v73, s[98:99]
	v_cndmask_b32_e64 v27, v27, v16, s[98:99]
	;; [unrolled: 1-line block ×3, first 2 shown]
	v_writelane_b32 v126, s0, 47
	v_cmp_eq_u32_e64 s[98:99], 14, v19
	v_cndmask_b32_e64 v23, v23, v73, s[46:47]
	v_cndmask_b32_e64 v0, v0, v83, s[0:1]
	v_cndmask_b32_e64 v60, v39, v16, s[46:47]
	v_cndmask_b32_e64 v98, v52, v17, s[46:47]
	v_cndmask_b32_e64 v64, v65, v18, s[46:47]
	s_mov_b64 s[46:47], s[8:9]
	v_writelane_b32 v126, s1, 48
	v_cndmask_b32_e64 v0, v0, v82, s[98:99]
	v_cmp_eq_u32_e64 s[8:9], 15, v19
	v_cndmask_b32_e64 v28, v28, v16, s[42:43]
	v_cndmask_b32_e64 v29, v29, v16, s[40:41]
	v_writelane_b32 v126, s8, 49
	v_cndmask_b32_e64 v26, v26, v73, s[2:3]
	v_cndmask_b32_e64 v13, v13, v73, s[40:41]
	;; [unrolled: 1-line block ×3, first 2 shown]
	ds_bpermute_b32 v16, v108, v0
	v_cndmask_b32_e64 v0, v10, v32, s[38:39]
	v_cndmask_b32_e64 v0, v0, v67, s[28:29]
	;; [unrolled: 1-line block ×14, first 2 shown]
	v_writelane_b32 v126, s9, 50
	s_waitcnt lgkmcnt(0)
	v_cndmask_b32_e64 v83, v83, v16, s[0:1]
	v_cndmask_b32_e64 v0, v0, v68, s[4:5]
	v_cmp_eq_u32_e64 s[0:1], 0, v19
	v_cndmask_b32_e64 v81, v81, v16, s[8:9]
	v_cndmask_b32_e64 v82, v82, v16, s[98:99]
	;; [unrolled: 1-line block ×12, first 2 shown]
	ds_bpermute_b32 v37, v108, v0
	v_cndmask_b32_e64 v0, v85, v16, s[50:51]
	v_cndmask_b32_e64 v1, v86, v16, s[46:47]
	v_writelane_b32 v126, s0, 61
	v_cndmask_b32_e64 v12, v12, v73, s[42:43]
	v_cndmask_b32_e64 v102, v42, v17, s[40:41]
	;; [unrolled: 1-line block ×18, first 2 shown]
	ds_bpermute_b32 v49, v108, v16
	v_cndmask_b32_e64 v97, v41, v17, s[42:43]
	s_waitcnt lgkmcnt(1)
	v_cndmask_b32_e64 v74, v69, v37, s[96:97]
	v_cndmask_b32_e64 v69, v75, v37, s[72:73]
	;; [unrolled: 1-line block ×3, first 2 shown]
	s_waitcnt lgkmcnt(0)
	v_cndmask_b32_e64 v47, v11, v49, s[4:5]
	v_cndmask_b32_e64 v46, v12, v49, s[96:97]
	;; [unrolled: 1-line block ×32, first 2 shown]
	ds_bpermute_b32 v11, v108, v11
	ds_bpermute_b32 v12, v108, v12
	v_cndmask_b32_e64 v10, v2, v4, s[38:39]
	v_cndmask_b32_e64 v10, v10, v9, s[28:29]
	;; [unrolled: 1-line block ×3, first 2 shown]
	s_waitcnt lgkmcnt(1)
	v_cndmask_b32_e64 v80, v97, v11, s[96:97]
	s_waitcnt lgkmcnt(0)
	v_cndmask_b32_e64 v97, v112, v12, s[34:35]
	v_cndmask_b32_e64 v112, v100, v12, s[76:77]
	;; [unrolled: 1-line block ×3, first 2 shown]
	scratch_load_dword v119, off, off offset:76 ; 4-byte Folded Reload
	v_cndmask_b32_e64 v10, v10, v59, s[52:53]
	v_cndmask_b32_e64 v10, v10, v58, s[56:57]
	;; [unrolled: 1-line block ×12, first 2 shown]
	ds_bpermute_b32 v10, v108, v10
	v_cndmask_b32_e64 v45, v13, v49, s[34:35]
	v_cndmask_b32_e64 v13, v99, v12, s[4:5]
	;; [unrolled: 1-line block ×5, first 2 shown]
	scratch_store_dword off, v13, off offset:8 ; 4-byte Folded Spill
	v_cndmask_b32_e64 v13, v110, v12, s[96:97]
	v_cndmask_b32_e64 v110, v102, v11, s[34:35]
	s_waitcnt lgkmcnt(0)
	v_cndmask_b32_e64 v52, v31, v10, s[36:37]
	v_cndmask_b32_e64 v68, v105, v11, s[36:37]
	;; [unrolled: 1-line block ×58, first 2 shown]
	s_waitcnt vmcnt(1)
	v_cmp_eq_u32_e64 s[36:37], 1, v119
	v_cmp_eq_u32_e64 s[38:39], 2, v119
	v_cmp_eq_u32_e64 s[40:41], 3, v119
	v_cndmask_b32_e64 v2, v65, v1, s[36:37]
	v_cndmask_b32_e64 v2, v2, v0, s[38:39]
	v_cndmask_b32_e64 v2, v2, v114, s[40:41]
	v_cmp_eq_u32_e64 s[42:43], 4, v119
	v_cmp_eq_u32_e64 s[44:45], 5, v119
	v_cmp_eq_u32_e64 s[48:49], 6, v119
	v_cndmask_b32_e64 v2, v2, v94, s[42:43]
	v_cndmask_b32_e64 v2, v2, v93, s[44:45]
	v_cndmask_b32_e64 v2, v2, v92, s[48:49]
	v_cmp_eq_u32_e64 s[52:53], 7, v119
	v_cmp_eq_u32_e64 s[56:57], 8, v119
	v_cmp_eq_u32_e64 s[60:61], 9, v119
	v_cndmask_b32_e64 v2, v2, v91, s[52:53]
	v_cndmask_b32_e64 v2, v2, v90, s[56:57]
	v_cndmask_b32_e64 v2, v2, v89, s[60:61]
	v_cmp_eq_u32_e64 s[64:65], 10, v119
	v_cmp_eq_u32_e64 s[68:69], 11, v119
	v_cmp_eq_u32_e64 s[72:73], 12, v119
	v_cndmask_b32_e64 v2, v2, v88, s[64:65]
	v_cndmask_b32_e64 v2, v2, v87, s[68:69]
	v_cndmask_b32_e64 v2, v2, v84, s[72:73]
	v_cmp_eq_u32_e64 s[76:77], 13, v119
	v_cmp_eq_u32_e64 s[80:81], 14, v119
	v_cmp_eq_u32_e32 vcc, 15, v119
	v_cndmask_b32_e64 v2, v2, v83, s[76:77]
	v_cndmask_b32_e64 v2, v2, v82, s[80:81]
	v_cndmask_b32_e32 v2, v2, v81, vcc
	ds_bpermute_b32 v20, v108, v2
	s_mov_b64 s[16:17], s[10:11]
	s_mov_b64 s[8:9], s[6:7]
	v_cndmask_b32_e64 v61, v9, v10, s[28:29]
	v_cndmask_b32_e64 v77, v8, v11, s[28:29]
	s_waitcnt lgkmcnt(0)
	v_cndmask_b32_e64 v2, v0, v20, s[38:39]
	v_cndmask_b32_e64 v0, v75, v78, s[16:17]
	;; [unrolled: 1-line block ×3, first 2 shown]
	s_mov_b64 s[28:29], s[12:13]
	v_cndmask_b32_e64 v50, v29, v10, s[34:35]
	v_cndmask_b32_e64 v0, v0, v16, s[28:29]
	s_mov_b64 s[34:35], s[14:15]
	v_cndmask_b32_e64 v32, v28, v10, s[96:97]
	v_cndmask_b32_e64 v0, v0, v123, s[34:35]
	s_mov_b64 s[96:97], s[18:19]
	v_cndmask_b32_e64 v0, v0, v125, s[96:97]
	s_mov_b64 s[6:7], s[20:21]
	;; [unrolled: 2-line block ×4, first 2 shown]
	v_writelane_b32 v126, s1, 62
	v_cndmask_b32_e64 v0, v0, v69, s[12:13]
	s_mov_b64 s[14:15], s[26:27]
	v_cndmask_b32_e64 v0, v0, v70, s[14:15]
	s_mov_b64 s[18:19], s[30:31]
	v_readlane_b32 s20, v126, 51
	v_cndmask_b32_e64 v0, v0, v71, s[18:19]
	v_readlane_b32 s21, v126, 52
	v_readlane_b32 s22, v126, 53
	v_readlane_b32 s23, v126, 54
	v_cndmask_b32_e64 v0, v0, v72, s[20:21]
	v_readlane_b32 s88, v126, 55
	v_cndmask_b32_e64 v0, v0, v19, s[22:23]
	v_readlane_b32 s89, v126, 56
	v_readlane_b32 s26, v126, 45
	v_readlane_b32 s27, v126, 46
	v_cndmask_b32_e64 v0, v0, v73, s[88:89]
	;; [unrolled: 6-line block ×3, first 2 shown]
	ds_bpermute_b32 v0, v108, v0
	v_cndmask_b32_e64 v66, v27, v10, s[4:5]
	v_cndmask_b32_e64 v96, v96, v11, s[4:5]
	s_mov_b64 s[4:5], s[46:47]
	s_mov_b64 s[46:47], s[50:51]
	s_waitcnt lgkmcnt(0)
	v_cndmask_b32_e64 v18, v18, v0, s[30:31]
	v_cndmask_b32_e64 v21, v74, v0, s[26:27]
	;; [unrolled: 1-line block ×18, first 2 shown]
	s_mov_b64 s[50:51], s[54:55]
	v_cndmask_b32_e64 v69, v69, v16, s[50:51]
	s_mov_b64 s[54:55], s[58:59]
	v_cndmask_b32_e64 v69, v69, v30, s[54:55]
	;; [unrolled: 2-line block ×9, first 2 shown]
	s_mov_b64 s[84:85], s[86:87]
	v_readlane_b32 s86, v126, 47
	v_cndmask_b32_e64 v69, v69, v19, s[84:85]
	v_readlane_b32 s87, v126, 48
	v_readlane_b32 s0, v126, 49
	;; [unrolled: 1-line block ×3, first 2 shown]
	v_cndmask_b32_e64 v69, v69, v22, s[86:87]
	v_cndmask_b32_e64 v69, v69, v21, s[98:99]
	;; [unrolled: 1-line block ×3, first 2 shown]
	ds_bpermute_b32 v69, v108, v69
	s_mov_b64 s[24:25], s[18:19]
	s_mov_b64 s[18:19], s[10:11]
	v_readlane_b32 s10, v126, 61
	v_readlane_b32 s11, v126, 62
	s_waitcnt lgkmcnt(0)
	v_cndmask_b32_e64 v18, v18, v69, s[0:1]
	v_cndmask_b32_e64 v21, v21, v69, s[98:99]
	;; [unrolled: 1-line block ×30, first 2 shown]
	v_cndmask_b32_e32 v0, v0, v18, vcc
	ds_bpermute_b32 v78, v108, v0
	s_mov_b64 s[94:95], s[26:27]
	s_mov_b64 s[26:27], s[20:21]
	;; [unrolled: 1-line block ×4, first 2 shown]
	s_waitcnt lgkmcnt(0)
	v_cndmask_b32_e64 v28, v19, v78, s[72:73]
	v_cndmask_b32_e64 v19, v16, v78, s[40:41]
	v_cndmask_b32_e64 v16, v49, v33, s[16:17]
	v_cndmask_b32_e64 v16, v16, v34, s[12:13]
	v_cndmask_b32_e64 v16, v16, v35, s[28:29]
	v_cndmask_b32_e64 v16, v16, v36, s[34:35]
	v_cndmask_b32_e64 v16, v16, v37, s[96:97]
	v_cndmask_b32_e64 v16, v16, v44, s[6:7]
	v_cndmask_b32_e64 v16, v16, v43, s[18:19]
	s_mov_b64 s[90:91], s[30:31]
	s_mov_b64 s[30:31], s[22:23]
	;; [unrolled: 1-line block ×3, first 2 shown]
	v_cndmask_b32_e64 v16, v16, v42, s[20:21]
	v_cndmask_b32_e64 v16, v16, v41, s[22:23]
	;; [unrolled: 1-line block ×6, first 2 shown]
	s_mov_b64 s[14:15], s[94:95]
	v_cndmask_b32_e64 v16, v16, v46, s[14:15]
	s_mov_b64 s[94:95], s[90:91]
	v_cndmask_b32_e64 v16, v16, v47, s[94:95]
	ds_bpermute_b32 v16, v108, v16
	s_mov_b64 s[8:9], s[2:3]
	v_cmp_eq_u32_e64 s[0:1], 0, v119
	v_cndmask_b32_e64 v27, v23, v78, s[68:69]
	v_cndmask_b32_e64 v26, v24, v78, s[64:65]
	s_waitcnt lgkmcnt(0)
	v_cndmask_b32_e64 v47, v47, v16, s[94:95]
	v_cndmask_b32_e64 v46, v46, v16, s[14:15]
	;; [unrolled: 1-line block ×16, first 2 shown]
	s_mov_b64 s[2:3], s[4:5]
	v_cndmask_b32_e64 v49, v16, v33, s[2:3]
	v_cndmask_b32_e64 v49, v49, v34, s[46:47]
	;; [unrolled: 1-line block ×13, first 2 shown]
	v_readlane_b32 s4, v126, 49
	v_cndmask_b32_e64 v49, v49, v46, s[98:99]
	v_readlane_b32 s5, v126, 50
	s_mov_b64 s[14:15], s[6:7]
	s_mov_b64 s[6:7], s[10:11]
	v_cndmask_b32_e64 v49, v49, v47, s[4:5]
	ds_bpermute_b32 v49, v108, v49
	v_cndmask_b32_e64 v0, v65, v20, s[0:1]
	v_cndmask_b32_e64 v24, v70, v78, s[56:57]
	;; [unrolled: 1-line block ×3, first 2 shown]
	s_mov_b64 s[88:89], s[98:99]
	s_waitcnt lgkmcnt(0)
	v_cndmask_b32_e64 v47, v47, v49, s[4:5]
	v_cndmask_b32_e64 v46, v46, v49, s[98:99]
	;; [unrolled: 1-line block ×21, first 2 shown]
	s_mov_b64 s[98:99], s[86:87]
	s_mov_b64 s[86:87], s[84:85]
	;; [unrolled: 1-line block ×10, first 2 shown]
	v_cndmask_b32_e64 v16, v16, v71, s[48:49]
	s_mov_b64 s[54:55], s[52:53]
	v_cndmask_b32_e64 v16, v16, v70, s[54:55]
	v_cndmask_b32_e64 v16, v16, v65, s[56:57]
	;; [unrolled: 1-line block ×8, first 2 shown]
	v_cndmask_b32_e32 v15, v81, v20, vcc
	v_cndmask_b32_e32 v31, v18, v78, vcc
	v_writelane_b32 v126, vcc_lo, 63
	v_cndmask_b32_e64 v29, v22, v78, s[76:77]
	v_cndmask_b32_e64 v22, v72, v78, s[48:49]
	v_cndmask_b32_e32 v16, v16, v47, vcc
	ds_bpermute_b32 v72, v108, v16
	s_mov_b64 s[4:5], s[2:3]
	s_mov_b64 s[2:3], s[12:13]
	v_cndmask_b32_e64 v16, v69, v78, s[0:1]
	s_mov_b64 s[90:91], s[0:1]
	s_waitcnt lgkmcnt(0)
	v_cndmask_b32_e64 v42, v40, v72, s[64:65]
	v_cndmask_b32_e64 v40, v65, v72, s[56:57]
	;; [unrolled: 1-line block ×7, first 2 shown]
	s_mov_b64 s[0:1], s[14:15]
	v_cndmask_b32_e64 v65, v65, v57, s[0:1]
	s_mov_b64 s[10:11], s[18:19]
	v_cndmask_b32_e64 v65, v65, v56, s[10:11]
	;; [unrolled: 2-line block ×6, first 2 shown]
	s_mov_b64 s[22:23], s[30:31]
	v_readlane_b32 s24, v126, 55
	scratch_store_dword off, v13, off offset:12 ; 4-byte Folded Spill
	v_cndmask_b32_e64 v14, v82, v20, s[80:81]
	v_cndmask_b32_e64 v13, v83, v20, s[76:77]
	;; [unrolled: 1-line block ×19, first 2 shown]
	s_mov_b64 s[52:53], s[44:45]
	v_cndmask_b32_e64 v36, v36, v72, s[42:43]
	s_mov_b64 s[44:45], s[42:43]
	v_cndmask_b32_e64 v35, v35, v72, s[40:41]
	;; [unrolled: 2-line block ×5, first 2 shown]
	v_readlane_b32 s25, v126, 56
	v_readlane_b32 s36, v126, 45
	;; [unrolled: 1-line block ×3, first 2 shown]
	v_cndmask_b32_e64 v65, v65, v50, s[24:25]
	s_mov_b64 s[26:27], s[22:23]
	v_cndmask_b32_e64 v65, v65, v32, s[36:37]
	v_cndmask_b32_e64 v65, v65, v66, s[94:95]
	ds_bpermute_b32 v65, v108, v65
	v_cndmask_b32_e64 v25, v25, v78, s[60:61]
	v_cndmask_b32_e64 v44, v38, v72, s[72:73]
	v_cndmask_b32_e64 v43, v39, v72, s[68:69]
	v_cndmask_b32_e64 v39, v70, v72, s[54:55]
	s_waitcnt lgkmcnt(0)
	v_cndmask_b32_e64 v62, v62, v65, s[16:17]
	v_cndmask_b32_e64 v63, v63, v65, s[8:9]
	;; [unrolled: 1-line block ×28, first 2 shown]
	s_mov_b64 s[22:23], s[18:19]
	s_mov_b64 s[18:19], s[12:13]
	;; [unrolled: 1-line block ×4, first 2 shown]
	v_cndmask_b32_e64 v65, v65, v50, s[98:99]
	v_readlane_b32 s8, v126, 49
	v_cndmask_b32_e64 v65, v65, v32, s[88:89]
	v_readlane_b32 s9, v126, 50
	v_cndmask_b32_e64 v38, v71, v72, s[48:49]
	v_writelane_b32 v127, vcc_hi, 0
	v_cndmask_b32_e64 v65, v65, v66, s[8:9]
	ds_bpermute_b32 v65, v108, v65
	v_cndmask_b32_e32 v47, v47, v72, vcc
	v_cndmask_b32_e64 v46, v46, v72, s[80:81]
	s_mov_b64 vcc, s[80:81]
	v_cndmask_b32_e64 v45, v45, v72, s[76:77]
	s_waitcnt lgkmcnt(0)
	v_cndmask_b32_e64 v66, v66, v65, s[8:9]
	v_cndmask_b32_e64 v69, v32, v65, s[88:89]
	;; [unrolled: 1-line block ×22, first 2 shown]
	s_mov_b64 s[80:81], s[76:77]
	s_mov_b64 s[76:77], s[72:73]
	;; [unrolled: 1-line block ×4, first 2 shown]
	v_cndmask_b32_e64 v41, v41, v72, s[60:61]
	s_mov_b64 s[64:65], s[60:61]
	s_mov_b64 s[60:61], s[56:57]
	v_cndmask_b32_e64 v32, v32, v70, s[54:55]
	v_cndmask_b32_e64 v32, v32, v55, s[60:61]
	;; [unrolled: 1-line block ×7, first 2 shown]
	v_readlane_b32 s56, v126, 63
	v_cndmask_b32_e32 v32, v32, v69, vcc
	v_readlane_b32 s57, v127, 0
	s_mov_b64 s[30:31], s[24:25]
	s_mov_b64 s[24:25], s[20:21]
	v_cndmask_b32_e64 v32, v32, v66, s[56:57]
	ds_bpermute_b32 v82, v108, v32
	s_mov_b64 s[20:21], s[14:15]
	s_mov_b64 s[14:15], s[10:11]
	;; [unrolled: 1-line block ×4, first 2 shown]
	s_waitcnt lgkmcnt(0)
	v_cndmask_b32_e64 v63, v66, v82, s[56:57]
	v_cndmask_b32_e64 v66, v79, v48, s[16:17]
	;; [unrolled: 1-line block ×5, first 2 shown]
	s_mov_b64 s[6:7], s[90:91]
	s_mov_b64 s[90:91], s[56:57]
	v_cndmask_b32_e64 v66, v66, v121, s[96:97]
	s_mov_b64 s[56:57], s[12:13]
	v_cndmask_b32_e64 v66, v66, v120, s[56:57]
	s_mov_b64 s[12:13], s[14:15]
	v_cndmask_b32_e64 v66, v66, v118, s[12:13]
	s_mov_b64 s[14:15], s[18:19]
	v_cndmask_b32_e64 v66, v66, v100, s[14:15]
	s_mov_b64 s[18:19], s[20:21]
	v_cndmask_b32_e64 v66, v66, v117, s[18:19]
	s_mov_b64 s[20:21], s[22:23]
	v_cndmask_b32_e64 v66, v66, v116, s[20:21]
	s_mov_b64 s[22:23], s[24:25]
	v_cndmask_b32_e64 v66, v66, v68, s[22:23]
	s_mov_b64 s[24:25], s[26:27]
	v_cndmask_b32_e64 v66, v66, v67, s[24:25]
	s_mov_b64 s[26:27], s[30:31]
	v_cndmask_b32_e64 v66, v66, v110, s[26:27]
	s_mov_b64 s[30:31], s[36:37]
	v_cndmask_b32_e64 v66, v66, v80, s[30:31]
	v_cndmask_b32_e64 v66, v66, v96, s[94:95]
	ds_bpermute_b32 v66, v108, v66
	v_writelane_b32 v127, s6, 1
	v_cndmask_b32_e32 v62, v69, v82, vcc
	v_cndmask_b32_e64 v61, v50, v82, s[80:81]
	v_writelane_b32 v127, s7, 2
	v_cndmask_b32_e64 v32, v49, v72, s[6:7]
	v_cndmask_b32_e64 v60, v51, v82, s[76:77]
	v_cndmask_b32_e64 v59, v52, v82, s[72:73]
	v_cndmask_b32_e64 v58, v53, v82, s[68:69]
	v_cndmask_b32_e64 v57, v54, v82, s[64:65]
	v_cndmask_b32_e64 v56, v55, v82, s[60:61]
	v_cndmask_b32_e64 v55, v70, v82, s[54:55]
	v_cndmask_b32_e64 v54, v71, v82, s[48:49]
	v_cndmask_b32_e64 v53, v73, v82, s[52:53]
	v_cndmask_b32_e64 v52, v74, v82, s[44:45]
	v_cndmask_b32_e64 v51, v75, v82, s[42:43]
	v_cndmask_b32_e64 v50, v78, v82, s[40:41]
	v_cndmask_b32_e64 v49, v81, v82, s[38:39]
	s_waitcnt lgkmcnt(0)
	v_cndmask_b32_e64 v69, v96, v66, s[94:95]
	v_cndmask_b32_e64 v70, v80, v66, s[30:31]
	;; [unrolled: 1-line block ×16, first 2 shown]
	v_writelane_b32 v127, s4, 3
	s_mov_b64 s[0:1], s[88:89]
	scratch_load_dwordx2 v[118:119], off, off ; 8-byte Folded Reload
	v_writelane_b32 v127, s5, 4
	v_cndmask_b32_e64 v79, v66, v48, s[4:5]
	v_writelane_b32 v127, s46, 5
	v_readlane_b32 s36, v126, 23
	v_readlane_b32 s37, v126, 24
	v_cndmask_b32_e64 v79, v79, v77, s[46:47]
	v_cndmask_b32_e64 v79, v79, v76, s[50:51]
	;; [unrolled: 1-line block ×14, first 2 shown]
	ds_bpermute_b32 v79, v108, v79
	v_writelane_b32 v127, s47, 6
	s_waitcnt lgkmcnt(0)
	v_cndmask_b32_e64 v86, v80, v79, s[62:63]
	v_cndmask_b32_e64 v90, v48, v79, s[4:5]
	;; [unrolled: 1-line block ×10, first 2 shown]
	s_mov_b64 s[46:47], s[52:53]
	v_cndmask_b32_e64 v85, v78, v79, s[66:67]
	v_cndmask_b32_e64 v48, v48, v86, s[46:47]
	;; [unrolled: 1-line block ×19, first 2 shown]
	v_cndmask_b32_e32 v48, v48, v70, vcc
	v_cndmask_b32_e64 v48, v48, v69, s[90:91]
	ds_bpermute_b32 v81, v108, v48
	v_cndmask_b32_e64 v48, v65, v82, s[6:7]
	v_cndmask_b32_e64 v82, v115, v109, s[16:17]
	;; [unrolled: 1-line block ×4, first 2 shown]
	s_waitcnt lgkmcnt(0)
	v_cndmask_b32_e64 v77, v71, v81, s[80:81]
	v_cndmask_b32_e64 v71, v84, v81, s[54:55]
	scratch_load_dword v84, off, off offset:12 ; 4-byte Folded Reload
	v_cndmask_b32_e64 v74, v72, v81, s[68:69]
	v_cndmask_b32_e64 v72, v83, v81, s[60:61]
	scratch_load_dword v83, off, off offset:8 ; 4-byte Folded Reload
	scratch_load_dword v116, off, off offset:40 ; 4-byte Folded Reload
	;; [unrolled: 1-line block ×4, first 2 shown]
	v_cndmask_b32_e64 v82, v82, v95, s[34:35]
	v_cndmask_b32_e64 v82, v82, v107, s[96:97]
	;; [unrolled: 1-line block ×11, first 2 shown]
	v_cndmask_b32_e32 v78, v70, v81, vcc
	v_cndmask_b32_e64 v76, v67, v81, s[76:77]
	v_cndmask_b32_e64 v75, v68, v81, s[72:73]
	;; [unrolled: 1-line block ×8, first 2 shown]
	s_mov_b64 s[52:53], s[60:61]
	s_mov_b64 s[60:61], s[38:39]
	v_readlane_b32 s39, v126, 44
	v_cndmask_b32_e64 v73, v73, v81, s[64:65]
	s_mov_b32 s6, 0
	s_mov_b32 s7, 0
	v_readlane_b32 s38, v126, 25
	s_waitcnt vmcnt(4)
	v_cndmask_b32_e64 v82, v82, v84, s[30:31]
	s_waitcnt vmcnt(3)
	v_cndmask_b32_e64 v82, v82, v83, s[94:95]
	ds_bpermute_b32 v82, v108, v82
	s_waitcnt lgkmcnt(0)
	v_cndmask_b32_e64 v94, v95, v82, s[34:35]
	v_cndmask_b32_e64 v95, v98, v82, s[10:11]
	v_readlane_b32 s10, v126, 59
	v_cndmask_b32_e64 v91, v105, v82, s[12:13]
	v_readlane_b32 s11, v126, 60
	v_readlane_b32 s12, v127, 3
	v_cndmask_b32_e64 v83, v83, v82, s[94:95]
	v_cndmask_b32_e64 v84, v84, v82, s[30:31]
	;; [unrolled: 1-line block ×13, first 2 shown]
	v_readlane_b32 s13, v127, 4
	v_readlane_b32 s10, v127, 5
	;; [unrolled: 1-line block ×3, first 2 shown]
	v_cndmask_b32_e64 v97, v82, v96, s[12:13]
	v_readlane_b32 s16, v126, 2
	v_cndmask_b32_e64 v97, v97, v95, s[10:11]
	v_cndmask_b32_e64 v97, v97, v64, s[50:51]
	;; [unrolled: 1-line block ×14, first 2 shown]
	ds_bpermute_b32 v97, v108, v97
	v_readlane_b32 s20, v126, 6
	v_readlane_b32 s21, v126, 7
	;; [unrolled: 1-line block ×4, first 2 shown]
	s_waitcnt lgkmcnt(0)
	v_cndmask_b32_e64 v83, v83, v97, s[8:9]
	v_cndmask_b32_e64 v84, v84, v97, s[0:1]
	;; [unrolled: 1-line block ×29, first 2 shown]
	v_cndmask_b32_e32 v64, v64, v84, vcc
	v_cndmask_b32_e64 v64, v64, v83, s[90:91]
	ds_bpermute_b32 v108, v108, v64
	v_readlane_b32 s8, v127, 1
	v_readlane_b32 s9, v127, 2
	;; [unrolled: 1-line block ×4, first 2 shown]
	s_waitcnt lgkmcnt(0)
	v_cndmask_b32_e64 v91, v87, v108, s[72:73]
	v_cndmask_b32_e64 v90, v88, v108, s[68:69]
	;; [unrolled: 1-line block ×4, first 2 shown]
	v_readlane_b32 s52, v126, 26
	v_readlane_b32 s53, v126, 27
	s_mul_i32 s0, s39, s53
	s_ashr_i32 s1, s0, 31
	v_cndmask_b32_e32 v94, v84, v108, vcc
	v_cndmask_b32_e64 v84, v105, v108, s[44:45]
	s_lshl_b64 s[0:1], s[0:1], 1
	v_readlane_b32 s44, v126, 38
	s_add_u32 s2, s20, s0
	v_readlane_b32 s45, v126, 39
	s_addc_u32 s3, s21, s1
	s_ashr_i32 s45, s44, 31
	s_lshl_b64 s[0:1], s[44:45], 1
	s_add_u32 s0, s2, s0
	v_cndmask_b32_e64 v95, v83, v108, s[90:91]
	v_cndmask_b32_e64 v93, v85, v108, s[80:81]
	;; [unrolled: 1-line block ×7, first 2 shown]
	s_addc_u32 s1, s3, s1
	v_readlane_b32 s41, v126, 42
	v_readlane_b32 s42, v126, 40
	;; [unrolled: 1-line block ×4, first 2 shown]
	v_cndmask_b32_e64 v64, v80, v81, s[8:9]
	v_cndmask_b32_e64 v89, v89, v108, s[64:65]
	v_readlane_b32 s54, v126, 28
	v_readlane_b32 s55, v126, 29
	;; [unrolled: 1-line block ×9, first 2 shown]
	v_subrev_u32_e32 v101, s41, v101
	v_cndmask_b32_e64 v81, v96, v108, s[60:61]
	v_cndmask_b32_e64 v80, v97, v108, s[8:9]
	v_lshl_add_u64 v[102:103], s[0:1], 0, v[118:119]
	s_mov_b64 s[0:1], 0
	v_readlane_b32 s11, v126, 0
	v_readlane_b32 s12, v126, 1
	;; [unrolled: 1-line block ×17, first 2 shown]
                                        ; implicit-def: $sgpr2_sgpr3
	s_branch .LBB381_37
.LBB381_36:                             ;   in Loop: Header=BB381_37 Depth=2
	s_or_b64 exec, exec, s[4:5]
	s_and_b64 s[4:5], exec, s[2:3]
	s_or_b64 s[0:1], s[4:5], s[0:1]
	s_andn2_b64 exec, exec, s[0:1]
	s_cbranch_execz .LBB381_39
.LBB381_37:                             ;   Parent Loop BB381_7 Depth=1
                                        ; =>  This Inner Loop Header: Depth=2
	s_and_b32 s4, s7, 2
	s_and_b32 s5, s6, 24
	s_or_b32 s4, s5, s4
	s_waitcnt vmcnt(0)
	v_or_b32_e32 v96, s4, v100
	v_add_u32_e32 v97, s92, v96
	v_cmp_gt_u32_e32 vcc, 32, v97
	s_or_b64 s[2:3], s[2:3], exec
	s_and_saveexec_b64 s[4:5], vcc
	s_cbranch_execz .LBB381_36
; %bb.38:                               ;   in Loop: Header=BB381_37 Depth=2
	s_add_i32 s10, s7, 1
	s_set_gpr_idx_on s7, gpr_idx(SRC0)
	v_mov_b32_e32 v97, v0
	s_set_gpr_idx_off
	v_cvt_f16_f32_e32 v98, v97
	s_set_gpr_idx_on s10, gpr_idx(SRC0)
	v_mov_b32_e32 v97, v0
	s_set_gpr_idx_off
	v_cvt_f16_f32_sdwa v99, v97 dst_sel:WORD_1 dst_unused:UNUSED_PAD src0_sel:DWORD
	v_mul_lo_u32 v96, v96, s53
	v_ashrrev_i32_e32 v97, 31, v96
	v_lshl_add_u64 v[96:97], v[96:97], 1, v[102:103]
	v_or_b32_e32 v98, v99, v98
	;;#ASMSTART
	global_atomic_pk_add_f16 v[96:97], v98, off
	
	;;#ASMEND
	s_set_gpr_idx_on s7, gpr_idx(SRC0)
	v_mov_b32_e32 v98, v16
	s_set_gpr_idx_off
	v_cvt_f16_f32_e32 v105, v98
	s_set_gpr_idx_on s10, gpr_idx(SRC0)
	v_mov_b32_e32 v98, v16
	s_set_gpr_idx_off
	v_cvt_f16_f32_sdwa v106, v98 dst_sel:WORD_1 dst_unused:UNUSED_PAD src0_sel:DWORD
	v_lshl_add_u64 v[98:99], v[96:97], 0, 64
	s_mov_b64 s[8:9], 0x80
	s_add_i32 s6, s6, 4
	v_or_b32_e32 v105, v106, v105
	;;#ASMSTART
	global_atomic_pk_add_f16 v[98:99], v105, off
	
	;;#ASMEND
	s_set_gpr_idx_on s7, gpr_idx(SRC0)
	v_mov_b32_e32 v98, v32
	s_set_gpr_idx_off
	v_cvt_f16_f32_e32 v105, v98
	s_set_gpr_idx_on s10, gpr_idx(SRC0)
	v_mov_b32_e32 v98, v32
	s_set_gpr_idx_off
	v_cvt_f16_f32_sdwa v106, v98 dst_sel:WORD_1 dst_unused:UNUSED_PAD src0_sel:DWORD
	v_lshl_add_u64 v[98:99], v[96:97], 0, s[8:9]
	s_mov_b64 s[8:9], 0xc0
	v_or_b32_e32 v105, v106, v105
	;;#ASMSTART
	global_atomic_pk_add_f16 v[98:99], v105, off
	
	;;#ASMEND
	s_set_gpr_idx_on s7, gpr_idx(SRC0)
	v_mov_b32_e32 v98, v48
	s_set_gpr_idx_off
	v_cvt_f16_f32_e32 v105, v98
	s_set_gpr_idx_on s10, gpr_idx(SRC0)
	v_mov_b32_e32 v98, v48
	s_set_gpr_idx_off
	v_cvt_f16_f32_sdwa v106, v98 dst_sel:WORD_1 dst_unused:UNUSED_PAD src0_sel:DWORD
	v_lshl_add_u64 v[98:99], v[96:97], 0, s[8:9]
	s_mov_b64 s[8:9], 0x100
	;; [unrolled: 15-line block ×3, first 2 shown]
	v_lshl_add_u64 v[96:97], v[96:97], 0, s[8:9]
	v_or_b32_e32 v105, v106, v105
	;;#ASMSTART
	global_atomic_pk_add_f16 v[98:99], v105, off
	
	;;#ASMEND
	s_set_gpr_idx_on s7, gpr_idx(SRC0)
	v_mov_b32_e32 v98, v80
	s_set_gpr_idx_off
	v_cvt_f16_f32_e32 v98, v98
	s_set_gpr_idx_on s10, gpr_idx(SRC0)
	v_mov_b32_e32 v99, v80
	s_set_gpr_idx_off
	s_add_i32 s7, s7, 2
	v_cvt_f16_f32_sdwa v99, v99 dst_sel:WORD_1 dst_unused:UNUSED_PAD src0_sel:DWORD
	s_cmp_eq_u32 s7, 16
	s_cselect_b64 s[8:9], -1, 0
	s_andn2_b64 s[2:3], s[2:3], exec
	s_and_b64 s[8:9], s[8:9], exec
	s_or_b64 s[2:3], s[2:3], s[8:9]
	v_or_b32_e32 v98, v99, v98
	;;#ASMSTART
	global_atomic_pk_add_f16 v[96:97], v98, off
	
	;;#ASMEND
	s_branch .LBB381_36
.LBB381_39:                             ;   in Loop: Header=BB381_7 Depth=1
	s_or_b64 exec, exec, s[0:1]
	scratch_load_dword v14, off, off offset:32 ; 4-byte Folded Reload
	scratch_load_dword v120, off, off offset:36 ; 4-byte Folded Reload
	scratch_load_dwordx2 v[16:17], off, off offset:80 ; 8-byte Folded Reload
	scratch_load_dword v15, off, off offset:96 ; 4-byte Folded Reload
.LBB381_40:                             ;   in Loop: Header=BB381_7 Depth=1
	s_or_b64 exec, exec, s[48:49]
.LBB381_41:                             ;   in Loop: Header=BB381_7 Depth=1
	s_andn2_saveexec_b64 s[0:1], s[46:47]
	s_cbranch_execz .LBB381_50
; %bb.42:                               ;   in Loop: Header=BB381_7 Depth=1
	s_mul_i32 s10, s41, 6
	v_cmp_gt_i32_e32 vcc, s10, v101
	s_and_saveexec_b64 s[2:3], vcc
	s_cbranch_execz .LBB381_49
; %bb.43:                               ;   in Loop: Header=BB381_7 Depth=1
	scratch_load_dwordx2 v[0:1], off, off offset:88 ; 8-byte Folded Reload
	s_mul_i32 s4, s44, s55
	s_ashr_i32 s5, s4, 31
	s_add_u32 s4, s18, s4
	s_addc_u32 s5, s19, s5
	s_ashr_i32 s6, s40, 31
	s_add_u32 s4, s4, s40
	s_addc_u32 s5, s5, s6
	s_waitcnt vmcnt(0)
	v_lshl_add_u64 v[0:1], s[4:5], 0, v[0:1]
	v_lshl_add_u64 v[8:9], v[0:1], 0, v[16:17]
	s_mov_b64 s[4:5], 0
	s_branch .LBB381_45
.LBB381_44:                             ;   in Loop: Header=BB381_45 Depth=2
	s_or_b64 exec, exec, s[6:7]
	v_lshl_or_b32 v12, v10, 11, v15
	;;#ASMSTART
	s_waitcnt vmcnt(1)
	;;#ASMEND
	ds_write2_b32 v12, v4, v5 offset1:32
	ds_write2_b32 v12, v6, v7 offset0:64 offset1:96
	v_add_u32_e32 v4, 0x400, v12
	v_add_u32_e32 v101, s58, v101
	;;#ASMSTART
	s_waitcnt vmcnt(0)
	;;#ASMEND
	ds_write2_b32 v4, v0, v1 offset1:32
	ds_write2_b32 v4, v2, v3 offset0:64 offset1:96
	v_add_u32_e32 v0, 1, v111
	v_add_u32_e32 v104, s58, v10
	v_cmp_le_i32_e32 vcc, s10, v101
	ds_write_b32 v11, v0 offset:48
	v_add_u32_e32 v0, 2, v111
	s_or_b64 s[4:5], vcc, s[4:5]
	v_cmp_lt_i32_e32 vcc, 17, v104
	s_nop 1
	v_cndmask_b32_e32 v111, v111, v0, vcc
	s_andn2_b64 exec, exec, s[4:5]
	s_cbranch_execz .LBB381_48
.LBB381_45:                             ;   Parent Loop BB381_7 Depth=1
                                        ; =>  This Loop Header: Depth=2
                                        ;       Child Loop BB381_47 Depth 3
	v_not_b32_e32 v0, 17
	v_cmp_gt_i32_e32 vcc, 18, v104
	s_mov_b32 s6, 0x2aaaaaab
	s_nop 0
	v_cndmask_b32_e64 v0, v0, 0, vcc
	v_add_u32_e32 v10, v0, v104
	v_mul_hi_i32 v0, v101, s6
	v_lshrrev_b32_e32 v1, 31, v0
	v_add_u32_e32 v0, v0, v1
	v_mul_lo_u32 v1, v0, 6
	v_sub_u32_e32 v2, v101, v1
	v_lshlrev_b32_e32 v0, 6, v0
	v_ashrrev_i32_e32 v1, 31, v0
	v_mul_lo_u32 v2, s31, v2
	v_lshl_add_u64 v[0:1], v[8:9], 0, v[0:1]
	v_ashrrev_i32_e32 v3, 31, v2
	v_lshl_add_u64 v[0:1], v[0:1], 0, v[2:3]
	v_lshlrev_b32_e32 v11, 2, v10
	;;#ASMSTART
	global_load_dwordx4 v[4:7], v[0:1], off offset:0   sc0 sc1 nt  
	global_load_dwordx4 v[0:3], v[0:1], off offset:32  sc0 sc1 nt  
	
	;;#ASMEND
	ds_read_b32 v12, v11 offset:61488
	v_add_u32_e32 v11, 0xf000, v11
	s_waitcnt lgkmcnt(0)
	v_cmp_ne_u32_e32 vcc, v12, v111
	s_and_saveexec_b64 s[6:7], vcc
	s_cbranch_execz .LBB381_44
; %bb.46:                               ;   in Loop: Header=BB381_45 Depth=2
	s_mov_b64 s[8:9], 0
.LBB381_47:                             ;   Parent Loop BB381_7 Depth=1
                                        ;     Parent Loop BB381_45 Depth=2
                                        ; =>    This Inner Loop Header: Depth=3
	;;#ASMSTART
	s_sleep 0
	;;#ASMEND
	ds_read_b32 v12, v11 offset:48
	s_waitcnt lgkmcnt(0)
	v_cmp_eq_u32_e32 vcc, v12, v111
	s_or_b64 s[8:9], vcc, s[8:9]
	s_andn2_b64 exec, exec, s[8:9]
	s_cbranch_execnz .LBB381_47
	s_branch .LBB381_44
.LBB381_48:                             ;   in Loop: Header=BB381_7 Depth=1
	s_or_b64 exec, exec, s[4:5]
.LBB381_49:                             ;   in Loop: Header=BB381_7 Depth=1
	s_or_b64 exec, exec, s[2:3]
	v_subrev_u32_e32 v101, s10, v101
.LBB381_50:                             ;   in Loop: Header=BB381_7 Depth=1
	s_or_b64 exec, exec, s[0:1]
.LBB381_51:                             ;   in Loop: Header=BB381_7 Depth=1
	s_andn2_saveexec_b64 s[0:1], s[42:43]
	s_cbranch_execz .LBB381_6
; %bb.52:                               ;   in Loop: Header=BB381_7 Depth=1
	s_lshl_b32 s10, s41, 2
	v_cmp_gt_i32_e32 vcc, s10, v101
	s_and_saveexec_b64 s[2:3], vcc
	s_cbranch_execz .LBB381_5
; %bb.53:                               ;   in Loop: Header=BB381_7 Depth=1
	s_mul_i32 s4, s39, s54
	s_ashr_i32 s5, s4, 31
	s_add_u32 s4, s16, s4
	s_addc_u32 s5, s17, s5
	s_ashr_i32 s6, s40, 31
	s_add_u32 s4, s4, s40
	s_addc_u32 s5, s5, s6
	s_waitcnt vmcnt(2)
	v_add_u32_e32 v2, s92, v120
	s_movk_i32 s6, 0x80
	v_mul_lo_u32 v0, s54, v120
	v_cmp_gt_u32_e32 vcc, s6, v2
	v_sub_u32_e32 v10, 0x7f, v2
	s_nop 0
	v_cndmask_b32_e32 v0, 0, v0, vcc
	v_ashrrev_i32_e32 v1, 31, v0
	v_lshl_add_u64 v[0:1], s[4:5], 0, v[0:1]
	s_waitcnt vmcnt(1)
	v_lshl_add_u64 v[8:9], v[0:1], 0, v[16:17]
	s_mov_b64 s[4:5], 0
	s_branch .LBB381_55
.LBB381_54:                             ;   in Loop: Header=BB381_55 Depth=2
	s_or_b64 exec, exec, s[6:7]
	v_lshl_add_u32 v13, v11, 11, v124
	;;#ASMSTART
	s_waitcnt vmcnt(1)
	;;#ASMEND
	ds_write2_b32 v13, v4, v5 offset1:32
	ds_write2_b32 v13, v6, v7 offset0:64 offset1:96
	v_add_u32_e32 v4, 0x400, v13
	v_add_u32_e32 v101, s57, v101
	;;#ASMSTART
	s_waitcnt vmcnt(0)
	;;#ASMEND
	ds_write2_b32 v4, v0, v1 offset1:32
	ds_write2_b32 v4, v2, v3 offset0:64 offset1:96
	v_add_u32_e32 v0, 1, v111
	v_add_u32_e32 v104, s57, v11
	v_cmp_le_i32_e32 vcc, s10, v101
	ds_write_b32 v12, v0
	v_add_u32_e32 v0, 2, v111
	s_or_b64 s[4:5], vcc, s[4:5]
	v_cmp_lt_i32_e32 vcc, 11, v104
	s_nop 1
	v_cndmask_b32_e32 v111, v111, v0, vcc
	s_andn2_b64 exec, exec, s[4:5]
	s_cbranch_execz .LBB381_4
.LBB381_55:                             ;   Parent Loop BB381_7 Depth=1
                                        ; =>  This Loop Header: Depth=2
                                        ;       Child Loop BB381_57 Depth 3
	v_cmp_gt_i32_e32 vcc, 12, v104
	s_nop 1
	v_cndmask_b32_e64 v0, -12, 0, vcc
	v_add_u32_e32 v11, v0, v104
	v_ashrrev_i32_e32 v0, 31, v101
	v_lshrrev_b32_e32 v0, 30, v0
	v_add_u32_e32 v0, v101, v0
	v_and_b32_e32 v1, 0x7fffffc, v0
	v_sub_u32_e32 v1, v101, v1
	v_lshlrev_b32_e32 v1, 5, v1
	v_cmp_le_i32_e32 vcc, v1, v10
	v_lshlrev_b32_e32 v0, 4, v0
	v_and_b32_e32 v0, 0xffffffc0, v0
	v_cndmask_b32_e32 v2, 0, v1, vcc
	v_ashrrev_i32_e32 v1, 31, v0
	v_mul_lo_u32 v2, v2, s54
	v_lshl_add_u64 v[0:1], v[8:9], 0, v[0:1]
	v_ashrrev_i32_e32 v3, 31, v2
	v_lshl_add_u64 v[0:1], v[0:1], 0, v[2:3]
	v_lshlrev_b32_e32 v12, 2, v11
	;;#ASMSTART
	global_load_dwordx4 v[4:7], v[0:1], off offset:0   
	global_load_dwordx4 v[0:3], v[0:1], off offset:32  
	
	;;#ASMEND
	ds_read_b32 v13, v12 offset:61440
	v_add_u32_e32 v12, 0xf000, v12
	s_waitcnt lgkmcnt(0)
	v_cmp_ne_u32_e32 vcc, v13, v111
	s_and_saveexec_b64 s[6:7], vcc
	s_cbranch_execz .LBB381_54
; %bb.56:                               ;   in Loop: Header=BB381_55 Depth=2
	s_mov_b64 s[8:9], 0
.LBB381_57:                             ;   Parent Loop BB381_7 Depth=1
                                        ;     Parent Loop BB381_55 Depth=2
                                        ; =>    This Inner Loop Header: Depth=3
	;;#ASMSTART
	s_sleep 0
	;;#ASMEND
	ds_read_b32 v13, v12
	s_waitcnt lgkmcnt(0)
	v_cmp_eq_u32_e32 vcc, v13, v111
	s_or_b64 s[8:9], vcc, s[8:9]
	s_andn2_b64 exec, exec, s[8:9]
	s_cbranch_execnz .LBB381_57
	s_branch .LBB381_54
.LBB381_58:
	s_endpgm
	.section	.rodata,"a",@progbits
	.p2align	6, 0x0
	.amdhsa_kernel _Z19_skinny_gemm_kernelILi4ELi6ELi3ELi32ELi4EEvPKhS1_P6__halfPKfiiiiiiii
		.amdhsa_group_segment_fixed_size 61560
		.amdhsa_private_segment_fixed_size 112
		.amdhsa_kernarg_size 64
		.amdhsa_user_sgpr_count 2
		.amdhsa_user_sgpr_dispatch_ptr 0
		.amdhsa_user_sgpr_queue_ptr 0
		.amdhsa_user_sgpr_kernarg_segment_ptr 1
		.amdhsa_user_sgpr_dispatch_id 0
		.amdhsa_user_sgpr_kernarg_preload_length 0
		.amdhsa_user_sgpr_kernarg_preload_offset 0
		.amdhsa_user_sgpr_private_segment_size 0
		.amdhsa_uses_dynamic_stack 0
		.amdhsa_enable_private_segment 1
		.amdhsa_system_sgpr_workgroup_id_x 1
		.amdhsa_system_sgpr_workgroup_id_y 0
		.amdhsa_system_sgpr_workgroup_id_z 0
		.amdhsa_system_sgpr_workgroup_info 0
		.amdhsa_system_vgpr_workitem_id 0
		.amdhsa_next_free_vgpr 128
		.amdhsa_next_free_sgpr 100
		.amdhsa_accum_offset 128
		.amdhsa_reserve_vcc 1
		.amdhsa_float_round_mode_32 0
		.amdhsa_float_round_mode_16_64 0
		.amdhsa_float_denorm_mode_32 3
		.amdhsa_float_denorm_mode_16_64 3
		.amdhsa_dx10_clamp 1
		.amdhsa_ieee_mode 1
		.amdhsa_fp16_overflow 0
		.amdhsa_tg_split 0
		.amdhsa_exception_fp_ieee_invalid_op 0
		.amdhsa_exception_fp_denorm_src 0
		.amdhsa_exception_fp_ieee_div_zero 0
		.amdhsa_exception_fp_ieee_overflow 0
		.amdhsa_exception_fp_ieee_underflow 0
		.amdhsa_exception_fp_ieee_inexact 0
		.amdhsa_exception_int_div_zero 0
	.end_amdhsa_kernel
	.section	.text._Z19_skinny_gemm_kernelILi4ELi6ELi3ELi32ELi4EEvPKhS1_P6__halfPKfiiiiiiii,"axG",@progbits,_Z19_skinny_gemm_kernelILi4ELi6ELi3ELi32ELi4EEvPKhS1_P6__halfPKfiiiiiiii,comdat
.Lfunc_end381:
	.size	_Z19_skinny_gemm_kernelILi4ELi6ELi3ELi32ELi4EEvPKhS1_P6__halfPKfiiiiiiii, .Lfunc_end381-_Z19_skinny_gemm_kernelILi4ELi6ELi3ELi32ELi4EEvPKhS1_P6__halfPKfiiiiiiii
                                        ; -- End function
	.set _Z19_skinny_gemm_kernelILi4ELi6ELi3ELi32ELi4EEvPKhS1_P6__halfPKfiiiiiiii.num_vgpr, 128
	.set _Z19_skinny_gemm_kernelILi4ELi6ELi3ELi32ELi4EEvPKhS1_P6__halfPKfiiiiiiii.num_agpr, 0
	.set _Z19_skinny_gemm_kernelILi4ELi6ELi3ELi32ELi4EEvPKhS1_P6__halfPKfiiiiiiii.numbered_sgpr, 100
	.set _Z19_skinny_gemm_kernelILi4ELi6ELi3ELi32ELi4EEvPKhS1_P6__halfPKfiiiiiiii.num_named_barrier, 0
	.set _Z19_skinny_gemm_kernelILi4ELi6ELi3ELi32ELi4EEvPKhS1_P6__halfPKfiiiiiiii.private_seg_size, 112
	.set _Z19_skinny_gemm_kernelILi4ELi6ELi3ELi32ELi4EEvPKhS1_P6__halfPKfiiiiiiii.uses_vcc, 1
	.set _Z19_skinny_gemm_kernelILi4ELi6ELi3ELi32ELi4EEvPKhS1_P6__halfPKfiiiiiiii.uses_flat_scratch, 0
	.set _Z19_skinny_gemm_kernelILi4ELi6ELi3ELi32ELi4EEvPKhS1_P6__halfPKfiiiiiiii.has_dyn_sized_stack, 0
	.set _Z19_skinny_gemm_kernelILi4ELi6ELi3ELi32ELi4EEvPKhS1_P6__halfPKfiiiiiiii.has_recursion, 0
	.set _Z19_skinny_gemm_kernelILi4ELi6ELi3ELi32ELi4EEvPKhS1_P6__halfPKfiiiiiiii.has_indirect_call, 0
	.section	.AMDGPU.csdata,"",@progbits
; Kernel info:
; codeLenInByte = 20732
; TotalNumSgprs: 106
; NumVgprs: 128
; NumAgprs: 0
; TotalNumVgprs: 128
; ScratchSize: 112
; MemoryBound: 0
; FloatMode: 240
; IeeeMode: 1
; LDSByteSize: 61560 bytes/workgroup (compile time only)
; SGPRBlocks: 13
; VGPRBlocks: 15
; NumSGPRsForWavesPerEU: 106
; NumVGPRsForWavesPerEU: 128
; AccumOffset: 128
; Occupancy: 4
; WaveLimiterHint : 0
; COMPUTE_PGM_RSRC2:SCRATCH_EN: 1
; COMPUTE_PGM_RSRC2:USER_SGPR: 2
; COMPUTE_PGM_RSRC2:TRAP_HANDLER: 0
; COMPUTE_PGM_RSRC2:TGID_X_EN: 1
; COMPUTE_PGM_RSRC2:TGID_Y_EN: 0
; COMPUTE_PGM_RSRC2:TGID_Z_EN: 0
; COMPUTE_PGM_RSRC2:TIDIG_COMP_CNT: 0
; COMPUTE_PGM_RSRC3_GFX90A:ACCUM_OFFSET: 31
; COMPUTE_PGM_RSRC3_GFX90A:TG_SPLIT: 0
	.section	.AMDGPU.gpr_maximums,"",@progbits
	.set amdgpu.max_num_vgpr, 0
	.set amdgpu.max_num_agpr, 0
	.set amdgpu.max_num_sgpr, 0
	.section	.AMDGPU.csdata,"",@progbits
	.type	__hip_cuid_37d285312a4f9b7d,@object ; @__hip_cuid_37d285312a4f9b7d
	.section	.bss,"aw",@nobits
	.globl	__hip_cuid_37d285312a4f9b7d
__hip_cuid_37d285312a4f9b7d:
	.byte	0                               ; 0x0
	.size	__hip_cuid_37d285312a4f9b7d, 1

	.ident	"AMD clang version 22.0.0git (https://github.com/RadeonOpenCompute/llvm-project roc-7.2.4 26084 f58b06dce1f9c15707c5f808fd002e18c2accf7e)"
	.section	".note.GNU-stack","",@progbits
	.addrsig
	.addrsig_sym __hip_cuid_37d285312a4f9b7d
	.amdgpu_metadata
---
amdhsa.kernels:
  - .agpr_count:     0
    .args:
      - .address_space:  global
        .offset:         0
        .size:           8
        .value_kind:     global_buffer
      - .address_space:  global
        .offset:         8
        .size:           8
        .value_kind:     global_buffer
      - .address_space:  global
        .offset:         16
        .size:           8
        .value_kind:     global_buffer
      - .address_space:  global
        .offset:         24
        .size:           8
        .value_kind:     global_buffer
      - .offset:         32
        .size:           4
        .value_kind:     by_value
      - .offset:         36
        .size:           4
        .value_kind:     by_value
      - .offset:         40
        .size:           4
        .value_kind:     by_value
      - .offset:         44
        .size:           4
        .value_kind:     by_value
      - .offset:         48
        .size:           4
        .value_kind:     by_value
      - .offset:         52
        .size:           4
        .value_kind:     by_value
      - .offset:         56
        .size:           4
        .value_kind:     by_value
      - .offset:         60
        .size:           4
        .value_kind:     by_value
    .group_segment_fixed_size: 6152
    .kernarg_segment_align: 8
    .kernarg_segment_size: 64
    .language:       OpenCL C
    .language_version:
      - 2
      - 0
    .max_flat_workgroup_size: 1024
    .name:           _Z19_skinny_gemm_kernelILi1ELi1ELi1ELi8ELi4EEvPKhS1_P6__halfPKfiiiiiiii
    .private_segment_fixed_size: 0
    .sgpr_count:     62
    .sgpr_spill_count: 0
    .symbol:         _Z19_skinny_gemm_kernelILi1ELi1ELi1ELi8ELi4EEvPKhS1_P6__halfPKfiiiiiiii.kd
    .uniform_work_group_size: 1
    .uses_dynamic_stack: false
    .vgpr_count:     50
    .vgpr_spill_count: 0
    .wavefront_size: 64
  - .agpr_count:     0
    .args:
      - .address_space:  global
        .offset:         0
        .size:           8
        .value_kind:     global_buffer
      - .actual_access:  read_only
        .address_space:  global
        .offset:         8
        .size:           8
        .value_kind:     global_buffer
      - .address_space:  global
        .offset:         16
        .size:           8
        .value_kind:     global_buffer
      - .address_space:  global
        .offset:         24
        .size:           8
        .value_kind:     global_buffer
      - .offset:         32
        .size:           4
        .value_kind:     by_value
      - .offset:         36
        .size:           4
        .value_kind:     by_value
      - .offset:         40
        .size:           4
        .value_kind:     by_value
      - .offset:         44
        .size:           4
        .value_kind:     by_value
      - .offset:         48
        .size:           4
        .value_kind:     by_value
      - .offset:         52
        .size:           4
        .value_kind:     by_value
      - .offset:         56
        .size:           4
        .value_kind:     by_value
      - .offset:         60
        .size:           4
        .value_kind:     by_value
    .group_segment_fixed_size: 12296
    .kernarg_segment_align: 8
    .kernarg_segment_size: 64
    .language:       OpenCL C
    .language_version:
      - 2
      - 0
    .max_flat_workgroup_size: 1024
    .name:           _Z19_skinny_gemm_kernelILi1ELi1ELi1ELi8ELi8EEvPKhS1_P6__halfPKfiiiiiiii
    .private_segment_fixed_size: 0
    .sgpr_count:     59
    .sgpr_spill_count: 0
    .symbol:         _Z19_skinny_gemm_kernelILi1ELi1ELi1ELi8ELi8EEvPKhS1_P6__halfPKfiiiiiiii.kd
    .uniform_work_group_size: 1
    .uses_dynamic_stack: false
    .vgpr_count:     52
    .vgpr_spill_count: 0
    .wavefront_size: 64
  - .agpr_count:     0
    .args:
      - .address_space:  global
        .offset:         0
        .size:           8
        .value_kind:     global_buffer
      - .address_space:  global
        .offset:         8
        .size:           8
        .value_kind:     global_buffer
      - .address_space:  global
        .offset:         16
        .size:           8
        .value_kind:     global_buffer
      - .address_space:  global
        .offset:         24
        .size:           8
        .value_kind:     global_buffer
      - .offset:         32
        .size:           4
        .value_kind:     by_value
      - .offset:         36
        .size:           4
        .value_kind:     by_value
      - .offset:         40
        .size:           4
        .value_kind:     by_value
      - .offset:         44
        .size:           4
        .value_kind:     by_value
      - .offset:         48
        .size:           4
        .value_kind:     by_value
      - .offset:         52
        .size:           4
        .value_kind:     by_value
      - .offset:         56
        .size:           4
        .value_kind:     by_value
      - .offset:         60
        .size:           4
        .value_kind:     by_value
    .group_segment_fixed_size: 4104
    .kernarg_segment_align: 8
    .kernarg_segment_size: 64
    .language:       OpenCL C
    .language_version:
      - 2
      - 0
    .max_flat_workgroup_size: 1024
    .name:           _Z19_skinny_gemm_kernelILi1ELi1ELi1ELi16ELi4EEvPKhS1_P6__halfPKfiiiiiiii
    .private_segment_fixed_size: 0
    .sgpr_count:     62
    .sgpr_spill_count: 0
    .symbol:         _Z19_skinny_gemm_kernelILi1ELi1ELi1ELi16ELi4EEvPKhS1_P6__halfPKfiiiiiiii.kd
    .uniform_work_group_size: 1
    .uses_dynamic_stack: false
    .vgpr_count:     41
    .vgpr_spill_count: 0
    .wavefront_size: 64
  - .agpr_count:     0
    .args:
      - .address_space:  global
        .offset:         0
        .size:           8
        .value_kind:     global_buffer
      - .address_space:  global
        .offset:         8
        .size:           8
        .value_kind:     global_buffer
      - .address_space:  global
        .offset:         16
        .size:           8
        .value_kind:     global_buffer
      - .address_space:  global
        .offset:         24
        .size:           8
        .value_kind:     global_buffer
      - .offset:         32
        .size:           4
        .value_kind:     by_value
      - .offset:         36
        .size:           4
        .value_kind:     by_value
      - .offset:         40
        .size:           4
        .value_kind:     by_value
      - .offset:         44
        .size:           4
        .value_kind:     by_value
      - .offset:         48
        .size:           4
        .value_kind:     by_value
      - .offset:         52
        .size:           4
        .value_kind:     by_value
      - .offset:         56
        .size:           4
        .value_kind:     by_value
      - .offset:         60
        .size:           4
        .value_kind:     by_value
    .group_segment_fixed_size: 8200
    .kernarg_segment_align: 8
    .kernarg_segment_size: 64
    .language:       OpenCL C
    .language_version:
      - 2
      - 0
    .max_flat_workgroup_size: 1024
    .name:           _Z19_skinny_gemm_kernelILi1ELi1ELi1ELi16ELi8EEvPKhS1_P6__halfPKfiiiiiiii
    .private_segment_fixed_size: 0
    .sgpr_count:     62
    .sgpr_spill_count: 0
    .symbol:         _Z19_skinny_gemm_kernelILi1ELi1ELi1ELi16ELi8EEvPKhS1_P6__halfPKfiiiiiiii.kd
    .uniform_work_group_size: 1
    .uses_dynamic_stack: false
    .vgpr_count:     50
    .vgpr_spill_count: 0
    .wavefront_size: 64
  - .agpr_count:     0
    .args:
      - .address_space:  global
        .offset:         0
        .size:           8
        .value_kind:     global_buffer
      - .address_space:  global
        .offset:         8
        .size:           8
        .value_kind:     global_buffer
      - .address_space:  global
        .offset:         16
        .size:           8
        .value_kind:     global_buffer
      - .address_space:  global
        .offset:         24
        .size:           8
        .value_kind:     global_buffer
      - .offset:         32
        .size:           4
        .value_kind:     by_value
      - .offset:         36
        .size:           4
        .value_kind:     by_value
      - .offset:         40
        .size:           4
        .value_kind:     by_value
      - .offset:         44
        .size:           4
        .value_kind:     by_value
      - .offset:         48
        .size:           4
        .value_kind:     by_value
      - .offset:         52
        .size:           4
        .value_kind:     by_value
      - .offset:         56
        .size:           4
        .value_kind:     by_value
      - .offset:         60
        .size:           4
        .value_kind:     by_value
    .group_segment_fixed_size: 4104
    .kernarg_segment_align: 8
    .kernarg_segment_size: 64
    .language:       OpenCL C
    .language_version:
      - 2
      - 0
    .max_flat_workgroup_size: 1024
    .name:           _Z19_skinny_gemm_kernelILi1ELi1ELi1ELi32ELi4EEvPKhS1_P6__halfPKfiiiiiiii
    .private_segment_fixed_size: 0
    .sgpr_count:     82
    .sgpr_spill_count: 0
    .symbol:         _Z19_skinny_gemm_kernelILi1ELi1ELi1ELi32ELi4EEvPKhS1_P6__halfPKfiiiiiiii.kd
    .uniform_work_group_size: 1
    .uses_dynamic_stack: false
    .vgpr_count:     80
    .vgpr_spill_count: 0
    .wavefront_size: 64
  - .agpr_count:     0
    .args:
      - .address_space:  global
        .offset:         0
        .size:           8
        .value_kind:     global_buffer
      - .address_space:  global
        .offset:         8
        .size:           8
        .value_kind:     global_buffer
      - .address_space:  global
        .offset:         16
        .size:           8
        .value_kind:     global_buffer
      - .address_space:  global
        .offset:         24
        .size:           8
        .value_kind:     global_buffer
      - .offset:         32
        .size:           4
        .value_kind:     by_value
      - .offset:         36
        .size:           4
        .value_kind:     by_value
      - .offset:         40
        .size:           4
        .value_kind:     by_value
      - .offset:         44
        .size:           4
        .value_kind:     by_value
      - .offset:         48
        .size:           4
        .value_kind:     by_value
      - .offset:         52
        .size:           4
        .value_kind:     by_value
      - .offset:         56
        .size:           4
        .value_kind:     by_value
      - .offset:         60
        .size:           4
        .value_kind:     by_value
    .group_segment_fixed_size: 8200
    .kernarg_segment_align: 8
    .kernarg_segment_size: 64
    .language:       OpenCL C
    .language_version:
      - 2
      - 0
    .max_flat_workgroup_size: 1024
    .name:           _Z19_skinny_gemm_kernelILi1ELi1ELi1ELi32ELi8EEvPKhS1_P6__halfPKfiiiiiiii
    .private_segment_fixed_size: 0
    .sgpr_count:     82
    .sgpr_spill_count: 0
    .symbol:         _Z19_skinny_gemm_kernelILi1ELi1ELi1ELi32ELi8EEvPKhS1_P6__halfPKfiiiiiiii.kd
    .uniform_work_group_size: 1
    .uses_dynamic_stack: false
    .vgpr_count:     88
    .vgpr_spill_count: 0
    .wavefront_size: 64
  - .agpr_count:     0
    .args:
      - .address_space:  global
        .offset:         0
        .size:           8
        .value_kind:     global_buffer
      - .address_space:  global
        .offset:         8
        .size:           8
        .value_kind:     global_buffer
      - .address_space:  global
        .offset:         16
        .size:           8
        .value_kind:     global_buffer
      - .address_space:  global
        .offset:         24
        .size:           8
        .value_kind:     global_buffer
      - .offset:         32
        .size:           4
        .value_kind:     by_value
      - .offset:         36
        .size:           4
        .value_kind:     by_value
      - .offset:         40
        .size:           4
        .value_kind:     by_value
      - .offset:         44
        .size:           4
        .value_kind:     by_value
      - .offset:         48
        .size:           4
        .value_kind:     by_value
      - .offset:         52
        .size:           4
        .value_kind:     by_value
      - .offset:         56
        .size:           4
        .value_kind:     by_value
      - .offset:         60
        .size:           4
        .value_kind:     by_value
    .group_segment_fixed_size: 12304
    .kernarg_segment_align: 8
    .kernarg_segment_size: 64
    .language:       OpenCL C
    .language_version:
      - 2
      - 0
    .max_flat_workgroup_size: 1024
    .name:           _Z19_skinny_gemm_kernelILi1ELi1ELi2ELi8ELi4EEvPKhS1_P6__halfPKfiiiiiiii
    .private_segment_fixed_size: 0
    .sgpr_count:     62
    .sgpr_spill_count: 0
    .symbol:         _Z19_skinny_gemm_kernelILi1ELi1ELi2ELi8ELi4EEvPKhS1_P6__halfPKfiiiiiiii.kd
    .uniform_work_group_size: 1
    .uses_dynamic_stack: false
    .vgpr_count:     50
    .vgpr_spill_count: 0
    .wavefront_size: 64
  - .agpr_count:     0
    .args:
      - .address_space:  global
        .offset:         0
        .size:           8
        .value_kind:     global_buffer
      - .actual_access:  read_only
        .address_space:  global
        .offset:         8
        .size:           8
        .value_kind:     global_buffer
      - .address_space:  global
        .offset:         16
        .size:           8
        .value_kind:     global_buffer
      - .address_space:  global
        .offset:         24
        .size:           8
        .value_kind:     global_buffer
      - .offset:         32
        .size:           4
        .value_kind:     by_value
      - .offset:         36
        .size:           4
        .value_kind:     by_value
      - .offset:         40
        .size:           4
        .value_kind:     by_value
      - .offset:         44
        .size:           4
        .value_kind:     by_value
      - .offset:         48
        .size:           4
        .value_kind:     by_value
      - .offset:         52
        .size:           4
        .value_kind:     by_value
      - .offset:         56
        .size:           4
        .value_kind:     by_value
      - .offset:         60
        .size:           4
        .value_kind:     by_value
    .group_segment_fixed_size: 24592
    .kernarg_segment_align: 8
    .kernarg_segment_size: 64
    .language:       OpenCL C
    .language_version:
      - 2
      - 0
    .max_flat_workgroup_size: 1024
    .name:           _Z19_skinny_gemm_kernelILi1ELi1ELi2ELi8ELi8EEvPKhS1_P6__halfPKfiiiiiiii
    .private_segment_fixed_size: 0
    .sgpr_count:     59
    .sgpr_spill_count: 0
    .symbol:         _Z19_skinny_gemm_kernelILi1ELi1ELi2ELi8ELi8EEvPKhS1_P6__halfPKfiiiiiiii.kd
    .uniform_work_group_size: 1
    .uses_dynamic_stack: false
    .vgpr_count:     52
    .vgpr_spill_count: 0
    .wavefront_size: 64
  - .agpr_count:     0
    .args:
      - .address_space:  global
        .offset:         0
        .size:           8
        .value_kind:     global_buffer
      - .address_space:  global
        .offset:         8
        .size:           8
        .value_kind:     global_buffer
      - .address_space:  global
        .offset:         16
        .size:           8
        .value_kind:     global_buffer
      - .address_space:  global
        .offset:         24
        .size:           8
        .value_kind:     global_buffer
      - .offset:         32
        .size:           4
        .value_kind:     by_value
      - .offset:         36
        .size:           4
        .value_kind:     by_value
      - .offset:         40
        .size:           4
        .value_kind:     by_value
      - .offset:         44
        .size:           4
        .value_kind:     by_value
      - .offset:         48
        .size:           4
        .value_kind:     by_value
      - .offset:         52
        .size:           4
        .value_kind:     by_value
      - .offset:         56
        .size:           4
        .value_kind:     by_value
      - .offset:         60
        .size:           4
        .value_kind:     by_value
    .group_segment_fixed_size: 8208
    .kernarg_segment_align: 8
    .kernarg_segment_size: 64
    .language:       OpenCL C
    .language_version:
      - 2
      - 0
    .max_flat_workgroup_size: 1024
    .name:           _Z19_skinny_gemm_kernelILi1ELi1ELi2ELi16ELi4EEvPKhS1_P6__halfPKfiiiiiiii
    .private_segment_fixed_size: 0
    .sgpr_count:     62
    .sgpr_spill_count: 0
    .symbol:         _Z19_skinny_gemm_kernelILi1ELi1ELi2ELi16ELi4EEvPKhS1_P6__halfPKfiiiiiiii.kd
    .uniform_work_group_size: 1
    .uses_dynamic_stack: false
    .vgpr_count:     41
    .vgpr_spill_count: 0
    .wavefront_size: 64
  - .agpr_count:     0
    .args:
      - .address_space:  global
        .offset:         0
        .size:           8
        .value_kind:     global_buffer
      - .address_space:  global
        .offset:         8
        .size:           8
        .value_kind:     global_buffer
      - .address_space:  global
        .offset:         16
        .size:           8
        .value_kind:     global_buffer
      - .address_space:  global
        .offset:         24
        .size:           8
        .value_kind:     global_buffer
      - .offset:         32
        .size:           4
        .value_kind:     by_value
      - .offset:         36
        .size:           4
        .value_kind:     by_value
      - .offset:         40
        .size:           4
        .value_kind:     by_value
      - .offset:         44
        .size:           4
        .value_kind:     by_value
      - .offset:         48
        .size:           4
        .value_kind:     by_value
      - .offset:         52
        .size:           4
        .value_kind:     by_value
      - .offset:         56
        .size:           4
        .value_kind:     by_value
      - .offset:         60
        .size:           4
        .value_kind:     by_value
    .group_segment_fixed_size: 16400
    .kernarg_segment_align: 8
    .kernarg_segment_size: 64
    .language:       OpenCL C
    .language_version:
      - 2
      - 0
    .max_flat_workgroup_size: 1024
    .name:           _Z19_skinny_gemm_kernelILi1ELi1ELi2ELi16ELi8EEvPKhS1_P6__halfPKfiiiiiiii
    .private_segment_fixed_size: 0
    .sgpr_count:     62
    .sgpr_spill_count: 0
    .symbol:         _Z19_skinny_gemm_kernelILi1ELi1ELi2ELi16ELi8EEvPKhS1_P6__halfPKfiiiiiiii.kd
    .uniform_work_group_size: 1
    .uses_dynamic_stack: false
    .vgpr_count:     50
    .vgpr_spill_count: 0
    .wavefront_size: 64
  - .agpr_count:     0
    .args:
      - .address_space:  global
        .offset:         0
        .size:           8
        .value_kind:     global_buffer
      - .address_space:  global
        .offset:         8
        .size:           8
        .value_kind:     global_buffer
      - .address_space:  global
        .offset:         16
        .size:           8
        .value_kind:     global_buffer
      - .address_space:  global
        .offset:         24
        .size:           8
        .value_kind:     global_buffer
      - .offset:         32
        .size:           4
        .value_kind:     by_value
      - .offset:         36
        .size:           4
        .value_kind:     by_value
      - .offset:         40
        .size:           4
        .value_kind:     by_value
      - .offset:         44
        .size:           4
        .value_kind:     by_value
      - .offset:         48
        .size:           4
        .value_kind:     by_value
      - .offset:         52
        .size:           4
        .value_kind:     by_value
      - .offset:         56
        .size:           4
        .value_kind:     by_value
      - .offset:         60
        .size:           4
        .value_kind:     by_value
    .group_segment_fixed_size: 8208
    .kernarg_segment_align: 8
    .kernarg_segment_size: 64
    .language:       OpenCL C
    .language_version:
      - 2
      - 0
    .max_flat_workgroup_size: 1024
    .name:           _Z19_skinny_gemm_kernelILi1ELi1ELi2ELi32ELi4EEvPKhS1_P6__halfPKfiiiiiiii
    .private_segment_fixed_size: 0
    .sgpr_count:     82
    .sgpr_spill_count: 0
    .symbol:         _Z19_skinny_gemm_kernelILi1ELi1ELi2ELi32ELi4EEvPKhS1_P6__halfPKfiiiiiiii.kd
    .uniform_work_group_size: 1
    .uses_dynamic_stack: false
    .vgpr_count:     80
    .vgpr_spill_count: 0
    .wavefront_size: 64
  - .agpr_count:     0
    .args:
      - .address_space:  global
        .offset:         0
        .size:           8
        .value_kind:     global_buffer
      - .address_space:  global
        .offset:         8
        .size:           8
        .value_kind:     global_buffer
      - .address_space:  global
        .offset:         16
        .size:           8
        .value_kind:     global_buffer
      - .address_space:  global
        .offset:         24
        .size:           8
        .value_kind:     global_buffer
      - .offset:         32
        .size:           4
        .value_kind:     by_value
      - .offset:         36
        .size:           4
        .value_kind:     by_value
      - .offset:         40
        .size:           4
        .value_kind:     by_value
      - .offset:         44
        .size:           4
        .value_kind:     by_value
      - .offset:         48
        .size:           4
        .value_kind:     by_value
      - .offset:         52
        .size:           4
        .value_kind:     by_value
      - .offset:         56
        .size:           4
        .value_kind:     by_value
      - .offset:         60
        .size:           4
        .value_kind:     by_value
    .group_segment_fixed_size: 16400
    .kernarg_segment_align: 8
    .kernarg_segment_size: 64
    .language:       OpenCL C
    .language_version:
      - 2
      - 0
    .max_flat_workgroup_size: 1024
    .name:           _Z19_skinny_gemm_kernelILi1ELi1ELi2ELi32ELi8EEvPKhS1_P6__halfPKfiiiiiiii
    .private_segment_fixed_size: 0
    .sgpr_count:     82
    .sgpr_spill_count: 0
    .symbol:         _Z19_skinny_gemm_kernelILi1ELi1ELi2ELi32ELi8EEvPKhS1_P6__halfPKfiiiiiiii.kd
    .uniform_work_group_size: 1
    .uses_dynamic_stack: false
    .vgpr_count:     88
    .vgpr_spill_count: 0
    .wavefront_size: 64
  - .agpr_count:     0
    .args:
      - .address_space:  global
        .offset:         0
        .size:           8
        .value_kind:     global_buffer
      - .address_space:  global
        .offset:         8
        .size:           8
        .value_kind:     global_buffer
      - .address_space:  global
        .offset:         16
        .size:           8
        .value_kind:     global_buffer
      - .address_space:  global
        .offset:         24
        .size:           8
        .value_kind:     global_buffer
      - .offset:         32
        .size:           4
        .value_kind:     by_value
      - .offset:         36
        .size:           4
        .value_kind:     by_value
      - .offset:         40
        .size:           4
        .value_kind:     by_value
      - .offset:         44
        .size:           4
        .value_kind:     by_value
      - .offset:         48
        .size:           4
        .value_kind:     by_value
      - .offset:         52
        .size:           4
        .value_kind:     by_value
      - .offset:         56
        .size:           4
        .value_kind:     by_value
      - .offset:         60
        .size:           4
        .value_kind:     by_value
    .group_segment_fixed_size: 18456
    .kernarg_segment_align: 8
    .kernarg_segment_size: 64
    .language:       OpenCL C
    .language_version:
      - 2
      - 0
    .max_flat_workgroup_size: 1024
    .name:           _Z19_skinny_gemm_kernelILi1ELi1ELi3ELi8ELi4EEvPKhS1_P6__halfPKfiiiiiiii
    .private_segment_fixed_size: 0
    .sgpr_count:     62
    .sgpr_spill_count: 0
    .symbol:         _Z19_skinny_gemm_kernelILi1ELi1ELi3ELi8ELi4EEvPKhS1_P6__halfPKfiiiiiiii.kd
    .uniform_work_group_size: 1
    .uses_dynamic_stack: false
    .vgpr_count:     50
    .vgpr_spill_count: 0
    .wavefront_size: 64
  - .agpr_count:     0
    .args:
      - .address_space:  global
        .offset:         0
        .size:           8
        .value_kind:     global_buffer
      - .actual_access:  read_only
        .address_space:  global
        .offset:         8
        .size:           8
        .value_kind:     global_buffer
      - .address_space:  global
        .offset:         16
        .size:           8
        .value_kind:     global_buffer
      - .address_space:  global
        .offset:         24
        .size:           8
        .value_kind:     global_buffer
      - .offset:         32
        .size:           4
        .value_kind:     by_value
      - .offset:         36
        .size:           4
        .value_kind:     by_value
      - .offset:         40
        .size:           4
        .value_kind:     by_value
      - .offset:         44
        .size:           4
        .value_kind:     by_value
      - .offset:         48
        .size:           4
        .value_kind:     by_value
      - .offset:         52
        .size:           4
        .value_kind:     by_value
      - .offset:         56
        .size:           4
        .value_kind:     by_value
      - .offset:         60
        .size:           4
        .value_kind:     by_value
    .group_segment_fixed_size: 36888
    .kernarg_segment_align: 8
    .kernarg_segment_size: 64
    .language:       OpenCL C
    .language_version:
      - 2
      - 0
    .max_flat_workgroup_size: 1024
    .name:           _Z19_skinny_gemm_kernelILi1ELi1ELi3ELi8ELi8EEvPKhS1_P6__halfPKfiiiiiiii
    .private_segment_fixed_size: 0
    .sgpr_count:     59
    .sgpr_spill_count: 0
    .symbol:         _Z19_skinny_gemm_kernelILi1ELi1ELi3ELi8ELi8EEvPKhS1_P6__halfPKfiiiiiiii.kd
    .uniform_work_group_size: 1
    .uses_dynamic_stack: false
    .vgpr_count:     52
    .vgpr_spill_count: 0
    .wavefront_size: 64
  - .agpr_count:     0
    .args:
      - .address_space:  global
        .offset:         0
        .size:           8
        .value_kind:     global_buffer
      - .address_space:  global
        .offset:         8
        .size:           8
        .value_kind:     global_buffer
      - .address_space:  global
        .offset:         16
        .size:           8
        .value_kind:     global_buffer
      - .address_space:  global
        .offset:         24
        .size:           8
        .value_kind:     global_buffer
      - .offset:         32
        .size:           4
        .value_kind:     by_value
      - .offset:         36
        .size:           4
        .value_kind:     by_value
      - .offset:         40
        .size:           4
        .value_kind:     by_value
      - .offset:         44
        .size:           4
        .value_kind:     by_value
      - .offset:         48
        .size:           4
        .value_kind:     by_value
      - .offset:         52
        .size:           4
        .value_kind:     by_value
      - .offset:         56
        .size:           4
        .value_kind:     by_value
      - .offset:         60
        .size:           4
        .value_kind:     by_value
    .group_segment_fixed_size: 12312
    .kernarg_segment_align: 8
    .kernarg_segment_size: 64
    .language:       OpenCL C
    .language_version:
      - 2
      - 0
    .max_flat_workgroup_size: 1024
    .name:           _Z19_skinny_gemm_kernelILi1ELi1ELi3ELi16ELi4EEvPKhS1_P6__halfPKfiiiiiiii
    .private_segment_fixed_size: 0
    .sgpr_count:     62
    .sgpr_spill_count: 0
    .symbol:         _Z19_skinny_gemm_kernelILi1ELi1ELi3ELi16ELi4EEvPKhS1_P6__halfPKfiiiiiiii.kd
    .uniform_work_group_size: 1
    .uses_dynamic_stack: false
    .vgpr_count:     41
    .vgpr_spill_count: 0
    .wavefront_size: 64
  - .agpr_count:     0
    .args:
      - .address_space:  global
        .offset:         0
        .size:           8
        .value_kind:     global_buffer
      - .address_space:  global
        .offset:         8
        .size:           8
        .value_kind:     global_buffer
      - .address_space:  global
        .offset:         16
        .size:           8
        .value_kind:     global_buffer
      - .address_space:  global
        .offset:         24
        .size:           8
        .value_kind:     global_buffer
      - .offset:         32
        .size:           4
        .value_kind:     by_value
      - .offset:         36
        .size:           4
        .value_kind:     by_value
      - .offset:         40
        .size:           4
        .value_kind:     by_value
      - .offset:         44
        .size:           4
        .value_kind:     by_value
      - .offset:         48
        .size:           4
        .value_kind:     by_value
      - .offset:         52
        .size:           4
        .value_kind:     by_value
      - .offset:         56
        .size:           4
        .value_kind:     by_value
      - .offset:         60
        .size:           4
        .value_kind:     by_value
    .group_segment_fixed_size: 24600
    .kernarg_segment_align: 8
    .kernarg_segment_size: 64
    .language:       OpenCL C
    .language_version:
      - 2
      - 0
    .max_flat_workgroup_size: 1024
    .name:           _Z19_skinny_gemm_kernelILi1ELi1ELi3ELi16ELi8EEvPKhS1_P6__halfPKfiiiiiiii
    .private_segment_fixed_size: 0
    .sgpr_count:     62
    .sgpr_spill_count: 0
    .symbol:         _Z19_skinny_gemm_kernelILi1ELi1ELi3ELi16ELi8EEvPKhS1_P6__halfPKfiiiiiiii.kd
    .uniform_work_group_size: 1
    .uses_dynamic_stack: false
    .vgpr_count:     50
    .vgpr_spill_count: 0
    .wavefront_size: 64
  - .agpr_count:     0
    .args:
      - .address_space:  global
        .offset:         0
        .size:           8
        .value_kind:     global_buffer
      - .address_space:  global
        .offset:         8
        .size:           8
        .value_kind:     global_buffer
      - .address_space:  global
        .offset:         16
        .size:           8
        .value_kind:     global_buffer
      - .address_space:  global
        .offset:         24
        .size:           8
        .value_kind:     global_buffer
      - .offset:         32
        .size:           4
        .value_kind:     by_value
      - .offset:         36
        .size:           4
        .value_kind:     by_value
      - .offset:         40
        .size:           4
        .value_kind:     by_value
      - .offset:         44
        .size:           4
        .value_kind:     by_value
      - .offset:         48
        .size:           4
        .value_kind:     by_value
      - .offset:         52
        .size:           4
        .value_kind:     by_value
      - .offset:         56
        .size:           4
        .value_kind:     by_value
      - .offset:         60
        .size:           4
        .value_kind:     by_value
    .group_segment_fixed_size: 12312
    .kernarg_segment_align: 8
    .kernarg_segment_size: 64
    .language:       OpenCL C
    .language_version:
      - 2
      - 0
    .max_flat_workgroup_size: 1024
    .name:           _Z19_skinny_gemm_kernelILi1ELi1ELi3ELi32ELi4EEvPKhS1_P6__halfPKfiiiiiiii
    .private_segment_fixed_size: 0
    .sgpr_count:     82
    .sgpr_spill_count: 0
    .symbol:         _Z19_skinny_gemm_kernelILi1ELi1ELi3ELi32ELi4EEvPKhS1_P6__halfPKfiiiiiiii.kd
    .uniform_work_group_size: 1
    .uses_dynamic_stack: false
    .vgpr_count:     80
    .vgpr_spill_count: 0
    .wavefront_size: 64
  - .agpr_count:     0
    .args:
      - .address_space:  global
        .offset:         0
        .size:           8
        .value_kind:     global_buffer
      - .address_space:  global
        .offset:         8
        .size:           8
        .value_kind:     global_buffer
      - .address_space:  global
        .offset:         16
        .size:           8
        .value_kind:     global_buffer
      - .address_space:  global
        .offset:         24
        .size:           8
        .value_kind:     global_buffer
      - .offset:         32
        .size:           4
        .value_kind:     by_value
      - .offset:         36
        .size:           4
        .value_kind:     by_value
      - .offset:         40
        .size:           4
        .value_kind:     by_value
      - .offset:         44
        .size:           4
        .value_kind:     by_value
      - .offset:         48
        .size:           4
        .value_kind:     by_value
      - .offset:         52
        .size:           4
        .value_kind:     by_value
      - .offset:         56
        .size:           4
        .value_kind:     by_value
      - .offset:         60
        .size:           4
        .value_kind:     by_value
    .group_segment_fixed_size: 24600
    .kernarg_segment_align: 8
    .kernarg_segment_size: 64
    .language:       OpenCL C
    .language_version:
      - 2
      - 0
    .max_flat_workgroup_size: 1024
    .name:           _Z19_skinny_gemm_kernelILi1ELi1ELi3ELi32ELi8EEvPKhS1_P6__halfPKfiiiiiiii
    .private_segment_fixed_size: 0
    .sgpr_count:     82
    .sgpr_spill_count: 0
    .symbol:         _Z19_skinny_gemm_kernelILi1ELi1ELi3ELi32ELi8EEvPKhS1_P6__halfPKfiiiiiiii.kd
    .uniform_work_group_size: 1
    .uses_dynamic_stack: false
    .vgpr_count:     88
    .vgpr_spill_count: 0
    .wavefront_size: 64
  - .agpr_count:     0
    .args:
      - .address_space:  global
        .offset:         0
        .size:           8
        .value_kind:     global_buffer
      - .address_space:  global
        .offset:         8
        .size:           8
        .value_kind:     global_buffer
      - .address_space:  global
        .offset:         16
        .size:           8
        .value_kind:     global_buffer
      - .address_space:  global
        .offset:         24
        .size:           8
        .value_kind:     global_buffer
      - .offset:         32
        .size:           4
        .value_kind:     by_value
      - .offset:         36
        .size:           4
        .value_kind:     by_value
      - .offset:         40
        .size:           4
        .value_kind:     by_value
      - .offset:         44
        .size:           4
        .value_kind:     by_value
      - .offset:         48
        .size:           4
        .value_kind:     by_value
      - .offset:         52
        .size:           4
        .value_kind:     by_value
      - .offset:         56
        .size:           4
        .value_kind:     by_value
      - .offset:         60
        .size:           4
        .value_kind:     by_value
    .group_segment_fixed_size: 24608
    .kernarg_segment_align: 8
    .kernarg_segment_size: 64
    .language:       OpenCL C
    .language_version:
      - 2
      - 0
    .max_flat_workgroup_size: 1024
    .name:           _Z19_skinny_gemm_kernelILi1ELi1ELi4ELi8ELi4EEvPKhS1_P6__halfPKfiiiiiiii
    .private_segment_fixed_size: 0
    .sgpr_count:     62
    .sgpr_spill_count: 0
    .symbol:         _Z19_skinny_gemm_kernelILi1ELi1ELi4ELi8ELi4EEvPKhS1_P6__halfPKfiiiiiiii.kd
    .uniform_work_group_size: 1
    .uses_dynamic_stack: false
    .vgpr_count:     50
    .vgpr_spill_count: 0
    .wavefront_size: 64
  - .agpr_count:     0
    .args:
      - .address_space:  global
        .offset:         0
        .size:           8
        .value_kind:     global_buffer
      - .actual_access:  read_only
        .address_space:  global
        .offset:         8
        .size:           8
        .value_kind:     global_buffer
      - .address_space:  global
        .offset:         16
        .size:           8
        .value_kind:     global_buffer
      - .address_space:  global
        .offset:         24
        .size:           8
        .value_kind:     global_buffer
      - .offset:         32
        .size:           4
        .value_kind:     by_value
      - .offset:         36
        .size:           4
        .value_kind:     by_value
      - .offset:         40
        .size:           4
        .value_kind:     by_value
      - .offset:         44
        .size:           4
        .value_kind:     by_value
      - .offset:         48
        .size:           4
        .value_kind:     by_value
      - .offset:         52
        .size:           4
        .value_kind:     by_value
      - .offset:         56
        .size:           4
        .value_kind:     by_value
      - .offset:         60
        .size:           4
        .value_kind:     by_value
    .group_segment_fixed_size: 49184
    .kernarg_segment_align: 8
    .kernarg_segment_size: 64
    .language:       OpenCL C
    .language_version:
      - 2
      - 0
    .max_flat_workgroup_size: 1024
    .name:           _Z19_skinny_gemm_kernelILi1ELi1ELi4ELi8ELi8EEvPKhS1_P6__halfPKfiiiiiiii
    .private_segment_fixed_size: 0
    .sgpr_count:     59
    .sgpr_spill_count: 0
    .symbol:         _Z19_skinny_gemm_kernelILi1ELi1ELi4ELi8ELi8EEvPKhS1_P6__halfPKfiiiiiiii.kd
    .uniform_work_group_size: 1
    .uses_dynamic_stack: false
    .vgpr_count:     52
    .vgpr_spill_count: 0
    .wavefront_size: 64
  - .agpr_count:     0
    .args:
      - .address_space:  global
        .offset:         0
        .size:           8
        .value_kind:     global_buffer
      - .address_space:  global
        .offset:         8
        .size:           8
        .value_kind:     global_buffer
      - .address_space:  global
        .offset:         16
        .size:           8
        .value_kind:     global_buffer
      - .address_space:  global
        .offset:         24
        .size:           8
        .value_kind:     global_buffer
      - .offset:         32
        .size:           4
        .value_kind:     by_value
      - .offset:         36
        .size:           4
        .value_kind:     by_value
      - .offset:         40
        .size:           4
        .value_kind:     by_value
      - .offset:         44
        .size:           4
        .value_kind:     by_value
      - .offset:         48
        .size:           4
        .value_kind:     by_value
      - .offset:         52
        .size:           4
        .value_kind:     by_value
      - .offset:         56
        .size:           4
        .value_kind:     by_value
      - .offset:         60
        .size:           4
        .value_kind:     by_value
    .group_segment_fixed_size: 16416
    .kernarg_segment_align: 8
    .kernarg_segment_size: 64
    .language:       OpenCL C
    .language_version:
      - 2
      - 0
    .max_flat_workgroup_size: 1024
    .name:           _Z19_skinny_gemm_kernelILi1ELi1ELi4ELi16ELi4EEvPKhS1_P6__halfPKfiiiiiiii
    .private_segment_fixed_size: 0
    .sgpr_count:     62
    .sgpr_spill_count: 0
    .symbol:         _Z19_skinny_gemm_kernelILi1ELi1ELi4ELi16ELi4EEvPKhS1_P6__halfPKfiiiiiiii.kd
    .uniform_work_group_size: 1
    .uses_dynamic_stack: false
    .vgpr_count:     41
    .vgpr_spill_count: 0
    .wavefront_size: 64
  - .agpr_count:     0
    .args:
      - .address_space:  global
        .offset:         0
        .size:           8
        .value_kind:     global_buffer
      - .address_space:  global
        .offset:         8
        .size:           8
        .value_kind:     global_buffer
      - .address_space:  global
        .offset:         16
        .size:           8
        .value_kind:     global_buffer
      - .address_space:  global
        .offset:         24
        .size:           8
        .value_kind:     global_buffer
      - .offset:         32
        .size:           4
        .value_kind:     by_value
      - .offset:         36
        .size:           4
        .value_kind:     by_value
      - .offset:         40
        .size:           4
        .value_kind:     by_value
      - .offset:         44
        .size:           4
        .value_kind:     by_value
      - .offset:         48
        .size:           4
        .value_kind:     by_value
      - .offset:         52
        .size:           4
        .value_kind:     by_value
      - .offset:         56
        .size:           4
        .value_kind:     by_value
      - .offset:         60
        .size:           4
        .value_kind:     by_value
    .group_segment_fixed_size: 32800
    .kernarg_segment_align: 8
    .kernarg_segment_size: 64
    .language:       OpenCL C
    .language_version:
      - 2
      - 0
    .max_flat_workgroup_size: 1024
    .name:           _Z19_skinny_gemm_kernelILi1ELi1ELi4ELi16ELi8EEvPKhS1_P6__halfPKfiiiiiiii
    .private_segment_fixed_size: 0
    .sgpr_count:     62
    .sgpr_spill_count: 0
    .symbol:         _Z19_skinny_gemm_kernelILi1ELi1ELi4ELi16ELi8EEvPKhS1_P6__halfPKfiiiiiiii.kd
    .uniform_work_group_size: 1
    .uses_dynamic_stack: false
    .vgpr_count:     50
    .vgpr_spill_count: 0
    .wavefront_size: 64
  - .agpr_count:     0
    .args:
      - .address_space:  global
        .offset:         0
        .size:           8
        .value_kind:     global_buffer
      - .address_space:  global
        .offset:         8
        .size:           8
        .value_kind:     global_buffer
      - .address_space:  global
        .offset:         16
        .size:           8
        .value_kind:     global_buffer
      - .address_space:  global
        .offset:         24
        .size:           8
        .value_kind:     global_buffer
      - .offset:         32
        .size:           4
        .value_kind:     by_value
      - .offset:         36
        .size:           4
        .value_kind:     by_value
      - .offset:         40
        .size:           4
        .value_kind:     by_value
      - .offset:         44
        .size:           4
        .value_kind:     by_value
      - .offset:         48
        .size:           4
        .value_kind:     by_value
      - .offset:         52
        .size:           4
        .value_kind:     by_value
      - .offset:         56
        .size:           4
        .value_kind:     by_value
      - .offset:         60
        .size:           4
        .value_kind:     by_value
    .group_segment_fixed_size: 16416
    .kernarg_segment_align: 8
    .kernarg_segment_size: 64
    .language:       OpenCL C
    .language_version:
      - 2
      - 0
    .max_flat_workgroup_size: 1024
    .name:           _Z19_skinny_gemm_kernelILi1ELi1ELi4ELi32ELi4EEvPKhS1_P6__halfPKfiiiiiiii
    .private_segment_fixed_size: 0
    .sgpr_count:     82
    .sgpr_spill_count: 0
    .symbol:         _Z19_skinny_gemm_kernelILi1ELi1ELi4ELi32ELi4EEvPKhS1_P6__halfPKfiiiiiiii.kd
    .uniform_work_group_size: 1
    .uses_dynamic_stack: false
    .vgpr_count:     80
    .vgpr_spill_count: 0
    .wavefront_size: 64
  - .agpr_count:     0
    .args:
      - .address_space:  global
        .offset:         0
        .size:           8
        .value_kind:     global_buffer
      - .address_space:  global
        .offset:         8
        .size:           8
        .value_kind:     global_buffer
      - .address_space:  global
        .offset:         16
        .size:           8
        .value_kind:     global_buffer
      - .address_space:  global
        .offset:         24
        .size:           8
        .value_kind:     global_buffer
      - .offset:         32
        .size:           4
        .value_kind:     by_value
      - .offset:         36
        .size:           4
        .value_kind:     by_value
      - .offset:         40
        .size:           4
        .value_kind:     by_value
      - .offset:         44
        .size:           4
        .value_kind:     by_value
      - .offset:         48
        .size:           4
        .value_kind:     by_value
      - .offset:         52
        .size:           4
        .value_kind:     by_value
      - .offset:         56
        .size:           4
        .value_kind:     by_value
      - .offset:         60
        .size:           4
        .value_kind:     by_value
    .group_segment_fixed_size: 32800
    .kernarg_segment_align: 8
    .kernarg_segment_size: 64
    .language:       OpenCL C
    .language_version:
      - 2
      - 0
    .max_flat_workgroup_size: 1024
    .name:           _Z19_skinny_gemm_kernelILi1ELi1ELi4ELi32ELi8EEvPKhS1_P6__halfPKfiiiiiiii
    .private_segment_fixed_size: 0
    .sgpr_count:     82
    .sgpr_spill_count: 0
    .symbol:         _Z19_skinny_gemm_kernelILi1ELi1ELi4ELi32ELi8EEvPKhS1_P6__halfPKfiiiiiiii.kd
    .uniform_work_group_size: 1
    .uses_dynamic_stack: false
    .vgpr_count:     88
    .vgpr_spill_count: 0
    .wavefront_size: 64
  - .agpr_count:     0
    .args:
      - .address_space:  global
        .offset:         0
        .size:           8
        .value_kind:     global_buffer
      - .address_space:  global
        .offset:         8
        .size:           8
        .value_kind:     global_buffer
      - .address_space:  global
        .offset:         16
        .size:           8
        .value_kind:     global_buffer
      - .address_space:  global
        .offset:         24
        .size:           8
        .value_kind:     global_buffer
      - .offset:         32
        .size:           4
        .value_kind:     by_value
      - .offset:         36
        .size:           4
        .value_kind:     by_value
      - .offset:         40
        .size:           4
        .value_kind:     by_value
      - .offset:         44
        .size:           4
        .value_kind:     by_value
      - .offset:         48
        .size:           4
        .value_kind:     by_value
      - .offset:         52
        .size:           4
        .value_kind:     by_value
      - .offset:         56
        .size:           4
        .value_kind:     by_value
      - .offset:         60
        .size:           4
        .value_kind:     by_value
    .group_segment_fixed_size: 30760
    .kernarg_segment_align: 8
    .kernarg_segment_size: 64
    .language:       OpenCL C
    .language_version:
      - 2
      - 0
    .max_flat_workgroup_size: 1024
    .name:           _Z19_skinny_gemm_kernelILi1ELi1ELi5ELi8ELi4EEvPKhS1_P6__halfPKfiiiiiiii
    .private_segment_fixed_size: 0
    .sgpr_count:     62
    .sgpr_spill_count: 0
    .symbol:         _Z19_skinny_gemm_kernelILi1ELi1ELi5ELi8ELi4EEvPKhS1_P6__halfPKfiiiiiiii.kd
    .uniform_work_group_size: 1
    .uses_dynamic_stack: false
    .vgpr_count:     50
    .vgpr_spill_count: 0
    .wavefront_size: 64
  - .agpr_count:     0
    .args:
      - .address_space:  global
        .offset:         0
        .size:           8
        .value_kind:     global_buffer
      - .actual_access:  read_only
        .address_space:  global
        .offset:         8
        .size:           8
        .value_kind:     global_buffer
      - .address_space:  global
        .offset:         16
        .size:           8
        .value_kind:     global_buffer
      - .address_space:  global
        .offset:         24
        .size:           8
        .value_kind:     global_buffer
      - .offset:         32
        .size:           4
        .value_kind:     by_value
      - .offset:         36
        .size:           4
        .value_kind:     by_value
      - .offset:         40
        .size:           4
        .value_kind:     by_value
      - .offset:         44
        .size:           4
        .value_kind:     by_value
      - .offset:         48
        .size:           4
        .value_kind:     by_value
      - .offset:         52
        .size:           4
        .value_kind:     by_value
      - .offset:         56
        .size:           4
        .value_kind:     by_value
      - .offset:         60
        .size:           4
        .value_kind:     by_value
    .group_segment_fixed_size: 61480
    .kernarg_segment_align: 8
    .kernarg_segment_size: 64
    .language:       OpenCL C
    .language_version:
      - 2
      - 0
    .max_flat_workgroup_size: 1024
    .name:           _Z19_skinny_gemm_kernelILi1ELi1ELi5ELi8ELi8EEvPKhS1_P6__halfPKfiiiiiiii
    .private_segment_fixed_size: 0
    .sgpr_count:     59
    .sgpr_spill_count: 0
    .symbol:         _Z19_skinny_gemm_kernelILi1ELi1ELi5ELi8ELi8EEvPKhS1_P6__halfPKfiiiiiiii.kd
    .uniform_work_group_size: 1
    .uses_dynamic_stack: false
    .vgpr_count:     52
    .vgpr_spill_count: 0
    .wavefront_size: 64
  - .agpr_count:     0
    .args:
      - .address_space:  global
        .offset:         0
        .size:           8
        .value_kind:     global_buffer
      - .address_space:  global
        .offset:         8
        .size:           8
        .value_kind:     global_buffer
      - .address_space:  global
        .offset:         16
        .size:           8
        .value_kind:     global_buffer
      - .address_space:  global
        .offset:         24
        .size:           8
        .value_kind:     global_buffer
      - .offset:         32
        .size:           4
        .value_kind:     by_value
      - .offset:         36
        .size:           4
        .value_kind:     by_value
      - .offset:         40
        .size:           4
        .value_kind:     by_value
      - .offset:         44
        .size:           4
        .value_kind:     by_value
      - .offset:         48
        .size:           4
        .value_kind:     by_value
      - .offset:         52
        .size:           4
        .value_kind:     by_value
      - .offset:         56
        .size:           4
        .value_kind:     by_value
      - .offset:         60
        .size:           4
        .value_kind:     by_value
    .group_segment_fixed_size: 20520
    .kernarg_segment_align: 8
    .kernarg_segment_size: 64
    .language:       OpenCL C
    .language_version:
      - 2
      - 0
    .max_flat_workgroup_size: 1024
    .name:           _Z19_skinny_gemm_kernelILi1ELi1ELi5ELi16ELi4EEvPKhS1_P6__halfPKfiiiiiiii
    .private_segment_fixed_size: 0
    .sgpr_count:     62
    .sgpr_spill_count: 0
    .symbol:         _Z19_skinny_gemm_kernelILi1ELi1ELi5ELi16ELi4EEvPKhS1_P6__halfPKfiiiiiiii.kd
    .uniform_work_group_size: 1
    .uses_dynamic_stack: false
    .vgpr_count:     41
    .vgpr_spill_count: 0
    .wavefront_size: 64
  - .agpr_count:     0
    .args:
      - .address_space:  global
        .offset:         0
        .size:           8
        .value_kind:     global_buffer
      - .address_space:  global
        .offset:         8
        .size:           8
        .value_kind:     global_buffer
      - .address_space:  global
        .offset:         16
        .size:           8
        .value_kind:     global_buffer
      - .address_space:  global
        .offset:         24
        .size:           8
        .value_kind:     global_buffer
      - .offset:         32
        .size:           4
        .value_kind:     by_value
      - .offset:         36
        .size:           4
        .value_kind:     by_value
      - .offset:         40
        .size:           4
        .value_kind:     by_value
      - .offset:         44
        .size:           4
        .value_kind:     by_value
      - .offset:         48
        .size:           4
        .value_kind:     by_value
      - .offset:         52
        .size:           4
        .value_kind:     by_value
      - .offset:         56
        .size:           4
        .value_kind:     by_value
      - .offset:         60
        .size:           4
        .value_kind:     by_value
    .group_segment_fixed_size: 41000
    .kernarg_segment_align: 8
    .kernarg_segment_size: 64
    .language:       OpenCL C
    .language_version:
      - 2
      - 0
    .max_flat_workgroup_size: 1024
    .name:           _Z19_skinny_gemm_kernelILi1ELi1ELi5ELi16ELi8EEvPKhS1_P6__halfPKfiiiiiiii
    .private_segment_fixed_size: 0
    .sgpr_count:     62
    .sgpr_spill_count: 0
    .symbol:         _Z19_skinny_gemm_kernelILi1ELi1ELi5ELi16ELi8EEvPKhS1_P6__halfPKfiiiiiiii.kd
    .uniform_work_group_size: 1
    .uses_dynamic_stack: false
    .vgpr_count:     50
    .vgpr_spill_count: 0
    .wavefront_size: 64
  - .agpr_count:     0
    .args:
      - .address_space:  global
        .offset:         0
        .size:           8
        .value_kind:     global_buffer
      - .address_space:  global
        .offset:         8
        .size:           8
        .value_kind:     global_buffer
      - .address_space:  global
        .offset:         16
        .size:           8
        .value_kind:     global_buffer
      - .address_space:  global
        .offset:         24
        .size:           8
        .value_kind:     global_buffer
      - .offset:         32
        .size:           4
        .value_kind:     by_value
      - .offset:         36
        .size:           4
        .value_kind:     by_value
      - .offset:         40
        .size:           4
        .value_kind:     by_value
      - .offset:         44
        .size:           4
        .value_kind:     by_value
      - .offset:         48
        .size:           4
        .value_kind:     by_value
      - .offset:         52
        .size:           4
        .value_kind:     by_value
      - .offset:         56
        .size:           4
        .value_kind:     by_value
      - .offset:         60
        .size:           4
        .value_kind:     by_value
    .group_segment_fixed_size: 20520
    .kernarg_segment_align: 8
    .kernarg_segment_size: 64
    .language:       OpenCL C
    .language_version:
      - 2
      - 0
    .max_flat_workgroup_size: 1024
    .name:           _Z19_skinny_gemm_kernelILi1ELi1ELi5ELi32ELi4EEvPKhS1_P6__halfPKfiiiiiiii
    .private_segment_fixed_size: 0
    .sgpr_count:     82
    .sgpr_spill_count: 0
    .symbol:         _Z19_skinny_gemm_kernelILi1ELi1ELi5ELi32ELi4EEvPKhS1_P6__halfPKfiiiiiiii.kd
    .uniform_work_group_size: 1
    .uses_dynamic_stack: false
    .vgpr_count:     80
    .vgpr_spill_count: 0
    .wavefront_size: 64
  - .agpr_count:     0
    .args:
      - .address_space:  global
        .offset:         0
        .size:           8
        .value_kind:     global_buffer
      - .address_space:  global
        .offset:         8
        .size:           8
        .value_kind:     global_buffer
      - .address_space:  global
        .offset:         16
        .size:           8
        .value_kind:     global_buffer
      - .address_space:  global
        .offset:         24
        .size:           8
        .value_kind:     global_buffer
      - .offset:         32
        .size:           4
        .value_kind:     by_value
      - .offset:         36
        .size:           4
        .value_kind:     by_value
      - .offset:         40
        .size:           4
        .value_kind:     by_value
      - .offset:         44
        .size:           4
        .value_kind:     by_value
      - .offset:         48
        .size:           4
        .value_kind:     by_value
      - .offset:         52
        .size:           4
        .value_kind:     by_value
      - .offset:         56
        .size:           4
        .value_kind:     by_value
      - .offset:         60
        .size:           4
        .value_kind:     by_value
    .group_segment_fixed_size: 41000
    .kernarg_segment_align: 8
    .kernarg_segment_size: 64
    .language:       OpenCL C
    .language_version:
      - 2
      - 0
    .max_flat_workgroup_size: 1024
    .name:           _Z19_skinny_gemm_kernelILi1ELi1ELi5ELi32ELi8EEvPKhS1_P6__halfPKfiiiiiiii
    .private_segment_fixed_size: 0
    .sgpr_count:     82
    .sgpr_spill_count: 0
    .symbol:         _Z19_skinny_gemm_kernelILi1ELi1ELi5ELi32ELi8EEvPKhS1_P6__halfPKfiiiiiiii.kd
    .uniform_work_group_size: 1
    .uses_dynamic_stack: false
    .vgpr_count:     88
    .vgpr_spill_count: 0
    .wavefront_size: 64
  - .agpr_count:     0
    .args:
      - .address_space:  global
        .offset:         0
        .size:           8
        .value_kind:     global_buffer
      - .address_space:  global
        .offset:         8
        .size:           8
        .value_kind:     global_buffer
      - .address_space:  global
        .offset:         16
        .size:           8
        .value_kind:     global_buffer
      - .address_space:  global
        .offset:         24
        .size:           8
        .value_kind:     global_buffer
      - .offset:         32
        .size:           4
        .value_kind:     by_value
      - .offset:         36
        .size:           4
        .value_kind:     by_value
      - .offset:         40
        .size:           4
        .value_kind:     by_value
      - .offset:         44
        .size:           4
        .value_kind:     by_value
      - .offset:         48
        .size:           4
        .value_kind:     by_value
      - .offset:         52
        .size:           4
        .value_kind:     by_value
      - .offset:         56
        .size:           4
        .value_kind:     by_value
      - .offset:         60
        .size:           4
        .value_kind:     by_value
    .group_segment_fixed_size: 36912
    .kernarg_segment_align: 8
    .kernarg_segment_size: 64
    .language:       OpenCL C
    .language_version:
      - 2
      - 0
    .max_flat_workgroup_size: 1024
    .name:           _Z19_skinny_gemm_kernelILi1ELi1ELi6ELi8ELi4EEvPKhS1_P6__halfPKfiiiiiiii
    .private_segment_fixed_size: 0
    .sgpr_count:     62
    .sgpr_spill_count: 0
    .symbol:         _Z19_skinny_gemm_kernelILi1ELi1ELi6ELi8ELi4EEvPKhS1_P6__halfPKfiiiiiiii.kd
    .uniform_work_group_size: 1
    .uses_dynamic_stack: false
    .vgpr_count:     50
    .vgpr_spill_count: 0
    .wavefront_size: 64
  - .agpr_count:     0
    .args:
      - .address_space:  global
        .offset:         0
        .size:           8
        .value_kind:     global_buffer
      - .address_space:  global
        .offset:         8
        .size:           8
        .value_kind:     global_buffer
      - .address_space:  global
        .offset:         16
        .size:           8
        .value_kind:     global_buffer
      - .address_space:  global
        .offset:         24
        .size:           8
        .value_kind:     global_buffer
      - .offset:         32
        .size:           4
        .value_kind:     by_value
      - .offset:         36
        .size:           4
        .value_kind:     by_value
      - .offset:         40
        .size:           4
        .value_kind:     by_value
      - .offset:         44
        .size:           4
        .value_kind:     by_value
      - .offset:         48
        .size:           4
        .value_kind:     by_value
      - .offset:         52
        .size:           4
        .value_kind:     by_value
      - .offset:         56
        .size:           4
        .value_kind:     by_value
      - .offset:         60
        .size:           4
        .value_kind:     by_value
    .group_segment_fixed_size: 24624
    .kernarg_segment_align: 8
    .kernarg_segment_size: 64
    .language:       OpenCL C
    .language_version:
      - 2
      - 0
    .max_flat_workgroup_size: 1024
    .name:           _Z19_skinny_gemm_kernelILi1ELi1ELi6ELi16ELi4EEvPKhS1_P6__halfPKfiiiiiiii
    .private_segment_fixed_size: 0
    .sgpr_count:     62
    .sgpr_spill_count: 0
    .symbol:         _Z19_skinny_gemm_kernelILi1ELi1ELi6ELi16ELi4EEvPKhS1_P6__halfPKfiiiiiiii.kd
    .uniform_work_group_size: 1
    .uses_dynamic_stack: false
    .vgpr_count:     41
    .vgpr_spill_count: 0
    .wavefront_size: 64
  - .agpr_count:     0
    .args:
      - .address_space:  global
        .offset:         0
        .size:           8
        .value_kind:     global_buffer
      - .address_space:  global
        .offset:         8
        .size:           8
        .value_kind:     global_buffer
      - .address_space:  global
        .offset:         16
        .size:           8
        .value_kind:     global_buffer
      - .address_space:  global
        .offset:         24
        .size:           8
        .value_kind:     global_buffer
      - .offset:         32
        .size:           4
        .value_kind:     by_value
      - .offset:         36
        .size:           4
        .value_kind:     by_value
      - .offset:         40
        .size:           4
        .value_kind:     by_value
      - .offset:         44
        .size:           4
        .value_kind:     by_value
      - .offset:         48
        .size:           4
        .value_kind:     by_value
      - .offset:         52
        .size:           4
        .value_kind:     by_value
      - .offset:         56
        .size:           4
        .value_kind:     by_value
      - .offset:         60
        .size:           4
        .value_kind:     by_value
    .group_segment_fixed_size: 49200
    .kernarg_segment_align: 8
    .kernarg_segment_size: 64
    .language:       OpenCL C
    .language_version:
      - 2
      - 0
    .max_flat_workgroup_size: 1024
    .name:           _Z19_skinny_gemm_kernelILi1ELi1ELi6ELi16ELi8EEvPKhS1_P6__halfPKfiiiiiiii
    .private_segment_fixed_size: 0
    .sgpr_count:     62
    .sgpr_spill_count: 0
    .symbol:         _Z19_skinny_gemm_kernelILi1ELi1ELi6ELi16ELi8EEvPKhS1_P6__halfPKfiiiiiiii.kd
    .uniform_work_group_size: 1
    .uses_dynamic_stack: false
    .vgpr_count:     50
    .vgpr_spill_count: 0
    .wavefront_size: 64
  - .agpr_count:     0
    .args:
      - .address_space:  global
        .offset:         0
        .size:           8
        .value_kind:     global_buffer
      - .address_space:  global
        .offset:         8
        .size:           8
        .value_kind:     global_buffer
      - .address_space:  global
        .offset:         16
        .size:           8
        .value_kind:     global_buffer
      - .address_space:  global
        .offset:         24
        .size:           8
        .value_kind:     global_buffer
      - .offset:         32
        .size:           4
        .value_kind:     by_value
      - .offset:         36
        .size:           4
        .value_kind:     by_value
      - .offset:         40
        .size:           4
        .value_kind:     by_value
      - .offset:         44
        .size:           4
        .value_kind:     by_value
      - .offset:         48
        .size:           4
        .value_kind:     by_value
      - .offset:         52
        .size:           4
        .value_kind:     by_value
      - .offset:         56
        .size:           4
        .value_kind:     by_value
      - .offset:         60
        .size:           4
        .value_kind:     by_value
    .group_segment_fixed_size: 24624
    .kernarg_segment_align: 8
    .kernarg_segment_size: 64
    .language:       OpenCL C
    .language_version:
      - 2
      - 0
    .max_flat_workgroup_size: 1024
    .name:           _Z19_skinny_gemm_kernelILi1ELi1ELi6ELi32ELi4EEvPKhS1_P6__halfPKfiiiiiiii
    .private_segment_fixed_size: 0
    .sgpr_count:     82
    .sgpr_spill_count: 0
    .symbol:         _Z19_skinny_gemm_kernelILi1ELi1ELi6ELi32ELi4EEvPKhS1_P6__halfPKfiiiiiiii.kd
    .uniform_work_group_size: 1
    .uses_dynamic_stack: false
    .vgpr_count:     80
    .vgpr_spill_count: 0
    .wavefront_size: 64
  - .agpr_count:     0
    .args:
      - .address_space:  global
        .offset:         0
        .size:           8
        .value_kind:     global_buffer
      - .address_space:  global
        .offset:         8
        .size:           8
        .value_kind:     global_buffer
      - .address_space:  global
        .offset:         16
        .size:           8
        .value_kind:     global_buffer
      - .address_space:  global
        .offset:         24
        .size:           8
        .value_kind:     global_buffer
      - .offset:         32
        .size:           4
        .value_kind:     by_value
      - .offset:         36
        .size:           4
        .value_kind:     by_value
      - .offset:         40
        .size:           4
        .value_kind:     by_value
      - .offset:         44
        .size:           4
        .value_kind:     by_value
      - .offset:         48
        .size:           4
        .value_kind:     by_value
      - .offset:         52
        .size:           4
        .value_kind:     by_value
      - .offset:         56
        .size:           4
        .value_kind:     by_value
      - .offset:         60
        .size:           4
        .value_kind:     by_value
    .group_segment_fixed_size: 49200
    .kernarg_segment_align: 8
    .kernarg_segment_size: 64
    .language:       OpenCL C
    .language_version:
      - 2
      - 0
    .max_flat_workgroup_size: 1024
    .name:           _Z19_skinny_gemm_kernelILi1ELi1ELi6ELi32ELi8EEvPKhS1_P6__halfPKfiiiiiiii
    .private_segment_fixed_size: 0
    .sgpr_count:     82
    .sgpr_spill_count: 0
    .symbol:         _Z19_skinny_gemm_kernelILi1ELi1ELi6ELi32ELi8EEvPKhS1_P6__halfPKfiiiiiiii.kd
    .uniform_work_group_size: 1
    .uses_dynamic_stack: false
    .vgpr_count:     88
    .vgpr_spill_count: 0
    .wavefront_size: 64
  - .agpr_count:     0
    .args:
      - .address_space:  global
        .offset:         0
        .size:           8
        .value_kind:     global_buffer
      - .address_space:  global
        .offset:         8
        .size:           8
        .value_kind:     global_buffer
      - .address_space:  global
        .offset:         16
        .size:           8
        .value_kind:     global_buffer
      - .address_space:  global
        .offset:         24
        .size:           8
        .value_kind:     global_buffer
      - .offset:         32
        .size:           4
        .value_kind:     by_value
      - .offset:         36
        .size:           4
        .value_kind:     by_value
      - .offset:         40
        .size:           4
        .value_kind:     by_value
      - .offset:         44
        .size:           4
        .value_kind:     by_value
      - .offset:         48
        .size:           4
        .value_kind:     by_value
      - .offset:         52
        .size:           4
        .value_kind:     by_value
      - .offset:         56
        .size:           4
        .value_kind:     by_value
      - .offset:         60
        .size:           4
        .value_kind:     by_value
    .group_segment_fixed_size: 10252
    .kernarg_segment_align: 8
    .kernarg_segment_size: 64
    .language:       OpenCL C
    .language_version:
      - 2
      - 0
    .max_flat_workgroup_size: 1024
    .name:           _Z19_skinny_gemm_kernelILi1ELi2ELi1ELi8ELi4EEvPKhS1_P6__halfPKfiiiiiiii
    .private_segment_fixed_size: 0
    .sgpr_count:     63
    .sgpr_spill_count: 0
    .symbol:         _Z19_skinny_gemm_kernelILi1ELi2ELi1ELi8ELi4EEvPKhS1_P6__halfPKfiiiiiiii.kd
    .uniform_work_group_size: 1
    .uses_dynamic_stack: false
    .vgpr_count:     55
    .vgpr_spill_count: 0
    .wavefront_size: 64
  - .agpr_count:     0
    .args:
      - .address_space:  global
        .offset:         0
        .size:           8
        .value_kind:     global_buffer
      - .actual_access:  read_only
        .address_space:  global
        .offset:         8
        .size:           8
        .value_kind:     global_buffer
      - .address_space:  global
        .offset:         16
        .size:           8
        .value_kind:     global_buffer
      - .address_space:  global
        .offset:         24
        .size:           8
        .value_kind:     global_buffer
      - .offset:         32
        .size:           4
        .value_kind:     by_value
      - .offset:         36
        .size:           4
        .value_kind:     by_value
      - .offset:         40
        .size:           4
        .value_kind:     by_value
      - .offset:         44
        .size:           4
        .value_kind:     by_value
      - .offset:         48
        .size:           4
        .value_kind:     by_value
      - .offset:         52
        .size:           4
        .value_kind:     by_value
      - .offset:         56
        .size:           4
        .value_kind:     by_value
      - .offset:         60
        .size:           4
        .value_kind:     by_value
    .group_segment_fixed_size: 20492
    .kernarg_segment_align: 8
    .kernarg_segment_size: 64
    .language:       OpenCL C
    .language_version:
      - 2
      - 0
    .max_flat_workgroup_size: 1024
    .name:           _Z19_skinny_gemm_kernelILi1ELi2ELi1ELi8ELi8EEvPKhS1_P6__halfPKfiiiiiiii
    .private_segment_fixed_size: 0
    .sgpr_count:     59
    .sgpr_spill_count: 0
    .symbol:         _Z19_skinny_gemm_kernelILi1ELi2ELi1ELi8ELi8EEvPKhS1_P6__halfPKfiiiiiiii.kd
    .uniform_work_group_size: 1
    .uses_dynamic_stack: false
    .vgpr_count:     56
    .vgpr_spill_count: 0
    .wavefront_size: 64
  - .agpr_count:     0
    .args:
      - .address_space:  global
        .offset:         0
        .size:           8
        .value_kind:     global_buffer
      - .address_space:  global
        .offset:         8
        .size:           8
        .value_kind:     global_buffer
      - .address_space:  global
        .offset:         16
        .size:           8
        .value_kind:     global_buffer
      - .address_space:  global
        .offset:         24
        .size:           8
        .value_kind:     global_buffer
      - .offset:         32
        .size:           4
        .value_kind:     by_value
      - .offset:         36
        .size:           4
        .value_kind:     by_value
      - .offset:         40
        .size:           4
        .value_kind:     by_value
      - .offset:         44
        .size:           4
        .value_kind:     by_value
      - .offset:         48
        .size:           4
        .value_kind:     by_value
      - .offset:         52
        .size:           4
        .value_kind:     by_value
      - .offset:         56
        .size:           4
        .value_kind:     by_value
      - .offset:         60
        .size:           4
        .value_kind:     by_value
    .group_segment_fixed_size: 6156
    .kernarg_segment_align: 8
    .kernarg_segment_size: 64
    .language:       OpenCL C
    .language_version:
      - 2
      - 0
    .max_flat_workgroup_size: 1024
    .name:           _Z19_skinny_gemm_kernelILi1ELi2ELi1ELi16ELi4EEvPKhS1_P6__halfPKfiiiiiiii
    .private_segment_fixed_size: 0
    .sgpr_count:     71
    .sgpr_spill_count: 0
    .symbol:         _Z19_skinny_gemm_kernelILi1ELi2ELi1ELi16ELi4EEvPKhS1_P6__halfPKfiiiiiiii.kd
    .uniform_work_group_size: 1
    .uses_dynamic_stack: false
    .vgpr_count:     50
    .vgpr_spill_count: 0
    .wavefront_size: 64
  - .agpr_count:     0
    .args:
      - .address_space:  global
        .offset:         0
        .size:           8
        .value_kind:     global_buffer
      - .address_space:  global
        .offset:         8
        .size:           8
        .value_kind:     global_buffer
      - .address_space:  global
        .offset:         16
        .size:           8
        .value_kind:     global_buffer
      - .address_space:  global
        .offset:         24
        .size:           8
        .value_kind:     global_buffer
      - .offset:         32
        .size:           4
        .value_kind:     by_value
      - .offset:         36
        .size:           4
        .value_kind:     by_value
      - .offset:         40
        .size:           4
        .value_kind:     by_value
      - .offset:         44
        .size:           4
        .value_kind:     by_value
      - .offset:         48
        .size:           4
        .value_kind:     by_value
      - .offset:         52
        .size:           4
        .value_kind:     by_value
      - .offset:         56
        .size:           4
        .value_kind:     by_value
      - .offset:         60
        .size:           4
        .value_kind:     by_value
    .group_segment_fixed_size: 12300
    .kernarg_segment_align: 8
    .kernarg_segment_size: 64
    .language:       OpenCL C
    .language_version:
      - 2
      - 0
    .max_flat_workgroup_size: 1024
    .name:           _Z19_skinny_gemm_kernelILi1ELi2ELi1ELi16ELi8EEvPKhS1_P6__halfPKfiiiiiiii
    .private_segment_fixed_size: 0
    .sgpr_count:     65
    .sgpr_spill_count: 0
    .symbol:         _Z19_skinny_gemm_kernelILi1ELi2ELi1ELi16ELi8EEvPKhS1_P6__halfPKfiiiiiiii.kd
    .uniform_work_group_size: 1
    .uses_dynamic_stack: false
    .vgpr_count:     62
    .vgpr_spill_count: 0
    .wavefront_size: 64
  - .agpr_count:     0
    .args:
      - .address_space:  global
        .offset:         0
        .size:           8
        .value_kind:     global_buffer
      - .address_space:  global
        .offset:         8
        .size:           8
        .value_kind:     global_buffer
      - .address_space:  global
        .offset:         16
        .size:           8
        .value_kind:     global_buffer
      - .address_space:  global
        .offset:         24
        .size:           8
        .value_kind:     global_buffer
      - .offset:         32
        .size:           4
        .value_kind:     by_value
      - .offset:         36
        .size:           4
        .value_kind:     by_value
      - .offset:         40
        .size:           4
        .value_kind:     by_value
      - .offset:         44
        .size:           4
        .value_kind:     by_value
      - .offset:         48
        .size:           4
        .value_kind:     by_value
      - .offset:         52
        .size:           4
        .value_kind:     by_value
      - .offset:         56
        .size:           4
        .value_kind:     by_value
      - .offset:         60
        .size:           4
        .value_kind:     by_value
    .group_segment_fixed_size: 6156
    .kernarg_segment_align: 8
    .kernarg_segment_size: 64
    .language:       OpenCL C
    .language_version:
      - 2
      - 0
    .max_flat_workgroup_size: 1024
    .name:           _Z19_skinny_gemm_kernelILi1ELi2ELi1ELi32ELi4EEvPKhS1_P6__halfPKfiiiiiiii
    .private_segment_fixed_size: 0
    .sgpr_count:     106
    .sgpr_spill_count: 37
    .symbol:         _Z19_skinny_gemm_kernelILi1ELi2ELi1ELi32ELi4EEvPKhS1_P6__halfPKfiiiiiiii.kd
    .uniform_work_group_size: 1
    .uses_dynamic_stack: false
    .vgpr_count:     101
    .vgpr_spill_count: 0
    .wavefront_size: 64
  - .agpr_count:     0
    .args:
      - .address_space:  global
        .offset:         0
        .size:           8
        .value_kind:     global_buffer
      - .address_space:  global
        .offset:         8
        .size:           8
        .value_kind:     global_buffer
      - .address_space:  global
        .offset:         16
        .size:           8
        .value_kind:     global_buffer
      - .address_space:  global
        .offset:         24
        .size:           8
        .value_kind:     global_buffer
      - .offset:         32
        .size:           4
        .value_kind:     by_value
      - .offset:         36
        .size:           4
        .value_kind:     by_value
      - .offset:         40
        .size:           4
        .value_kind:     by_value
      - .offset:         44
        .size:           4
        .value_kind:     by_value
      - .offset:         48
        .size:           4
        .value_kind:     by_value
      - .offset:         52
        .size:           4
        .value_kind:     by_value
      - .offset:         56
        .size:           4
        .value_kind:     by_value
      - .offset:         60
        .size:           4
        .value_kind:     by_value
    .group_segment_fixed_size: 12300
    .kernarg_segment_align: 8
    .kernarg_segment_size: 64
    .language:       OpenCL C
    .language_version:
      - 2
      - 0
    .max_flat_workgroup_size: 1024
    .name:           _Z19_skinny_gemm_kernelILi1ELi2ELi1ELi32ELi8EEvPKhS1_P6__halfPKfiiiiiiii
    .private_segment_fixed_size: 0
    .sgpr_count:     106
    .sgpr_spill_count: 37
    .symbol:         _Z19_skinny_gemm_kernelILi1ELi2ELi1ELi32ELi8EEvPKhS1_P6__halfPKfiiiiiiii.kd
    .uniform_work_group_size: 1
    .uses_dynamic_stack: false
    .vgpr_count:     108
    .vgpr_spill_count: 0
    .wavefront_size: 64
  - .agpr_count:     0
    .args:
      - .address_space:  global
        .offset:         0
        .size:           8
        .value_kind:     global_buffer
      - .address_space:  global
        .offset:         8
        .size:           8
        .value_kind:     global_buffer
      - .address_space:  global
        .offset:         16
        .size:           8
        .value_kind:     global_buffer
      - .address_space:  global
        .offset:         24
        .size:           8
        .value_kind:     global_buffer
      - .offset:         32
        .size:           4
        .value_kind:     by_value
      - .offset:         36
        .size:           4
        .value_kind:     by_value
      - .offset:         40
        .size:           4
        .value_kind:     by_value
      - .offset:         44
        .size:           4
        .value_kind:     by_value
      - .offset:         48
        .size:           4
        .value_kind:     by_value
      - .offset:         52
        .size:           4
        .value_kind:     by_value
      - .offset:         56
        .size:           4
        .value_kind:     by_value
      - .offset:         60
        .size:           4
        .value_kind:     by_value
    .group_segment_fixed_size: 20504
    .kernarg_segment_align: 8
    .kernarg_segment_size: 64
    .language:       OpenCL C
    .language_version:
      - 2
      - 0
    .max_flat_workgroup_size: 1024
    .name:           _Z19_skinny_gemm_kernelILi1ELi2ELi2ELi8ELi4EEvPKhS1_P6__halfPKfiiiiiiii
    .private_segment_fixed_size: 0
    .sgpr_count:     63
    .sgpr_spill_count: 0
    .symbol:         _Z19_skinny_gemm_kernelILi1ELi2ELi2ELi8ELi4EEvPKhS1_P6__halfPKfiiiiiiii.kd
    .uniform_work_group_size: 1
    .uses_dynamic_stack: false
    .vgpr_count:     55
    .vgpr_spill_count: 0
    .wavefront_size: 64
  - .agpr_count:     0
    .args:
      - .address_space:  global
        .offset:         0
        .size:           8
        .value_kind:     global_buffer
      - .actual_access:  read_only
        .address_space:  global
        .offset:         8
        .size:           8
        .value_kind:     global_buffer
      - .address_space:  global
        .offset:         16
        .size:           8
        .value_kind:     global_buffer
      - .address_space:  global
        .offset:         24
        .size:           8
        .value_kind:     global_buffer
      - .offset:         32
        .size:           4
        .value_kind:     by_value
      - .offset:         36
        .size:           4
        .value_kind:     by_value
      - .offset:         40
        .size:           4
        .value_kind:     by_value
      - .offset:         44
        .size:           4
        .value_kind:     by_value
      - .offset:         48
        .size:           4
        .value_kind:     by_value
      - .offset:         52
        .size:           4
        .value_kind:     by_value
      - .offset:         56
        .size:           4
        .value_kind:     by_value
      - .offset:         60
        .size:           4
        .value_kind:     by_value
    .group_segment_fixed_size: 40984
    .kernarg_segment_align: 8
    .kernarg_segment_size: 64
    .language:       OpenCL C
    .language_version:
      - 2
      - 0
    .max_flat_workgroup_size: 1024
    .name:           _Z19_skinny_gemm_kernelILi1ELi2ELi2ELi8ELi8EEvPKhS1_P6__halfPKfiiiiiiii
    .private_segment_fixed_size: 0
    .sgpr_count:     59
    .sgpr_spill_count: 0
    .symbol:         _Z19_skinny_gemm_kernelILi1ELi2ELi2ELi8ELi8EEvPKhS1_P6__halfPKfiiiiiiii.kd
    .uniform_work_group_size: 1
    .uses_dynamic_stack: false
    .vgpr_count:     56
    .vgpr_spill_count: 0
    .wavefront_size: 64
  - .agpr_count:     0
    .args:
      - .address_space:  global
        .offset:         0
        .size:           8
        .value_kind:     global_buffer
      - .address_space:  global
        .offset:         8
        .size:           8
        .value_kind:     global_buffer
      - .address_space:  global
        .offset:         16
        .size:           8
        .value_kind:     global_buffer
      - .address_space:  global
        .offset:         24
        .size:           8
        .value_kind:     global_buffer
      - .offset:         32
        .size:           4
        .value_kind:     by_value
      - .offset:         36
        .size:           4
        .value_kind:     by_value
      - .offset:         40
        .size:           4
        .value_kind:     by_value
      - .offset:         44
        .size:           4
        .value_kind:     by_value
      - .offset:         48
        .size:           4
        .value_kind:     by_value
      - .offset:         52
        .size:           4
        .value_kind:     by_value
      - .offset:         56
        .size:           4
        .value_kind:     by_value
      - .offset:         60
        .size:           4
        .value_kind:     by_value
    .group_segment_fixed_size: 12312
    .kernarg_segment_align: 8
    .kernarg_segment_size: 64
    .language:       OpenCL C
    .language_version:
      - 2
      - 0
    .max_flat_workgroup_size: 1024
    .name:           _Z19_skinny_gemm_kernelILi1ELi2ELi2ELi16ELi4EEvPKhS1_P6__halfPKfiiiiiiii
    .private_segment_fixed_size: 0
    .sgpr_count:     71
    .sgpr_spill_count: 0
    .symbol:         _Z19_skinny_gemm_kernelILi1ELi2ELi2ELi16ELi4EEvPKhS1_P6__halfPKfiiiiiiii.kd
    .uniform_work_group_size: 1
    .uses_dynamic_stack: false
    .vgpr_count:     50
    .vgpr_spill_count: 0
    .wavefront_size: 64
  - .agpr_count:     0
    .args:
      - .address_space:  global
        .offset:         0
        .size:           8
        .value_kind:     global_buffer
      - .address_space:  global
        .offset:         8
        .size:           8
        .value_kind:     global_buffer
      - .address_space:  global
        .offset:         16
        .size:           8
        .value_kind:     global_buffer
      - .address_space:  global
        .offset:         24
        .size:           8
        .value_kind:     global_buffer
      - .offset:         32
        .size:           4
        .value_kind:     by_value
      - .offset:         36
        .size:           4
        .value_kind:     by_value
      - .offset:         40
        .size:           4
        .value_kind:     by_value
      - .offset:         44
        .size:           4
        .value_kind:     by_value
      - .offset:         48
        .size:           4
        .value_kind:     by_value
      - .offset:         52
        .size:           4
        .value_kind:     by_value
      - .offset:         56
        .size:           4
        .value_kind:     by_value
      - .offset:         60
        .size:           4
        .value_kind:     by_value
    .group_segment_fixed_size: 24600
    .kernarg_segment_align: 8
    .kernarg_segment_size: 64
    .language:       OpenCL C
    .language_version:
      - 2
      - 0
    .max_flat_workgroup_size: 1024
    .name:           _Z19_skinny_gemm_kernelILi1ELi2ELi2ELi16ELi8EEvPKhS1_P6__halfPKfiiiiiiii
    .private_segment_fixed_size: 0
    .sgpr_count:     65
    .sgpr_spill_count: 0
    .symbol:         _Z19_skinny_gemm_kernelILi1ELi2ELi2ELi16ELi8EEvPKhS1_P6__halfPKfiiiiiiii.kd
    .uniform_work_group_size: 1
    .uses_dynamic_stack: false
    .vgpr_count:     62
    .vgpr_spill_count: 0
    .wavefront_size: 64
  - .agpr_count:     0
    .args:
      - .address_space:  global
        .offset:         0
        .size:           8
        .value_kind:     global_buffer
      - .address_space:  global
        .offset:         8
        .size:           8
        .value_kind:     global_buffer
      - .address_space:  global
        .offset:         16
        .size:           8
        .value_kind:     global_buffer
      - .address_space:  global
        .offset:         24
        .size:           8
        .value_kind:     global_buffer
      - .offset:         32
        .size:           4
        .value_kind:     by_value
      - .offset:         36
        .size:           4
        .value_kind:     by_value
      - .offset:         40
        .size:           4
        .value_kind:     by_value
      - .offset:         44
        .size:           4
        .value_kind:     by_value
      - .offset:         48
        .size:           4
        .value_kind:     by_value
      - .offset:         52
        .size:           4
        .value_kind:     by_value
      - .offset:         56
        .size:           4
        .value_kind:     by_value
      - .offset:         60
        .size:           4
        .value_kind:     by_value
    .group_segment_fixed_size: 12312
    .kernarg_segment_align: 8
    .kernarg_segment_size: 64
    .language:       OpenCL C
    .language_version:
      - 2
      - 0
    .max_flat_workgroup_size: 1024
    .name:           _Z19_skinny_gemm_kernelILi1ELi2ELi2ELi32ELi4EEvPKhS1_P6__halfPKfiiiiiiii
    .private_segment_fixed_size: 0
    .sgpr_count:     106
    .sgpr_spill_count: 37
    .symbol:         _Z19_skinny_gemm_kernelILi1ELi2ELi2ELi32ELi4EEvPKhS1_P6__halfPKfiiiiiiii.kd
    .uniform_work_group_size: 1
    .uses_dynamic_stack: false
    .vgpr_count:     101
    .vgpr_spill_count: 0
    .wavefront_size: 64
  - .agpr_count:     0
    .args:
      - .address_space:  global
        .offset:         0
        .size:           8
        .value_kind:     global_buffer
      - .address_space:  global
        .offset:         8
        .size:           8
        .value_kind:     global_buffer
      - .address_space:  global
        .offset:         16
        .size:           8
        .value_kind:     global_buffer
      - .address_space:  global
        .offset:         24
        .size:           8
        .value_kind:     global_buffer
      - .offset:         32
        .size:           4
        .value_kind:     by_value
      - .offset:         36
        .size:           4
        .value_kind:     by_value
      - .offset:         40
        .size:           4
        .value_kind:     by_value
      - .offset:         44
        .size:           4
        .value_kind:     by_value
      - .offset:         48
        .size:           4
        .value_kind:     by_value
      - .offset:         52
        .size:           4
        .value_kind:     by_value
      - .offset:         56
        .size:           4
        .value_kind:     by_value
      - .offset:         60
        .size:           4
        .value_kind:     by_value
    .group_segment_fixed_size: 24600
    .kernarg_segment_align: 8
    .kernarg_segment_size: 64
    .language:       OpenCL C
    .language_version:
      - 2
      - 0
    .max_flat_workgroup_size: 1024
    .name:           _Z19_skinny_gemm_kernelILi1ELi2ELi2ELi32ELi8EEvPKhS1_P6__halfPKfiiiiiiii
    .private_segment_fixed_size: 0
    .sgpr_count:     106
    .sgpr_spill_count: 37
    .symbol:         _Z19_skinny_gemm_kernelILi1ELi2ELi2ELi32ELi8EEvPKhS1_P6__halfPKfiiiiiiii.kd
    .uniform_work_group_size: 1
    .uses_dynamic_stack: false
    .vgpr_count:     108
    .vgpr_spill_count: 0
    .wavefront_size: 64
  - .agpr_count:     0
    .args:
      - .address_space:  global
        .offset:         0
        .size:           8
        .value_kind:     global_buffer
      - .address_space:  global
        .offset:         8
        .size:           8
        .value_kind:     global_buffer
      - .address_space:  global
        .offset:         16
        .size:           8
        .value_kind:     global_buffer
      - .address_space:  global
        .offset:         24
        .size:           8
        .value_kind:     global_buffer
      - .offset:         32
        .size:           4
        .value_kind:     by_value
      - .offset:         36
        .size:           4
        .value_kind:     by_value
      - .offset:         40
        .size:           4
        .value_kind:     by_value
      - .offset:         44
        .size:           4
        .value_kind:     by_value
      - .offset:         48
        .size:           4
        .value_kind:     by_value
      - .offset:         52
        .size:           4
        .value_kind:     by_value
      - .offset:         56
        .size:           4
        .value_kind:     by_value
      - .offset:         60
        .size:           4
        .value_kind:     by_value
    .group_segment_fixed_size: 30756
    .kernarg_segment_align: 8
    .kernarg_segment_size: 64
    .language:       OpenCL C
    .language_version:
      - 2
      - 0
    .max_flat_workgroup_size: 1024
    .name:           _Z19_skinny_gemm_kernelILi1ELi2ELi3ELi8ELi4EEvPKhS1_P6__halfPKfiiiiiiii
    .private_segment_fixed_size: 0
    .sgpr_count:     63
    .sgpr_spill_count: 0
    .symbol:         _Z19_skinny_gemm_kernelILi1ELi2ELi3ELi8ELi4EEvPKhS1_P6__halfPKfiiiiiiii.kd
    .uniform_work_group_size: 1
    .uses_dynamic_stack: false
    .vgpr_count:     55
    .vgpr_spill_count: 0
    .wavefront_size: 64
  - .agpr_count:     0
    .args:
      - .address_space:  global
        .offset:         0
        .size:           8
        .value_kind:     global_buffer
      - .actual_access:  read_only
        .address_space:  global
        .offset:         8
        .size:           8
        .value_kind:     global_buffer
      - .address_space:  global
        .offset:         16
        .size:           8
        .value_kind:     global_buffer
      - .address_space:  global
        .offset:         24
        .size:           8
        .value_kind:     global_buffer
      - .offset:         32
        .size:           4
        .value_kind:     by_value
      - .offset:         36
        .size:           4
        .value_kind:     by_value
      - .offset:         40
        .size:           4
        .value_kind:     by_value
      - .offset:         44
        .size:           4
        .value_kind:     by_value
      - .offset:         48
        .size:           4
        .value_kind:     by_value
      - .offset:         52
        .size:           4
        .value_kind:     by_value
      - .offset:         56
        .size:           4
        .value_kind:     by_value
      - .offset:         60
        .size:           4
        .value_kind:     by_value
    .group_segment_fixed_size: 61476
    .kernarg_segment_align: 8
    .kernarg_segment_size: 64
    .language:       OpenCL C
    .language_version:
      - 2
      - 0
    .max_flat_workgroup_size: 1024
    .name:           _Z19_skinny_gemm_kernelILi1ELi2ELi3ELi8ELi8EEvPKhS1_P6__halfPKfiiiiiiii
    .private_segment_fixed_size: 0
    .sgpr_count:     59
    .sgpr_spill_count: 0
    .symbol:         _Z19_skinny_gemm_kernelILi1ELi2ELi3ELi8ELi8EEvPKhS1_P6__halfPKfiiiiiiii.kd
    .uniform_work_group_size: 1
    .uses_dynamic_stack: false
    .vgpr_count:     56
    .vgpr_spill_count: 0
    .wavefront_size: 64
  - .agpr_count:     0
    .args:
      - .address_space:  global
        .offset:         0
        .size:           8
        .value_kind:     global_buffer
      - .address_space:  global
        .offset:         8
        .size:           8
        .value_kind:     global_buffer
      - .address_space:  global
        .offset:         16
        .size:           8
        .value_kind:     global_buffer
      - .address_space:  global
        .offset:         24
        .size:           8
        .value_kind:     global_buffer
      - .offset:         32
        .size:           4
        .value_kind:     by_value
      - .offset:         36
        .size:           4
        .value_kind:     by_value
      - .offset:         40
        .size:           4
        .value_kind:     by_value
      - .offset:         44
        .size:           4
        .value_kind:     by_value
      - .offset:         48
        .size:           4
        .value_kind:     by_value
      - .offset:         52
        .size:           4
        .value_kind:     by_value
      - .offset:         56
        .size:           4
        .value_kind:     by_value
      - .offset:         60
        .size:           4
        .value_kind:     by_value
    .group_segment_fixed_size: 18468
    .kernarg_segment_align: 8
    .kernarg_segment_size: 64
    .language:       OpenCL C
    .language_version:
      - 2
      - 0
    .max_flat_workgroup_size: 1024
    .name:           _Z19_skinny_gemm_kernelILi1ELi2ELi3ELi16ELi4EEvPKhS1_P6__halfPKfiiiiiiii
    .private_segment_fixed_size: 0
    .sgpr_count:     71
    .sgpr_spill_count: 0
    .symbol:         _Z19_skinny_gemm_kernelILi1ELi2ELi3ELi16ELi4EEvPKhS1_P6__halfPKfiiiiiiii.kd
    .uniform_work_group_size: 1
    .uses_dynamic_stack: false
    .vgpr_count:     50
    .vgpr_spill_count: 0
    .wavefront_size: 64
  - .agpr_count:     0
    .args:
      - .address_space:  global
        .offset:         0
        .size:           8
        .value_kind:     global_buffer
      - .address_space:  global
        .offset:         8
        .size:           8
        .value_kind:     global_buffer
      - .address_space:  global
        .offset:         16
        .size:           8
        .value_kind:     global_buffer
      - .address_space:  global
        .offset:         24
        .size:           8
        .value_kind:     global_buffer
      - .offset:         32
        .size:           4
        .value_kind:     by_value
      - .offset:         36
        .size:           4
        .value_kind:     by_value
      - .offset:         40
        .size:           4
        .value_kind:     by_value
      - .offset:         44
        .size:           4
        .value_kind:     by_value
      - .offset:         48
        .size:           4
        .value_kind:     by_value
      - .offset:         52
        .size:           4
        .value_kind:     by_value
      - .offset:         56
        .size:           4
        .value_kind:     by_value
      - .offset:         60
        .size:           4
        .value_kind:     by_value
    .group_segment_fixed_size: 36900
    .kernarg_segment_align: 8
    .kernarg_segment_size: 64
    .language:       OpenCL C
    .language_version:
      - 2
      - 0
    .max_flat_workgroup_size: 1024
    .name:           _Z19_skinny_gemm_kernelILi1ELi2ELi3ELi16ELi8EEvPKhS1_P6__halfPKfiiiiiiii
    .private_segment_fixed_size: 0
    .sgpr_count:     65
    .sgpr_spill_count: 0
    .symbol:         _Z19_skinny_gemm_kernelILi1ELi2ELi3ELi16ELi8EEvPKhS1_P6__halfPKfiiiiiiii.kd
    .uniform_work_group_size: 1
    .uses_dynamic_stack: false
    .vgpr_count:     62
    .vgpr_spill_count: 0
    .wavefront_size: 64
  - .agpr_count:     0
    .args:
      - .address_space:  global
        .offset:         0
        .size:           8
        .value_kind:     global_buffer
      - .address_space:  global
        .offset:         8
        .size:           8
        .value_kind:     global_buffer
      - .address_space:  global
        .offset:         16
        .size:           8
        .value_kind:     global_buffer
      - .address_space:  global
        .offset:         24
        .size:           8
        .value_kind:     global_buffer
      - .offset:         32
        .size:           4
        .value_kind:     by_value
      - .offset:         36
        .size:           4
        .value_kind:     by_value
      - .offset:         40
        .size:           4
        .value_kind:     by_value
      - .offset:         44
        .size:           4
        .value_kind:     by_value
      - .offset:         48
        .size:           4
        .value_kind:     by_value
      - .offset:         52
        .size:           4
        .value_kind:     by_value
      - .offset:         56
        .size:           4
        .value_kind:     by_value
      - .offset:         60
        .size:           4
        .value_kind:     by_value
    .group_segment_fixed_size: 18468
    .kernarg_segment_align: 8
    .kernarg_segment_size: 64
    .language:       OpenCL C
    .language_version:
      - 2
      - 0
    .max_flat_workgroup_size: 1024
    .name:           _Z19_skinny_gemm_kernelILi1ELi2ELi3ELi32ELi4EEvPKhS1_P6__halfPKfiiiiiiii
    .private_segment_fixed_size: 0
    .sgpr_count:     106
    .sgpr_spill_count: 37
    .symbol:         _Z19_skinny_gemm_kernelILi1ELi2ELi3ELi32ELi4EEvPKhS1_P6__halfPKfiiiiiiii.kd
    .uniform_work_group_size: 1
    .uses_dynamic_stack: false
    .vgpr_count:     101
    .vgpr_spill_count: 0
    .wavefront_size: 64
  - .agpr_count:     0
    .args:
      - .address_space:  global
        .offset:         0
        .size:           8
        .value_kind:     global_buffer
      - .address_space:  global
        .offset:         8
        .size:           8
        .value_kind:     global_buffer
      - .address_space:  global
        .offset:         16
        .size:           8
        .value_kind:     global_buffer
      - .address_space:  global
        .offset:         24
        .size:           8
        .value_kind:     global_buffer
      - .offset:         32
        .size:           4
        .value_kind:     by_value
      - .offset:         36
        .size:           4
        .value_kind:     by_value
      - .offset:         40
        .size:           4
        .value_kind:     by_value
      - .offset:         44
        .size:           4
        .value_kind:     by_value
      - .offset:         48
        .size:           4
        .value_kind:     by_value
      - .offset:         52
        .size:           4
        .value_kind:     by_value
      - .offset:         56
        .size:           4
        .value_kind:     by_value
      - .offset:         60
        .size:           4
        .value_kind:     by_value
    .group_segment_fixed_size: 36900
    .kernarg_segment_align: 8
    .kernarg_segment_size: 64
    .language:       OpenCL C
    .language_version:
      - 2
      - 0
    .max_flat_workgroup_size: 1024
    .name:           _Z19_skinny_gemm_kernelILi1ELi2ELi3ELi32ELi8EEvPKhS1_P6__halfPKfiiiiiiii
    .private_segment_fixed_size: 0
    .sgpr_count:     106
    .sgpr_spill_count: 37
    .symbol:         _Z19_skinny_gemm_kernelILi1ELi2ELi3ELi32ELi8EEvPKhS1_P6__halfPKfiiiiiiii.kd
    .uniform_work_group_size: 1
    .uses_dynamic_stack: false
    .vgpr_count:     108
    .vgpr_spill_count: 0
    .wavefront_size: 64
  - .agpr_count:     0
    .args:
      - .address_space:  global
        .offset:         0
        .size:           8
        .value_kind:     global_buffer
      - .address_space:  global
        .offset:         8
        .size:           8
        .value_kind:     global_buffer
      - .address_space:  global
        .offset:         16
        .size:           8
        .value_kind:     global_buffer
      - .address_space:  global
        .offset:         24
        .size:           8
        .value_kind:     global_buffer
      - .offset:         32
        .size:           4
        .value_kind:     by_value
      - .offset:         36
        .size:           4
        .value_kind:     by_value
      - .offset:         40
        .size:           4
        .value_kind:     by_value
      - .offset:         44
        .size:           4
        .value_kind:     by_value
      - .offset:         48
        .size:           4
        .value_kind:     by_value
      - .offset:         52
        .size:           4
        .value_kind:     by_value
      - .offset:         56
        .size:           4
        .value_kind:     by_value
      - .offset:         60
        .size:           4
        .value_kind:     by_value
    .group_segment_fixed_size: 41008
    .kernarg_segment_align: 8
    .kernarg_segment_size: 64
    .language:       OpenCL C
    .language_version:
      - 2
      - 0
    .max_flat_workgroup_size: 1024
    .name:           _Z19_skinny_gemm_kernelILi1ELi2ELi4ELi8ELi4EEvPKhS1_P6__halfPKfiiiiiiii
    .private_segment_fixed_size: 0
    .sgpr_count:     63
    .sgpr_spill_count: 0
    .symbol:         _Z19_skinny_gemm_kernelILi1ELi2ELi4ELi8ELi4EEvPKhS1_P6__halfPKfiiiiiiii.kd
    .uniform_work_group_size: 1
    .uses_dynamic_stack: false
    .vgpr_count:     55
    .vgpr_spill_count: 0
    .wavefront_size: 64
  - .agpr_count:     0
    .args:
      - .address_space:  global
        .offset:         0
        .size:           8
        .value_kind:     global_buffer
      - .address_space:  global
        .offset:         8
        .size:           8
        .value_kind:     global_buffer
      - .address_space:  global
        .offset:         16
        .size:           8
        .value_kind:     global_buffer
      - .address_space:  global
        .offset:         24
        .size:           8
        .value_kind:     global_buffer
      - .offset:         32
        .size:           4
        .value_kind:     by_value
      - .offset:         36
        .size:           4
        .value_kind:     by_value
      - .offset:         40
        .size:           4
        .value_kind:     by_value
      - .offset:         44
        .size:           4
        .value_kind:     by_value
      - .offset:         48
        .size:           4
        .value_kind:     by_value
      - .offset:         52
        .size:           4
        .value_kind:     by_value
      - .offset:         56
        .size:           4
        .value_kind:     by_value
      - .offset:         60
        .size:           4
        .value_kind:     by_value
    .group_segment_fixed_size: 24624
    .kernarg_segment_align: 8
    .kernarg_segment_size: 64
    .language:       OpenCL C
    .language_version:
      - 2
      - 0
    .max_flat_workgroup_size: 1024
    .name:           _Z19_skinny_gemm_kernelILi1ELi2ELi4ELi16ELi4EEvPKhS1_P6__halfPKfiiiiiiii
    .private_segment_fixed_size: 0
    .sgpr_count:     71
    .sgpr_spill_count: 0
    .symbol:         _Z19_skinny_gemm_kernelILi1ELi2ELi4ELi16ELi4EEvPKhS1_P6__halfPKfiiiiiiii.kd
    .uniform_work_group_size: 1
    .uses_dynamic_stack: false
    .vgpr_count:     50
    .vgpr_spill_count: 0
    .wavefront_size: 64
  - .agpr_count:     0
    .args:
      - .address_space:  global
        .offset:         0
        .size:           8
        .value_kind:     global_buffer
      - .address_space:  global
        .offset:         8
        .size:           8
        .value_kind:     global_buffer
      - .address_space:  global
        .offset:         16
        .size:           8
        .value_kind:     global_buffer
      - .address_space:  global
        .offset:         24
        .size:           8
        .value_kind:     global_buffer
      - .offset:         32
        .size:           4
        .value_kind:     by_value
      - .offset:         36
        .size:           4
        .value_kind:     by_value
      - .offset:         40
        .size:           4
        .value_kind:     by_value
      - .offset:         44
        .size:           4
        .value_kind:     by_value
      - .offset:         48
        .size:           4
        .value_kind:     by_value
      - .offset:         52
        .size:           4
        .value_kind:     by_value
      - .offset:         56
        .size:           4
        .value_kind:     by_value
      - .offset:         60
        .size:           4
        .value_kind:     by_value
    .group_segment_fixed_size: 49200
    .kernarg_segment_align: 8
    .kernarg_segment_size: 64
    .language:       OpenCL C
    .language_version:
      - 2
      - 0
    .max_flat_workgroup_size: 1024
    .name:           _Z19_skinny_gemm_kernelILi1ELi2ELi4ELi16ELi8EEvPKhS1_P6__halfPKfiiiiiiii
    .private_segment_fixed_size: 0
    .sgpr_count:     65
    .sgpr_spill_count: 0
    .symbol:         _Z19_skinny_gemm_kernelILi1ELi2ELi4ELi16ELi8EEvPKhS1_P6__halfPKfiiiiiiii.kd
    .uniform_work_group_size: 1
    .uses_dynamic_stack: false
    .vgpr_count:     62
    .vgpr_spill_count: 0
    .wavefront_size: 64
  - .agpr_count:     0
    .args:
      - .address_space:  global
        .offset:         0
        .size:           8
        .value_kind:     global_buffer
      - .address_space:  global
        .offset:         8
        .size:           8
        .value_kind:     global_buffer
      - .address_space:  global
        .offset:         16
        .size:           8
        .value_kind:     global_buffer
      - .address_space:  global
        .offset:         24
        .size:           8
        .value_kind:     global_buffer
      - .offset:         32
        .size:           4
        .value_kind:     by_value
      - .offset:         36
        .size:           4
        .value_kind:     by_value
      - .offset:         40
        .size:           4
        .value_kind:     by_value
      - .offset:         44
        .size:           4
        .value_kind:     by_value
      - .offset:         48
        .size:           4
        .value_kind:     by_value
      - .offset:         52
        .size:           4
        .value_kind:     by_value
      - .offset:         56
        .size:           4
        .value_kind:     by_value
      - .offset:         60
        .size:           4
        .value_kind:     by_value
    .group_segment_fixed_size: 24624
    .kernarg_segment_align: 8
    .kernarg_segment_size: 64
    .language:       OpenCL C
    .language_version:
      - 2
      - 0
    .max_flat_workgroup_size: 1024
    .name:           _Z19_skinny_gemm_kernelILi1ELi2ELi4ELi32ELi4EEvPKhS1_P6__halfPKfiiiiiiii
    .private_segment_fixed_size: 0
    .sgpr_count:     106
    .sgpr_spill_count: 37
    .symbol:         _Z19_skinny_gemm_kernelILi1ELi2ELi4ELi32ELi4EEvPKhS1_P6__halfPKfiiiiiiii.kd
    .uniform_work_group_size: 1
    .uses_dynamic_stack: false
    .vgpr_count:     101
    .vgpr_spill_count: 0
    .wavefront_size: 64
  - .agpr_count:     0
    .args:
      - .address_space:  global
        .offset:         0
        .size:           8
        .value_kind:     global_buffer
      - .address_space:  global
        .offset:         8
        .size:           8
        .value_kind:     global_buffer
      - .address_space:  global
        .offset:         16
        .size:           8
        .value_kind:     global_buffer
      - .address_space:  global
        .offset:         24
        .size:           8
        .value_kind:     global_buffer
      - .offset:         32
        .size:           4
        .value_kind:     by_value
      - .offset:         36
        .size:           4
        .value_kind:     by_value
      - .offset:         40
        .size:           4
        .value_kind:     by_value
      - .offset:         44
        .size:           4
        .value_kind:     by_value
      - .offset:         48
        .size:           4
        .value_kind:     by_value
      - .offset:         52
        .size:           4
        .value_kind:     by_value
      - .offset:         56
        .size:           4
        .value_kind:     by_value
      - .offset:         60
        .size:           4
        .value_kind:     by_value
    .group_segment_fixed_size: 49200
    .kernarg_segment_align: 8
    .kernarg_segment_size: 64
    .language:       OpenCL C
    .language_version:
      - 2
      - 0
    .max_flat_workgroup_size: 1024
    .name:           _Z19_skinny_gemm_kernelILi1ELi2ELi4ELi32ELi8EEvPKhS1_P6__halfPKfiiiiiiii
    .private_segment_fixed_size: 0
    .sgpr_count:     106
    .sgpr_spill_count: 37
    .symbol:         _Z19_skinny_gemm_kernelILi1ELi2ELi4ELi32ELi8EEvPKhS1_P6__halfPKfiiiiiiii.kd
    .uniform_work_group_size: 1
    .uses_dynamic_stack: false
    .vgpr_count:     108
    .vgpr_spill_count: 0
    .wavefront_size: 64
  - .agpr_count:     0
    .args:
      - .address_space:  global
        .offset:         0
        .size:           8
        .value_kind:     global_buffer
      - .address_space:  global
        .offset:         8
        .size:           8
        .value_kind:     global_buffer
      - .address_space:  global
        .offset:         16
        .size:           8
        .value_kind:     global_buffer
      - .address_space:  global
        .offset:         24
        .size:           8
        .value_kind:     global_buffer
      - .offset:         32
        .size:           4
        .value_kind:     by_value
      - .offset:         36
        .size:           4
        .value_kind:     by_value
      - .offset:         40
        .size:           4
        .value_kind:     by_value
      - .offset:         44
        .size:           4
        .value_kind:     by_value
      - .offset:         48
        .size:           4
        .value_kind:     by_value
      - .offset:         52
        .size:           4
        .value_kind:     by_value
      - .offset:         56
        .size:           4
        .value_kind:     by_value
      - .offset:         60
        .size:           4
        .value_kind:     by_value
    .group_segment_fixed_size: 51260
    .kernarg_segment_align: 8
    .kernarg_segment_size: 64
    .language:       OpenCL C
    .language_version:
      - 2
      - 0
    .max_flat_workgroup_size: 1024
    .name:           _Z19_skinny_gemm_kernelILi1ELi2ELi5ELi8ELi4EEvPKhS1_P6__halfPKfiiiiiiii
    .private_segment_fixed_size: 0
    .sgpr_count:     63
    .sgpr_spill_count: 0
    .symbol:         _Z19_skinny_gemm_kernelILi1ELi2ELi5ELi8ELi4EEvPKhS1_P6__halfPKfiiiiiiii.kd
    .uniform_work_group_size: 1
    .uses_dynamic_stack: false
    .vgpr_count:     55
    .vgpr_spill_count: 0
    .wavefront_size: 64
  - .agpr_count:     0
    .args:
      - .address_space:  global
        .offset:         0
        .size:           8
        .value_kind:     global_buffer
      - .address_space:  global
        .offset:         8
        .size:           8
        .value_kind:     global_buffer
      - .address_space:  global
        .offset:         16
        .size:           8
        .value_kind:     global_buffer
      - .address_space:  global
        .offset:         24
        .size:           8
        .value_kind:     global_buffer
      - .offset:         32
        .size:           4
        .value_kind:     by_value
      - .offset:         36
        .size:           4
        .value_kind:     by_value
      - .offset:         40
        .size:           4
        .value_kind:     by_value
      - .offset:         44
        .size:           4
        .value_kind:     by_value
      - .offset:         48
        .size:           4
        .value_kind:     by_value
      - .offset:         52
        .size:           4
        .value_kind:     by_value
      - .offset:         56
        .size:           4
        .value_kind:     by_value
      - .offset:         60
        .size:           4
        .value_kind:     by_value
    .group_segment_fixed_size: 30780
    .kernarg_segment_align: 8
    .kernarg_segment_size: 64
    .language:       OpenCL C
    .language_version:
      - 2
      - 0
    .max_flat_workgroup_size: 1024
    .name:           _Z19_skinny_gemm_kernelILi1ELi2ELi5ELi16ELi4EEvPKhS1_P6__halfPKfiiiiiiii
    .private_segment_fixed_size: 0
    .sgpr_count:     71
    .sgpr_spill_count: 0
    .symbol:         _Z19_skinny_gemm_kernelILi1ELi2ELi5ELi16ELi4EEvPKhS1_P6__halfPKfiiiiiiii.kd
    .uniform_work_group_size: 1
    .uses_dynamic_stack: false
    .vgpr_count:     50
    .vgpr_spill_count: 0
    .wavefront_size: 64
  - .agpr_count:     0
    .args:
      - .address_space:  global
        .offset:         0
        .size:           8
        .value_kind:     global_buffer
      - .address_space:  global
        .offset:         8
        .size:           8
        .value_kind:     global_buffer
      - .address_space:  global
        .offset:         16
        .size:           8
        .value_kind:     global_buffer
      - .address_space:  global
        .offset:         24
        .size:           8
        .value_kind:     global_buffer
      - .offset:         32
        .size:           4
        .value_kind:     by_value
      - .offset:         36
        .size:           4
        .value_kind:     by_value
      - .offset:         40
        .size:           4
        .value_kind:     by_value
      - .offset:         44
        .size:           4
        .value_kind:     by_value
      - .offset:         48
        .size:           4
        .value_kind:     by_value
      - .offset:         52
        .size:           4
        .value_kind:     by_value
      - .offset:         56
        .size:           4
        .value_kind:     by_value
      - .offset:         60
        .size:           4
        .value_kind:     by_value
    .group_segment_fixed_size: 61500
    .kernarg_segment_align: 8
    .kernarg_segment_size: 64
    .language:       OpenCL C
    .language_version:
      - 2
      - 0
    .max_flat_workgroup_size: 1024
    .name:           _Z19_skinny_gemm_kernelILi1ELi2ELi5ELi16ELi8EEvPKhS1_P6__halfPKfiiiiiiii
    .private_segment_fixed_size: 0
    .sgpr_count:     65
    .sgpr_spill_count: 0
    .symbol:         _Z19_skinny_gemm_kernelILi1ELi2ELi5ELi16ELi8EEvPKhS1_P6__halfPKfiiiiiiii.kd
    .uniform_work_group_size: 1
    .uses_dynamic_stack: false
    .vgpr_count:     62
    .vgpr_spill_count: 0
    .wavefront_size: 64
  - .agpr_count:     0
    .args:
      - .address_space:  global
        .offset:         0
        .size:           8
        .value_kind:     global_buffer
      - .address_space:  global
        .offset:         8
        .size:           8
        .value_kind:     global_buffer
      - .address_space:  global
        .offset:         16
        .size:           8
        .value_kind:     global_buffer
      - .address_space:  global
        .offset:         24
        .size:           8
        .value_kind:     global_buffer
      - .offset:         32
        .size:           4
        .value_kind:     by_value
      - .offset:         36
        .size:           4
        .value_kind:     by_value
      - .offset:         40
        .size:           4
        .value_kind:     by_value
      - .offset:         44
        .size:           4
        .value_kind:     by_value
      - .offset:         48
        .size:           4
        .value_kind:     by_value
      - .offset:         52
        .size:           4
        .value_kind:     by_value
      - .offset:         56
        .size:           4
        .value_kind:     by_value
      - .offset:         60
        .size:           4
        .value_kind:     by_value
    .group_segment_fixed_size: 30780
    .kernarg_segment_align: 8
    .kernarg_segment_size: 64
    .language:       OpenCL C
    .language_version:
      - 2
      - 0
    .max_flat_workgroup_size: 1024
    .name:           _Z19_skinny_gemm_kernelILi1ELi2ELi5ELi32ELi4EEvPKhS1_P6__halfPKfiiiiiiii
    .private_segment_fixed_size: 0
    .sgpr_count:     106
    .sgpr_spill_count: 37
    .symbol:         _Z19_skinny_gemm_kernelILi1ELi2ELi5ELi32ELi4EEvPKhS1_P6__halfPKfiiiiiiii.kd
    .uniform_work_group_size: 1
    .uses_dynamic_stack: false
    .vgpr_count:     101
    .vgpr_spill_count: 0
    .wavefront_size: 64
  - .agpr_count:     0
    .args:
      - .address_space:  global
        .offset:         0
        .size:           8
        .value_kind:     global_buffer
      - .address_space:  global
        .offset:         8
        .size:           8
        .value_kind:     global_buffer
      - .address_space:  global
        .offset:         16
        .size:           8
        .value_kind:     global_buffer
      - .address_space:  global
        .offset:         24
        .size:           8
        .value_kind:     global_buffer
      - .offset:         32
        .size:           4
        .value_kind:     by_value
      - .offset:         36
        .size:           4
        .value_kind:     by_value
      - .offset:         40
        .size:           4
        .value_kind:     by_value
      - .offset:         44
        .size:           4
        .value_kind:     by_value
      - .offset:         48
        .size:           4
        .value_kind:     by_value
      - .offset:         52
        .size:           4
        .value_kind:     by_value
      - .offset:         56
        .size:           4
        .value_kind:     by_value
      - .offset:         60
        .size:           4
        .value_kind:     by_value
    .group_segment_fixed_size: 61500
    .kernarg_segment_align: 8
    .kernarg_segment_size: 64
    .language:       OpenCL C
    .language_version:
      - 2
      - 0
    .max_flat_workgroup_size: 1024
    .name:           _Z19_skinny_gemm_kernelILi1ELi2ELi5ELi32ELi8EEvPKhS1_P6__halfPKfiiiiiiii
    .private_segment_fixed_size: 0
    .sgpr_count:     106
    .sgpr_spill_count: 37
    .symbol:         _Z19_skinny_gemm_kernelILi1ELi2ELi5ELi32ELi8EEvPKhS1_P6__halfPKfiiiiiiii.kd
    .uniform_work_group_size: 1
    .uses_dynamic_stack: false
    .vgpr_count:     108
    .vgpr_spill_count: 0
    .wavefront_size: 64
  - .agpr_count:     0
    .args:
      - .address_space:  global
        .offset:         0
        .size:           8
        .value_kind:     global_buffer
      - .address_space:  global
        .offset:         8
        .size:           8
        .value_kind:     global_buffer
      - .address_space:  global
        .offset:         16
        .size:           8
        .value_kind:     global_buffer
      - .address_space:  global
        .offset:         24
        .size:           8
        .value_kind:     global_buffer
      - .offset:         32
        .size:           4
        .value_kind:     by_value
      - .offset:         36
        .size:           4
        .value_kind:     by_value
      - .offset:         40
        .size:           4
        .value_kind:     by_value
      - .offset:         44
        .size:           4
        .value_kind:     by_value
      - .offset:         48
        .size:           4
        .value_kind:     by_value
      - .offset:         52
        .size:           4
        .value_kind:     by_value
      - .offset:         56
        .size:           4
        .value_kind:     by_value
      - .offset:         60
        .size:           4
        .value_kind:     by_value
    .group_segment_fixed_size: 61512
    .kernarg_segment_align: 8
    .kernarg_segment_size: 64
    .language:       OpenCL C
    .language_version:
      - 2
      - 0
    .max_flat_workgroup_size: 1024
    .name:           _Z19_skinny_gemm_kernelILi1ELi2ELi6ELi8ELi4EEvPKhS1_P6__halfPKfiiiiiiii
    .private_segment_fixed_size: 0
    .sgpr_count:     63
    .sgpr_spill_count: 0
    .symbol:         _Z19_skinny_gemm_kernelILi1ELi2ELi6ELi8ELi4EEvPKhS1_P6__halfPKfiiiiiiii.kd
    .uniform_work_group_size: 1
    .uses_dynamic_stack: false
    .vgpr_count:     55
    .vgpr_spill_count: 0
    .wavefront_size: 64
  - .agpr_count:     0
    .args:
      - .address_space:  global
        .offset:         0
        .size:           8
        .value_kind:     global_buffer
      - .address_space:  global
        .offset:         8
        .size:           8
        .value_kind:     global_buffer
      - .address_space:  global
        .offset:         16
        .size:           8
        .value_kind:     global_buffer
      - .address_space:  global
        .offset:         24
        .size:           8
        .value_kind:     global_buffer
      - .offset:         32
        .size:           4
        .value_kind:     by_value
      - .offset:         36
        .size:           4
        .value_kind:     by_value
      - .offset:         40
        .size:           4
        .value_kind:     by_value
      - .offset:         44
        .size:           4
        .value_kind:     by_value
      - .offset:         48
        .size:           4
        .value_kind:     by_value
      - .offset:         52
        .size:           4
        .value_kind:     by_value
      - .offset:         56
        .size:           4
        .value_kind:     by_value
      - .offset:         60
        .size:           4
        .value_kind:     by_value
    .group_segment_fixed_size: 36936
    .kernarg_segment_align: 8
    .kernarg_segment_size: 64
    .language:       OpenCL C
    .language_version:
      - 2
      - 0
    .max_flat_workgroup_size: 1024
    .name:           _Z19_skinny_gemm_kernelILi1ELi2ELi6ELi16ELi4EEvPKhS1_P6__halfPKfiiiiiiii
    .private_segment_fixed_size: 0
    .sgpr_count:     71
    .sgpr_spill_count: 0
    .symbol:         _Z19_skinny_gemm_kernelILi1ELi2ELi6ELi16ELi4EEvPKhS1_P6__halfPKfiiiiiiii.kd
    .uniform_work_group_size: 1
    .uses_dynamic_stack: false
    .vgpr_count:     50
    .vgpr_spill_count: 0
    .wavefront_size: 64
  - .agpr_count:     0
    .args:
      - .address_space:  global
        .offset:         0
        .size:           8
        .value_kind:     global_buffer
      - .address_space:  global
        .offset:         8
        .size:           8
        .value_kind:     global_buffer
      - .address_space:  global
        .offset:         16
        .size:           8
        .value_kind:     global_buffer
      - .address_space:  global
        .offset:         24
        .size:           8
        .value_kind:     global_buffer
      - .offset:         32
        .size:           4
        .value_kind:     by_value
      - .offset:         36
        .size:           4
        .value_kind:     by_value
      - .offset:         40
        .size:           4
        .value_kind:     by_value
      - .offset:         44
        .size:           4
        .value_kind:     by_value
      - .offset:         48
        .size:           4
        .value_kind:     by_value
      - .offset:         52
        .size:           4
        .value_kind:     by_value
      - .offset:         56
        .size:           4
        .value_kind:     by_value
      - .offset:         60
        .size:           4
        .value_kind:     by_value
    .group_segment_fixed_size: 36936
    .kernarg_segment_align: 8
    .kernarg_segment_size: 64
    .language:       OpenCL C
    .language_version:
      - 2
      - 0
    .max_flat_workgroup_size: 1024
    .name:           _Z19_skinny_gemm_kernelILi1ELi2ELi6ELi32ELi4EEvPKhS1_P6__halfPKfiiiiiiii
    .private_segment_fixed_size: 0
    .sgpr_count:     106
    .sgpr_spill_count: 37
    .symbol:         _Z19_skinny_gemm_kernelILi1ELi2ELi6ELi32ELi4EEvPKhS1_P6__halfPKfiiiiiiii.kd
    .uniform_work_group_size: 1
    .uses_dynamic_stack: false
    .vgpr_count:     101
    .vgpr_spill_count: 0
    .wavefront_size: 64
  - .agpr_count:     0
    .args:
      - .address_space:  global
        .offset:         0
        .size:           8
        .value_kind:     global_buffer
      - .address_space:  global
        .offset:         8
        .size:           8
        .value_kind:     global_buffer
      - .address_space:  global
        .offset:         16
        .size:           8
        .value_kind:     global_buffer
      - .address_space:  global
        .offset:         24
        .size:           8
        .value_kind:     global_buffer
      - .offset:         32
        .size:           4
        .value_kind:     by_value
      - .offset:         36
        .size:           4
        .value_kind:     by_value
      - .offset:         40
        .size:           4
        .value_kind:     by_value
      - .offset:         44
        .size:           4
        .value_kind:     by_value
      - .offset:         48
        .size:           4
        .value_kind:     by_value
      - .offset:         52
        .size:           4
        .value_kind:     by_value
      - .offset:         56
        .size:           4
        .value_kind:     by_value
      - .offset:         60
        .size:           4
        .value_kind:     by_value
    .group_segment_fixed_size: 14352
    .kernarg_segment_align: 8
    .kernarg_segment_size: 64
    .language:       OpenCL C
    .language_version:
      - 2
      - 0
    .max_flat_workgroup_size: 1024
    .name:           _Z19_skinny_gemm_kernelILi1ELi3ELi1ELi8ELi4EEvPKhS1_P6__halfPKfiiiiiiii
    .private_segment_fixed_size: 0
    .sgpr_count:     65
    .sgpr_spill_count: 0
    .symbol:         _Z19_skinny_gemm_kernelILi1ELi3ELi1ELi8ELi4EEvPKhS1_P6__halfPKfiiiiiiii.kd
    .uniform_work_group_size: 1
    .uses_dynamic_stack: false
    .vgpr_count:     59
    .vgpr_spill_count: 0
    .wavefront_size: 64
  - .agpr_count:     0
    .args:
      - .address_space:  global
        .offset:         0
        .size:           8
        .value_kind:     global_buffer
      - .actual_access:  read_only
        .address_space:  global
        .offset:         8
        .size:           8
        .value_kind:     global_buffer
      - .address_space:  global
        .offset:         16
        .size:           8
        .value_kind:     global_buffer
      - .address_space:  global
        .offset:         24
        .size:           8
        .value_kind:     global_buffer
      - .offset:         32
        .size:           4
        .value_kind:     by_value
      - .offset:         36
        .size:           4
        .value_kind:     by_value
      - .offset:         40
        .size:           4
        .value_kind:     by_value
      - .offset:         44
        .size:           4
        .value_kind:     by_value
      - .offset:         48
        .size:           4
        .value_kind:     by_value
      - .offset:         52
        .size:           4
        .value_kind:     by_value
      - .offset:         56
        .size:           4
        .value_kind:     by_value
      - .offset:         60
        .size:           4
        .value_kind:     by_value
    .group_segment_fixed_size: 28688
    .kernarg_segment_align: 8
    .kernarg_segment_size: 64
    .language:       OpenCL C
    .language_version:
      - 2
      - 0
    .max_flat_workgroup_size: 1024
    .name:           _Z19_skinny_gemm_kernelILi1ELi3ELi1ELi8ELi8EEvPKhS1_P6__halfPKfiiiiiiii
    .private_segment_fixed_size: 0
    .sgpr_count:     60
    .sgpr_spill_count: 0
    .symbol:         _Z19_skinny_gemm_kernelILi1ELi3ELi1ELi8ELi8EEvPKhS1_P6__halfPKfiiiiiiii.kd
    .uniform_work_group_size: 1
    .uses_dynamic_stack: false
    .vgpr_count:     62
    .vgpr_spill_count: 0
    .wavefront_size: 64
  - .agpr_count:     0
    .args:
      - .address_space:  global
        .offset:         0
        .size:           8
        .value_kind:     global_buffer
      - .address_space:  global
        .offset:         8
        .size:           8
        .value_kind:     global_buffer
      - .address_space:  global
        .offset:         16
        .size:           8
        .value_kind:     global_buffer
      - .address_space:  global
        .offset:         24
        .size:           8
        .value_kind:     global_buffer
      - .offset:         32
        .size:           4
        .value_kind:     by_value
      - .offset:         36
        .size:           4
        .value_kind:     by_value
      - .offset:         40
        .size:           4
        .value_kind:     by_value
      - .offset:         44
        .size:           4
        .value_kind:     by_value
      - .offset:         48
        .size:           4
        .value_kind:     by_value
      - .offset:         52
        .size:           4
        .value_kind:     by_value
      - .offset:         56
        .size:           4
        .value_kind:     by_value
      - .offset:         60
        .size:           4
        .value_kind:     by_value
    .group_segment_fixed_size: 8208
    .kernarg_segment_align: 8
    .kernarg_segment_size: 64
    .language:       OpenCL C
    .language_version:
      - 2
      - 0
    .max_flat_workgroup_size: 1024
    .name:           _Z19_skinny_gemm_kernelILi1ELi3ELi1ELi16ELi4EEvPKhS1_P6__halfPKfiiiiiiii
    .private_segment_fixed_size: 0
    .sgpr_count:     71
    .sgpr_spill_count: 0
    .symbol:         _Z19_skinny_gemm_kernelILi1ELi3ELi1ELi16ELi4EEvPKhS1_P6__halfPKfiiiiiiii.kd
    .uniform_work_group_size: 1
    .uses_dynamic_stack: false
    .vgpr_count:     55
    .vgpr_spill_count: 0
    .wavefront_size: 64
  - .agpr_count:     0
    .args:
      - .address_space:  global
        .offset:         0
        .size:           8
        .value_kind:     global_buffer
      - .address_space:  global
        .offset:         8
        .size:           8
        .value_kind:     global_buffer
      - .address_space:  global
        .offset:         16
        .size:           8
        .value_kind:     global_buffer
      - .address_space:  global
        .offset:         24
        .size:           8
        .value_kind:     global_buffer
      - .offset:         32
        .size:           4
        .value_kind:     by_value
      - .offset:         36
        .size:           4
        .value_kind:     by_value
      - .offset:         40
        .size:           4
        .value_kind:     by_value
      - .offset:         44
        .size:           4
        .value_kind:     by_value
      - .offset:         48
        .size:           4
        .value_kind:     by_value
      - .offset:         52
        .size:           4
        .value_kind:     by_value
      - .offset:         56
        .size:           4
        .value_kind:     by_value
      - .offset:         60
        .size:           4
        .value_kind:     by_value
    .group_segment_fixed_size: 16400
    .kernarg_segment_align: 8
    .kernarg_segment_size: 64
    .language:       OpenCL C
    .language_version:
      - 2
      - 0
    .max_flat_workgroup_size: 1024
    .name:           _Z19_skinny_gemm_kernelILi1ELi3ELi1ELi16ELi8EEvPKhS1_P6__halfPKfiiiiiiii
    .private_segment_fixed_size: 0
    .sgpr_count:     71
    .sgpr_spill_count: 0
    .symbol:         _Z19_skinny_gemm_kernelILi1ELi3ELi1ELi16ELi8EEvPKhS1_P6__halfPKfiiiiiiii.kd
    .uniform_work_group_size: 1
    .uses_dynamic_stack: false
    .vgpr_count:     65
    .vgpr_spill_count: 0
    .wavefront_size: 64
  - .agpr_count:     0
    .args:
      - .address_space:  global
        .offset:         0
        .size:           8
        .value_kind:     global_buffer
      - .address_space:  global
        .offset:         8
        .size:           8
        .value_kind:     global_buffer
      - .address_space:  global
        .offset:         16
        .size:           8
        .value_kind:     global_buffer
      - .address_space:  global
        .offset:         24
        .size:           8
        .value_kind:     global_buffer
      - .offset:         32
        .size:           4
        .value_kind:     by_value
      - .offset:         36
        .size:           4
        .value_kind:     by_value
      - .offset:         40
        .size:           4
        .value_kind:     by_value
      - .offset:         44
        .size:           4
        .value_kind:     by_value
      - .offset:         48
        .size:           4
        .value_kind:     by_value
      - .offset:         52
        .size:           4
        .value_kind:     by_value
      - .offset:         56
        .size:           4
        .value_kind:     by_value
      - .offset:         60
        .size:           4
        .value_kind:     by_value
    .group_segment_fixed_size: 8208
    .kernarg_segment_align: 8
    .kernarg_segment_size: 64
    .language:       OpenCL C
    .language_version:
      - 2
      - 0
    .max_flat_workgroup_size: 1024
    .name:           _Z19_skinny_gemm_kernelILi1ELi3ELi1ELi32ELi4EEvPKhS1_P6__halfPKfiiiiiiii
    .private_segment_fixed_size: 0
    .sgpr_count:     106
    .sgpr_spill_count: 29
    .symbol:         _Z19_skinny_gemm_kernelILi1ELi3ELi1ELi32ELi4EEvPKhS1_P6__halfPKfiiiiiiii.kd
    .uniform_work_group_size: 1
    .uses_dynamic_stack: false
    .vgpr_count:     96
    .vgpr_spill_count: 0
    .wavefront_size: 64
  - .agpr_count:     0
    .args:
      - .address_space:  global
        .offset:         0
        .size:           8
        .value_kind:     global_buffer
      - .address_space:  global
        .offset:         8
        .size:           8
        .value_kind:     global_buffer
      - .address_space:  global
        .offset:         16
        .size:           8
        .value_kind:     global_buffer
      - .address_space:  global
        .offset:         24
        .size:           8
        .value_kind:     global_buffer
      - .offset:         32
        .size:           4
        .value_kind:     by_value
      - .offset:         36
        .size:           4
        .value_kind:     by_value
      - .offset:         40
        .size:           4
        .value_kind:     by_value
      - .offset:         44
        .size:           4
        .value_kind:     by_value
      - .offset:         48
        .size:           4
        .value_kind:     by_value
      - .offset:         52
        .size:           4
        .value_kind:     by_value
      - .offset:         56
        .size:           4
        .value_kind:     by_value
      - .offset:         60
        .size:           4
        .value_kind:     by_value
    .group_segment_fixed_size: 16400
    .kernarg_segment_align: 8
    .kernarg_segment_size: 64
    .language:       OpenCL C
    .language_version:
      - 2
      - 0
    .max_flat_workgroup_size: 1024
    .name:           _Z19_skinny_gemm_kernelILi1ELi3ELi1ELi32ELi8EEvPKhS1_P6__halfPKfiiiiiiii
    .private_segment_fixed_size: 0
    .sgpr_count:     106
    .sgpr_spill_count: 29
    .symbol:         _Z19_skinny_gemm_kernelILi1ELi3ELi1ELi32ELi8EEvPKhS1_P6__halfPKfiiiiiiii.kd
    .uniform_work_group_size: 1
    .uses_dynamic_stack: false
    .vgpr_count:     103
    .vgpr_spill_count: 0
    .wavefront_size: 64
  - .agpr_count:     0
    .args:
      - .address_space:  global
        .offset:         0
        .size:           8
        .value_kind:     global_buffer
      - .address_space:  global
        .offset:         8
        .size:           8
        .value_kind:     global_buffer
      - .address_space:  global
        .offset:         16
        .size:           8
        .value_kind:     global_buffer
      - .address_space:  global
        .offset:         24
        .size:           8
        .value_kind:     global_buffer
      - .offset:         32
        .size:           4
        .value_kind:     by_value
      - .offset:         36
        .size:           4
        .value_kind:     by_value
      - .offset:         40
        .size:           4
        .value_kind:     by_value
      - .offset:         44
        .size:           4
        .value_kind:     by_value
      - .offset:         48
        .size:           4
        .value_kind:     by_value
      - .offset:         52
        .size:           4
        .value_kind:     by_value
      - .offset:         56
        .size:           4
        .value_kind:     by_value
      - .offset:         60
        .size:           4
        .value_kind:     by_value
    .group_segment_fixed_size: 28704
    .kernarg_segment_align: 8
    .kernarg_segment_size: 64
    .language:       OpenCL C
    .language_version:
      - 2
      - 0
    .max_flat_workgroup_size: 1024
    .name:           _Z19_skinny_gemm_kernelILi1ELi3ELi2ELi8ELi4EEvPKhS1_P6__halfPKfiiiiiiii
    .private_segment_fixed_size: 0
    .sgpr_count:     65
    .sgpr_spill_count: 0
    .symbol:         _Z19_skinny_gemm_kernelILi1ELi3ELi2ELi8ELi4EEvPKhS1_P6__halfPKfiiiiiiii.kd
    .uniform_work_group_size: 1
    .uses_dynamic_stack: false
    .vgpr_count:     59
    .vgpr_spill_count: 0
    .wavefront_size: 64
  - .agpr_count:     0
    .args:
      - .address_space:  global
        .offset:         0
        .size:           8
        .value_kind:     global_buffer
      - .actual_access:  read_only
        .address_space:  global
        .offset:         8
        .size:           8
        .value_kind:     global_buffer
      - .address_space:  global
        .offset:         16
        .size:           8
        .value_kind:     global_buffer
      - .address_space:  global
        .offset:         24
        .size:           8
        .value_kind:     global_buffer
      - .offset:         32
        .size:           4
        .value_kind:     by_value
      - .offset:         36
        .size:           4
        .value_kind:     by_value
      - .offset:         40
        .size:           4
        .value_kind:     by_value
      - .offset:         44
        .size:           4
        .value_kind:     by_value
      - .offset:         48
        .size:           4
        .value_kind:     by_value
      - .offset:         52
        .size:           4
        .value_kind:     by_value
      - .offset:         56
        .size:           4
        .value_kind:     by_value
      - .offset:         60
        .size:           4
        .value_kind:     by_value
    .group_segment_fixed_size: 57376
    .kernarg_segment_align: 8
    .kernarg_segment_size: 64
    .language:       OpenCL C
    .language_version:
      - 2
      - 0
    .max_flat_workgroup_size: 1024
    .name:           _Z19_skinny_gemm_kernelILi1ELi3ELi2ELi8ELi8EEvPKhS1_P6__halfPKfiiiiiiii
    .private_segment_fixed_size: 0
    .sgpr_count:     60
    .sgpr_spill_count: 0
    .symbol:         _Z19_skinny_gemm_kernelILi1ELi3ELi2ELi8ELi8EEvPKhS1_P6__halfPKfiiiiiiii.kd
    .uniform_work_group_size: 1
    .uses_dynamic_stack: false
    .vgpr_count:     62
    .vgpr_spill_count: 0
    .wavefront_size: 64
  - .agpr_count:     0
    .args:
      - .address_space:  global
        .offset:         0
        .size:           8
        .value_kind:     global_buffer
      - .address_space:  global
        .offset:         8
        .size:           8
        .value_kind:     global_buffer
      - .address_space:  global
        .offset:         16
        .size:           8
        .value_kind:     global_buffer
      - .address_space:  global
        .offset:         24
        .size:           8
        .value_kind:     global_buffer
      - .offset:         32
        .size:           4
        .value_kind:     by_value
      - .offset:         36
        .size:           4
        .value_kind:     by_value
      - .offset:         40
        .size:           4
        .value_kind:     by_value
      - .offset:         44
        .size:           4
        .value_kind:     by_value
      - .offset:         48
        .size:           4
        .value_kind:     by_value
      - .offset:         52
        .size:           4
        .value_kind:     by_value
      - .offset:         56
        .size:           4
        .value_kind:     by_value
      - .offset:         60
        .size:           4
        .value_kind:     by_value
    .group_segment_fixed_size: 16416
    .kernarg_segment_align: 8
    .kernarg_segment_size: 64
    .language:       OpenCL C
    .language_version:
      - 2
      - 0
    .max_flat_workgroup_size: 1024
    .name:           _Z19_skinny_gemm_kernelILi1ELi3ELi2ELi16ELi4EEvPKhS1_P6__halfPKfiiiiiiii
    .private_segment_fixed_size: 0
    .sgpr_count:     71
    .sgpr_spill_count: 0
    .symbol:         _Z19_skinny_gemm_kernelILi1ELi3ELi2ELi16ELi4EEvPKhS1_P6__halfPKfiiiiiiii.kd
    .uniform_work_group_size: 1
    .uses_dynamic_stack: false
    .vgpr_count:     53
    .vgpr_spill_count: 0
    .wavefront_size: 64
  - .agpr_count:     0
    .args:
      - .address_space:  global
        .offset:         0
        .size:           8
        .value_kind:     global_buffer
      - .address_space:  global
        .offset:         8
        .size:           8
        .value_kind:     global_buffer
      - .address_space:  global
        .offset:         16
        .size:           8
        .value_kind:     global_buffer
      - .address_space:  global
        .offset:         24
        .size:           8
        .value_kind:     global_buffer
      - .offset:         32
        .size:           4
        .value_kind:     by_value
      - .offset:         36
        .size:           4
        .value_kind:     by_value
      - .offset:         40
        .size:           4
        .value_kind:     by_value
      - .offset:         44
        .size:           4
        .value_kind:     by_value
      - .offset:         48
        .size:           4
        .value_kind:     by_value
      - .offset:         52
        .size:           4
        .value_kind:     by_value
      - .offset:         56
        .size:           4
        .value_kind:     by_value
      - .offset:         60
        .size:           4
        .value_kind:     by_value
    .group_segment_fixed_size: 32800
    .kernarg_segment_align: 8
    .kernarg_segment_size: 64
    .language:       OpenCL C
    .language_version:
      - 2
      - 0
    .max_flat_workgroup_size: 1024
    .name:           _Z19_skinny_gemm_kernelILi1ELi3ELi2ELi16ELi8EEvPKhS1_P6__halfPKfiiiiiiii
    .private_segment_fixed_size: 0
    .sgpr_count:     71
    .sgpr_spill_count: 0
    .symbol:         _Z19_skinny_gemm_kernelILi1ELi3ELi2ELi16ELi8EEvPKhS1_P6__halfPKfiiiiiiii.kd
    .uniform_work_group_size: 1
    .uses_dynamic_stack: false
    .vgpr_count:     65
    .vgpr_spill_count: 0
    .wavefront_size: 64
  - .agpr_count:     0
    .args:
      - .address_space:  global
        .offset:         0
        .size:           8
        .value_kind:     global_buffer
      - .address_space:  global
        .offset:         8
        .size:           8
        .value_kind:     global_buffer
      - .address_space:  global
        .offset:         16
        .size:           8
        .value_kind:     global_buffer
      - .address_space:  global
        .offset:         24
        .size:           8
        .value_kind:     global_buffer
      - .offset:         32
        .size:           4
        .value_kind:     by_value
      - .offset:         36
        .size:           4
        .value_kind:     by_value
      - .offset:         40
        .size:           4
        .value_kind:     by_value
      - .offset:         44
        .size:           4
        .value_kind:     by_value
      - .offset:         48
        .size:           4
        .value_kind:     by_value
      - .offset:         52
        .size:           4
        .value_kind:     by_value
      - .offset:         56
        .size:           4
        .value_kind:     by_value
      - .offset:         60
        .size:           4
        .value_kind:     by_value
    .group_segment_fixed_size: 16416
    .kernarg_segment_align: 8
    .kernarg_segment_size: 64
    .language:       OpenCL C
    .language_version:
      - 2
      - 0
    .max_flat_workgroup_size: 1024
    .name:           _Z19_skinny_gemm_kernelILi1ELi3ELi2ELi32ELi4EEvPKhS1_P6__halfPKfiiiiiiii
    .private_segment_fixed_size: 0
    .sgpr_count:     106
    .sgpr_spill_count: 29
    .symbol:         _Z19_skinny_gemm_kernelILi1ELi3ELi2ELi32ELi4EEvPKhS1_P6__halfPKfiiiiiiii.kd
    .uniform_work_group_size: 1
    .uses_dynamic_stack: false
    .vgpr_count:     96
    .vgpr_spill_count: 0
    .wavefront_size: 64
  - .agpr_count:     0
    .args:
      - .address_space:  global
        .offset:         0
        .size:           8
        .value_kind:     global_buffer
      - .address_space:  global
        .offset:         8
        .size:           8
        .value_kind:     global_buffer
      - .address_space:  global
        .offset:         16
        .size:           8
        .value_kind:     global_buffer
      - .address_space:  global
        .offset:         24
        .size:           8
        .value_kind:     global_buffer
      - .offset:         32
        .size:           4
        .value_kind:     by_value
      - .offset:         36
        .size:           4
        .value_kind:     by_value
      - .offset:         40
        .size:           4
        .value_kind:     by_value
      - .offset:         44
        .size:           4
        .value_kind:     by_value
      - .offset:         48
        .size:           4
        .value_kind:     by_value
      - .offset:         52
        .size:           4
        .value_kind:     by_value
      - .offset:         56
        .size:           4
        .value_kind:     by_value
      - .offset:         60
        .size:           4
        .value_kind:     by_value
    .group_segment_fixed_size: 32800
    .kernarg_segment_align: 8
    .kernarg_segment_size: 64
    .language:       OpenCL C
    .language_version:
      - 2
      - 0
    .max_flat_workgroup_size: 1024
    .name:           _Z19_skinny_gemm_kernelILi1ELi3ELi2ELi32ELi8EEvPKhS1_P6__halfPKfiiiiiiii
    .private_segment_fixed_size: 0
    .sgpr_count:     106
    .sgpr_spill_count: 29
    .symbol:         _Z19_skinny_gemm_kernelILi1ELi3ELi2ELi32ELi8EEvPKhS1_P6__halfPKfiiiiiiii.kd
    .uniform_work_group_size: 1
    .uses_dynamic_stack: false
    .vgpr_count:     103
    .vgpr_spill_count: 0
    .wavefront_size: 64
  - .agpr_count:     0
    .args:
      - .address_space:  global
        .offset:         0
        .size:           8
        .value_kind:     global_buffer
      - .address_space:  global
        .offset:         8
        .size:           8
        .value_kind:     global_buffer
      - .address_space:  global
        .offset:         16
        .size:           8
        .value_kind:     global_buffer
      - .address_space:  global
        .offset:         24
        .size:           8
        .value_kind:     global_buffer
      - .offset:         32
        .size:           4
        .value_kind:     by_value
      - .offset:         36
        .size:           4
        .value_kind:     by_value
      - .offset:         40
        .size:           4
        .value_kind:     by_value
      - .offset:         44
        .size:           4
        .value_kind:     by_value
      - .offset:         48
        .size:           4
        .value_kind:     by_value
      - .offset:         52
        .size:           4
        .value_kind:     by_value
      - .offset:         56
        .size:           4
        .value_kind:     by_value
      - .offset:         60
        .size:           4
        .value_kind:     by_value
    .group_segment_fixed_size: 43056
    .kernarg_segment_align: 8
    .kernarg_segment_size: 64
    .language:       OpenCL C
    .language_version:
      - 2
      - 0
    .max_flat_workgroup_size: 1024
    .name:           _Z19_skinny_gemm_kernelILi1ELi3ELi3ELi8ELi4EEvPKhS1_P6__halfPKfiiiiiiii
    .private_segment_fixed_size: 0
    .sgpr_count:     65
    .sgpr_spill_count: 0
    .symbol:         _Z19_skinny_gemm_kernelILi1ELi3ELi3ELi8ELi4EEvPKhS1_P6__halfPKfiiiiiiii.kd
    .uniform_work_group_size: 1
    .uses_dynamic_stack: false
    .vgpr_count:     59
    .vgpr_spill_count: 0
    .wavefront_size: 64
  - .agpr_count:     0
    .args:
      - .address_space:  global
        .offset:         0
        .size:           8
        .value_kind:     global_buffer
      - .address_space:  global
        .offset:         8
        .size:           8
        .value_kind:     global_buffer
      - .address_space:  global
        .offset:         16
        .size:           8
        .value_kind:     global_buffer
      - .address_space:  global
        .offset:         24
        .size:           8
        .value_kind:     global_buffer
      - .offset:         32
        .size:           4
        .value_kind:     by_value
      - .offset:         36
        .size:           4
        .value_kind:     by_value
      - .offset:         40
        .size:           4
        .value_kind:     by_value
      - .offset:         44
        .size:           4
        .value_kind:     by_value
      - .offset:         48
        .size:           4
        .value_kind:     by_value
      - .offset:         52
        .size:           4
        .value_kind:     by_value
      - .offset:         56
        .size:           4
        .value_kind:     by_value
      - .offset:         60
        .size:           4
        .value_kind:     by_value
    .group_segment_fixed_size: 24624
    .kernarg_segment_align: 8
    .kernarg_segment_size: 64
    .language:       OpenCL C
    .language_version:
      - 2
      - 0
    .max_flat_workgroup_size: 1024
    .name:           _Z19_skinny_gemm_kernelILi1ELi3ELi3ELi16ELi4EEvPKhS1_P6__halfPKfiiiiiiii
    .private_segment_fixed_size: 0
    .sgpr_count:     71
    .sgpr_spill_count: 0
    .symbol:         _Z19_skinny_gemm_kernelILi1ELi3ELi3ELi16ELi4EEvPKhS1_P6__halfPKfiiiiiiii.kd
    .uniform_work_group_size: 1
    .uses_dynamic_stack: false
    .vgpr_count:     55
    .vgpr_spill_count: 0
    .wavefront_size: 64
  - .agpr_count:     0
    .args:
      - .address_space:  global
        .offset:         0
        .size:           8
        .value_kind:     global_buffer
      - .address_space:  global
        .offset:         8
        .size:           8
        .value_kind:     global_buffer
      - .address_space:  global
        .offset:         16
        .size:           8
        .value_kind:     global_buffer
      - .address_space:  global
        .offset:         24
        .size:           8
        .value_kind:     global_buffer
      - .offset:         32
        .size:           4
        .value_kind:     by_value
      - .offset:         36
        .size:           4
        .value_kind:     by_value
      - .offset:         40
        .size:           4
        .value_kind:     by_value
      - .offset:         44
        .size:           4
        .value_kind:     by_value
      - .offset:         48
        .size:           4
        .value_kind:     by_value
      - .offset:         52
        .size:           4
        .value_kind:     by_value
      - .offset:         56
        .size:           4
        .value_kind:     by_value
      - .offset:         60
        .size:           4
        .value_kind:     by_value
    .group_segment_fixed_size: 49200
    .kernarg_segment_align: 8
    .kernarg_segment_size: 64
    .language:       OpenCL C
    .language_version:
      - 2
      - 0
    .max_flat_workgroup_size: 1024
    .name:           _Z19_skinny_gemm_kernelILi1ELi3ELi3ELi16ELi8EEvPKhS1_P6__halfPKfiiiiiiii
    .private_segment_fixed_size: 0
    .sgpr_count:     71
    .sgpr_spill_count: 0
    .symbol:         _Z19_skinny_gemm_kernelILi1ELi3ELi3ELi16ELi8EEvPKhS1_P6__halfPKfiiiiiiii.kd
    .uniform_work_group_size: 1
    .uses_dynamic_stack: false
    .vgpr_count:     65
    .vgpr_spill_count: 0
    .wavefront_size: 64
  - .agpr_count:     0
    .args:
      - .address_space:  global
        .offset:         0
        .size:           8
        .value_kind:     global_buffer
      - .address_space:  global
        .offset:         8
        .size:           8
        .value_kind:     global_buffer
      - .address_space:  global
        .offset:         16
        .size:           8
        .value_kind:     global_buffer
      - .address_space:  global
        .offset:         24
        .size:           8
        .value_kind:     global_buffer
      - .offset:         32
        .size:           4
        .value_kind:     by_value
      - .offset:         36
        .size:           4
        .value_kind:     by_value
      - .offset:         40
        .size:           4
        .value_kind:     by_value
      - .offset:         44
        .size:           4
        .value_kind:     by_value
      - .offset:         48
        .size:           4
        .value_kind:     by_value
      - .offset:         52
        .size:           4
        .value_kind:     by_value
      - .offset:         56
        .size:           4
        .value_kind:     by_value
      - .offset:         60
        .size:           4
        .value_kind:     by_value
    .group_segment_fixed_size: 24624
    .kernarg_segment_align: 8
    .kernarg_segment_size: 64
    .language:       OpenCL C
    .language_version:
      - 2
      - 0
    .max_flat_workgroup_size: 1024
    .name:           _Z19_skinny_gemm_kernelILi1ELi3ELi3ELi32ELi4EEvPKhS1_P6__halfPKfiiiiiiii
    .private_segment_fixed_size: 0
    .sgpr_count:     106
    .sgpr_spill_count: 29
    .symbol:         _Z19_skinny_gemm_kernelILi1ELi3ELi3ELi32ELi4EEvPKhS1_P6__halfPKfiiiiiiii.kd
    .uniform_work_group_size: 1
    .uses_dynamic_stack: false
    .vgpr_count:     96
    .vgpr_spill_count: 0
    .wavefront_size: 64
  - .agpr_count:     0
    .args:
      - .address_space:  global
        .offset:         0
        .size:           8
        .value_kind:     global_buffer
      - .address_space:  global
        .offset:         8
        .size:           8
        .value_kind:     global_buffer
      - .address_space:  global
        .offset:         16
        .size:           8
        .value_kind:     global_buffer
      - .address_space:  global
        .offset:         24
        .size:           8
        .value_kind:     global_buffer
      - .offset:         32
        .size:           4
        .value_kind:     by_value
      - .offset:         36
        .size:           4
        .value_kind:     by_value
      - .offset:         40
        .size:           4
        .value_kind:     by_value
      - .offset:         44
        .size:           4
        .value_kind:     by_value
      - .offset:         48
        .size:           4
        .value_kind:     by_value
      - .offset:         52
        .size:           4
        .value_kind:     by_value
      - .offset:         56
        .size:           4
        .value_kind:     by_value
      - .offset:         60
        .size:           4
        .value_kind:     by_value
    .group_segment_fixed_size: 49200
    .kernarg_segment_align: 8
    .kernarg_segment_size: 64
    .language:       OpenCL C
    .language_version:
      - 2
      - 0
    .max_flat_workgroup_size: 1024
    .name:           _Z19_skinny_gemm_kernelILi1ELi3ELi3ELi32ELi8EEvPKhS1_P6__halfPKfiiiiiiii
    .private_segment_fixed_size: 0
    .sgpr_count:     106
    .sgpr_spill_count: 29
    .symbol:         _Z19_skinny_gemm_kernelILi1ELi3ELi3ELi32ELi8EEvPKhS1_P6__halfPKfiiiiiiii.kd
    .uniform_work_group_size: 1
    .uses_dynamic_stack: false
    .vgpr_count:     103
    .vgpr_spill_count: 0
    .wavefront_size: 64
  - .agpr_count:     0
    .args:
      - .address_space:  global
        .offset:         0
        .size:           8
        .value_kind:     global_buffer
      - .address_space:  global
        .offset:         8
        .size:           8
        .value_kind:     global_buffer
      - .address_space:  global
        .offset:         16
        .size:           8
        .value_kind:     global_buffer
      - .address_space:  global
        .offset:         24
        .size:           8
        .value_kind:     global_buffer
      - .offset:         32
        .size:           4
        .value_kind:     by_value
      - .offset:         36
        .size:           4
        .value_kind:     by_value
      - .offset:         40
        .size:           4
        .value_kind:     by_value
      - .offset:         44
        .size:           4
        .value_kind:     by_value
      - .offset:         48
        .size:           4
        .value_kind:     by_value
      - .offset:         52
        .size:           4
        .value_kind:     by_value
      - .offset:         56
        .size:           4
        .value_kind:     by_value
      - .offset:         60
        .size:           4
        .value_kind:     by_value
    .group_segment_fixed_size: 57408
    .kernarg_segment_align: 8
    .kernarg_segment_size: 64
    .language:       OpenCL C
    .language_version:
      - 2
      - 0
    .max_flat_workgroup_size: 1024
    .name:           _Z19_skinny_gemm_kernelILi1ELi3ELi4ELi8ELi4EEvPKhS1_P6__halfPKfiiiiiiii
    .private_segment_fixed_size: 0
    .sgpr_count:     65
    .sgpr_spill_count: 0
    .symbol:         _Z19_skinny_gemm_kernelILi1ELi3ELi4ELi8ELi4EEvPKhS1_P6__halfPKfiiiiiiii.kd
    .uniform_work_group_size: 1
    .uses_dynamic_stack: false
    .vgpr_count:     59
    .vgpr_spill_count: 0
    .wavefront_size: 64
  - .agpr_count:     0
    .args:
      - .address_space:  global
        .offset:         0
        .size:           8
        .value_kind:     global_buffer
      - .address_space:  global
        .offset:         8
        .size:           8
        .value_kind:     global_buffer
      - .address_space:  global
        .offset:         16
        .size:           8
        .value_kind:     global_buffer
      - .address_space:  global
        .offset:         24
        .size:           8
        .value_kind:     global_buffer
      - .offset:         32
        .size:           4
        .value_kind:     by_value
      - .offset:         36
        .size:           4
        .value_kind:     by_value
      - .offset:         40
        .size:           4
        .value_kind:     by_value
      - .offset:         44
        .size:           4
        .value_kind:     by_value
      - .offset:         48
        .size:           4
        .value_kind:     by_value
      - .offset:         52
        .size:           4
        .value_kind:     by_value
      - .offset:         56
        .size:           4
        .value_kind:     by_value
      - .offset:         60
        .size:           4
        .value_kind:     by_value
    .group_segment_fixed_size: 32832
    .kernarg_segment_align: 8
    .kernarg_segment_size: 64
    .language:       OpenCL C
    .language_version:
      - 2
      - 0
    .max_flat_workgroup_size: 1024
    .name:           _Z19_skinny_gemm_kernelILi1ELi3ELi4ELi16ELi4EEvPKhS1_P6__halfPKfiiiiiiii
    .private_segment_fixed_size: 0
    .sgpr_count:     71
    .sgpr_spill_count: 0
    .symbol:         _Z19_skinny_gemm_kernelILi1ELi3ELi4ELi16ELi4EEvPKhS1_P6__halfPKfiiiiiiii.kd
    .uniform_work_group_size: 1
    .uses_dynamic_stack: false
    .vgpr_count:     53
    .vgpr_spill_count: 0
    .wavefront_size: 64
  - .agpr_count:     0
    .args:
      - .address_space:  global
        .offset:         0
        .size:           8
        .value_kind:     global_buffer
      - .address_space:  global
        .offset:         8
        .size:           8
        .value_kind:     global_buffer
      - .address_space:  global
        .offset:         16
        .size:           8
        .value_kind:     global_buffer
      - .address_space:  global
        .offset:         24
        .size:           8
        .value_kind:     global_buffer
      - .offset:         32
        .size:           4
        .value_kind:     by_value
      - .offset:         36
        .size:           4
        .value_kind:     by_value
      - .offset:         40
        .size:           4
        .value_kind:     by_value
      - .offset:         44
        .size:           4
        .value_kind:     by_value
      - .offset:         48
        .size:           4
        .value_kind:     by_value
      - .offset:         52
        .size:           4
        .value_kind:     by_value
      - .offset:         56
        .size:           4
        .value_kind:     by_value
      - .offset:         60
        .size:           4
        .value_kind:     by_value
    .group_segment_fixed_size: 32832
    .kernarg_segment_align: 8
    .kernarg_segment_size: 64
    .language:       OpenCL C
    .language_version:
      - 2
      - 0
    .max_flat_workgroup_size: 1024
    .name:           _Z19_skinny_gemm_kernelILi1ELi3ELi4ELi32ELi4EEvPKhS1_P6__halfPKfiiiiiiii
    .private_segment_fixed_size: 0
    .sgpr_count:     106
    .sgpr_spill_count: 29
    .symbol:         _Z19_skinny_gemm_kernelILi1ELi3ELi4ELi32ELi4EEvPKhS1_P6__halfPKfiiiiiiii.kd
    .uniform_work_group_size: 1
    .uses_dynamic_stack: false
    .vgpr_count:     96
    .vgpr_spill_count: 0
    .wavefront_size: 64
  - .agpr_count:     0
    .args:
      - .address_space:  global
        .offset:         0
        .size:           8
        .value_kind:     global_buffer
      - .address_space:  global
        .offset:         8
        .size:           8
        .value_kind:     global_buffer
      - .address_space:  global
        .offset:         16
        .size:           8
        .value_kind:     global_buffer
      - .address_space:  global
        .offset:         24
        .size:           8
        .value_kind:     global_buffer
      - .offset:         32
        .size:           4
        .value_kind:     by_value
      - .offset:         36
        .size:           4
        .value_kind:     by_value
      - .offset:         40
        .size:           4
        .value_kind:     by_value
      - .offset:         44
        .size:           4
        .value_kind:     by_value
      - .offset:         48
        .size:           4
        .value_kind:     by_value
      - .offset:         52
        .size:           4
        .value_kind:     by_value
      - .offset:         56
        .size:           4
        .value_kind:     by_value
      - .offset:         60
        .size:           4
        .value_kind:     by_value
    .group_segment_fixed_size: 41040
    .kernarg_segment_align: 8
    .kernarg_segment_size: 64
    .language:       OpenCL C
    .language_version:
      - 2
      - 0
    .max_flat_workgroup_size: 1024
    .name:           _Z19_skinny_gemm_kernelILi1ELi3ELi5ELi16ELi4EEvPKhS1_P6__halfPKfiiiiiiii
    .private_segment_fixed_size: 0
    .sgpr_count:     71
    .sgpr_spill_count: 0
    .symbol:         _Z19_skinny_gemm_kernelILi1ELi3ELi5ELi16ELi4EEvPKhS1_P6__halfPKfiiiiiiii.kd
    .uniform_work_group_size: 1
    .uses_dynamic_stack: false
    .vgpr_count:     55
    .vgpr_spill_count: 0
    .wavefront_size: 64
  - .agpr_count:     0
    .args:
      - .address_space:  global
        .offset:         0
        .size:           8
        .value_kind:     global_buffer
      - .address_space:  global
        .offset:         8
        .size:           8
        .value_kind:     global_buffer
      - .address_space:  global
        .offset:         16
        .size:           8
        .value_kind:     global_buffer
      - .address_space:  global
        .offset:         24
        .size:           8
        .value_kind:     global_buffer
      - .offset:         32
        .size:           4
        .value_kind:     by_value
      - .offset:         36
        .size:           4
        .value_kind:     by_value
      - .offset:         40
        .size:           4
        .value_kind:     by_value
      - .offset:         44
        .size:           4
        .value_kind:     by_value
      - .offset:         48
        .size:           4
        .value_kind:     by_value
      - .offset:         52
        .size:           4
        .value_kind:     by_value
      - .offset:         56
        .size:           4
        .value_kind:     by_value
      - .offset:         60
        .size:           4
        .value_kind:     by_value
    .group_segment_fixed_size: 41040
    .kernarg_segment_align: 8
    .kernarg_segment_size: 64
    .language:       OpenCL C
    .language_version:
      - 2
      - 0
    .max_flat_workgroup_size: 1024
    .name:           _Z19_skinny_gemm_kernelILi1ELi3ELi5ELi32ELi4EEvPKhS1_P6__halfPKfiiiiiiii
    .private_segment_fixed_size: 0
    .sgpr_count:     106
    .sgpr_spill_count: 29
    .symbol:         _Z19_skinny_gemm_kernelILi1ELi3ELi5ELi32ELi4EEvPKhS1_P6__halfPKfiiiiiiii.kd
    .uniform_work_group_size: 1
    .uses_dynamic_stack: false
    .vgpr_count:     96
    .vgpr_spill_count: 0
    .wavefront_size: 64
  - .agpr_count:     0
    .args:
      - .address_space:  global
        .offset:         0
        .size:           8
        .value_kind:     global_buffer
      - .address_space:  global
        .offset:         8
        .size:           8
        .value_kind:     global_buffer
      - .address_space:  global
        .offset:         16
        .size:           8
        .value_kind:     global_buffer
      - .address_space:  global
        .offset:         24
        .size:           8
        .value_kind:     global_buffer
      - .offset:         32
        .size:           4
        .value_kind:     by_value
      - .offset:         36
        .size:           4
        .value_kind:     by_value
      - .offset:         40
        .size:           4
        .value_kind:     by_value
      - .offset:         44
        .size:           4
        .value_kind:     by_value
      - .offset:         48
        .size:           4
        .value_kind:     by_value
      - .offset:         52
        .size:           4
        .value_kind:     by_value
      - .offset:         56
        .size:           4
        .value_kind:     by_value
      - .offset:         60
        .size:           4
        .value_kind:     by_value
    .group_segment_fixed_size: 49248
    .kernarg_segment_align: 8
    .kernarg_segment_size: 64
    .language:       OpenCL C
    .language_version:
      - 2
      - 0
    .max_flat_workgroup_size: 1024
    .name:           _Z19_skinny_gemm_kernelILi1ELi3ELi6ELi16ELi4EEvPKhS1_P6__halfPKfiiiiiiii
    .private_segment_fixed_size: 0
    .sgpr_count:     71
    .sgpr_spill_count: 0
    .symbol:         _Z19_skinny_gemm_kernelILi1ELi3ELi6ELi16ELi4EEvPKhS1_P6__halfPKfiiiiiiii.kd
    .uniform_work_group_size: 1
    .uses_dynamic_stack: false
    .vgpr_count:     54
    .vgpr_spill_count: 0
    .wavefront_size: 64
  - .agpr_count:     0
    .args:
      - .address_space:  global
        .offset:         0
        .size:           8
        .value_kind:     global_buffer
      - .address_space:  global
        .offset:         8
        .size:           8
        .value_kind:     global_buffer
      - .address_space:  global
        .offset:         16
        .size:           8
        .value_kind:     global_buffer
      - .address_space:  global
        .offset:         24
        .size:           8
        .value_kind:     global_buffer
      - .offset:         32
        .size:           4
        .value_kind:     by_value
      - .offset:         36
        .size:           4
        .value_kind:     by_value
      - .offset:         40
        .size:           4
        .value_kind:     by_value
      - .offset:         44
        .size:           4
        .value_kind:     by_value
      - .offset:         48
        .size:           4
        .value_kind:     by_value
      - .offset:         52
        .size:           4
        .value_kind:     by_value
      - .offset:         56
        .size:           4
        .value_kind:     by_value
      - .offset:         60
        .size:           4
        .value_kind:     by_value
    .group_segment_fixed_size: 49248
    .kernarg_segment_align: 8
    .kernarg_segment_size: 64
    .language:       OpenCL C
    .language_version:
      - 2
      - 0
    .max_flat_workgroup_size: 1024
    .name:           _Z19_skinny_gemm_kernelILi1ELi3ELi6ELi32ELi4EEvPKhS1_P6__halfPKfiiiiiiii
    .private_segment_fixed_size: 0
    .sgpr_count:     106
    .sgpr_spill_count: 29
    .symbol:         _Z19_skinny_gemm_kernelILi1ELi3ELi6ELi32ELi4EEvPKhS1_P6__halfPKfiiiiiiii.kd
    .uniform_work_group_size: 1
    .uses_dynamic_stack: false
    .vgpr_count:     97
    .vgpr_spill_count: 0
    .wavefront_size: 64
  - .agpr_count:     0
    .args:
      - .address_space:  global
        .offset:         0
        .size:           8
        .value_kind:     global_buffer
      - .address_space:  global
        .offset:         8
        .size:           8
        .value_kind:     global_buffer
      - .address_space:  global
        .offset:         16
        .size:           8
        .value_kind:     global_buffer
      - .address_space:  global
        .offset:         24
        .size:           8
        .value_kind:     global_buffer
      - .offset:         32
        .size:           4
        .value_kind:     by_value
      - .offset:         36
        .size:           4
        .value_kind:     by_value
      - .offset:         40
        .size:           4
        .value_kind:     by_value
      - .offset:         44
        .size:           4
        .value_kind:     by_value
      - .offset:         48
        .size:           4
        .value_kind:     by_value
      - .offset:         52
        .size:           4
        .value_kind:     by_value
      - .offset:         56
        .size:           4
        .value_kind:     by_value
      - .offset:         60
        .size:           4
        .value_kind:     by_value
    .group_segment_fixed_size: 18452
    .kernarg_segment_align: 8
    .kernarg_segment_size: 64
    .language:       OpenCL C
    .language_version:
      - 2
      - 0
    .max_flat_workgroup_size: 1024
    .name:           _Z19_skinny_gemm_kernelILi1ELi4ELi1ELi8ELi4EEvPKhS1_P6__halfPKfiiiiiiii
    .private_segment_fixed_size: 0
    .sgpr_count:     65
    .sgpr_spill_count: 0
    .symbol:         _Z19_skinny_gemm_kernelILi1ELi4ELi1ELi8ELi4EEvPKhS1_P6__halfPKfiiiiiiii.kd
    .uniform_work_group_size: 1
    .uses_dynamic_stack: false
    .vgpr_count:     64
    .vgpr_spill_count: 0
    .wavefront_size: 64
  - .agpr_count:     0
    .args:
      - .address_space:  global
        .offset:         0
        .size:           8
        .value_kind:     global_buffer
      - .actual_access:  read_only
        .address_space:  global
        .offset:         8
        .size:           8
        .value_kind:     global_buffer
      - .address_space:  global
        .offset:         16
        .size:           8
        .value_kind:     global_buffer
      - .address_space:  global
        .offset:         24
        .size:           8
        .value_kind:     global_buffer
      - .offset:         32
        .size:           4
        .value_kind:     by_value
      - .offset:         36
        .size:           4
        .value_kind:     by_value
      - .offset:         40
        .size:           4
        .value_kind:     by_value
      - .offset:         44
        .size:           4
        .value_kind:     by_value
      - .offset:         48
        .size:           4
        .value_kind:     by_value
      - .offset:         52
        .size:           4
        .value_kind:     by_value
      - .offset:         56
        .size:           4
        .value_kind:     by_value
      - .offset:         60
        .size:           4
        .value_kind:     by_value
    .group_segment_fixed_size: 36884
    .kernarg_segment_align: 8
    .kernarg_segment_size: 64
    .language:       OpenCL C
    .language_version:
      - 2
      - 0
    .max_flat_workgroup_size: 1024
    .name:           _Z19_skinny_gemm_kernelILi1ELi4ELi1ELi8ELi8EEvPKhS1_P6__halfPKfiiiiiiii
    .private_segment_fixed_size: 0
    .sgpr_count:     61
    .sgpr_spill_count: 0
    .symbol:         _Z19_skinny_gemm_kernelILi1ELi4ELi1ELi8ELi8EEvPKhS1_P6__halfPKfiiiiiiii.kd
    .uniform_work_group_size: 1
    .uses_dynamic_stack: false
    .vgpr_count:     64
    .vgpr_spill_count: 0
    .wavefront_size: 64
  - .agpr_count:     0
    .args:
      - .address_space:  global
        .offset:         0
        .size:           8
        .value_kind:     global_buffer
      - .address_space:  global
        .offset:         8
        .size:           8
        .value_kind:     global_buffer
      - .address_space:  global
        .offset:         16
        .size:           8
        .value_kind:     global_buffer
      - .address_space:  global
        .offset:         24
        .size:           8
        .value_kind:     global_buffer
      - .offset:         32
        .size:           4
        .value_kind:     by_value
      - .offset:         36
        .size:           4
        .value_kind:     by_value
      - .offset:         40
        .size:           4
        .value_kind:     by_value
      - .offset:         44
        .size:           4
        .value_kind:     by_value
      - .offset:         48
        .size:           4
        .value_kind:     by_value
      - .offset:         52
        .size:           4
        .value_kind:     by_value
      - .offset:         56
        .size:           4
        .value_kind:     by_value
      - .offset:         60
        .size:           4
        .value_kind:     by_value
    .group_segment_fixed_size: 10260
    .kernarg_segment_align: 8
    .kernarg_segment_size: 64
    .language:       OpenCL C
    .language_version:
      - 2
      - 0
    .max_flat_workgroup_size: 1024
    .name:           _Z19_skinny_gemm_kernelILi1ELi4ELi1ELi16ELi4EEvPKhS1_P6__halfPKfiiiiiiii
    .private_segment_fixed_size: 0
    .sgpr_count:     71
    .sgpr_spill_count: 0
    .symbol:         _Z19_skinny_gemm_kernelILi1ELi4ELi1ELi16ELi4EEvPKhS1_P6__halfPKfiiiiiiii.kd
    .uniform_work_group_size: 1
    .uses_dynamic_stack: false
    .vgpr_count:     60
    .vgpr_spill_count: 0
    .wavefront_size: 64
  - .agpr_count:     0
    .args:
      - .address_space:  global
        .offset:         0
        .size:           8
        .value_kind:     global_buffer
      - .address_space:  global
        .offset:         8
        .size:           8
        .value_kind:     global_buffer
      - .address_space:  global
        .offset:         16
        .size:           8
        .value_kind:     global_buffer
      - .address_space:  global
        .offset:         24
        .size:           8
        .value_kind:     global_buffer
      - .offset:         32
        .size:           4
        .value_kind:     by_value
      - .offset:         36
        .size:           4
        .value_kind:     by_value
      - .offset:         40
        .size:           4
        .value_kind:     by_value
      - .offset:         44
        .size:           4
        .value_kind:     by_value
      - .offset:         48
        .size:           4
        .value_kind:     by_value
      - .offset:         52
        .size:           4
        .value_kind:     by_value
      - .offset:         56
        .size:           4
        .value_kind:     by_value
      - .offset:         60
        .size:           4
        .value_kind:     by_value
    .group_segment_fixed_size: 20500
    .kernarg_segment_align: 8
    .kernarg_segment_size: 64
    .language:       OpenCL C
    .language_version:
      - 2
      - 0
    .max_flat_workgroup_size: 1024
    .name:           _Z19_skinny_gemm_kernelILi1ELi4ELi1ELi16ELi8EEvPKhS1_P6__halfPKfiiiiiiii
    .private_segment_fixed_size: 0
    .sgpr_count:     71
    .sgpr_spill_count: 0
    .symbol:         _Z19_skinny_gemm_kernelILi1ELi4ELi1ELi16ELi8EEvPKhS1_P6__halfPKfiiiiiiii.kd
    .uniform_work_group_size: 1
    .uses_dynamic_stack: false
    .vgpr_count:     72
    .vgpr_spill_count: 0
    .wavefront_size: 64
  - .agpr_count:     0
    .args:
      - .address_space:  global
        .offset:         0
        .size:           8
        .value_kind:     global_buffer
      - .address_space:  global
        .offset:         8
        .size:           8
        .value_kind:     global_buffer
      - .address_space:  global
        .offset:         16
        .size:           8
        .value_kind:     global_buffer
      - .address_space:  global
        .offset:         24
        .size:           8
        .value_kind:     global_buffer
      - .offset:         32
        .size:           4
        .value_kind:     by_value
      - .offset:         36
        .size:           4
        .value_kind:     by_value
      - .offset:         40
        .size:           4
        .value_kind:     by_value
      - .offset:         44
        .size:           4
        .value_kind:     by_value
      - .offset:         48
        .size:           4
        .value_kind:     by_value
      - .offset:         52
        .size:           4
        .value_kind:     by_value
      - .offset:         56
        .size:           4
        .value_kind:     by_value
      - .offset:         60
        .size:           4
        .value_kind:     by_value
    .group_segment_fixed_size: 10260
    .kernarg_segment_align: 8
    .kernarg_segment_size: 64
    .language:       OpenCL C
    .language_version:
      - 2
      - 0
    .max_flat_workgroup_size: 1024
    .name:           _Z19_skinny_gemm_kernelILi1ELi4ELi1ELi32ELi4EEvPKhS1_P6__halfPKfiiiiiiii
    .private_segment_fixed_size: 12
    .sgpr_count:     106
    .sgpr_spill_count: 29
    .symbol:         _Z19_skinny_gemm_kernelILi1ELi4ELi1ELi32ELi4EEvPKhS1_P6__halfPKfiiiiiiii.kd
    .uniform_work_group_size: 1
    .uses_dynamic_stack: false
    .vgpr_count:     128
    .vgpr_spill_count: 2
    .wavefront_size: 64
  - .agpr_count:     0
    .args:
      - .address_space:  global
        .offset:         0
        .size:           8
        .value_kind:     global_buffer
      - .address_space:  global
        .offset:         8
        .size:           8
        .value_kind:     global_buffer
      - .address_space:  global
        .offset:         16
        .size:           8
        .value_kind:     global_buffer
      - .address_space:  global
        .offset:         24
        .size:           8
        .value_kind:     global_buffer
      - .offset:         32
        .size:           4
        .value_kind:     by_value
      - .offset:         36
        .size:           4
        .value_kind:     by_value
      - .offset:         40
        .size:           4
        .value_kind:     by_value
      - .offset:         44
        .size:           4
        .value_kind:     by_value
      - .offset:         48
        .size:           4
        .value_kind:     by_value
      - .offset:         52
        .size:           4
        .value_kind:     by_value
      - .offset:         56
        .size:           4
        .value_kind:     by_value
      - .offset:         60
        .size:           4
        .value_kind:     by_value
    .group_segment_fixed_size: 20500
    .kernarg_segment_align: 8
    .kernarg_segment_size: 64
    .language:       OpenCL C
    .language_version:
      - 2
      - 0
    .max_flat_workgroup_size: 1024
    .name:           _Z19_skinny_gemm_kernelILi1ELi4ELi1ELi32ELi8EEvPKhS1_P6__halfPKfiiiiiiii
    .private_segment_fixed_size: 12
    .sgpr_count:     106
    .sgpr_spill_count: 29
    .symbol:         _Z19_skinny_gemm_kernelILi1ELi4ELi1ELi32ELi8EEvPKhS1_P6__halfPKfiiiiiiii.kd
    .uniform_work_group_size: 1
    .uses_dynamic_stack: false
    .vgpr_count:     128
    .vgpr_spill_count: 2
    .wavefront_size: 64
  - .agpr_count:     0
    .args:
      - .address_space:  global
        .offset:         0
        .size:           8
        .value_kind:     global_buffer
      - .address_space:  global
        .offset:         8
        .size:           8
        .value_kind:     global_buffer
      - .address_space:  global
        .offset:         16
        .size:           8
        .value_kind:     global_buffer
      - .address_space:  global
        .offset:         24
        .size:           8
        .value_kind:     global_buffer
      - .offset:         32
        .size:           4
        .value_kind:     by_value
      - .offset:         36
        .size:           4
        .value_kind:     by_value
      - .offset:         40
        .size:           4
        .value_kind:     by_value
      - .offset:         44
        .size:           4
        .value_kind:     by_value
      - .offset:         48
        .size:           4
        .value_kind:     by_value
      - .offset:         52
        .size:           4
        .value_kind:     by_value
      - .offset:         56
        .size:           4
        .value_kind:     by_value
      - .offset:         60
        .size:           4
        .value_kind:     by_value
    .group_segment_fixed_size: 36904
    .kernarg_segment_align: 8
    .kernarg_segment_size: 64
    .language:       OpenCL C
    .language_version:
      - 2
      - 0
    .max_flat_workgroup_size: 1024
    .name:           _Z19_skinny_gemm_kernelILi1ELi4ELi2ELi8ELi4EEvPKhS1_P6__halfPKfiiiiiiii
    .private_segment_fixed_size: 0
    .sgpr_count:     65
    .sgpr_spill_count: 0
    .symbol:         _Z19_skinny_gemm_kernelILi1ELi4ELi2ELi8ELi4EEvPKhS1_P6__halfPKfiiiiiiii.kd
    .uniform_work_group_size: 1
    .uses_dynamic_stack: false
    .vgpr_count:     64
    .vgpr_spill_count: 0
    .wavefront_size: 64
  - .agpr_count:     0
    .args:
      - .address_space:  global
        .offset:         0
        .size:           8
        .value_kind:     global_buffer
      - .address_space:  global
        .offset:         8
        .size:           8
        .value_kind:     global_buffer
      - .address_space:  global
        .offset:         16
        .size:           8
        .value_kind:     global_buffer
      - .address_space:  global
        .offset:         24
        .size:           8
        .value_kind:     global_buffer
      - .offset:         32
        .size:           4
        .value_kind:     by_value
      - .offset:         36
        .size:           4
        .value_kind:     by_value
      - .offset:         40
        .size:           4
        .value_kind:     by_value
      - .offset:         44
        .size:           4
        .value_kind:     by_value
      - .offset:         48
        .size:           4
        .value_kind:     by_value
      - .offset:         52
        .size:           4
        .value_kind:     by_value
      - .offset:         56
        .size:           4
        .value_kind:     by_value
      - .offset:         60
        .size:           4
        .value_kind:     by_value
    .group_segment_fixed_size: 20520
    .kernarg_segment_align: 8
    .kernarg_segment_size: 64
    .language:       OpenCL C
    .language_version:
      - 2
      - 0
    .max_flat_workgroup_size: 1024
    .name:           _Z19_skinny_gemm_kernelILi1ELi4ELi2ELi16ELi4EEvPKhS1_P6__halfPKfiiiiiiii
    .private_segment_fixed_size: 0
    .sgpr_count:     71
    .sgpr_spill_count: 0
    .symbol:         _Z19_skinny_gemm_kernelILi1ELi4ELi2ELi16ELi4EEvPKhS1_P6__halfPKfiiiiiiii.kd
    .uniform_work_group_size: 1
    .uses_dynamic_stack: false
    .vgpr_count:     60
    .vgpr_spill_count: 0
    .wavefront_size: 64
  - .agpr_count:     0
    .args:
      - .address_space:  global
        .offset:         0
        .size:           8
        .value_kind:     global_buffer
      - .address_space:  global
        .offset:         8
        .size:           8
        .value_kind:     global_buffer
      - .address_space:  global
        .offset:         16
        .size:           8
        .value_kind:     global_buffer
      - .address_space:  global
        .offset:         24
        .size:           8
        .value_kind:     global_buffer
      - .offset:         32
        .size:           4
        .value_kind:     by_value
      - .offset:         36
        .size:           4
        .value_kind:     by_value
      - .offset:         40
        .size:           4
        .value_kind:     by_value
      - .offset:         44
        .size:           4
        .value_kind:     by_value
      - .offset:         48
        .size:           4
        .value_kind:     by_value
      - .offset:         52
        .size:           4
        .value_kind:     by_value
      - .offset:         56
        .size:           4
        .value_kind:     by_value
      - .offset:         60
        .size:           4
        .value_kind:     by_value
    .group_segment_fixed_size: 41000
    .kernarg_segment_align: 8
    .kernarg_segment_size: 64
    .language:       OpenCL C
    .language_version:
      - 2
      - 0
    .max_flat_workgroup_size: 1024
    .name:           _Z19_skinny_gemm_kernelILi1ELi4ELi2ELi16ELi8EEvPKhS1_P6__halfPKfiiiiiiii
    .private_segment_fixed_size: 0
    .sgpr_count:     71
    .sgpr_spill_count: 0
    .symbol:         _Z19_skinny_gemm_kernelILi1ELi4ELi2ELi16ELi8EEvPKhS1_P6__halfPKfiiiiiiii.kd
    .uniform_work_group_size: 1
    .uses_dynamic_stack: false
    .vgpr_count:     72
    .vgpr_spill_count: 0
    .wavefront_size: 64
  - .agpr_count:     0
    .args:
      - .address_space:  global
        .offset:         0
        .size:           8
        .value_kind:     global_buffer
      - .address_space:  global
        .offset:         8
        .size:           8
        .value_kind:     global_buffer
      - .address_space:  global
        .offset:         16
        .size:           8
        .value_kind:     global_buffer
      - .address_space:  global
        .offset:         24
        .size:           8
        .value_kind:     global_buffer
      - .offset:         32
        .size:           4
        .value_kind:     by_value
      - .offset:         36
        .size:           4
        .value_kind:     by_value
      - .offset:         40
        .size:           4
        .value_kind:     by_value
      - .offset:         44
        .size:           4
        .value_kind:     by_value
      - .offset:         48
        .size:           4
        .value_kind:     by_value
      - .offset:         52
        .size:           4
        .value_kind:     by_value
      - .offset:         56
        .size:           4
        .value_kind:     by_value
      - .offset:         60
        .size:           4
        .value_kind:     by_value
    .group_segment_fixed_size: 20520
    .kernarg_segment_align: 8
    .kernarg_segment_size: 64
    .language:       OpenCL C
    .language_version:
      - 2
      - 0
    .max_flat_workgroup_size: 1024
    .name:           _Z19_skinny_gemm_kernelILi1ELi4ELi2ELi32ELi4EEvPKhS1_P6__halfPKfiiiiiiii
    .private_segment_fixed_size: 12
    .sgpr_count:     106
    .sgpr_spill_count: 29
    .symbol:         _Z19_skinny_gemm_kernelILi1ELi4ELi2ELi32ELi4EEvPKhS1_P6__halfPKfiiiiiiii.kd
    .uniform_work_group_size: 1
    .uses_dynamic_stack: false
    .vgpr_count:     128
    .vgpr_spill_count: 2
    .wavefront_size: 64
  - .agpr_count:     0
    .args:
      - .address_space:  global
        .offset:         0
        .size:           8
        .value_kind:     global_buffer
      - .address_space:  global
        .offset:         8
        .size:           8
        .value_kind:     global_buffer
      - .address_space:  global
        .offset:         16
        .size:           8
        .value_kind:     global_buffer
      - .address_space:  global
        .offset:         24
        .size:           8
        .value_kind:     global_buffer
      - .offset:         32
        .size:           4
        .value_kind:     by_value
      - .offset:         36
        .size:           4
        .value_kind:     by_value
      - .offset:         40
        .size:           4
        .value_kind:     by_value
      - .offset:         44
        .size:           4
        .value_kind:     by_value
      - .offset:         48
        .size:           4
        .value_kind:     by_value
      - .offset:         52
        .size:           4
        .value_kind:     by_value
      - .offset:         56
        .size:           4
        .value_kind:     by_value
      - .offset:         60
        .size:           4
        .value_kind:     by_value
    .group_segment_fixed_size: 41000
    .kernarg_segment_align: 8
    .kernarg_segment_size: 64
    .language:       OpenCL C
    .language_version:
      - 2
      - 0
    .max_flat_workgroup_size: 1024
    .name:           _Z19_skinny_gemm_kernelILi1ELi4ELi2ELi32ELi8EEvPKhS1_P6__halfPKfiiiiiiii
    .private_segment_fixed_size: 12
    .sgpr_count:     106
    .sgpr_spill_count: 29
    .symbol:         _Z19_skinny_gemm_kernelILi1ELi4ELi2ELi32ELi8EEvPKhS1_P6__halfPKfiiiiiiii.kd
    .uniform_work_group_size: 1
    .uses_dynamic_stack: false
    .vgpr_count:     128
    .vgpr_spill_count: 2
    .wavefront_size: 64
  - .agpr_count:     0
    .args:
      - .address_space:  global
        .offset:         0
        .size:           8
        .value_kind:     global_buffer
      - .address_space:  global
        .offset:         8
        .size:           8
        .value_kind:     global_buffer
      - .address_space:  global
        .offset:         16
        .size:           8
        .value_kind:     global_buffer
      - .address_space:  global
        .offset:         24
        .size:           8
        .value_kind:     global_buffer
      - .offset:         32
        .size:           4
        .value_kind:     by_value
      - .offset:         36
        .size:           4
        .value_kind:     by_value
      - .offset:         40
        .size:           4
        .value_kind:     by_value
      - .offset:         44
        .size:           4
        .value_kind:     by_value
      - .offset:         48
        .size:           4
        .value_kind:     by_value
      - .offset:         52
        .size:           4
        .value_kind:     by_value
      - .offset:         56
        .size:           4
        .value_kind:     by_value
      - .offset:         60
        .size:           4
        .value_kind:     by_value
    .group_segment_fixed_size: 55356
    .kernarg_segment_align: 8
    .kernarg_segment_size: 64
    .language:       OpenCL C
    .language_version:
      - 2
      - 0
    .max_flat_workgroup_size: 1024
    .name:           _Z19_skinny_gemm_kernelILi1ELi4ELi3ELi8ELi4EEvPKhS1_P6__halfPKfiiiiiiii
    .private_segment_fixed_size: 0
    .sgpr_count:     65
    .sgpr_spill_count: 0
    .symbol:         _Z19_skinny_gemm_kernelILi1ELi4ELi3ELi8ELi4EEvPKhS1_P6__halfPKfiiiiiiii.kd
    .uniform_work_group_size: 1
    .uses_dynamic_stack: false
    .vgpr_count:     64
    .vgpr_spill_count: 0
    .wavefront_size: 64
  - .agpr_count:     0
    .args:
      - .address_space:  global
        .offset:         0
        .size:           8
        .value_kind:     global_buffer
      - .address_space:  global
        .offset:         8
        .size:           8
        .value_kind:     global_buffer
      - .address_space:  global
        .offset:         16
        .size:           8
        .value_kind:     global_buffer
      - .address_space:  global
        .offset:         24
        .size:           8
        .value_kind:     global_buffer
      - .offset:         32
        .size:           4
        .value_kind:     by_value
      - .offset:         36
        .size:           4
        .value_kind:     by_value
      - .offset:         40
        .size:           4
        .value_kind:     by_value
      - .offset:         44
        .size:           4
        .value_kind:     by_value
      - .offset:         48
        .size:           4
        .value_kind:     by_value
      - .offset:         52
        .size:           4
        .value_kind:     by_value
      - .offset:         56
        .size:           4
        .value_kind:     by_value
      - .offset:         60
        .size:           4
        .value_kind:     by_value
    .group_segment_fixed_size: 30780
    .kernarg_segment_align: 8
    .kernarg_segment_size: 64
    .language:       OpenCL C
    .language_version:
      - 2
      - 0
    .max_flat_workgroup_size: 1024
    .name:           _Z19_skinny_gemm_kernelILi1ELi4ELi3ELi16ELi4EEvPKhS1_P6__halfPKfiiiiiiii
    .private_segment_fixed_size: 0
    .sgpr_count:     71
    .sgpr_spill_count: 0
    .symbol:         _Z19_skinny_gemm_kernelILi1ELi4ELi3ELi16ELi4EEvPKhS1_P6__halfPKfiiiiiiii.kd
    .uniform_work_group_size: 1
    .uses_dynamic_stack: false
    .vgpr_count:     60
    .vgpr_spill_count: 0
    .wavefront_size: 64
  - .agpr_count:     0
    .args:
      - .address_space:  global
        .offset:         0
        .size:           8
        .value_kind:     global_buffer
      - .address_space:  global
        .offset:         8
        .size:           8
        .value_kind:     global_buffer
      - .address_space:  global
        .offset:         16
        .size:           8
        .value_kind:     global_buffer
      - .address_space:  global
        .offset:         24
        .size:           8
        .value_kind:     global_buffer
      - .offset:         32
        .size:           4
        .value_kind:     by_value
      - .offset:         36
        .size:           4
        .value_kind:     by_value
      - .offset:         40
        .size:           4
        .value_kind:     by_value
      - .offset:         44
        .size:           4
        .value_kind:     by_value
      - .offset:         48
        .size:           4
        .value_kind:     by_value
      - .offset:         52
        .size:           4
        .value_kind:     by_value
      - .offset:         56
        .size:           4
        .value_kind:     by_value
      - .offset:         60
        .size:           4
        .value_kind:     by_value
    .group_segment_fixed_size: 61500
    .kernarg_segment_align: 8
    .kernarg_segment_size: 64
    .language:       OpenCL C
    .language_version:
      - 2
      - 0
    .max_flat_workgroup_size: 1024
    .name:           _Z19_skinny_gemm_kernelILi1ELi4ELi3ELi16ELi8EEvPKhS1_P6__halfPKfiiiiiiii
    .private_segment_fixed_size: 0
    .sgpr_count:     71
    .sgpr_spill_count: 0
    .symbol:         _Z19_skinny_gemm_kernelILi1ELi4ELi3ELi16ELi8EEvPKhS1_P6__halfPKfiiiiiiii.kd
    .uniform_work_group_size: 1
    .uses_dynamic_stack: false
    .vgpr_count:     72
    .vgpr_spill_count: 0
    .wavefront_size: 64
  - .agpr_count:     0
    .args:
      - .address_space:  global
        .offset:         0
        .size:           8
        .value_kind:     global_buffer
      - .address_space:  global
        .offset:         8
        .size:           8
        .value_kind:     global_buffer
      - .address_space:  global
        .offset:         16
        .size:           8
        .value_kind:     global_buffer
      - .address_space:  global
        .offset:         24
        .size:           8
        .value_kind:     global_buffer
      - .offset:         32
        .size:           4
        .value_kind:     by_value
      - .offset:         36
        .size:           4
        .value_kind:     by_value
      - .offset:         40
        .size:           4
        .value_kind:     by_value
      - .offset:         44
        .size:           4
        .value_kind:     by_value
      - .offset:         48
        .size:           4
        .value_kind:     by_value
      - .offset:         52
        .size:           4
        .value_kind:     by_value
      - .offset:         56
        .size:           4
        .value_kind:     by_value
      - .offset:         60
        .size:           4
        .value_kind:     by_value
    .group_segment_fixed_size: 30780
    .kernarg_segment_align: 8
    .kernarg_segment_size: 64
    .language:       OpenCL C
    .language_version:
      - 2
      - 0
    .max_flat_workgroup_size: 1024
    .name:           _Z19_skinny_gemm_kernelILi1ELi4ELi3ELi32ELi4EEvPKhS1_P6__halfPKfiiiiiiii
    .private_segment_fixed_size: 12
    .sgpr_count:     106
    .sgpr_spill_count: 29
    .symbol:         _Z19_skinny_gemm_kernelILi1ELi4ELi3ELi32ELi4EEvPKhS1_P6__halfPKfiiiiiiii.kd
    .uniform_work_group_size: 1
    .uses_dynamic_stack: false
    .vgpr_count:     128
    .vgpr_spill_count: 2
    .wavefront_size: 64
  - .agpr_count:     0
    .args:
      - .address_space:  global
        .offset:         0
        .size:           8
        .value_kind:     global_buffer
      - .address_space:  global
        .offset:         8
        .size:           8
        .value_kind:     global_buffer
      - .address_space:  global
        .offset:         16
        .size:           8
        .value_kind:     global_buffer
      - .address_space:  global
        .offset:         24
        .size:           8
        .value_kind:     global_buffer
      - .offset:         32
        .size:           4
        .value_kind:     by_value
      - .offset:         36
        .size:           4
        .value_kind:     by_value
      - .offset:         40
        .size:           4
        .value_kind:     by_value
      - .offset:         44
        .size:           4
        .value_kind:     by_value
      - .offset:         48
        .size:           4
        .value_kind:     by_value
      - .offset:         52
        .size:           4
        .value_kind:     by_value
      - .offset:         56
        .size:           4
        .value_kind:     by_value
      - .offset:         60
        .size:           4
        .value_kind:     by_value
    .group_segment_fixed_size: 61500
    .kernarg_segment_align: 8
    .kernarg_segment_size: 64
    .language:       OpenCL C
    .language_version:
      - 2
      - 0
    .max_flat_workgroup_size: 1024
    .name:           _Z19_skinny_gemm_kernelILi1ELi4ELi3ELi32ELi8EEvPKhS1_P6__halfPKfiiiiiiii
    .private_segment_fixed_size: 12
    .sgpr_count:     106
    .sgpr_spill_count: 29
    .symbol:         _Z19_skinny_gemm_kernelILi1ELi4ELi3ELi32ELi8EEvPKhS1_P6__halfPKfiiiiiiii.kd
    .uniform_work_group_size: 1
    .uses_dynamic_stack: false
    .vgpr_count:     128
    .vgpr_spill_count: 2
    .wavefront_size: 64
  - .agpr_count:     0
    .args:
      - .address_space:  global
        .offset:         0
        .size:           8
        .value_kind:     global_buffer
      - .address_space:  global
        .offset:         8
        .size:           8
        .value_kind:     global_buffer
      - .address_space:  global
        .offset:         16
        .size:           8
        .value_kind:     global_buffer
      - .address_space:  global
        .offset:         24
        .size:           8
        .value_kind:     global_buffer
      - .offset:         32
        .size:           4
        .value_kind:     by_value
      - .offset:         36
        .size:           4
        .value_kind:     by_value
      - .offset:         40
        .size:           4
        .value_kind:     by_value
      - .offset:         44
        .size:           4
        .value_kind:     by_value
      - .offset:         48
        .size:           4
        .value_kind:     by_value
      - .offset:         52
        .size:           4
        .value_kind:     by_value
      - .offset:         56
        .size:           4
        .value_kind:     by_value
      - .offset:         60
        .size:           4
        .value_kind:     by_value
    .group_segment_fixed_size: 41040
    .kernarg_segment_align: 8
    .kernarg_segment_size: 64
    .language:       OpenCL C
    .language_version:
      - 2
      - 0
    .max_flat_workgroup_size: 1024
    .name:           _Z19_skinny_gemm_kernelILi1ELi4ELi4ELi16ELi4EEvPKhS1_P6__halfPKfiiiiiiii
    .private_segment_fixed_size: 0
    .sgpr_count:     71
    .sgpr_spill_count: 0
    .symbol:         _Z19_skinny_gemm_kernelILi1ELi4ELi4ELi16ELi4EEvPKhS1_P6__halfPKfiiiiiiii.kd
    .uniform_work_group_size: 1
    .uses_dynamic_stack: false
    .vgpr_count:     60
    .vgpr_spill_count: 0
    .wavefront_size: 64
  - .agpr_count:     0
    .args:
      - .address_space:  global
        .offset:         0
        .size:           8
        .value_kind:     global_buffer
      - .address_space:  global
        .offset:         8
        .size:           8
        .value_kind:     global_buffer
      - .address_space:  global
        .offset:         16
        .size:           8
        .value_kind:     global_buffer
      - .address_space:  global
        .offset:         24
        .size:           8
        .value_kind:     global_buffer
      - .offset:         32
        .size:           4
        .value_kind:     by_value
      - .offset:         36
        .size:           4
        .value_kind:     by_value
      - .offset:         40
        .size:           4
        .value_kind:     by_value
      - .offset:         44
        .size:           4
        .value_kind:     by_value
      - .offset:         48
        .size:           4
        .value_kind:     by_value
      - .offset:         52
        .size:           4
        .value_kind:     by_value
      - .offset:         56
        .size:           4
        .value_kind:     by_value
      - .offset:         60
        .size:           4
        .value_kind:     by_value
    .group_segment_fixed_size: 41040
    .kernarg_segment_align: 8
    .kernarg_segment_size: 64
    .language:       OpenCL C
    .language_version:
      - 2
      - 0
    .max_flat_workgroup_size: 1024
    .name:           _Z19_skinny_gemm_kernelILi1ELi4ELi4ELi32ELi4EEvPKhS1_P6__halfPKfiiiiiiii
    .private_segment_fixed_size: 12
    .sgpr_count:     106
    .sgpr_spill_count: 29
    .symbol:         _Z19_skinny_gemm_kernelILi1ELi4ELi4ELi32ELi4EEvPKhS1_P6__halfPKfiiiiiiii.kd
    .uniform_work_group_size: 1
    .uses_dynamic_stack: false
    .vgpr_count:     128
    .vgpr_spill_count: 2
    .wavefront_size: 64
  - .agpr_count:     0
    .args:
      - .address_space:  global
        .offset:         0
        .size:           8
        .value_kind:     global_buffer
      - .address_space:  global
        .offset:         8
        .size:           8
        .value_kind:     global_buffer
      - .address_space:  global
        .offset:         16
        .size:           8
        .value_kind:     global_buffer
      - .address_space:  global
        .offset:         24
        .size:           8
        .value_kind:     global_buffer
      - .offset:         32
        .size:           4
        .value_kind:     by_value
      - .offset:         36
        .size:           4
        .value_kind:     by_value
      - .offset:         40
        .size:           4
        .value_kind:     by_value
      - .offset:         44
        .size:           4
        .value_kind:     by_value
      - .offset:         48
        .size:           4
        .value_kind:     by_value
      - .offset:         52
        .size:           4
        .value_kind:     by_value
      - .offset:         56
        .size:           4
        .value_kind:     by_value
      - .offset:         60
        .size:           4
        .value_kind:     by_value
    .group_segment_fixed_size: 51300
    .kernarg_segment_align: 8
    .kernarg_segment_size: 64
    .language:       OpenCL C
    .language_version:
      - 2
      - 0
    .max_flat_workgroup_size: 1024
    .name:           _Z19_skinny_gemm_kernelILi1ELi4ELi5ELi16ELi4EEvPKhS1_P6__halfPKfiiiiiiii
    .private_segment_fixed_size: 0
    .sgpr_count:     71
    .sgpr_spill_count: 0
    .symbol:         _Z19_skinny_gemm_kernelILi1ELi4ELi5ELi16ELi4EEvPKhS1_P6__halfPKfiiiiiiii.kd
    .uniform_work_group_size: 1
    .uses_dynamic_stack: false
    .vgpr_count:     61
    .vgpr_spill_count: 0
    .wavefront_size: 64
  - .agpr_count:     0
    .args:
      - .address_space:  global
        .offset:         0
        .size:           8
        .value_kind:     global_buffer
      - .address_space:  global
        .offset:         8
        .size:           8
        .value_kind:     global_buffer
      - .address_space:  global
        .offset:         16
        .size:           8
        .value_kind:     global_buffer
      - .address_space:  global
        .offset:         24
        .size:           8
        .value_kind:     global_buffer
      - .offset:         32
        .size:           4
        .value_kind:     by_value
      - .offset:         36
        .size:           4
        .value_kind:     by_value
      - .offset:         40
        .size:           4
        .value_kind:     by_value
      - .offset:         44
        .size:           4
        .value_kind:     by_value
      - .offset:         48
        .size:           4
        .value_kind:     by_value
      - .offset:         52
        .size:           4
        .value_kind:     by_value
      - .offset:         56
        .size:           4
        .value_kind:     by_value
      - .offset:         60
        .size:           4
        .value_kind:     by_value
    .group_segment_fixed_size: 51300
    .kernarg_segment_align: 8
    .kernarg_segment_size: 64
    .language:       OpenCL C
    .language_version:
      - 2
      - 0
    .max_flat_workgroup_size: 1024
    .name:           _Z19_skinny_gemm_kernelILi1ELi4ELi5ELi32ELi4EEvPKhS1_P6__halfPKfiiiiiiii
    .private_segment_fixed_size: 12
    .sgpr_count:     106
    .sgpr_spill_count: 29
    .symbol:         _Z19_skinny_gemm_kernelILi1ELi4ELi5ELi32ELi4EEvPKhS1_P6__halfPKfiiiiiiii.kd
    .uniform_work_group_size: 1
    .uses_dynamic_stack: false
    .vgpr_count:     128
    .vgpr_spill_count: 2
    .wavefront_size: 64
  - .agpr_count:     0
    .args:
      - .address_space:  global
        .offset:         0
        .size:           8
        .value_kind:     global_buffer
      - .address_space:  global
        .offset:         8
        .size:           8
        .value_kind:     global_buffer
      - .address_space:  global
        .offset:         16
        .size:           8
        .value_kind:     global_buffer
      - .address_space:  global
        .offset:         24
        .size:           8
        .value_kind:     global_buffer
      - .offset:         32
        .size:           4
        .value_kind:     by_value
      - .offset:         36
        .size:           4
        .value_kind:     by_value
      - .offset:         40
        .size:           4
        .value_kind:     by_value
      - .offset:         44
        .size:           4
        .value_kind:     by_value
      - .offset:         48
        .size:           4
        .value_kind:     by_value
      - .offset:         52
        .size:           4
        .value_kind:     by_value
      - .offset:         56
        .size:           4
        .value_kind:     by_value
      - .offset:         60
        .size:           4
        .value_kind:     by_value
    .group_segment_fixed_size: 61560
    .kernarg_segment_align: 8
    .kernarg_segment_size: 64
    .language:       OpenCL C
    .language_version:
      - 2
      - 0
    .max_flat_workgroup_size: 1024
    .name:           _Z19_skinny_gemm_kernelILi1ELi4ELi6ELi16ELi4EEvPKhS1_P6__halfPKfiiiiiiii
    .private_segment_fixed_size: 0
    .sgpr_count:     71
    .sgpr_spill_count: 0
    .symbol:         _Z19_skinny_gemm_kernelILi1ELi4ELi6ELi16ELi4EEvPKhS1_P6__halfPKfiiiiiiii.kd
    .uniform_work_group_size: 1
    .uses_dynamic_stack: false
    .vgpr_count:     61
    .vgpr_spill_count: 0
    .wavefront_size: 64
  - .agpr_count:     0
    .args:
      - .address_space:  global
        .offset:         0
        .size:           8
        .value_kind:     global_buffer
      - .address_space:  global
        .offset:         8
        .size:           8
        .value_kind:     global_buffer
      - .address_space:  global
        .offset:         16
        .size:           8
        .value_kind:     global_buffer
      - .address_space:  global
        .offset:         24
        .size:           8
        .value_kind:     global_buffer
      - .offset:         32
        .size:           4
        .value_kind:     by_value
      - .offset:         36
        .size:           4
        .value_kind:     by_value
      - .offset:         40
        .size:           4
        .value_kind:     by_value
      - .offset:         44
        .size:           4
        .value_kind:     by_value
      - .offset:         48
        .size:           4
        .value_kind:     by_value
      - .offset:         52
        .size:           4
        .value_kind:     by_value
      - .offset:         56
        .size:           4
        .value_kind:     by_value
      - .offset:         60
        .size:           4
        .value_kind:     by_value
    .group_segment_fixed_size: 61560
    .kernarg_segment_align: 8
    .kernarg_segment_size: 64
    .language:       OpenCL C
    .language_version:
      - 2
      - 0
    .max_flat_workgroup_size: 1024
    .name:           _Z19_skinny_gemm_kernelILi1ELi4ELi6ELi32ELi4EEvPKhS1_P6__halfPKfiiiiiiii
    .private_segment_fixed_size: 12
    .sgpr_count:     106
    .sgpr_spill_count: 29
    .symbol:         _Z19_skinny_gemm_kernelILi1ELi4ELi6ELi32ELi4EEvPKhS1_P6__halfPKfiiiiiiii.kd
    .uniform_work_group_size: 1
    .uses_dynamic_stack: false
    .vgpr_count:     128
    .vgpr_spill_count: 2
    .wavefront_size: 64
  - .agpr_count:     0
    .args:
      - .address_space:  global
        .offset:         0
        .size:           8
        .value_kind:     global_buffer
      - .address_space:  global
        .offset:         8
        .size:           8
        .value_kind:     global_buffer
      - .address_space:  global
        .offset:         16
        .size:           8
        .value_kind:     global_buffer
      - .address_space:  global
        .offset:         24
        .size:           8
        .value_kind:     global_buffer
      - .offset:         32
        .size:           4
        .value_kind:     by_value
      - .offset:         36
        .size:           4
        .value_kind:     by_value
      - .offset:         40
        .size:           4
        .value_kind:     by_value
      - .offset:         44
        .size:           4
        .value_kind:     by_value
      - .offset:         48
        .size:           4
        .value_kind:     by_value
      - .offset:         52
        .size:           4
        .value_kind:     by_value
      - .offset:         56
        .size:           4
        .value_kind:     by_value
      - .offset:         60
        .size:           4
        .value_kind:     by_value
    .group_segment_fixed_size: 22552
    .kernarg_segment_align: 8
    .kernarg_segment_size: 64
    .language:       OpenCL C
    .language_version:
      - 2
      - 0
    .max_flat_workgroup_size: 1024
    .name:           _Z19_skinny_gemm_kernelILi1ELi5ELi1ELi8ELi4EEvPKhS1_P6__halfPKfiiiiiiii
    .private_segment_fixed_size: 0
    .sgpr_count:     69
    .sgpr_spill_count: 0
    .symbol:         _Z19_skinny_gemm_kernelILi1ELi5ELi1ELi8ELi4EEvPKhS1_P6__halfPKfiiiiiiii.kd
    .uniform_work_group_size: 1
    .uses_dynamic_stack: false
    .vgpr_count:     68
    .vgpr_spill_count: 0
    .wavefront_size: 64
  - .agpr_count:     0
    .args:
      - .address_space:  global
        .offset:         0
        .size:           8
        .value_kind:     global_buffer
      - .actual_access:  read_only
        .address_space:  global
        .offset:         8
        .size:           8
        .value_kind:     global_buffer
      - .address_space:  global
        .offset:         16
        .size:           8
        .value_kind:     global_buffer
      - .address_space:  global
        .offset:         24
        .size:           8
        .value_kind:     global_buffer
      - .offset:         32
        .size:           4
        .value_kind:     by_value
      - .offset:         36
        .size:           4
        .value_kind:     by_value
      - .offset:         40
        .size:           4
        .value_kind:     by_value
      - .offset:         44
        .size:           4
        .value_kind:     by_value
      - .offset:         48
        .size:           4
        .value_kind:     by_value
      - .offset:         52
        .size:           4
        .value_kind:     by_value
      - .offset:         56
        .size:           4
        .value_kind:     by_value
      - .offset:         60
        .size:           4
        .value_kind:     by_value
    .group_segment_fixed_size: 45080
    .kernarg_segment_align: 8
    .kernarg_segment_size: 64
    .language:       OpenCL C
    .language_version:
      - 2
      - 0
    .max_flat_workgroup_size: 1024
    .name:           _Z19_skinny_gemm_kernelILi1ELi5ELi1ELi8ELi8EEvPKhS1_P6__halfPKfiiiiiiii
    .private_segment_fixed_size: 0
    .sgpr_count:     64
    .sgpr_spill_count: 0
    .symbol:         _Z19_skinny_gemm_kernelILi1ELi5ELi1ELi8ELi8EEvPKhS1_P6__halfPKfiiiiiiii.kd
    .uniform_work_group_size: 1
    .uses_dynamic_stack: false
    .vgpr_count:     72
    .vgpr_spill_count: 0
    .wavefront_size: 64
  - .agpr_count:     0
    .args:
      - .address_space:  global
        .offset:         0
        .size:           8
        .value_kind:     global_buffer
      - .address_space:  global
        .offset:         8
        .size:           8
        .value_kind:     global_buffer
      - .address_space:  global
        .offset:         16
        .size:           8
        .value_kind:     global_buffer
      - .address_space:  global
        .offset:         24
        .size:           8
        .value_kind:     global_buffer
      - .offset:         32
        .size:           4
        .value_kind:     by_value
      - .offset:         36
        .size:           4
        .value_kind:     by_value
      - .offset:         40
        .size:           4
        .value_kind:     by_value
      - .offset:         44
        .size:           4
        .value_kind:     by_value
      - .offset:         48
        .size:           4
        .value_kind:     by_value
      - .offset:         52
        .size:           4
        .value_kind:     by_value
      - .offset:         56
        .size:           4
        .value_kind:     by_value
      - .offset:         60
        .size:           4
        .value_kind:     by_value
    .group_segment_fixed_size: 12312
    .kernarg_segment_align: 8
    .kernarg_segment_size: 64
    .language:       OpenCL C
    .language_version:
      - 2
      - 0
    .max_flat_workgroup_size: 1024
    .name:           _Z19_skinny_gemm_kernelILi1ELi5ELi1ELi16ELi4EEvPKhS1_P6__halfPKfiiiiiiii
    .private_segment_fixed_size: 0
    .sgpr_count:     75
    .sgpr_spill_count: 0
    .symbol:         _Z19_skinny_gemm_kernelILi1ELi5ELi1ELi16ELi4EEvPKhS1_P6__halfPKfiiiiiiii.kd
    .uniform_work_group_size: 1
    .uses_dynamic_stack: false
    .vgpr_count:     62
    .vgpr_spill_count: 0
    .wavefront_size: 64
  - .agpr_count:     0
    .args:
      - .address_space:  global
        .offset:         0
        .size:           8
        .value_kind:     global_buffer
      - .address_space:  global
        .offset:         8
        .size:           8
        .value_kind:     global_buffer
      - .address_space:  global
        .offset:         16
        .size:           8
        .value_kind:     global_buffer
      - .address_space:  global
        .offset:         24
        .size:           8
        .value_kind:     global_buffer
      - .offset:         32
        .size:           4
        .value_kind:     by_value
      - .offset:         36
        .size:           4
        .value_kind:     by_value
      - .offset:         40
        .size:           4
        .value_kind:     by_value
      - .offset:         44
        .size:           4
        .value_kind:     by_value
      - .offset:         48
        .size:           4
        .value_kind:     by_value
      - .offset:         52
        .size:           4
        .value_kind:     by_value
      - .offset:         56
        .size:           4
        .value_kind:     by_value
      - .offset:         60
        .size:           4
        .value_kind:     by_value
    .group_segment_fixed_size: 24600
    .kernarg_segment_align: 8
    .kernarg_segment_size: 64
    .language:       OpenCL C
    .language_version:
      - 2
      - 0
    .max_flat_workgroup_size: 1024
    .name:           _Z19_skinny_gemm_kernelILi1ELi5ELi1ELi16ELi8EEvPKhS1_P6__halfPKfiiiiiiii
    .private_segment_fixed_size: 0
    .sgpr_count:     75
    .sgpr_spill_count: 0
    .symbol:         _Z19_skinny_gemm_kernelILi1ELi5ELi1ELi16ELi8EEvPKhS1_P6__halfPKfiiiiiiii.kd
    .uniform_work_group_size: 1
    .uses_dynamic_stack: false
    .vgpr_count:     73
    .vgpr_spill_count: 0
    .wavefront_size: 64
  - .agpr_count:     0
    .args:
      - .address_space:  global
        .offset:         0
        .size:           8
        .value_kind:     global_buffer
      - .address_space:  global
        .offset:         8
        .size:           8
        .value_kind:     global_buffer
      - .address_space:  global
        .offset:         16
        .size:           8
        .value_kind:     global_buffer
      - .address_space:  global
        .offset:         24
        .size:           8
        .value_kind:     global_buffer
      - .offset:         32
        .size:           4
        .value_kind:     by_value
      - .offset:         36
        .size:           4
        .value_kind:     by_value
      - .offset:         40
        .size:           4
        .value_kind:     by_value
      - .offset:         44
        .size:           4
        .value_kind:     by_value
      - .offset:         48
        .size:           4
        .value_kind:     by_value
      - .offset:         52
        .size:           4
        .value_kind:     by_value
      - .offset:         56
        .size:           4
        .value_kind:     by_value
      - .offset:         60
        .size:           4
        .value_kind:     by_value
    .group_segment_fixed_size: 12312
    .kernarg_segment_align: 8
    .kernarg_segment_size: 64
    .language:       OpenCL C
    .language_version:
      - 2
      - 0
    .max_flat_workgroup_size: 1024
    .name:           _Z19_skinny_gemm_kernelILi1ELi5ELi1ELi32ELi4EEvPKhS1_P6__halfPKfiiiiiiii
    .private_segment_fixed_size: 108
    .sgpr_count:     106
    .sgpr_spill_count: 29
    .symbol:         _Z19_skinny_gemm_kernelILi1ELi5ELi1ELi32ELi4EEvPKhS1_P6__halfPKfiiiiiiii.kd
    .uniform_work_group_size: 1
    .uses_dynamic_stack: false
    .vgpr_count:     128
    .vgpr_spill_count: 26
    .wavefront_size: 64
  - .agpr_count:     0
    .args:
      - .address_space:  global
        .offset:         0
        .size:           8
        .value_kind:     global_buffer
      - .address_space:  global
        .offset:         8
        .size:           8
        .value_kind:     global_buffer
      - .address_space:  global
        .offset:         16
        .size:           8
        .value_kind:     global_buffer
      - .address_space:  global
        .offset:         24
        .size:           8
        .value_kind:     global_buffer
      - .offset:         32
        .size:           4
        .value_kind:     by_value
      - .offset:         36
        .size:           4
        .value_kind:     by_value
      - .offset:         40
        .size:           4
        .value_kind:     by_value
      - .offset:         44
        .size:           4
        .value_kind:     by_value
      - .offset:         48
        .size:           4
        .value_kind:     by_value
      - .offset:         52
        .size:           4
        .value_kind:     by_value
      - .offset:         56
        .size:           4
        .value_kind:     by_value
      - .offset:         60
        .size:           4
        .value_kind:     by_value
    .group_segment_fixed_size: 24600
    .kernarg_segment_align: 8
    .kernarg_segment_size: 64
    .language:       OpenCL C
    .language_version:
      - 2
      - 0
    .max_flat_workgroup_size: 1024
    .name:           _Z19_skinny_gemm_kernelILi1ELi5ELi1ELi32ELi8EEvPKhS1_P6__halfPKfiiiiiiii
    .private_segment_fixed_size: 88
    .sgpr_count:     106
    .sgpr_spill_count: 29
    .symbol:         _Z19_skinny_gemm_kernelILi1ELi5ELi1ELi32ELi8EEvPKhS1_P6__halfPKfiiiiiiii.kd
    .uniform_work_group_size: 1
    .uses_dynamic_stack: false
    .vgpr_count:     128
    .vgpr_spill_count: 21
    .wavefront_size: 64
  - .agpr_count:     0
    .args:
      - .address_space:  global
        .offset:         0
        .size:           8
        .value_kind:     global_buffer
      - .address_space:  global
        .offset:         8
        .size:           8
        .value_kind:     global_buffer
      - .address_space:  global
        .offset:         16
        .size:           8
        .value_kind:     global_buffer
      - .address_space:  global
        .offset:         24
        .size:           8
        .value_kind:     global_buffer
      - .offset:         32
        .size:           4
        .value_kind:     by_value
      - .offset:         36
        .size:           4
        .value_kind:     by_value
      - .offset:         40
        .size:           4
        .value_kind:     by_value
      - .offset:         44
        .size:           4
        .value_kind:     by_value
      - .offset:         48
        .size:           4
        .value_kind:     by_value
      - .offset:         52
        .size:           4
        .value_kind:     by_value
      - .offset:         56
        .size:           4
        .value_kind:     by_value
      - .offset:         60
        .size:           4
        .value_kind:     by_value
    .group_segment_fixed_size: 45104
    .kernarg_segment_align: 8
    .kernarg_segment_size: 64
    .language:       OpenCL C
    .language_version:
      - 2
      - 0
    .max_flat_workgroup_size: 1024
    .name:           _Z19_skinny_gemm_kernelILi1ELi5ELi2ELi8ELi4EEvPKhS1_P6__halfPKfiiiiiiii
    .private_segment_fixed_size: 0
    .sgpr_count:     69
    .sgpr_spill_count: 0
    .symbol:         _Z19_skinny_gemm_kernelILi1ELi5ELi2ELi8ELi4EEvPKhS1_P6__halfPKfiiiiiiii.kd
    .uniform_work_group_size: 1
    .uses_dynamic_stack: false
    .vgpr_count:     68
    .vgpr_spill_count: 0
    .wavefront_size: 64
  - .agpr_count:     0
    .args:
      - .address_space:  global
        .offset:         0
        .size:           8
        .value_kind:     global_buffer
      - .address_space:  global
        .offset:         8
        .size:           8
        .value_kind:     global_buffer
      - .address_space:  global
        .offset:         16
        .size:           8
        .value_kind:     global_buffer
      - .address_space:  global
        .offset:         24
        .size:           8
        .value_kind:     global_buffer
      - .offset:         32
        .size:           4
        .value_kind:     by_value
      - .offset:         36
        .size:           4
        .value_kind:     by_value
      - .offset:         40
        .size:           4
        .value_kind:     by_value
      - .offset:         44
        .size:           4
        .value_kind:     by_value
      - .offset:         48
        .size:           4
        .value_kind:     by_value
      - .offset:         52
        .size:           4
        .value_kind:     by_value
      - .offset:         56
        .size:           4
        .value_kind:     by_value
      - .offset:         60
        .size:           4
        .value_kind:     by_value
    .group_segment_fixed_size: 24624
    .kernarg_segment_align: 8
    .kernarg_segment_size: 64
    .language:       OpenCL C
    .language_version:
      - 2
      - 0
    .max_flat_workgroup_size: 1024
    .name:           _Z19_skinny_gemm_kernelILi1ELi5ELi2ELi16ELi4EEvPKhS1_P6__halfPKfiiiiiiii
    .private_segment_fixed_size: 0
    .sgpr_count:     75
    .sgpr_spill_count: 0
    .symbol:         _Z19_skinny_gemm_kernelILi1ELi5ELi2ELi16ELi4EEvPKhS1_P6__halfPKfiiiiiiii.kd
    .uniform_work_group_size: 1
    .uses_dynamic_stack: false
    .vgpr_count:     62
    .vgpr_spill_count: 0
    .wavefront_size: 64
  - .agpr_count:     0
    .args:
      - .address_space:  global
        .offset:         0
        .size:           8
        .value_kind:     global_buffer
      - .address_space:  global
        .offset:         8
        .size:           8
        .value_kind:     global_buffer
      - .address_space:  global
        .offset:         16
        .size:           8
        .value_kind:     global_buffer
      - .address_space:  global
        .offset:         24
        .size:           8
        .value_kind:     global_buffer
      - .offset:         32
        .size:           4
        .value_kind:     by_value
      - .offset:         36
        .size:           4
        .value_kind:     by_value
      - .offset:         40
        .size:           4
        .value_kind:     by_value
      - .offset:         44
        .size:           4
        .value_kind:     by_value
      - .offset:         48
        .size:           4
        .value_kind:     by_value
      - .offset:         52
        .size:           4
        .value_kind:     by_value
      - .offset:         56
        .size:           4
        .value_kind:     by_value
      - .offset:         60
        .size:           4
        .value_kind:     by_value
    .group_segment_fixed_size: 49200
    .kernarg_segment_align: 8
    .kernarg_segment_size: 64
    .language:       OpenCL C
    .language_version:
      - 2
      - 0
    .max_flat_workgroup_size: 1024
    .name:           _Z19_skinny_gemm_kernelILi1ELi5ELi2ELi16ELi8EEvPKhS1_P6__halfPKfiiiiiiii
    .private_segment_fixed_size: 0
    .sgpr_count:     75
    .sgpr_spill_count: 0
    .symbol:         _Z19_skinny_gemm_kernelILi1ELi5ELi2ELi16ELi8EEvPKhS1_P6__halfPKfiiiiiiii.kd
    .uniform_work_group_size: 1
    .uses_dynamic_stack: false
    .vgpr_count:     73
    .vgpr_spill_count: 0
    .wavefront_size: 64
  - .agpr_count:     0
    .args:
      - .address_space:  global
        .offset:         0
        .size:           8
        .value_kind:     global_buffer
      - .address_space:  global
        .offset:         8
        .size:           8
        .value_kind:     global_buffer
      - .address_space:  global
        .offset:         16
        .size:           8
        .value_kind:     global_buffer
      - .address_space:  global
        .offset:         24
        .size:           8
        .value_kind:     global_buffer
      - .offset:         32
        .size:           4
        .value_kind:     by_value
      - .offset:         36
        .size:           4
        .value_kind:     by_value
      - .offset:         40
        .size:           4
        .value_kind:     by_value
      - .offset:         44
        .size:           4
        .value_kind:     by_value
      - .offset:         48
        .size:           4
        .value_kind:     by_value
      - .offset:         52
        .size:           4
        .value_kind:     by_value
      - .offset:         56
        .size:           4
        .value_kind:     by_value
      - .offset:         60
        .size:           4
        .value_kind:     by_value
    .group_segment_fixed_size: 24624
    .kernarg_segment_align: 8
    .kernarg_segment_size: 64
    .language:       OpenCL C
    .language_version:
      - 2
      - 0
    .max_flat_workgroup_size: 1024
    .name:           _Z19_skinny_gemm_kernelILi1ELi5ELi2ELi32ELi4EEvPKhS1_P6__halfPKfiiiiiiii
    .private_segment_fixed_size: 108
    .sgpr_count:     106
    .sgpr_spill_count: 29
    .symbol:         _Z19_skinny_gemm_kernelILi1ELi5ELi2ELi32ELi4EEvPKhS1_P6__halfPKfiiiiiiii.kd
    .uniform_work_group_size: 1
    .uses_dynamic_stack: false
    .vgpr_count:     128
    .vgpr_spill_count: 26
    .wavefront_size: 64
  - .agpr_count:     0
    .args:
      - .address_space:  global
        .offset:         0
        .size:           8
        .value_kind:     global_buffer
      - .address_space:  global
        .offset:         8
        .size:           8
        .value_kind:     global_buffer
      - .address_space:  global
        .offset:         16
        .size:           8
        .value_kind:     global_buffer
      - .address_space:  global
        .offset:         24
        .size:           8
        .value_kind:     global_buffer
      - .offset:         32
        .size:           4
        .value_kind:     by_value
      - .offset:         36
        .size:           4
        .value_kind:     by_value
      - .offset:         40
        .size:           4
        .value_kind:     by_value
      - .offset:         44
        .size:           4
        .value_kind:     by_value
      - .offset:         48
        .size:           4
        .value_kind:     by_value
      - .offset:         52
        .size:           4
        .value_kind:     by_value
      - .offset:         56
        .size:           4
        .value_kind:     by_value
      - .offset:         60
        .size:           4
        .value_kind:     by_value
    .group_segment_fixed_size: 49200
    .kernarg_segment_align: 8
    .kernarg_segment_size: 64
    .language:       OpenCL C
    .language_version:
      - 2
      - 0
    .max_flat_workgroup_size: 1024
    .name:           _Z19_skinny_gemm_kernelILi1ELi5ELi2ELi32ELi8EEvPKhS1_P6__halfPKfiiiiiiii
    .private_segment_fixed_size: 88
    .sgpr_count:     106
    .sgpr_spill_count: 29
    .symbol:         _Z19_skinny_gemm_kernelILi1ELi5ELi2ELi32ELi8EEvPKhS1_P6__halfPKfiiiiiiii.kd
    .uniform_work_group_size: 1
    .uses_dynamic_stack: false
    .vgpr_count:     128
    .vgpr_spill_count: 21
    .wavefront_size: 64
  - .agpr_count:     0
    .args:
      - .address_space:  global
        .offset:         0
        .size:           8
        .value_kind:     global_buffer
      - .address_space:  global
        .offset:         8
        .size:           8
        .value_kind:     global_buffer
      - .address_space:  global
        .offset:         16
        .size:           8
        .value_kind:     global_buffer
      - .address_space:  global
        .offset:         24
        .size:           8
        .value_kind:     global_buffer
      - .offset:         32
        .size:           4
        .value_kind:     by_value
      - .offset:         36
        .size:           4
        .value_kind:     by_value
      - .offset:         40
        .size:           4
        .value_kind:     by_value
      - .offset:         44
        .size:           4
        .value_kind:     by_value
      - .offset:         48
        .size:           4
        .value_kind:     by_value
      - .offset:         52
        .size:           4
        .value_kind:     by_value
      - .offset:         56
        .size:           4
        .value_kind:     by_value
      - .offset:         60
        .size:           4
        .value_kind:     by_value
    .group_segment_fixed_size: 36936
    .kernarg_segment_align: 8
    .kernarg_segment_size: 64
    .language:       OpenCL C
    .language_version:
      - 2
      - 0
    .max_flat_workgroup_size: 1024
    .name:           _Z19_skinny_gemm_kernelILi1ELi5ELi3ELi16ELi4EEvPKhS1_P6__halfPKfiiiiiiii
    .private_segment_fixed_size: 0
    .sgpr_count:     75
    .sgpr_spill_count: 0
    .symbol:         _Z19_skinny_gemm_kernelILi1ELi5ELi3ELi16ELi4EEvPKhS1_P6__halfPKfiiiiiiii.kd
    .uniform_work_group_size: 1
    .uses_dynamic_stack: false
    .vgpr_count:     62
    .vgpr_spill_count: 0
    .wavefront_size: 64
  - .agpr_count:     0
    .args:
      - .address_space:  global
        .offset:         0
        .size:           8
        .value_kind:     global_buffer
      - .address_space:  global
        .offset:         8
        .size:           8
        .value_kind:     global_buffer
      - .address_space:  global
        .offset:         16
        .size:           8
        .value_kind:     global_buffer
      - .address_space:  global
        .offset:         24
        .size:           8
        .value_kind:     global_buffer
      - .offset:         32
        .size:           4
        .value_kind:     by_value
      - .offset:         36
        .size:           4
        .value_kind:     by_value
      - .offset:         40
        .size:           4
        .value_kind:     by_value
      - .offset:         44
        .size:           4
        .value_kind:     by_value
      - .offset:         48
        .size:           4
        .value_kind:     by_value
      - .offset:         52
        .size:           4
        .value_kind:     by_value
      - .offset:         56
        .size:           4
        .value_kind:     by_value
      - .offset:         60
        .size:           4
        .value_kind:     by_value
    .group_segment_fixed_size: 36936
    .kernarg_segment_align: 8
    .kernarg_segment_size: 64
    .language:       OpenCL C
    .language_version:
      - 2
      - 0
    .max_flat_workgroup_size: 1024
    .name:           _Z19_skinny_gemm_kernelILi1ELi5ELi3ELi32ELi4EEvPKhS1_P6__halfPKfiiiiiiii
    .private_segment_fixed_size: 108
    .sgpr_count:     106
    .sgpr_spill_count: 29
    .symbol:         _Z19_skinny_gemm_kernelILi1ELi5ELi3ELi32ELi4EEvPKhS1_P6__halfPKfiiiiiiii.kd
    .uniform_work_group_size: 1
    .uses_dynamic_stack: false
    .vgpr_count:     128
    .vgpr_spill_count: 26
    .wavefront_size: 64
  - .agpr_count:     0
    .args:
      - .address_space:  global
        .offset:         0
        .size:           8
        .value_kind:     global_buffer
      - .address_space:  global
        .offset:         8
        .size:           8
        .value_kind:     global_buffer
      - .address_space:  global
        .offset:         16
        .size:           8
        .value_kind:     global_buffer
      - .address_space:  global
        .offset:         24
        .size:           8
        .value_kind:     global_buffer
      - .offset:         32
        .size:           4
        .value_kind:     by_value
      - .offset:         36
        .size:           4
        .value_kind:     by_value
      - .offset:         40
        .size:           4
        .value_kind:     by_value
      - .offset:         44
        .size:           4
        .value_kind:     by_value
      - .offset:         48
        .size:           4
        .value_kind:     by_value
      - .offset:         52
        .size:           4
        .value_kind:     by_value
      - .offset:         56
        .size:           4
        .value_kind:     by_value
      - .offset:         60
        .size:           4
        .value_kind:     by_value
    .group_segment_fixed_size: 49248
    .kernarg_segment_align: 8
    .kernarg_segment_size: 64
    .language:       OpenCL C
    .language_version:
      - 2
      - 0
    .max_flat_workgroup_size: 1024
    .name:           _Z19_skinny_gemm_kernelILi1ELi5ELi4ELi16ELi4EEvPKhS1_P6__halfPKfiiiiiiii
    .private_segment_fixed_size: 0
    .sgpr_count:     75
    .sgpr_spill_count: 0
    .symbol:         _Z19_skinny_gemm_kernelILi1ELi5ELi4ELi16ELi4EEvPKhS1_P6__halfPKfiiiiiiii.kd
    .uniform_work_group_size: 1
    .uses_dynamic_stack: false
    .vgpr_count:     62
    .vgpr_spill_count: 0
    .wavefront_size: 64
  - .agpr_count:     0
    .args:
      - .address_space:  global
        .offset:         0
        .size:           8
        .value_kind:     global_buffer
      - .address_space:  global
        .offset:         8
        .size:           8
        .value_kind:     global_buffer
      - .address_space:  global
        .offset:         16
        .size:           8
        .value_kind:     global_buffer
      - .address_space:  global
        .offset:         24
        .size:           8
        .value_kind:     global_buffer
      - .offset:         32
        .size:           4
        .value_kind:     by_value
      - .offset:         36
        .size:           4
        .value_kind:     by_value
      - .offset:         40
        .size:           4
        .value_kind:     by_value
      - .offset:         44
        .size:           4
        .value_kind:     by_value
      - .offset:         48
        .size:           4
        .value_kind:     by_value
      - .offset:         52
        .size:           4
        .value_kind:     by_value
      - .offset:         56
        .size:           4
        .value_kind:     by_value
      - .offset:         60
        .size:           4
        .value_kind:     by_value
    .group_segment_fixed_size: 49248
    .kernarg_segment_align: 8
    .kernarg_segment_size: 64
    .language:       OpenCL C
    .language_version:
      - 2
      - 0
    .max_flat_workgroup_size: 1024
    .name:           _Z19_skinny_gemm_kernelILi1ELi5ELi4ELi32ELi4EEvPKhS1_P6__halfPKfiiiiiiii
    .private_segment_fixed_size: 108
    .sgpr_count:     106
    .sgpr_spill_count: 29
    .symbol:         _Z19_skinny_gemm_kernelILi1ELi5ELi4ELi32ELi4EEvPKhS1_P6__halfPKfiiiiiiii.kd
    .uniform_work_group_size: 1
    .uses_dynamic_stack: false
    .vgpr_count:     128
    .vgpr_spill_count: 26
    .wavefront_size: 64
  - .agpr_count:     0
    .args:
      - .address_space:  global
        .offset:         0
        .size:           8
        .value_kind:     global_buffer
      - .address_space:  global
        .offset:         8
        .size:           8
        .value_kind:     global_buffer
      - .address_space:  global
        .offset:         16
        .size:           8
        .value_kind:     global_buffer
      - .address_space:  global
        .offset:         24
        .size:           8
        .value_kind:     global_buffer
      - .offset:         32
        .size:           4
        .value_kind:     by_value
      - .offset:         36
        .size:           4
        .value_kind:     by_value
      - .offset:         40
        .size:           4
        .value_kind:     by_value
      - .offset:         44
        .size:           4
        .value_kind:     by_value
      - .offset:         48
        .size:           4
        .value_kind:     by_value
      - .offset:         52
        .size:           4
        .value_kind:     by_value
      - .offset:         56
        .size:           4
        .value_kind:     by_value
      - .offset:         60
        .size:           4
        .value_kind:     by_value
    .group_segment_fixed_size: 61560
    .kernarg_segment_align: 8
    .kernarg_segment_size: 64
    .language:       OpenCL C
    .language_version:
      - 2
      - 0
    .max_flat_workgroup_size: 1024
    .name:           _Z19_skinny_gemm_kernelILi1ELi5ELi5ELi16ELi4EEvPKhS1_P6__halfPKfiiiiiiii
    .private_segment_fixed_size: 0
    .sgpr_count:     75
    .sgpr_spill_count: 0
    .symbol:         _Z19_skinny_gemm_kernelILi1ELi5ELi5ELi16ELi4EEvPKhS1_P6__halfPKfiiiiiiii.kd
    .uniform_work_group_size: 1
    .uses_dynamic_stack: false
    .vgpr_count:     62
    .vgpr_spill_count: 0
    .wavefront_size: 64
  - .agpr_count:     0
    .args:
      - .address_space:  global
        .offset:         0
        .size:           8
        .value_kind:     global_buffer
      - .address_space:  global
        .offset:         8
        .size:           8
        .value_kind:     global_buffer
      - .address_space:  global
        .offset:         16
        .size:           8
        .value_kind:     global_buffer
      - .address_space:  global
        .offset:         24
        .size:           8
        .value_kind:     global_buffer
      - .offset:         32
        .size:           4
        .value_kind:     by_value
      - .offset:         36
        .size:           4
        .value_kind:     by_value
      - .offset:         40
        .size:           4
        .value_kind:     by_value
      - .offset:         44
        .size:           4
        .value_kind:     by_value
      - .offset:         48
        .size:           4
        .value_kind:     by_value
      - .offset:         52
        .size:           4
        .value_kind:     by_value
      - .offset:         56
        .size:           4
        .value_kind:     by_value
      - .offset:         60
        .size:           4
        .value_kind:     by_value
    .group_segment_fixed_size: 61560
    .kernarg_segment_align: 8
    .kernarg_segment_size: 64
    .language:       OpenCL C
    .language_version:
      - 2
      - 0
    .max_flat_workgroup_size: 1024
    .name:           _Z19_skinny_gemm_kernelILi1ELi5ELi5ELi32ELi4EEvPKhS1_P6__halfPKfiiiiiiii
    .private_segment_fixed_size: 108
    .sgpr_count:     106
    .sgpr_spill_count: 29
    .symbol:         _Z19_skinny_gemm_kernelILi1ELi5ELi5ELi32ELi4EEvPKhS1_P6__halfPKfiiiiiiii.kd
    .uniform_work_group_size: 1
    .uses_dynamic_stack: false
    .vgpr_count:     128
    .vgpr_spill_count: 26
    .wavefront_size: 64
  - .agpr_count:     0
    .args:
      - .address_space:  global
        .offset:         0
        .size:           8
        .value_kind:     global_buffer
      - .address_space:  global
        .offset:         8
        .size:           8
        .value_kind:     global_buffer
      - .address_space:  global
        .offset:         16
        .size:           8
        .value_kind:     global_buffer
      - .address_space:  global
        .offset:         24
        .size:           8
        .value_kind:     global_buffer
      - .offset:         32
        .size:           4
        .value_kind:     by_value
      - .offset:         36
        .size:           4
        .value_kind:     by_value
      - .offset:         40
        .size:           4
        .value_kind:     by_value
      - .offset:         44
        .size:           4
        .value_kind:     by_value
      - .offset:         48
        .size:           4
        .value_kind:     by_value
      - .offset:         52
        .size:           4
        .value_kind:     by_value
      - .offset:         56
        .size:           4
        .value_kind:     by_value
      - .offset:         60
        .size:           4
        .value_kind:     by_value
    .group_segment_fixed_size: 26652
    .kernarg_segment_align: 8
    .kernarg_segment_size: 64
    .language:       OpenCL C
    .language_version:
      - 2
      - 0
    .max_flat_workgroup_size: 1024
    .name:           _Z19_skinny_gemm_kernelILi1ELi6ELi1ELi8ELi4EEvPKhS1_P6__halfPKfiiiiiiii
    .private_segment_fixed_size: 0
    .sgpr_count:     71
    .sgpr_spill_count: 0
    .symbol:         _Z19_skinny_gemm_kernelILi1ELi6ELi1ELi8ELi4EEvPKhS1_P6__halfPKfiiiiiiii.kd
    .uniform_work_group_size: 1
    .uses_dynamic_stack: false
    .vgpr_count:     72
    .vgpr_spill_count: 0
    .wavefront_size: 64
  - .agpr_count:     0
    .args:
      - .address_space:  global
        .offset:         0
        .size:           8
        .value_kind:     global_buffer
      - .actual_access:  read_only
        .address_space:  global
        .offset:         8
        .size:           8
        .value_kind:     global_buffer
      - .address_space:  global
        .offset:         16
        .size:           8
        .value_kind:     global_buffer
      - .address_space:  global
        .offset:         24
        .size:           8
        .value_kind:     global_buffer
      - .offset:         32
        .size:           4
        .value_kind:     by_value
      - .offset:         36
        .size:           4
        .value_kind:     by_value
      - .offset:         40
        .size:           4
        .value_kind:     by_value
      - .offset:         44
        .size:           4
        .value_kind:     by_value
      - .offset:         48
        .size:           4
        .value_kind:     by_value
      - .offset:         52
        .size:           4
        .value_kind:     by_value
      - .offset:         56
        .size:           4
        .value_kind:     by_value
      - .offset:         60
        .size:           4
        .value_kind:     by_value
    .group_segment_fixed_size: 53276
    .kernarg_segment_align: 8
    .kernarg_segment_size: 64
    .language:       OpenCL C
    .language_version:
      - 2
      - 0
    .max_flat_workgroup_size: 1024
    .name:           _Z19_skinny_gemm_kernelILi1ELi6ELi1ELi8ELi8EEvPKhS1_P6__halfPKfiiiiiiii
    .private_segment_fixed_size: 0
    .sgpr_count:     66
    .sgpr_spill_count: 0
    .symbol:         _Z19_skinny_gemm_kernelILi1ELi6ELi1ELi8ELi8EEvPKhS1_P6__halfPKfiiiiiiii.kd
    .uniform_work_group_size: 1
    .uses_dynamic_stack: false
    .vgpr_count:     72
    .vgpr_spill_count: 0
    .wavefront_size: 64
  - .agpr_count:     0
    .args:
      - .address_space:  global
        .offset:         0
        .size:           8
        .value_kind:     global_buffer
      - .address_space:  global
        .offset:         8
        .size:           8
        .value_kind:     global_buffer
      - .address_space:  global
        .offset:         16
        .size:           8
        .value_kind:     global_buffer
      - .address_space:  global
        .offset:         24
        .size:           8
        .value_kind:     global_buffer
      - .offset:         32
        .size:           4
        .value_kind:     by_value
      - .offset:         36
        .size:           4
        .value_kind:     by_value
      - .offset:         40
        .size:           4
        .value_kind:     by_value
      - .offset:         44
        .size:           4
        .value_kind:     by_value
      - .offset:         48
        .size:           4
        .value_kind:     by_value
      - .offset:         52
        .size:           4
        .value_kind:     by_value
      - .offset:         56
        .size:           4
        .value_kind:     by_value
      - .offset:         60
        .size:           4
        .value_kind:     by_value
    .group_segment_fixed_size: 14364
    .kernarg_segment_align: 8
    .kernarg_segment_size: 64
    .language:       OpenCL C
    .language_version:
      - 2
      - 0
    .max_flat_workgroup_size: 1024
    .name:           _Z19_skinny_gemm_kernelILi1ELi6ELi1ELi16ELi4EEvPKhS1_P6__halfPKfiiiiiiii
    .private_segment_fixed_size: 0
    .sgpr_count:     77
    .sgpr_spill_count: 0
    .symbol:         _Z19_skinny_gemm_kernelILi1ELi6ELi1ELi16ELi4EEvPKhS1_P6__halfPKfiiiiiiii.kd
    .uniform_work_group_size: 1
    .uses_dynamic_stack: false
    .vgpr_count:     70
    .vgpr_spill_count: 0
    .wavefront_size: 64
  - .agpr_count:     0
    .args:
      - .address_space:  global
        .offset:         0
        .size:           8
        .value_kind:     global_buffer
      - .address_space:  global
        .offset:         8
        .size:           8
        .value_kind:     global_buffer
      - .address_space:  global
        .offset:         16
        .size:           8
        .value_kind:     global_buffer
      - .address_space:  global
        .offset:         24
        .size:           8
        .value_kind:     global_buffer
      - .offset:         32
        .size:           4
        .value_kind:     by_value
      - .offset:         36
        .size:           4
        .value_kind:     by_value
      - .offset:         40
        .size:           4
        .value_kind:     by_value
      - .offset:         44
        .size:           4
        .value_kind:     by_value
      - .offset:         48
        .size:           4
        .value_kind:     by_value
      - .offset:         52
        .size:           4
        .value_kind:     by_value
      - .offset:         56
        .size:           4
        .value_kind:     by_value
      - .offset:         60
        .size:           4
        .value_kind:     by_value
    .group_segment_fixed_size: 28700
    .kernarg_segment_align: 8
    .kernarg_segment_size: 64
    .language:       OpenCL C
    .language_version:
      - 2
      - 0
    .max_flat_workgroup_size: 1024
    .name:           _Z19_skinny_gemm_kernelILi1ELi6ELi1ELi16ELi8EEvPKhS1_P6__halfPKfiiiiiiii
    .private_segment_fixed_size: 0
    .sgpr_count:     77
    .sgpr_spill_count: 0
    .symbol:         _Z19_skinny_gemm_kernelILi1ELi6ELi1ELi16ELi8EEvPKhS1_P6__halfPKfiiiiiiii.kd
    .uniform_work_group_size: 1
    .uses_dynamic_stack: false
    .vgpr_count:     81
    .vgpr_spill_count: 0
    .wavefront_size: 64
  - .agpr_count:     0
    .args:
      - .address_space:  global
        .offset:         0
        .size:           8
        .value_kind:     global_buffer
      - .address_space:  global
        .offset:         8
        .size:           8
        .value_kind:     global_buffer
      - .address_space:  global
        .offset:         16
        .size:           8
        .value_kind:     global_buffer
      - .address_space:  global
        .offset:         24
        .size:           8
        .value_kind:     global_buffer
      - .offset:         32
        .size:           4
        .value_kind:     by_value
      - .offset:         36
        .size:           4
        .value_kind:     by_value
      - .offset:         40
        .size:           4
        .value_kind:     by_value
      - .offset:         44
        .size:           4
        .value_kind:     by_value
      - .offset:         48
        .size:           4
        .value_kind:     by_value
      - .offset:         52
        .size:           4
        .value_kind:     by_value
      - .offset:         56
        .size:           4
        .value_kind:     by_value
      - .offset:         60
        .size:           4
        .value_kind:     by_value
    .group_segment_fixed_size: 14364
    .kernarg_segment_align: 8
    .kernarg_segment_size: 64
    .language:       OpenCL C
    .language_version:
      - 2
      - 0
    .max_flat_workgroup_size: 1024
    .name:           _Z19_skinny_gemm_kernelILi1ELi6ELi1ELi32ELi4EEvPKhS1_P6__halfPKfiiiiiiii
    .private_segment_fixed_size: 116
    .sgpr_count:     106
    .sgpr_spill_count: 65
    .symbol:         _Z19_skinny_gemm_kernelILi1ELi6ELi1ELi32ELi4EEvPKhS1_P6__halfPKfiiiiiiii.kd
    .uniform_work_group_size: 1
    .uses_dynamic_stack: false
    .vgpr_count:     128
    .vgpr_spill_count: 30
    .wavefront_size: 64
  - .agpr_count:     0
    .args:
      - .address_space:  global
        .offset:         0
        .size:           8
        .value_kind:     global_buffer
      - .address_space:  global
        .offset:         8
        .size:           8
        .value_kind:     global_buffer
      - .address_space:  global
        .offset:         16
        .size:           8
        .value_kind:     global_buffer
      - .address_space:  global
        .offset:         24
        .size:           8
        .value_kind:     global_buffer
      - .offset:         32
        .size:           4
        .value_kind:     by_value
      - .offset:         36
        .size:           4
        .value_kind:     by_value
      - .offset:         40
        .size:           4
        .value_kind:     by_value
      - .offset:         44
        .size:           4
        .value_kind:     by_value
      - .offset:         48
        .size:           4
        .value_kind:     by_value
      - .offset:         52
        .size:           4
        .value_kind:     by_value
      - .offset:         56
        .size:           4
        .value_kind:     by_value
      - .offset:         60
        .size:           4
        .value_kind:     by_value
    .group_segment_fixed_size: 28700
    .kernarg_segment_align: 8
    .kernarg_segment_size: 64
    .language:       OpenCL C
    .language_version:
      - 2
      - 0
    .max_flat_workgroup_size: 1024
    .name:           _Z19_skinny_gemm_kernelILi1ELi6ELi1ELi32ELi8EEvPKhS1_P6__halfPKfiiiiiiii
    .private_segment_fixed_size: 108
    .sgpr_count:     106
    .sgpr_spill_count: 65
    .symbol:         _Z19_skinny_gemm_kernelILi1ELi6ELi1ELi32ELi8EEvPKhS1_P6__halfPKfiiiiiiii.kd
    .uniform_work_group_size: 1
    .uses_dynamic_stack: false
    .vgpr_count:     128
    .vgpr_spill_count: 30
    .wavefront_size: 64
  - .agpr_count:     0
    .args:
      - .address_space:  global
        .offset:         0
        .size:           8
        .value_kind:     global_buffer
      - .address_space:  global
        .offset:         8
        .size:           8
        .value_kind:     global_buffer
      - .address_space:  global
        .offset:         16
        .size:           8
        .value_kind:     global_buffer
      - .address_space:  global
        .offset:         24
        .size:           8
        .value_kind:     global_buffer
      - .offset:         32
        .size:           4
        .value_kind:     by_value
      - .offset:         36
        .size:           4
        .value_kind:     by_value
      - .offset:         40
        .size:           4
        .value_kind:     by_value
      - .offset:         44
        .size:           4
        .value_kind:     by_value
      - .offset:         48
        .size:           4
        .value_kind:     by_value
      - .offset:         52
        .size:           4
        .value_kind:     by_value
      - .offset:         56
        .size:           4
        .value_kind:     by_value
      - .offset:         60
        .size:           4
        .value_kind:     by_value
    .group_segment_fixed_size: 53304
    .kernarg_segment_align: 8
    .kernarg_segment_size: 64
    .language:       OpenCL C
    .language_version:
      - 2
      - 0
    .max_flat_workgroup_size: 1024
    .name:           _Z19_skinny_gemm_kernelILi1ELi6ELi2ELi8ELi4EEvPKhS1_P6__halfPKfiiiiiiii
    .private_segment_fixed_size: 0
    .sgpr_count:     71
    .sgpr_spill_count: 0
    .symbol:         _Z19_skinny_gemm_kernelILi1ELi6ELi2ELi8ELi4EEvPKhS1_P6__halfPKfiiiiiiii.kd
    .uniform_work_group_size: 1
    .uses_dynamic_stack: false
    .vgpr_count:     72
    .vgpr_spill_count: 0
    .wavefront_size: 64
  - .agpr_count:     0
    .args:
      - .address_space:  global
        .offset:         0
        .size:           8
        .value_kind:     global_buffer
      - .address_space:  global
        .offset:         8
        .size:           8
        .value_kind:     global_buffer
      - .address_space:  global
        .offset:         16
        .size:           8
        .value_kind:     global_buffer
      - .address_space:  global
        .offset:         24
        .size:           8
        .value_kind:     global_buffer
      - .offset:         32
        .size:           4
        .value_kind:     by_value
      - .offset:         36
        .size:           4
        .value_kind:     by_value
      - .offset:         40
        .size:           4
        .value_kind:     by_value
      - .offset:         44
        .size:           4
        .value_kind:     by_value
      - .offset:         48
        .size:           4
        .value_kind:     by_value
      - .offset:         52
        .size:           4
        .value_kind:     by_value
      - .offset:         56
        .size:           4
        .value_kind:     by_value
      - .offset:         60
        .size:           4
        .value_kind:     by_value
    .group_segment_fixed_size: 28728
    .kernarg_segment_align: 8
    .kernarg_segment_size: 64
    .language:       OpenCL C
    .language_version:
      - 2
      - 0
    .max_flat_workgroup_size: 1024
    .name:           _Z19_skinny_gemm_kernelILi1ELi6ELi2ELi16ELi4EEvPKhS1_P6__halfPKfiiiiiiii
    .private_segment_fixed_size: 0
    .sgpr_count:     77
    .sgpr_spill_count: 0
    .symbol:         _Z19_skinny_gemm_kernelILi1ELi6ELi2ELi16ELi4EEvPKhS1_P6__halfPKfiiiiiiii.kd
    .uniform_work_group_size: 1
    .uses_dynamic_stack: false
    .vgpr_count:     70
    .vgpr_spill_count: 0
    .wavefront_size: 64
  - .agpr_count:     0
    .args:
      - .address_space:  global
        .offset:         0
        .size:           8
        .value_kind:     global_buffer
      - .address_space:  global
        .offset:         8
        .size:           8
        .value_kind:     global_buffer
      - .address_space:  global
        .offset:         16
        .size:           8
        .value_kind:     global_buffer
      - .address_space:  global
        .offset:         24
        .size:           8
        .value_kind:     global_buffer
      - .offset:         32
        .size:           4
        .value_kind:     by_value
      - .offset:         36
        .size:           4
        .value_kind:     by_value
      - .offset:         40
        .size:           4
        .value_kind:     by_value
      - .offset:         44
        .size:           4
        .value_kind:     by_value
      - .offset:         48
        .size:           4
        .value_kind:     by_value
      - .offset:         52
        .size:           4
        .value_kind:     by_value
      - .offset:         56
        .size:           4
        .value_kind:     by_value
      - .offset:         60
        .size:           4
        .value_kind:     by_value
    .group_segment_fixed_size: 57400
    .kernarg_segment_align: 8
    .kernarg_segment_size: 64
    .language:       OpenCL C
    .language_version:
      - 2
      - 0
    .max_flat_workgroup_size: 1024
    .name:           _Z19_skinny_gemm_kernelILi1ELi6ELi2ELi16ELi8EEvPKhS1_P6__halfPKfiiiiiiii
    .private_segment_fixed_size: 0
    .sgpr_count:     77
    .sgpr_spill_count: 0
    .symbol:         _Z19_skinny_gemm_kernelILi1ELi6ELi2ELi16ELi8EEvPKhS1_P6__halfPKfiiiiiiii.kd
    .uniform_work_group_size: 1
    .uses_dynamic_stack: false
    .vgpr_count:     81
    .vgpr_spill_count: 0
    .wavefront_size: 64
  - .agpr_count:     0
    .args:
      - .address_space:  global
        .offset:         0
        .size:           8
        .value_kind:     global_buffer
      - .address_space:  global
        .offset:         8
        .size:           8
        .value_kind:     global_buffer
      - .address_space:  global
        .offset:         16
        .size:           8
        .value_kind:     global_buffer
      - .address_space:  global
        .offset:         24
        .size:           8
        .value_kind:     global_buffer
      - .offset:         32
        .size:           4
        .value_kind:     by_value
      - .offset:         36
        .size:           4
        .value_kind:     by_value
      - .offset:         40
        .size:           4
        .value_kind:     by_value
      - .offset:         44
        .size:           4
        .value_kind:     by_value
      - .offset:         48
        .size:           4
        .value_kind:     by_value
      - .offset:         52
        .size:           4
        .value_kind:     by_value
      - .offset:         56
        .size:           4
        .value_kind:     by_value
      - .offset:         60
        .size:           4
        .value_kind:     by_value
    .group_segment_fixed_size: 28728
    .kernarg_segment_align: 8
    .kernarg_segment_size: 64
    .language:       OpenCL C
    .language_version:
      - 2
      - 0
    .max_flat_workgroup_size: 1024
    .name:           _Z19_skinny_gemm_kernelILi1ELi6ELi2ELi32ELi4EEvPKhS1_P6__halfPKfiiiiiiii
    .private_segment_fixed_size: 116
    .sgpr_count:     106
    .sgpr_spill_count: 65
    .symbol:         _Z19_skinny_gemm_kernelILi1ELi6ELi2ELi32ELi4EEvPKhS1_P6__halfPKfiiiiiiii.kd
    .uniform_work_group_size: 1
    .uses_dynamic_stack: false
    .vgpr_count:     128
    .vgpr_spill_count: 30
    .wavefront_size: 64
  - .agpr_count:     0
    .args:
      - .address_space:  global
        .offset:         0
        .size:           8
        .value_kind:     global_buffer
      - .address_space:  global
        .offset:         8
        .size:           8
        .value_kind:     global_buffer
      - .address_space:  global
        .offset:         16
        .size:           8
        .value_kind:     global_buffer
      - .address_space:  global
        .offset:         24
        .size:           8
        .value_kind:     global_buffer
      - .offset:         32
        .size:           4
        .value_kind:     by_value
      - .offset:         36
        .size:           4
        .value_kind:     by_value
      - .offset:         40
        .size:           4
        .value_kind:     by_value
      - .offset:         44
        .size:           4
        .value_kind:     by_value
      - .offset:         48
        .size:           4
        .value_kind:     by_value
      - .offset:         52
        .size:           4
        .value_kind:     by_value
      - .offset:         56
        .size:           4
        .value_kind:     by_value
      - .offset:         60
        .size:           4
        .value_kind:     by_value
    .group_segment_fixed_size: 57400
    .kernarg_segment_align: 8
    .kernarg_segment_size: 64
    .language:       OpenCL C
    .language_version:
      - 2
      - 0
    .max_flat_workgroup_size: 1024
    .name:           _Z19_skinny_gemm_kernelILi1ELi6ELi2ELi32ELi8EEvPKhS1_P6__halfPKfiiiiiiii
    .private_segment_fixed_size: 108
    .sgpr_count:     106
    .sgpr_spill_count: 65
    .symbol:         _Z19_skinny_gemm_kernelILi1ELi6ELi2ELi32ELi8EEvPKhS1_P6__halfPKfiiiiiiii.kd
    .uniform_work_group_size: 1
    .uses_dynamic_stack: false
    .vgpr_count:     128
    .vgpr_spill_count: 30
    .wavefront_size: 64
  - .agpr_count:     0
    .args:
      - .address_space:  global
        .offset:         0
        .size:           8
        .value_kind:     global_buffer
      - .address_space:  global
        .offset:         8
        .size:           8
        .value_kind:     global_buffer
      - .address_space:  global
        .offset:         16
        .size:           8
        .value_kind:     global_buffer
      - .address_space:  global
        .offset:         24
        .size:           8
        .value_kind:     global_buffer
      - .offset:         32
        .size:           4
        .value_kind:     by_value
      - .offset:         36
        .size:           4
        .value_kind:     by_value
      - .offset:         40
        .size:           4
        .value_kind:     by_value
      - .offset:         44
        .size:           4
        .value_kind:     by_value
      - .offset:         48
        .size:           4
        .value_kind:     by_value
      - .offset:         52
        .size:           4
        .value_kind:     by_value
      - .offset:         56
        .size:           4
        .value_kind:     by_value
      - .offset:         60
        .size:           4
        .value_kind:     by_value
    .group_segment_fixed_size: 43092
    .kernarg_segment_align: 8
    .kernarg_segment_size: 64
    .language:       OpenCL C
    .language_version:
      - 2
      - 0
    .max_flat_workgroup_size: 1024
    .name:           _Z19_skinny_gemm_kernelILi1ELi6ELi3ELi16ELi4EEvPKhS1_P6__halfPKfiiiiiiii
    .private_segment_fixed_size: 0
    .sgpr_count:     77
    .sgpr_spill_count: 0
    .symbol:         _Z19_skinny_gemm_kernelILi1ELi6ELi3ELi16ELi4EEvPKhS1_P6__halfPKfiiiiiiii.kd
    .uniform_work_group_size: 1
    .uses_dynamic_stack: false
    .vgpr_count:     70
    .vgpr_spill_count: 0
    .wavefront_size: 64
  - .agpr_count:     0
    .args:
      - .address_space:  global
        .offset:         0
        .size:           8
        .value_kind:     global_buffer
      - .address_space:  global
        .offset:         8
        .size:           8
        .value_kind:     global_buffer
      - .address_space:  global
        .offset:         16
        .size:           8
        .value_kind:     global_buffer
      - .address_space:  global
        .offset:         24
        .size:           8
        .value_kind:     global_buffer
      - .offset:         32
        .size:           4
        .value_kind:     by_value
      - .offset:         36
        .size:           4
        .value_kind:     by_value
      - .offset:         40
        .size:           4
        .value_kind:     by_value
      - .offset:         44
        .size:           4
        .value_kind:     by_value
      - .offset:         48
        .size:           4
        .value_kind:     by_value
      - .offset:         52
        .size:           4
        .value_kind:     by_value
      - .offset:         56
        .size:           4
        .value_kind:     by_value
      - .offset:         60
        .size:           4
        .value_kind:     by_value
    .group_segment_fixed_size: 43092
    .kernarg_segment_align: 8
    .kernarg_segment_size: 64
    .language:       OpenCL C
    .language_version:
      - 2
      - 0
    .max_flat_workgroup_size: 1024
    .name:           _Z19_skinny_gemm_kernelILi1ELi6ELi3ELi32ELi4EEvPKhS1_P6__halfPKfiiiiiiii
    .private_segment_fixed_size: 116
    .sgpr_count:     106
    .sgpr_spill_count: 65
    .symbol:         _Z19_skinny_gemm_kernelILi1ELi6ELi3ELi32ELi4EEvPKhS1_P6__halfPKfiiiiiiii.kd
    .uniform_work_group_size: 1
    .uses_dynamic_stack: false
    .vgpr_count:     128
    .vgpr_spill_count: 30
    .wavefront_size: 64
  - .agpr_count:     0
    .args:
      - .address_space:  global
        .offset:         0
        .size:           8
        .value_kind:     global_buffer
      - .address_space:  global
        .offset:         8
        .size:           8
        .value_kind:     global_buffer
      - .address_space:  global
        .offset:         16
        .size:           8
        .value_kind:     global_buffer
      - .address_space:  global
        .offset:         24
        .size:           8
        .value_kind:     global_buffer
      - .offset:         32
        .size:           4
        .value_kind:     by_value
      - .offset:         36
        .size:           4
        .value_kind:     by_value
      - .offset:         40
        .size:           4
        .value_kind:     by_value
      - .offset:         44
        .size:           4
        .value_kind:     by_value
      - .offset:         48
        .size:           4
        .value_kind:     by_value
      - .offset:         52
        .size:           4
        .value_kind:     by_value
      - .offset:         56
        .size:           4
        .value_kind:     by_value
      - .offset:         60
        .size:           4
        .value_kind:     by_value
    .group_segment_fixed_size: 57456
    .kernarg_segment_align: 8
    .kernarg_segment_size: 64
    .language:       OpenCL C
    .language_version:
      - 2
      - 0
    .max_flat_workgroup_size: 1024
    .name:           _Z19_skinny_gemm_kernelILi1ELi6ELi4ELi16ELi4EEvPKhS1_P6__halfPKfiiiiiiii
    .private_segment_fixed_size: 0
    .sgpr_count:     77
    .sgpr_spill_count: 0
    .symbol:         _Z19_skinny_gemm_kernelILi1ELi6ELi4ELi16ELi4EEvPKhS1_P6__halfPKfiiiiiiii.kd
    .uniform_work_group_size: 1
    .uses_dynamic_stack: false
    .vgpr_count:     70
    .vgpr_spill_count: 0
    .wavefront_size: 64
  - .agpr_count:     0
    .args:
      - .address_space:  global
        .offset:         0
        .size:           8
        .value_kind:     global_buffer
      - .address_space:  global
        .offset:         8
        .size:           8
        .value_kind:     global_buffer
      - .address_space:  global
        .offset:         16
        .size:           8
        .value_kind:     global_buffer
      - .address_space:  global
        .offset:         24
        .size:           8
        .value_kind:     global_buffer
      - .offset:         32
        .size:           4
        .value_kind:     by_value
      - .offset:         36
        .size:           4
        .value_kind:     by_value
      - .offset:         40
        .size:           4
        .value_kind:     by_value
      - .offset:         44
        .size:           4
        .value_kind:     by_value
      - .offset:         48
        .size:           4
        .value_kind:     by_value
      - .offset:         52
        .size:           4
        .value_kind:     by_value
      - .offset:         56
        .size:           4
        .value_kind:     by_value
      - .offset:         60
        .size:           4
        .value_kind:     by_value
    .group_segment_fixed_size: 57456
    .kernarg_segment_align: 8
    .kernarg_segment_size: 64
    .language:       OpenCL C
    .language_version:
      - 2
      - 0
    .max_flat_workgroup_size: 1024
    .name:           _Z19_skinny_gemm_kernelILi1ELi6ELi4ELi32ELi4EEvPKhS1_P6__halfPKfiiiiiiii
    .private_segment_fixed_size: 116
    .sgpr_count:     106
    .sgpr_spill_count: 65
    .symbol:         _Z19_skinny_gemm_kernelILi1ELi6ELi4ELi32ELi4EEvPKhS1_P6__halfPKfiiiiiiii.kd
    .uniform_work_group_size: 1
    .uses_dynamic_stack: false
    .vgpr_count:     128
    .vgpr_spill_count: 30
    .wavefront_size: 64
  - .agpr_count:     0
    .args:
      - .address_space:  global
        .offset:         0
        .size:           8
        .value_kind:     global_buffer
      - .address_space:  global
        .offset:         8
        .size:           8
        .value_kind:     global_buffer
      - .address_space:  global
        .offset:         16
        .size:           8
        .value_kind:     global_buffer
      - .address_space:  global
        .offset:         24
        .size:           8
        .value_kind:     global_buffer
      - .offset:         32
        .size:           4
        .value_kind:     by_value
      - .offset:         36
        .size:           4
        .value_kind:     by_value
      - .offset:         40
        .size:           4
        .value_kind:     by_value
      - .offset:         44
        .size:           4
        .value_kind:     by_value
      - .offset:         48
        .size:           4
        .value_kind:     by_value
      - .offset:         52
        .size:           4
        .value_kind:     by_value
      - .offset:         56
        .size:           4
        .value_kind:     by_value
      - .offset:         60
        .size:           4
        .value_kind:     by_value
    .group_segment_fixed_size: 6156
    .kernarg_segment_align: 8
    .kernarg_segment_size: 64
    .language:       OpenCL C
    .language_version:
      - 2
      - 0
    .max_flat_workgroup_size: 1024
    .name:           _Z19_skinny_gemm_kernelILi2ELi1ELi1ELi16ELi4EEvPKhS1_P6__halfPKfiiiiiiii
    .private_segment_fixed_size: 0
    .sgpr_count:     62
    .sgpr_spill_count: 0
    .symbol:         _Z19_skinny_gemm_kernelILi2ELi1ELi1ELi16ELi4EEvPKhS1_P6__halfPKfiiiiiiii.kd
    .uniform_work_group_size: 1
    .uses_dynamic_stack: false
    .vgpr_count:     49
    .vgpr_spill_count: 0
    .wavefront_size: 64
  - .agpr_count:     0
    .args:
      - .address_space:  global
        .offset:         0
        .size:           8
        .value_kind:     global_buffer
      - .address_space:  global
        .offset:         8
        .size:           8
        .value_kind:     global_buffer
      - .address_space:  global
        .offset:         16
        .size:           8
        .value_kind:     global_buffer
      - .address_space:  global
        .offset:         24
        .size:           8
        .value_kind:     global_buffer
      - .offset:         32
        .size:           4
        .value_kind:     by_value
      - .offset:         36
        .size:           4
        .value_kind:     by_value
      - .offset:         40
        .size:           4
        .value_kind:     by_value
      - .offset:         44
        .size:           4
        .value_kind:     by_value
      - .offset:         48
        .size:           4
        .value_kind:     by_value
      - .offset:         52
        .size:           4
        .value_kind:     by_value
      - .offset:         56
        .size:           4
        .value_kind:     by_value
      - .offset:         60
        .size:           4
        .value_kind:     by_value
    .group_segment_fixed_size: 12300
    .kernarg_segment_align: 8
    .kernarg_segment_size: 64
    .language:       OpenCL C
    .language_version:
      - 2
      - 0
    .max_flat_workgroup_size: 1024
    .name:           _Z19_skinny_gemm_kernelILi2ELi1ELi1ELi16ELi8EEvPKhS1_P6__halfPKfiiiiiiii
    .private_segment_fixed_size: 0
    .sgpr_count:     62
    .sgpr_spill_count: 0
    .symbol:         _Z19_skinny_gemm_kernelILi2ELi1ELi1ELi16ELi8EEvPKhS1_P6__halfPKfiiiiiiii.kd
    .uniform_work_group_size: 1
    .uses_dynamic_stack: false
    .vgpr_count:     58
    .vgpr_spill_count: 0
    .wavefront_size: 64
  - .agpr_count:     0
    .args:
      - .address_space:  global
        .offset:         0
        .size:           8
        .value_kind:     global_buffer
      - .address_space:  global
        .offset:         8
        .size:           8
        .value_kind:     global_buffer
      - .address_space:  global
        .offset:         16
        .size:           8
        .value_kind:     global_buffer
      - .address_space:  global
        .offset:         24
        .size:           8
        .value_kind:     global_buffer
      - .offset:         32
        .size:           4
        .value_kind:     by_value
      - .offset:         36
        .size:           4
        .value_kind:     by_value
      - .offset:         40
        .size:           4
        .value_kind:     by_value
      - .offset:         44
        .size:           4
        .value_kind:     by_value
      - .offset:         48
        .size:           4
        .value_kind:     by_value
      - .offset:         52
        .size:           4
        .value_kind:     by_value
      - .offset:         56
        .size:           4
        .value_kind:     by_value
      - .offset:         60
        .size:           4
        .value_kind:     by_value
    .group_segment_fixed_size: 6156
    .kernarg_segment_align: 8
    .kernarg_segment_size: 64
    .language:       OpenCL C
    .language_version:
      - 2
      - 0
    .max_flat_workgroup_size: 1024
    .name:           _Z19_skinny_gemm_kernelILi2ELi1ELi1ELi32ELi4EEvPKhS1_P6__halfPKfiiiiiiii
    .private_segment_fixed_size: 0
    .sgpr_count:     82
    .sgpr_spill_count: 0
    .symbol:         _Z19_skinny_gemm_kernelILi2ELi1ELi1ELi32ELi4EEvPKhS1_P6__halfPKfiiiiiiii.kd
    .uniform_work_group_size: 1
    .uses_dynamic_stack: false
    .vgpr_count:     79
    .vgpr_spill_count: 0
    .wavefront_size: 64
  - .agpr_count:     0
    .args:
      - .address_space:  global
        .offset:         0
        .size:           8
        .value_kind:     global_buffer
      - .address_space:  global
        .offset:         8
        .size:           8
        .value_kind:     global_buffer
      - .address_space:  global
        .offset:         16
        .size:           8
        .value_kind:     global_buffer
      - .address_space:  global
        .offset:         24
        .size:           8
        .value_kind:     global_buffer
      - .offset:         32
        .size:           4
        .value_kind:     by_value
      - .offset:         36
        .size:           4
        .value_kind:     by_value
      - .offset:         40
        .size:           4
        .value_kind:     by_value
      - .offset:         44
        .size:           4
        .value_kind:     by_value
      - .offset:         48
        .size:           4
        .value_kind:     by_value
      - .offset:         52
        .size:           4
        .value_kind:     by_value
      - .offset:         56
        .size:           4
        .value_kind:     by_value
      - .offset:         60
        .size:           4
        .value_kind:     by_value
    .group_segment_fixed_size: 12300
    .kernarg_segment_align: 8
    .kernarg_segment_size: 64
    .language:       OpenCL C
    .language_version:
      - 2
      - 0
    .max_flat_workgroup_size: 1024
    .name:           _Z19_skinny_gemm_kernelILi2ELi1ELi1ELi32ELi8EEvPKhS1_P6__halfPKfiiiiiiii
    .private_segment_fixed_size: 0
    .sgpr_count:     82
    .sgpr_spill_count: 0
    .symbol:         _Z19_skinny_gemm_kernelILi2ELi1ELi1ELi32ELi8EEvPKhS1_P6__halfPKfiiiiiiii.kd
    .uniform_work_group_size: 1
    .uses_dynamic_stack: false
    .vgpr_count:     87
    .vgpr_spill_count: 0
    .wavefront_size: 64
  - .agpr_count:     0
    .args:
      - .address_space:  global
        .offset:         0
        .size:           8
        .value_kind:     global_buffer
      - .address_space:  global
        .offset:         8
        .size:           8
        .value_kind:     global_buffer
      - .address_space:  global
        .offset:         16
        .size:           8
        .value_kind:     global_buffer
      - .address_space:  global
        .offset:         24
        .size:           8
        .value_kind:     global_buffer
      - .offset:         32
        .size:           4
        .value_kind:     by_value
      - .offset:         36
        .size:           4
        .value_kind:     by_value
      - .offset:         40
        .size:           4
        .value_kind:     by_value
      - .offset:         44
        .size:           4
        .value_kind:     by_value
      - .offset:         48
        .size:           4
        .value_kind:     by_value
      - .offset:         52
        .size:           4
        .value_kind:     by_value
      - .offset:         56
        .size:           4
        .value_kind:     by_value
      - .offset:         60
        .size:           4
        .value_kind:     by_value
    .group_segment_fixed_size: 12312
    .kernarg_segment_align: 8
    .kernarg_segment_size: 64
    .language:       OpenCL C
    .language_version:
      - 2
      - 0
    .max_flat_workgroup_size: 1024
    .name:           _Z19_skinny_gemm_kernelILi2ELi1ELi2ELi16ELi4EEvPKhS1_P6__halfPKfiiiiiiii
    .private_segment_fixed_size: 0
    .sgpr_count:     62
    .sgpr_spill_count: 0
    .symbol:         _Z19_skinny_gemm_kernelILi2ELi1ELi2ELi16ELi4EEvPKhS1_P6__halfPKfiiiiiiii.kd
    .uniform_work_group_size: 1
    .uses_dynamic_stack: false
    .vgpr_count:     49
    .vgpr_spill_count: 0
    .wavefront_size: 64
  - .agpr_count:     0
    .args:
      - .address_space:  global
        .offset:         0
        .size:           8
        .value_kind:     global_buffer
      - .address_space:  global
        .offset:         8
        .size:           8
        .value_kind:     global_buffer
      - .address_space:  global
        .offset:         16
        .size:           8
        .value_kind:     global_buffer
      - .address_space:  global
        .offset:         24
        .size:           8
        .value_kind:     global_buffer
      - .offset:         32
        .size:           4
        .value_kind:     by_value
      - .offset:         36
        .size:           4
        .value_kind:     by_value
      - .offset:         40
        .size:           4
        .value_kind:     by_value
      - .offset:         44
        .size:           4
        .value_kind:     by_value
      - .offset:         48
        .size:           4
        .value_kind:     by_value
      - .offset:         52
        .size:           4
        .value_kind:     by_value
      - .offset:         56
        .size:           4
        .value_kind:     by_value
      - .offset:         60
        .size:           4
        .value_kind:     by_value
    .group_segment_fixed_size: 24600
    .kernarg_segment_align: 8
    .kernarg_segment_size: 64
    .language:       OpenCL C
    .language_version:
      - 2
      - 0
    .max_flat_workgroup_size: 1024
    .name:           _Z19_skinny_gemm_kernelILi2ELi1ELi2ELi16ELi8EEvPKhS1_P6__halfPKfiiiiiiii
    .private_segment_fixed_size: 0
    .sgpr_count:     62
    .sgpr_spill_count: 0
    .symbol:         _Z19_skinny_gemm_kernelILi2ELi1ELi2ELi16ELi8EEvPKhS1_P6__halfPKfiiiiiiii.kd
    .uniform_work_group_size: 1
    .uses_dynamic_stack: false
    .vgpr_count:     58
    .vgpr_spill_count: 0
    .wavefront_size: 64
  - .agpr_count:     0
    .args:
      - .address_space:  global
        .offset:         0
        .size:           8
        .value_kind:     global_buffer
      - .address_space:  global
        .offset:         8
        .size:           8
        .value_kind:     global_buffer
      - .address_space:  global
        .offset:         16
        .size:           8
        .value_kind:     global_buffer
      - .address_space:  global
        .offset:         24
        .size:           8
        .value_kind:     global_buffer
      - .offset:         32
        .size:           4
        .value_kind:     by_value
      - .offset:         36
        .size:           4
        .value_kind:     by_value
      - .offset:         40
        .size:           4
        .value_kind:     by_value
      - .offset:         44
        .size:           4
        .value_kind:     by_value
      - .offset:         48
        .size:           4
        .value_kind:     by_value
      - .offset:         52
        .size:           4
        .value_kind:     by_value
      - .offset:         56
        .size:           4
        .value_kind:     by_value
      - .offset:         60
        .size:           4
        .value_kind:     by_value
    .group_segment_fixed_size: 12312
    .kernarg_segment_align: 8
    .kernarg_segment_size: 64
    .language:       OpenCL C
    .language_version:
      - 2
      - 0
    .max_flat_workgroup_size: 1024
    .name:           _Z19_skinny_gemm_kernelILi2ELi1ELi2ELi32ELi4EEvPKhS1_P6__halfPKfiiiiiiii
    .private_segment_fixed_size: 0
    .sgpr_count:     82
    .sgpr_spill_count: 0
    .symbol:         _Z19_skinny_gemm_kernelILi2ELi1ELi2ELi32ELi4EEvPKhS1_P6__halfPKfiiiiiiii.kd
    .uniform_work_group_size: 1
    .uses_dynamic_stack: false
    .vgpr_count:     79
    .vgpr_spill_count: 0
    .wavefront_size: 64
  - .agpr_count:     0
    .args:
      - .address_space:  global
        .offset:         0
        .size:           8
        .value_kind:     global_buffer
      - .address_space:  global
        .offset:         8
        .size:           8
        .value_kind:     global_buffer
      - .address_space:  global
        .offset:         16
        .size:           8
        .value_kind:     global_buffer
      - .address_space:  global
        .offset:         24
        .size:           8
        .value_kind:     global_buffer
      - .offset:         32
        .size:           4
        .value_kind:     by_value
      - .offset:         36
        .size:           4
        .value_kind:     by_value
      - .offset:         40
        .size:           4
        .value_kind:     by_value
      - .offset:         44
        .size:           4
        .value_kind:     by_value
      - .offset:         48
        .size:           4
        .value_kind:     by_value
      - .offset:         52
        .size:           4
        .value_kind:     by_value
      - .offset:         56
        .size:           4
        .value_kind:     by_value
      - .offset:         60
        .size:           4
        .value_kind:     by_value
    .group_segment_fixed_size: 24600
    .kernarg_segment_align: 8
    .kernarg_segment_size: 64
    .language:       OpenCL C
    .language_version:
      - 2
      - 0
    .max_flat_workgroup_size: 1024
    .name:           _Z19_skinny_gemm_kernelILi2ELi1ELi2ELi32ELi8EEvPKhS1_P6__halfPKfiiiiiiii
    .private_segment_fixed_size: 0
    .sgpr_count:     82
    .sgpr_spill_count: 0
    .symbol:         _Z19_skinny_gemm_kernelILi2ELi1ELi2ELi32ELi8EEvPKhS1_P6__halfPKfiiiiiiii.kd
    .uniform_work_group_size: 1
    .uses_dynamic_stack: false
    .vgpr_count:     87
    .vgpr_spill_count: 0
    .wavefront_size: 64
  - .agpr_count:     0
    .args:
      - .address_space:  global
        .offset:         0
        .size:           8
        .value_kind:     global_buffer
      - .address_space:  global
        .offset:         8
        .size:           8
        .value_kind:     global_buffer
      - .address_space:  global
        .offset:         16
        .size:           8
        .value_kind:     global_buffer
      - .address_space:  global
        .offset:         24
        .size:           8
        .value_kind:     global_buffer
      - .offset:         32
        .size:           4
        .value_kind:     by_value
      - .offset:         36
        .size:           4
        .value_kind:     by_value
      - .offset:         40
        .size:           4
        .value_kind:     by_value
      - .offset:         44
        .size:           4
        .value_kind:     by_value
      - .offset:         48
        .size:           4
        .value_kind:     by_value
      - .offset:         52
        .size:           4
        .value_kind:     by_value
      - .offset:         56
        .size:           4
        .value_kind:     by_value
      - .offset:         60
        .size:           4
        .value_kind:     by_value
    .group_segment_fixed_size: 18468
    .kernarg_segment_align: 8
    .kernarg_segment_size: 64
    .language:       OpenCL C
    .language_version:
      - 2
      - 0
    .max_flat_workgroup_size: 1024
    .name:           _Z19_skinny_gemm_kernelILi2ELi1ELi3ELi16ELi4EEvPKhS1_P6__halfPKfiiiiiiii
    .private_segment_fixed_size: 0
    .sgpr_count:     62
    .sgpr_spill_count: 0
    .symbol:         _Z19_skinny_gemm_kernelILi2ELi1ELi3ELi16ELi4EEvPKhS1_P6__halfPKfiiiiiiii.kd
    .uniform_work_group_size: 1
    .uses_dynamic_stack: false
    .vgpr_count:     49
    .vgpr_spill_count: 0
    .wavefront_size: 64
  - .agpr_count:     0
    .args:
      - .address_space:  global
        .offset:         0
        .size:           8
        .value_kind:     global_buffer
      - .address_space:  global
        .offset:         8
        .size:           8
        .value_kind:     global_buffer
      - .address_space:  global
        .offset:         16
        .size:           8
        .value_kind:     global_buffer
      - .address_space:  global
        .offset:         24
        .size:           8
        .value_kind:     global_buffer
      - .offset:         32
        .size:           4
        .value_kind:     by_value
      - .offset:         36
        .size:           4
        .value_kind:     by_value
      - .offset:         40
        .size:           4
        .value_kind:     by_value
      - .offset:         44
        .size:           4
        .value_kind:     by_value
      - .offset:         48
        .size:           4
        .value_kind:     by_value
      - .offset:         52
        .size:           4
        .value_kind:     by_value
      - .offset:         56
        .size:           4
        .value_kind:     by_value
      - .offset:         60
        .size:           4
        .value_kind:     by_value
    .group_segment_fixed_size: 36900
    .kernarg_segment_align: 8
    .kernarg_segment_size: 64
    .language:       OpenCL C
    .language_version:
      - 2
      - 0
    .max_flat_workgroup_size: 1024
    .name:           _Z19_skinny_gemm_kernelILi2ELi1ELi3ELi16ELi8EEvPKhS1_P6__halfPKfiiiiiiii
    .private_segment_fixed_size: 0
    .sgpr_count:     62
    .sgpr_spill_count: 0
    .symbol:         _Z19_skinny_gemm_kernelILi2ELi1ELi3ELi16ELi8EEvPKhS1_P6__halfPKfiiiiiiii.kd
    .uniform_work_group_size: 1
    .uses_dynamic_stack: false
    .vgpr_count:     58
    .vgpr_spill_count: 0
    .wavefront_size: 64
  - .agpr_count:     0
    .args:
      - .address_space:  global
        .offset:         0
        .size:           8
        .value_kind:     global_buffer
      - .address_space:  global
        .offset:         8
        .size:           8
        .value_kind:     global_buffer
      - .address_space:  global
        .offset:         16
        .size:           8
        .value_kind:     global_buffer
      - .address_space:  global
        .offset:         24
        .size:           8
        .value_kind:     global_buffer
      - .offset:         32
        .size:           4
        .value_kind:     by_value
      - .offset:         36
        .size:           4
        .value_kind:     by_value
      - .offset:         40
        .size:           4
        .value_kind:     by_value
      - .offset:         44
        .size:           4
        .value_kind:     by_value
      - .offset:         48
        .size:           4
        .value_kind:     by_value
      - .offset:         52
        .size:           4
        .value_kind:     by_value
      - .offset:         56
        .size:           4
        .value_kind:     by_value
      - .offset:         60
        .size:           4
        .value_kind:     by_value
    .group_segment_fixed_size: 18468
    .kernarg_segment_align: 8
    .kernarg_segment_size: 64
    .language:       OpenCL C
    .language_version:
      - 2
      - 0
    .max_flat_workgroup_size: 1024
    .name:           _Z19_skinny_gemm_kernelILi2ELi1ELi3ELi32ELi4EEvPKhS1_P6__halfPKfiiiiiiii
    .private_segment_fixed_size: 0
    .sgpr_count:     82
    .sgpr_spill_count: 0
    .symbol:         _Z19_skinny_gemm_kernelILi2ELi1ELi3ELi32ELi4EEvPKhS1_P6__halfPKfiiiiiiii.kd
    .uniform_work_group_size: 1
    .uses_dynamic_stack: false
    .vgpr_count:     79
    .vgpr_spill_count: 0
    .wavefront_size: 64
  - .agpr_count:     0
    .args:
      - .address_space:  global
        .offset:         0
        .size:           8
        .value_kind:     global_buffer
      - .address_space:  global
        .offset:         8
        .size:           8
        .value_kind:     global_buffer
      - .address_space:  global
        .offset:         16
        .size:           8
        .value_kind:     global_buffer
      - .address_space:  global
        .offset:         24
        .size:           8
        .value_kind:     global_buffer
      - .offset:         32
        .size:           4
        .value_kind:     by_value
      - .offset:         36
        .size:           4
        .value_kind:     by_value
      - .offset:         40
        .size:           4
        .value_kind:     by_value
      - .offset:         44
        .size:           4
        .value_kind:     by_value
      - .offset:         48
        .size:           4
        .value_kind:     by_value
      - .offset:         52
        .size:           4
        .value_kind:     by_value
      - .offset:         56
        .size:           4
        .value_kind:     by_value
      - .offset:         60
        .size:           4
        .value_kind:     by_value
    .group_segment_fixed_size: 36900
    .kernarg_segment_align: 8
    .kernarg_segment_size: 64
    .language:       OpenCL C
    .language_version:
      - 2
      - 0
    .max_flat_workgroup_size: 1024
    .name:           _Z19_skinny_gemm_kernelILi2ELi1ELi3ELi32ELi8EEvPKhS1_P6__halfPKfiiiiiiii
    .private_segment_fixed_size: 0
    .sgpr_count:     82
    .sgpr_spill_count: 0
    .symbol:         _Z19_skinny_gemm_kernelILi2ELi1ELi3ELi32ELi8EEvPKhS1_P6__halfPKfiiiiiiii.kd
    .uniform_work_group_size: 1
    .uses_dynamic_stack: false
    .vgpr_count:     87
    .vgpr_spill_count: 0
    .wavefront_size: 64
  - .agpr_count:     0
    .args:
      - .address_space:  global
        .offset:         0
        .size:           8
        .value_kind:     global_buffer
      - .address_space:  global
        .offset:         8
        .size:           8
        .value_kind:     global_buffer
      - .address_space:  global
        .offset:         16
        .size:           8
        .value_kind:     global_buffer
      - .address_space:  global
        .offset:         24
        .size:           8
        .value_kind:     global_buffer
      - .offset:         32
        .size:           4
        .value_kind:     by_value
      - .offset:         36
        .size:           4
        .value_kind:     by_value
      - .offset:         40
        .size:           4
        .value_kind:     by_value
      - .offset:         44
        .size:           4
        .value_kind:     by_value
      - .offset:         48
        .size:           4
        .value_kind:     by_value
      - .offset:         52
        .size:           4
        .value_kind:     by_value
      - .offset:         56
        .size:           4
        .value_kind:     by_value
      - .offset:         60
        .size:           4
        .value_kind:     by_value
    .group_segment_fixed_size: 24624
    .kernarg_segment_align: 8
    .kernarg_segment_size: 64
    .language:       OpenCL C
    .language_version:
      - 2
      - 0
    .max_flat_workgroup_size: 1024
    .name:           _Z19_skinny_gemm_kernelILi2ELi1ELi4ELi16ELi4EEvPKhS1_P6__halfPKfiiiiiiii
    .private_segment_fixed_size: 0
    .sgpr_count:     62
    .sgpr_spill_count: 0
    .symbol:         _Z19_skinny_gemm_kernelILi2ELi1ELi4ELi16ELi4EEvPKhS1_P6__halfPKfiiiiiiii.kd
    .uniform_work_group_size: 1
    .uses_dynamic_stack: false
    .vgpr_count:     49
    .vgpr_spill_count: 0
    .wavefront_size: 64
  - .agpr_count:     0
    .args:
      - .address_space:  global
        .offset:         0
        .size:           8
        .value_kind:     global_buffer
      - .address_space:  global
        .offset:         8
        .size:           8
        .value_kind:     global_buffer
      - .address_space:  global
        .offset:         16
        .size:           8
        .value_kind:     global_buffer
      - .address_space:  global
        .offset:         24
        .size:           8
        .value_kind:     global_buffer
      - .offset:         32
        .size:           4
        .value_kind:     by_value
      - .offset:         36
        .size:           4
        .value_kind:     by_value
      - .offset:         40
        .size:           4
        .value_kind:     by_value
      - .offset:         44
        .size:           4
        .value_kind:     by_value
      - .offset:         48
        .size:           4
        .value_kind:     by_value
      - .offset:         52
        .size:           4
        .value_kind:     by_value
      - .offset:         56
        .size:           4
        .value_kind:     by_value
      - .offset:         60
        .size:           4
        .value_kind:     by_value
    .group_segment_fixed_size: 49200
    .kernarg_segment_align: 8
    .kernarg_segment_size: 64
    .language:       OpenCL C
    .language_version:
      - 2
      - 0
    .max_flat_workgroup_size: 1024
    .name:           _Z19_skinny_gemm_kernelILi2ELi1ELi4ELi16ELi8EEvPKhS1_P6__halfPKfiiiiiiii
    .private_segment_fixed_size: 0
    .sgpr_count:     62
    .sgpr_spill_count: 0
    .symbol:         _Z19_skinny_gemm_kernelILi2ELi1ELi4ELi16ELi8EEvPKhS1_P6__halfPKfiiiiiiii.kd
    .uniform_work_group_size: 1
    .uses_dynamic_stack: false
    .vgpr_count:     58
    .vgpr_spill_count: 0
    .wavefront_size: 64
  - .agpr_count:     0
    .args:
      - .address_space:  global
        .offset:         0
        .size:           8
        .value_kind:     global_buffer
      - .address_space:  global
        .offset:         8
        .size:           8
        .value_kind:     global_buffer
      - .address_space:  global
        .offset:         16
        .size:           8
        .value_kind:     global_buffer
      - .address_space:  global
        .offset:         24
        .size:           8
        .value_kind:     global_buffer
      - .offset:         32
        .size:           4
        .value_kind:     by_value
      - .offset:         36
        .size:           4
        .value_kind:     by_value
      - .offset:         40
        .size:           4
        .value_kind:     by_value
      - .offset:         44
        .size:           4
        .value_kind:     by_value
      - .offset:         48
        .size:           4
        .value_kind:     by_value
      - .offset:         52
        .size:           4
        .value_kind:     by_value
      - .offset:         56
        .size:           4
        .value_kind:     by_value
      - .offset:         60
        .size:           4
        .value_kind:     by_value
    .group_segment_fixed_size: 24624
    .kernarg_segment_align: 8
    .kernarg_segment_size: 64
    .language:       OpenCL C
    .language_version:
      - 2
      - 0
    .max_flat_workgroup_size: 1024
    .name:           _Z19_skinny_gemm_kernelILi2ELi1ELi4ELi32ELi4EEvPKhS1_P6__halfPKfiiiiiiii
    .private_segment_fixed_size: 0
    .sgpr_count:     82
    .sgpr_spill_count: 0
    .symbol:         _Z19_skinny_gemm_kernelILi2ELi1ELi4ELi32ELi4EEvPKhS1_P6__halfPKfiiiiiiii.kd
    .uniform_work_group_size: 1
    .uses_dynamic_stack: false
    .vgpr_count:     79
    .vgpr_spill_count: 0
    .wavefront_size: 64
  - .agpr_count:     0
    .args:
      - .address_space:  global
        .offset:         0
        .size:           8
        .value_kind:     global_buffer
      - .address_space:  global
        .offset:         8
        .size:           8
        .value_kind:     global_buffer
      - .address_space:  global
        .offset:         16
        .size:           8
        .value_kind:     global_buffer
      - .address_space:  global
        .offset:         24
        .size:           8
        .value_kind:     global_buffer
      - .offset:         32
        .size:           4
        .value_kind:     by_value
      - .offset:         36
        .size:           4
        .value_kind:     by_value
      - .offset:         40
        .size:           4
        .value_kind:     by_value
      - .offset:         44
        .size:           4
        .value_kind:     by_value
      - .offset:         48
        .size:           4
        .value_kind:     by_value
      - .offset:         52
        .size:           4
        .value_kind:     by_value
      - .offset:         56
        .size:           4
        .value_kind:     by_value
      - .offset:         60
        .size:           4
        .value_kind:     by_value
    .group_segment_fixed_size: 49200
    .kernarg_segment_align: 8
    .kernarg_segment_size: 64
    .language:       OpenCL C
    .language_version:
      - 2
      - 0
    .max_flat_workgroup_size: 1024
    .name:           _Z19_skinny_gemm_kernelILi2ELi1ELi4ELi32ELi8EEvPKhS1_P6__halfPKfiiiiiiii
    .private_segment_fixed_size: 0
    .sgpr_count:     82
    .sgpr_spill_count: 0
    .symbol:         _Z19_skinny_gemm_kernelILi2ELi1ELi4ELi32ELi8EEvPKhS1_P6__halfPKfiiiiiiii.kd
    .uniform_work_group_size: 1
    .uses_dynamic_stack: false
    .vgpr_count:     87
    .vgpr_spill_count: 0
    .wavefront_size: 64
  - .agpr_count:     0
    .args:
      - .address_space:  global
        .offset:         0
        .size:           8
        .value_kind:     global_buffer
      - .address_space:  global
        .offset:         8
        .size:           8
        .value_kind:     global_buffer
      - .address_space:  global
        .offset:         16
        .size:           8
        .value_kind:     global_buffer
      - .address_space:  global
        .offset:         24
        .size:           8
        .value_kind:     global_buffer
      - .offset:         32
        .size:           4
        .value_kind:     by_value
      - .offset:         36
        .size:           4
        .value_kind:     by_value
      - .offset:         40
        .size:           4
        .value_kind:     by_value
      - .offset:         44
        .size:           4
        .value_kind:     by_value
      - .offset:         48
        .size:           4
        .value_kind:     by_value
      - .offset:         52
        .size:           4
        .value_kind:     by_value
      - .offset:         56
        .size:           4
        .value_kind:     by_value
      - .offset:         60
        .size:           4
        .value_kind:     by_value
    .group_segment_fixed_size: 30780
    .kernarg_segment_align: 8
    .kernarg_segment_size: 64
    .language:       OpenCL C
    .language_version:
      - 2
      - 0
    .max_flat_workgroup_size: 1024
    .name:           _Z19_skinny_gemm_kernelILi2ELi1ELi5ELi16ELi4EEvPKhS1_P6__halfPKfiiiiiiii
    .private_segment_fixed_size: 0
    .sgpr_count:     62
    .sgpr_spill_count: 0
    .symbol:         _Z19_skinny_gemm_kernelILi2ELi1ELi5ELi16ELi4EEvPKhS1_P6__halfPKfiiiiiiii.kd
    .uniform_work_group_size: 1
    .uses_dynamic_stack: false
    .vgpr_count:     49
    .vgpr_spill_count: 0
    .wavefront_size: 64
  - .agpr_count:     0
    .args:
      - .address_space:  global
        .offset:         0
        .size:           8
        .value_kind:     global_buffer
      - .address_space:  global
        .offset:         8
        .size:           8
        .value_kind:     global_buffer
      - .address_space:  global
        .offset:         16
        .size:           8
        .value_kind:     global_buffer
      - .address_space:  global
        .offset:         24
        .size:           8
        .value_kind:     global_buffer
      - .offset:         32
        .size:           4
        .value_kind:     by_value
      - .offset:         36
        .size:           4
        .value_kind:     by_value
      - .offset:         40
        .size:           4
        .value_kind:     by_value
      - .offset:         44
        .size:           4
        .value_kind:     by_value
      - .offset:         48
        .size:           4
        .value_kind:     by_value
      - .offset:         52
        .size:           4
        .value_kind:     by_value
      - .offset:         56
        .size:           4
        .value_kind:     by_value
      - .offset:         60
        .size:           4
        .value_kind:     by_value
    .group_segment_fixed_size: 61500
    .kernarg_segment_align: 8
    .kernarg_segment_size: 64
    .language:       OpenCL C
    .language_version:
      - 2
      - 0
    .max_flat_workgroup_size: 1024
    .name:           _Z19_skinny_gemm_kernelILi2ELi1ELi5ELi16ELi8EEvPKhS1_P6__halfPKfiiiiiiii
    .private_segment_fixed_size: 0
    .sgpr_count:     62
    .sgpr_spill_count: 0
    .symbol:         _Z19_skinny_gemm_kernelILi2ELi1ELi5ELi16ELi8EEvPKhS1_P6__halfPKfiiiiiiii.kd
    .uniform_work_group_size: 1
    .uses_dynamic_stack: false
    .vgpr_count:     58
    .vgpr_spill_count: 0
    .wavefront_size: 64
  - .agpr_count:     0
    .args:
      - .address_space:  global
        .offset:         0
        .size:           8
        .value_kind:     global_buffer
      - .address_space:  global
        .offset:         8
        .size:           8
        .value_kind:     global_buffer
      - .address_space:  global
        .offset:         16
        .size:           8
        .value_kind:     global_buffer
      - .address_space:  global
        .offset:         24
        .size:           8
        .value_kind:     global_buffer
      - .offset:         32
        .size:           4
        .value_kind:     by_value
      - .offset:         36
        .size:           4
        .value_kind:     by_value
      - .offset:         40
        .size:           4
        .value_kind:     by_value
      - .offset:         44
        .size:           4
        .value_kind:     by_value
      - .offset:         48
        .size:           4
        .value_kind:     by_value
      - .offset:         52
        .size:           4
        .value_kind:     by_value
      - .offset:         56
        .size:           4
        .value_kind:     by_value
      - .offset:         60
        .size:           4
        .value_kind:     by_value
    .group_segment_fixed_size: 30780
    .kernarg_segment_align: 8
    .kernarg_segment_size: 64
    .language:       OpenCL C
    .language_version:
      - 2
      - 0
    .max_flat_workgroup_size: 1024
    .name:           _Z19_skinny_gemm_kernelILi2ELi1ELi5ELi32ELi4EEvPKhS1_P6__halfPKfiiiiiiii
    .private_segment_fixed_size: 0
    .sgpr_count:     82
    .sgpr_spill_count: 0
    .symbol:         _Z19_skinny_gemm_kernelILi2ELi1ELi5ELi32ELi4EEvPKhS1_P6__halfPKfiiiiiiii.kd
    .uniform_work_group_size: 1
    .uses_dynamic_stack: false
    .vgpr_count:     79
    .vgpr_spill_count: 0
    .wavefront_size: 64
  - .agpr_count:     0
    .args:
      - .address_space:  global
        .offset:         0
        .size:           8
        .value_kind:     global_buffer
      - .address_space:  global
        .offset:         8
        .size:           8
        .value_kind:     global_buffer
      - .address_space:  global
        .offset:         16
        .size:           8
        .value_kind:     global_buffer
      - .address_space:  global
        .offset:         24
        .size:           8
        .value_kind:     global_buffer
      - .offset:         32
        .size:           4
        .value_kind:     by_value
      - .offset:         36
        .size:           4
        .value_kind:     by_value
      - .offset:         40
        .size:           4
        .value_kind:     by_value
      - .offset:         44
        .size:           4
        .value_kind:     by_value
      - .offset:         48
        .size:           4
        .value_kind:     by_value
      - .offset:         52
        .size:           4
        .value_kind:     by_value
      - .offset:         56
        .size:           4
        .value_kind:     by_value
      - .offset:         60
        .size:           4
        .value_kind:     by_value
    .group_segment_fixed_size: 61500
    .kernarg_segment_align: 8
    .kernarg_segment_size: 64
    .language:       OpenCL C
    .language_version:
      - 2
      - 0
    .max_flat_workgroup_size: 1024
    .name:           _Z19_skinny_gemm_kernelILi2ELi1ELi5ELi32ELi8EEvPKhS1_P6__halfPKfiiiiiiii
    .private_segment_fixed_size: 0
    .sgpr_count:     82
    .sgpr_spill_count: 0
    .symbol:         _Z19_skinny_gemm_kernelILi2ELi1ELi5ELi32ELi8EEvPKhS1_P6__halfPKfiiiiiiii.kd
    .uniform_work_group_size: 1
    .uses_dynamic_stack: false
    .vgpr_count:     87
    .vgpr_spill_count: 0
    .wavefront_size: 64
  - .agpr_count:     0
    .args:
      - .address_space:  global
        .offset:         0
        .size:           8
        .value_kind:     global_buffer
      - .address_space:  global
        .offset:         8
        .size:           8
        .value_kind:     global_buffer
      - .address_space:  global
        .offset:         16
        .size:           8
        .value_kind:     global_buffer
      - .address_space:  global
        .offset:         24
        .size:           8
        .value_kind:     global_buffer
      - .offset:         32
        .size:           4
        .value_kind:     by_value
      - .offset:         36
        .size:           4
        .value_kind:     by_value
      - .offset:         40
        .size:           4
        .value_kind:     by_value
      - .offset:         44
        .size:           4
        .value_kind:     by_value
      - .offset:         48
        .size:           4
        .value_kind:     by_value
      - .offset:         52
        .size:           4
        .value_kind:     by_value
      - .offset:         56
        .size:           4
        .value_kind:     by_value
      - .offset:         60
        .size:           4
        .value_kind:     by_value
    .group_segment_fixed_size: 36936
    .kernarg_segment_align: 8
    .kernarg_segment_size: 64
    .language:       OpenCL C
    .language_version:
      - 2
      - 0
    .max_flat_workgroup_size: 1024
    .name:           _Z19_skinny_gemm_kernelILi2ELi1ELi6ELi16ELi4EEvPKhS1_P6__halfPKfiiiiiiii
    .private_segment_fixed_size: 0
    .sgpr_count:     62
    .sgpr_spill_count: 0
    .symbol:         _Z19_skinny_gemm_kernelILi2ELi1ELi6ELi16ELi4EEvPKhS1_P6__halfPKfiiiiiiii.kd
    .uniform_work_group_size: 1
    .uses_dynamic_stack: false
    .vgpr_count:     49
    .vgpr_spill_count: 0
    .wavefront_size: 64
  - .agpr_count:     0
    .args:
      - .address_space:  global
        .offset:         0
        .size:           8
        .value_kind:     global_buffer
      - .address_space:  global
        .offset:         8
        .size:           8
        .value_kind:     global_buffer
      - .address_space:  global
        .offset:         16
        .size:           8
        .value_kind:     global_buffer
      - .address_space:  global
        .offset:         24
        .size:           8
        .value_kind:     global_buffer
      - .offset:         32
        .size:           4
        .value_kind:     by_value
      - .offset:         36
        .size:           4
        .value_kind:     by_value
      - .offset:         40
        .size:           4
        .value_kind:     by_value
      - .offset:         44
        .size:           4
        .value_kind:     by_value
      - .offset:         48
        .size:           4
        .value_kind:     by_value
      - .offset:         52
        .size:           4
        .value_kind:     by_value
      - .offset:         56
        .size:           4
        .value_kind:     by_value
      - .offset:         60
        .size:           4
        .value_kind:     by_value
    .group_segment_fixed_size: 36936
    .kernarg_segment_align: 8
    .kernarg_segment_size: 64
    .language:       OpenCL C
    .language_version:
      - 2
      - 0
    .max_flat_workgroup_size: 1024
    .name:           _Z19_skinny_gemm_kernelILi2ELi1ELi6ELi32ELi4EEvPKhS1_P6__halfPKfiiiiiiii
    .private_segment_fixed_size: 0
    .sgpr_count:     82
    .sgpr_spill_count: 0
    .symbol:         _Z19_skinny_gemm_kernelILi2ELi1ELi6ELi32ELi4EEvPKhS1_P6__halfPKfiiiiiiii.kd
    .uniform_work_group_size: 1
    .uses_dynamic_stack: false
    .vgpr_count:     79
    .vgpr_spill_count: 0
    .wavefront_size: 64
  - .agpr_count:     0
    .args:
      - .address_space:  global
        .offset:         0
        .size:           8
        .value_kind:     global_buffer
      - .address_space:  global
        .offset:         8
        .size:           8
        .value_kind:     global_buffer
      - .address_space:  global
        .offset:         16
        .size:           8
        .value_kind:     global_buffer
      - .address_space:  global
        .offset:         24
        .size:           8
        .value_kind:     global_buffer
      - .offset:         32
        .size:           4
        .value_kind:     by_value
      - .offset:         36
        .size:           4
        .value_kind:     by_value
      - .offset:         40
        .size:           4
        .value_kind:     by_value
      - .offset:         44
        .size:           4
        .value_kind:     by_value
      - .offset:         48
        .size:           4
        .value_kind:     by_value
      - .offset:         52
        .size:           4
        .value_kind:     by_value
      - .offset:         56
        .size:           4
        .value_kind:     by_value
      - .offset:         60
        .size:           4
        .value_kind:     by_value
    .group_segment_fixed_size: 8208
    .kernarg_segment_align: 8
    .kernarg_segment_size: 64
    .language:       OpenCL C
    .language_version:
      - 2
      - 0
    .max_flat_workgroup_size: 1024
    .name:           _Z19_skinny_gemm_kernelILi2ELi2ELi1ELi16ELi4EEvPKhS1_P6__halfPKfiiiiiiii
    .private_segment_fixed_size: 0
    .sgpr_count:     69
    .sgpr_spill_count: 0
    .symbol:         _Z19_skinny_gemm_kernelILi2ELi2ELi1ELi16ELi4EEvPKhS1_P6__halfPKfiiiiiiii.kd
    .uniform_work_group_size: 1
    .uses_dynamic_stack: false
    .vgpr_count:     61
    .vgpr_spill_count: 0
    .wavefront_size: 64
  - .agpr_count:     0
    .args:
      - .address_space:  global
        .offset:         0
        .size:           8
        .value_kind:     global_buffer
      - .address_space:  global
        .offset:         8
        .size:           8
        .value_kind:     global_buffer
      - .address_space:  global
        .offset:         16
        .size:           8
        .value_kind:     global_buffer
      - .address_space:  global
        .offset:         24
        .size:           8
        .value_kind:     global_buffer
      - .offset:         32
        .size:           4
        .value_kind:     by_value
      - .offset:         36
        .size:           4
        .value_kind:     by_value
      - .offset:         40
        .size:           4
        .value_kind:     by_value
      - .offset:         44
        .size:           4
        .value_kind:     by_value
      - .offset:         48
        .size:           4
        .value_kind:     by_value
      - .offset:         52
        .size:           4
        .value_kind:     by_value
      - .offset:         56
        .size:           4
        .value_kind:     by_value
      - .offset:         60
        .size:           4
        .value_kind:     by_value
    .group_segment_fixed_size: 16400
    .kernarg_segment_align: 8
    .kernarg_segment_size: 64
    .language:       OpenCL C
    .language_version:
      - 2
      - 0
    .max_flat_workgroup_size: 1024
    .name:           _Z19_skinny_gemm_kernelILi2ELi2ELi1ELi16ELi8EEvPKhS1_P6__halfPKfiiiiiiii
    .private_segment_fixed_size: 0
    .sgpr_count:     69
    .sgpr_spill_count: 0
    .symbol:         _Z19_skinny_gemm_kernelILi2ELi2ELi1ELi16ELi8EEvPKhS1_P6__halfPKfiiiiiiii.kd
    .uniform_work_group_size: 1
    .uses_dynamic_stack: false
    .vgpr_count:     79
    .vgpr_spill_count: 0
    .wavefront_size: 64
  - .agpr_count:     0
    .args:
      - .address_space:  global
        .offset:         0
        .size:           8
        .value_kind:     global_buffer
      - .address_space:  global
        .offset:         8
        .size:           8
        .value_kind:     global_buffer
      - .address_space:  global
        .offset:         16
        .size:           8
        .value_kind:     global_buffer
      - .address_space:  global
        .offset:         24
        .size:           8
        .value_kind:     global_buffer
      - .offset:         32
        .size:           4
        .value_kind:     by_value
      - .offset:         36
        .size:           4
        .value_kind:     by_value
      - .offset:         40
        .size:           4
        .value_kind:     by_value
      - .offset:         44
        .size:           4
        .value_kind:     by_value
      - .offset:         48
        .size:           4
        .value_kind:     by_value
      - .offset:         52
        .size:           4
        .value_kind:     by_value
      - .offset:         56
        .size:           4
        .value_kind:     by_value
      - .offset:         60
        .size:           4
        .value_kind:     by_value
    .group_segment_fixed_size: 8208
    .kernarg_segment_align: 8
    .kernarg_segment_size: 64
    .language:       OpenCL C
    .language_version:
      - 2
      - 0
    .max_flat_workgroup_size: 1024
    .name:           _Z19_skinny_gemm_kernelILi2ELi2ELi1ELi32ELi4EEvPKhS1_P6__halfPKfiiiiiiii
    .private_segment_fixed_size: 0
    .sgpr_count:     106
    .sgpr_spill_count: 37
    .symbol:         _Z19_skinny_gemm_kernelILi2ELi2ELi1ELi32ELi4EEvPKhS1_P6__halfPKfiiiiiiii.kd
    .uniform_work_group_size: 1
    .uses_dynamic_stack: false
    .vgpr_count:     100
    .vgpr_spill_count: 0
    .wavefront_size: 64
  - .agpr_count:     0
    .args:
      - .address_space:  global
        .offset:         0
        .size:           8
        .value_kind:     global_buffer
      - .address_space:  global
        .offset:         8
        .size:           8
        .value_kind:     global_buffer
      - .address_space:  global
        .offset:         16
        .size:           8
        .value_kind:     global_buffer
      - .address_space:  global
        .offset:         24
        .size:           8
        .value_kind:     global_buffer
      - .offset:         32
        .size:           4
        .value_kind:     by_value
      - .offset:         36
        .size:           4
        .value_kind:     by_value
      - .offset:         40
        .size:           4
        .value_kind:     by_value
      - .offset:         44
        .size:           4
        .value_kind:     by_value
      - .offset:         48
        .size:           4
        .value_kind:     by_value
      - .offset:         52
        .size:           4
        .value_kind:     by_value
      - .offset:         56
        .size:           4
        .value_kind:     by_value
      - .offset:         60
        .size:           4
        .value_kind:     by_value
    .group_segment_fixed_size: 16400
    .kernarg_segment_align: 8
    .kernarg_segment_size: 64
    .language:       OpenCL C
    .language_version:
      - 2
      - 0
    .max_flat_workgroup_size: 1024
    .name:           _Z19_skinny_gemm_kernelILi2ELi2ELi1ELi32ELi8EEvPKhS1_P6__halfPKfiiiiiiii
    .private_segment_fixed_size: 0
    .sgpr_count:     106
    .sgpr_spill_count: 37
    .symbol:         _Z19_skinny_gemm_kernelILi2ELi2ELi1ELi32ELi8EEvPKhS1_P6__halfPKfiiiiiiii.kd
    .uniform_work_group_size: 1
    .uses_dynamic_stack: false
    .vgpr_count:     106
    .vgpr_spill_count: 0
    .wavefront_size: 64
  - .agpr_count:     0
    .args:
      - .address_space:  global
        .offset:         0
        .size:           8
        .value_kind:     global_buffer
      - .address_space:  global
        .offset:         8
        .size:           8
        .value_kind:     global_buffer
      - .address_space:  global
        .offset:         16
        .size:           8
        .value_kind:     global_buffer
      - .address_space:  global
        .offset:         24
        .size:           8
        .value_kind:     global_buffer
      - .offset:         32
        .size:           4
        .value_kind:     by_value
      - .offset:         36
        .size:           4
        .value_kind:     by_value
      - .offset:         40
        .size:           4
        .value_kind:     by_value
      - .offset:         44
        .size:           4
        .value_kind:     by_value
      - .offset:         48
        .size:           4
        .value_kind:     by_value
      - .offset:         52
        .size:           4
        .value_kind:     by_value
      - .offset:         56
        .size:           4
        .value_kind:     by_value
      - .offset:         60
        .size:           4
        .value_kind:     by_value
    .group_segment_fixed_size: 16416
    .kernarg_segment_align: 8
    .kernarg_segment_size: 64
    .language:       OpenCL C
    .language_version:
      - 2
      - 0
    .max_flat_workgroup_size: 1024
    .name:           _Z19_skinny_gemm_kernelILi2ELi2ELi2ELi16ELi4EEvPKhS1_P6__halfPKfiiiiiiii
    .private_segment_fixed_size: 0
    .sgpr_count:     69
    .sgpr_spill_count: 0
    .symbol:         _Z19_skinny_gemm_kernelILi2ELi2ELi2ELi16ELi4EEvPKhS1_P6__halfPKfiiiiiiii.kd
    .uniform_work_group_size: 1
    .uses_dynamic_stack: false
    .vgpr_count:     61
    .vgpr_spill_count: 0
    .wavefront_size: 64
  - .agpr_count:     0
    .args:
      - .address_space:  global
        .offset:         0
        .size:           8
        .value_kind:     global_buffer
      - .address_space:  global
        .offset:         8
        .size:           8
        .value_kind:     global_buffer
      - .address_space:  global
        .offset:         16
        .size:           8
        .value_kind:     global_buffer
      - .address_space:  global
        .offset:         24
        .size:           8
        .value_kind:     global_buffer
      - .offset:         32
        .size:           4
        .value_kind:     by_value
      - .offset:         36
        .size:           4
        .value_kind:     by_value
      - .offset:         40
        .size:           4
        .value_kind:     by_value
      - .offset:         44
        .size:           4
        .value_kind:     by_value
      - .offset:         48
        .size:           4
        .value_kind:     by_value
      - .offset:         52
        .size:           4
        .value_kind:     by_value
      - .offset:         56
        .size:           4
        .value_kind:     by_value
      - .offset:         60
        .size:           4
        .value_kind:     by_value
    .group_segment_fixed_size: 32800
    .kernarg_segment_align: 8
    .kernarg_segment_size: 64
    .language:       OpenCL C
    .language_version:
      - 2
      - 0
    .max_flat_workgroup_size: 1024
    .name:           _Z19_skinny_gemm_kernelILi2ELi2ELi2ELi16ELi8EEvPKhS1_P6__halfPKfiiiiiiii
    .private_segment_fixed_size: 0
    .sgpr_count:     69
    .sgpr_spill_count: 0
    .symbol:         _Z19_skinny_gemm_kernelILi2ELi2ELi2ELi16ELi8EEvPKhS1_P6__halfPKfiiiiiiii.kd
    .uniform_work_group_size: 1
    .uses_dynamic_stack: false
    .vgpr_count:     79
    .vgpr_spill_count: 0
    .wavefront_size: 64
  - .agpr_count:     0
    .args:
      - .address_space:  global
        .offset:         0
        .size:           8
        .value_kind:     global_buffer
      - .address_space:  global
        .offset:         8
        .size:           8
        .value_kind:     global_buffer
      - .address_space:  global
        .offset:         16
        .size:           8
        .value_kind:     global_buffer
      - .address_space:  global
        .offset:         24
        .size:           8
        .value_kind:     global_buffer
      - .offset:         32
        .size:           4
        .value_kind:     by_value
      - .offset:         36
        .size:           4
        .value_kind:     by_value
      - .offset:         40
        .size:           4
        .value_kind:     by_value
      - .offset:         44
        .size:           4
        .value_kind:     by_value
      - .offset:         48
        .size:           4
        .value_kind:     by_value
      - .offset:         52
        .size:           4
        .value_kind:     by_value
      - .offset:         56
        .size:           4
        .value_kind:     by_value
      - .offset:         60
        .size:           4
        .value_kind:     by_value
    .group_segment_fixed_size: 16416
    .kernarg_segment_align: 8
    .kernarg_segment_size: 64
    .language:       OpenCL C
    .language_version:
      - 2
      - 0
    .max_flat_workgroup_size: 1024
    .name:           _Z19_skinny_gemm_kernelILi2ELi2ELi2ELi32ELi4EEvPKhS1_P6__halfPKfiiiiiiii
    .private_segment_fixed_size: 0
    .sgpr_count:     106
    .sgpr_spill_count: 37
    .symbol:         _Z19_skinny_gemm_kernelILi2ELi2ELi2ELi32ELi4EEvPKhS1_P6__halfPKfiiiiiiii.kd
    .uniform_work_group_size: 1
    .uses_dynamic_stack: false
    .vgpr_count:     100
    .vgpr_spill_count: 0
    .wavefront_size: 64
  - .agpr_count:     0
    .args:
      - .address_space:  global
        .offset:         0
        .size:           8
        .value_kind:     global_buffer
      - .address_space:  global
        .offset:         8
        .size:           8
        .value_kind:     global_buffer
      - .address_space:  global
        .offset:         16
        .size:           8
        .value_kind:     global_buffer
      - .address_space:  global
        .offset:         24
        .size:           8
        .value_kind:     global_buffer
      - .offset:         32
        .size:           4
        .value_kind:     by_value
      - .offset:         36
        .size:           4
        .value_kind:     by_value
      - .offset:         40
        .size:           4
        .value_kind:     by_value
      - .offset:         44
        .size:           4
        .value_kind:     by_value
      - .offset:         48
        .size:           4
        .value_kind:     by_value
      - .offset:         52
        .size:           4
        .value_kind:     by_value
      - .offset:         56
        .size:           4
        .value_kind:     by_value
      - .offset:         60
        .size:           4
        .value_kind:     by_value
    .group_segment_fixed_size: 32800
    .kernarg_segment_align: 8
    .kernarg_segment_size: 64
    .language:       OpenCL C
    .language_version:
      - 2
      - 0
    .max_flat_workgroup_size: 1024
    .name:           _Z19_skinny_gemm_kernelILi2ELi2ELi2ELi32ELi8EEvPKhS1_P6__halfPKfiiiiiiii
    .private_segment_fixed_size: 0
    .sgpr_count:     106
    .sgpr_spill_count: 37
    .symbol:         _Z19_skinny_gemm_kernelILi2ELi2ELi2ELi32ELi8EEvPKhS1_P6__halfPKfiiiiiiii.kd
    .uniform_work_group_size: 1
    .uses_dynamic_stack: false
    .vgpr_count:     106
    .vgpr_spill_count: 0
    .wavefront_size: 64
  - .agpr_count:     0
    .args:
      - .address_space:  global
        .offset:         0
        .size:           8
        .value_kind:     global_buffer
      - .address_space:  global
        .offset:         8
        .size:           8
        .value_kind:     global_buffer
      - .address_space:  global
        .offset:         16
        .size:           8
        .value_kind:     global_buffer
      - .address_space:  global
        .offset:         24
        .size:           8
        .value_kind:     global_buffer
      - .offset:         32
        .size:           4
        .value_kind:     by_value
      - .offset:         36
        .size:           4
        .value_kind:     by_value
      - .offset:         40
        .size:           4
        .value_kind:     by_value
      - .offset:         44
        .size:           4
        .value_kind:     by_value
      - .offset:         48
        .size:           4
        .value_kind:     by_value
      - .offset:         52
        .size:           4
        .value_kind:     by_value
      - .offset:         56
        .size:           4
        .value_kind:     by_value
      - .offset:         60
        .size:           4
        .value_kind:     by_value
    .group_segment_fixed_size: 24624
    .kernarg_segment_align: 8
    .kernarg_segment_size: 64
    .language:       OpenCL C
    .language_version:
      - 2
      - 0
    .max_flat_workgroup_size: 1024
    .name:           _Z19_skinny_gemm_kernelILi2ELi2ELi3ELi16ELi4EEvPKhS1_P6__halfPKfiiiiiiii
    .private_segment_fixed_size: 0
    .sgpr_count:     69
    .sgpr_spill_count: 0
    .symbol:         _Z19_skinny_gemm_kernelILi2ELi2ELi3ELi16ELi4EEvPKhS1_P6__halfPKfiiiiiiii.kd
    .uniform_work_group_size: 1
    .uses_dynamic_stack: false
    .vgpr_count:     61
    .vgpr_spill_count: 0
    .wavefront_size: 64
  - .agpr_count:     0
    .args:
      - .address_space:  global
        .offset:         0
        .size:           8
        .value_kind:     global_buffer
      - .address_space:  global
        .offset:         8
        .size:           8
        .value_kind:     global_buffer
      - .address_space:  global
        .offset:         16
        .size:           8
        .value_kind:     global_buffer
      - .address_space:  global
        .offset:         24
        .size:           8
        .value_kind:     global_buffer
      - .offset:         32
        .size:           4
        .value_kind:     by_value
      - .offset:         36
        .size:           4
        .value_kind:     by_value
      - .offset:         40
        .size:           4
        .value_kind:     by_value
      - .offset:         44
        .size:           4
        .value_kind:     by_value
      - .offset:         48
        .size:           4
        .value_kind:     by_value
      - .offset:         52
        .size:           4
        .value_kind:     by_value
      - .offset:         56
        .size:           4
        .value_kind:     by_value
      - .offset:         60
        .size:           4
        .value_kind:     by_value
    .group_segment_fixed_size: 49200
    .kernarg_segment_align: 8
    .kernarg_segment_size: 64
    .language:       OpenCL C
    .language_version:
      - 2
      - 0
    .max_flat_workgroup_size: 1024
    .name:           _Z19_skinny_gemm_kernelILi2ELi2ELi3ELi16ELi8EEvPKhS1_P6__halfPKfiiiiiiii
    .private_segment_fixed_size: 0
    .sgpr_count:     69
    .sgpr_spill_count: 0
    .symbol:         _Z19_skinny_gemm_kernelILi2ELi2ELi3ELi16ELi8EEvPKhS1_P6__halfPKfiiiiiiii.kd
    .uniform_work_group_size: 1
    .uses_dynamic_stack: false
    .vgpr_count:     79
    .vgpr_spill_count: 0
    .wavefront_size: 64
  - .agpr_count:     0
    .args:
      - .address_space:  global
        .offset:         0
        .size:           8
        .value_kind:     global_buffer
      - .address_space:  global
        .offset:         8
        .size:           8
        .value_kind:     global_buffer
      - .address_space:  global
        .offset:         16
        .size:           8
        .value_kind:     global_buffer
      - .address_space:  global
        .offset:         24
        .size:           8
        .value_kind:     global_buffer
      - .offset:         32
        .size:           4
        .value_kind:     by_value
      - .offset:         36
        .size:           4
        .value_kind:     by_value
      - .offset:         40
        .size:           4
        .value_kind:     by_value
      - .offset:         44
        .size:           4
        .value_kind:     by_value
      - .offset:         48
        .size:           4
        .value_kind:     by_value
      - .offset:         52
        .size:           4
        .value_kind:     by_value
      - .offset:         56
        .size:           4
        .value_kind:     by_value
      - .offset:         60
        .size:           4
        .value_kind:     by_value
    .group_segment_fixed_size: 24624
    .kernarg_segment_align: 8
    .kernarg_segment_size: 64
    .language:       OpenCL C
    .language_version:
      - 2
      - 0
    .max_flat_workgroup_size: 1024
    .name:           _Z19_skinny_gemm_kernelILi2ELi2ELi3ELi32ELi4EEvPKhS1_P6__halfPKfiiiiiiii
    .private_segment_fixed_size: 0
    .sgpr_count:     106
    .sgpr_spill_count: 37
    .symbol:         _Z19_skinny_gemm_kernelILi2ELi2ELi3ELi32ELi4EEvPKhS1_P6__halfPKfiiiiiiii.kd
    .uniform_work_group_size: 1
    .uses_dynamic_stack: false
    .vgpr_count:     100
    .vgpr_spill_count: 0
    .wavefront_size: 64
  - .agpr_count:     0
    .args:
      - .address_space:  global
        .offset:         0
        .size:           8
        .value_kind:     global_buffer
      - .address_space:  global
        .offset:         8
        .size:           8
        .value_kind:     global_buffer
      - .address_space:  global
        .offset:         16
        .size:           8
        .value_kind:     global_buffer
      - .address_space:  global
        .offset:         24
        .size:           8
        .value_kind:     global_buffer
      - .offset:         32
        .size:           4
        .value_kind:     by_value
      - .offset:         36
        .size:           4
        .value_kind:     by_value
      - .offset:         40
        .size:           4
        .value_kind:     by_value
      - .offset:         44
        .size:           4
        .value_kind:     by_value
      - .offset:         48
        .size:           4
        .value_kind:     by_value
      - .offset:         52
        .size:           4
        .value_kind:     by_value
      - .offset:         56
        .size:           4
        .value_kind:     by_value
      - .offset:         60
        .size:           4
        .value_kind:     by_value
    .group_segment_fixed_size: 49200
    .kernarg_segment_align: 8
    .kernarg_segment_size: 64
    .language:       OpenCL C
    .language_version:
      - 2
      - 0
    .max_flat_workgroup_size: 1024
    .name:           _Z19_skinny_gemm_kernelILi2ELi2ELi3ELi32ELi8EEvPKhS1_P6__halfPKfiiiiiiii
    .private_segment_fixed_size: 0
    .sgpr_count:     106
    .sgpr_spill_count: 37
    .symbol:         _Z19_skinny_gemm_kernelILi2ELi2ELi3ELi32ELi8EEvPKhS1_P6__halfPKfiiiiiiii.kd
    .uniform_work_group_size: 1
    .uses_dynamic_stack: false
    .vgpr_count:     106
    .vgpr_spill_count: 0
    .wavefront_size: 64
  - .agpr_count:     0
    .args:
      - .address_space:  global
        .offset:         0
        .size:           8
        .value_kind:     global_buffer
      - .address_space:  global
        .offset:         8
        .size:           8
        .value_kind:     global_buffer
      - .address_space:  global
        .offset:         16
        .size:           8
        .value_kind:     global_buffer
      - .address_space:  global
        .offset:         24
        .size:           8
        .value_kind:     global_buffer
      - .offset:         32
        .size:           4
        .value_kind:     by_value
      - .offset:         36
        .size:           4
        .value_kind:     by_value
      - .offset:         40
        .size:           4
        .value_kind:     by_value
      - .offset:         44
        .size:           4
        .value_kind:     by_value
      - .offset:         48
        .size:           4
        .value_kind:     by_value
      - .offset:         52
        .size:           4
        .value_kind:     by_value
      - .offset:         56
        .size:           4
        .value_kind:     by_value
      - .offset:         60
        .size:           4
        .value_kind:     by_value
    .group_segment_fixed_size: 32832
    .kernarg_segment_align: 8
    .kernarg_segment_size: 64
    .language:       OpenCL C
    .language_version:
      - 2
      - 0
    .max_flat_workgroup_size: 1024
    .name:           _Z19_skinny_gemm_kernelILi2ELi2ELi4ELi16ELi4EEvPKhS1_P6__halfPKfiiiiiiii
    .private_segment_fixed_size: 0
    .sgpr_count:     69
    .sgpr_spill_count: 0
    .symbol:         _Z19_skinny_gemm_kernelILi2ELi2ELi4ELi16ELi4EEvPKhS1_P6__halfPKfiiiiiiii.kd
    .uniform_work_group_size: 1
    .uses_dynamic_stack: false
    .vgpr_count:     61
    .vgpr_spill_count: 0
    .wavefront_size: 64
  - .agpr_count:     0
    .args:
      - .address_space:  global
        .offset:         0
        .size:           8
        .value_kind:     global_buffer
      - .address_space:  global
        .offset:         8
        .size:           8
        .value_kind:     global_buffer
      - .address_space:  global
        .offset:         16
        .size:           8
        .value_kind:     global_buffer
      - .address_space:  global
        .offset:         24
        .size:           8
        .value_kind:     global_buffer
      - .offset:         32
        .size:           4
        .value_kind:     by_value
      - .offset:         36
        .size:           4
        .value_kind:     by_value
      - .offset:         40
        .size:           4
        .value_kind:     by_value
      - .offset:         44
        .size:           4
        .value_kind:     by_value
      - .offset:         48
        .size:           4
        .value_kind:     by_value
      - .offset:         52
        .size:           4
        .value_kind:     by_value
      - .offset:         56
        .size:           4
        .value_kind:     by_value
      - .offset:         60
        .size:           4
        .value_kind:     by_value
    .group_segment_fixed_size: 32832
    .kernarg_segment_align: 8
    .kernarg_segment_size: 64
    .language:       OpenCL C
    .language_version:
      - 2
      - 0
    .max_flat_workgroup_size: 1024
    .name:           _Z19_skinny_gemm_kernelILi2ELi2ELi4ELi32ELi4EEvPKhS1_P6__halfPKfiiiiiiii
    .private_segment_fixed_size: 0
    .sgpr_count:     106
    .sgpr_spill_count: 37
    .symbol:         _Z19_skinny_gemm_kernelILi2ELi2ELi4ELi32ELi4EEvPKhS1_P6__halfPKfiiiiiiii.kd
    .uniform_work_group_size: 1
    .uses_dynamic_stack: false
    .vgpr_count:     100
    .vgpr_spill_count: 0
    .wavefront_size: 64
  - .agpr_count:     0
    .args:
      - .address_space:  global
        .offset:         0
        .size:           8
        .value_kind:     global_buffer
      - .address_space:  global
        .offset:         8
        .size:           8
        .value_kind:     global_buffer
      - .address_space:  global
        .offset:         16
        .size:           8
        .value_kind:     global_buffer
      - .address_space:  global
        .offset:         24
        .size:           8
        .value_kind:     global_buffer
      - .offset:         32
        .size:           4
        .value_kind:     by_value
      - .offset:         36
        .size:           4
        .value_kind:     by_value
      - .offset:         40
        .size:           4
        .value_kind:     by_value
      - .offset:         44
        .size:           4
        .value_kind:     by_value
      - .offset:         48
        .size:           4
        .value_kind:     by_value
      - .offset:         52
        .size:           4
        .value_kind:     by_value
      - .offset:         56
        .size:           4
        .value_kind:     by_value
      - .offset:         60
        .size:           4
        .value_kind:     by_value
    .group_segment_fixed_size: 41040
    .kernarg_segment_align: 8
    .kernarg_segment_size: 64
    .language:       OpenCL C
    .language_version:
      - 2
      - 0
    .max_flat_workgroup_size: 1024
    .name:           _Z19_skinny_gemm_kernelILi2ELi2ELi5ELi16ELi4EEvPKhS1_P6__halfPKfiiiiiiii
    .private_segment_fixed_size: 0
    .sgpr_count:     69
    .sgpr_spill_count: 0
    .symbol:         _Z19_skinny_gemm_kernelILi2ELi2ELi5ELi16ELi4EEvPKhS1_P6__halfPKfiiiiiiii.kd
    .uniform_work_group_size: 1
    .uses_dynamic_stack: false
    .vgpr_count:     61
    .vgpr_spill_count: 0
    .wavefront_size: 64
  - .agpr_count:     0
    .args:
      - .address_space:  global
        .offset:         0
        .size:           8
        .value_kind:     global_buffer
      - .address_space:  global
        .offset:         8
        .size:           8
        .value_kind:     global_buffer
      - .address_space:  global
        .offset:         16
        .size:           8
        .value_kind:     global_buffer
      - .address_space:  global
        .offset:         24
        .size:           8
        .value_kind:     global_buffer
      - .offset:         32
        .size:           4
        .value_kind:     by_value
      - .offset:         36
        .size:           4
        .value_kind:     by_value
      - .offset:         40
        .size:           4
        .value_kind:     by_value
      - .offset:         44
        .size:           4
        .value_kind:     by_value
      - .offset:         48
        .size:           4
        .value_kind:     by_value
      - .offset:         52
        .size:           4
        .value_kind:     by_value
      - .offset:         56
        .size:           4
        .value_kind:     by_value
      - .offset:         60
        .size:           4
        .value_kind:     by_value
    .group_segment_fixed_size: 41040
    .kernarg_segment_align: 8
    .kernarg_segment_size: 64
    .language:       OpenCL C
    .language_version:
      - 2
      - 0
    .max_flat_workgroup_size: 1024
    .name:           _Z19_skinny_gemm_kernelILi2ELi2ELi5ELi32ELi4EEvPKhS1_P6__halfPKfiiiiiiii
    .private_segment_fixed_size: 0
    .sgpr_count:     106
    .sgpr_spill_count: 37
    .symbol:         _Z19_skinny_gemm_kernelILi2ELi2ELi5ELi32ELi4EEvPKhS1_P6__halfPKfiiiiiiii.kd
    .uniform_work_group_size: 1
    .uses_dynamic_stack: false
    .vgpr_count:     100
    .vgpr_spill_count: 0
    .wavefront_size: 64
  - .agpr_count:     0
    .args:
      - .address_space:  global
        .offset:         0
        .size:           8
        .value_kind:     global_buffer
      - .address_space:  global
        .offset:         8
        .size:           8
        .value_kind:     global_buffer
      - .address_space:  global
        .offset:         16
        .size:           8
        .value_kind:     global_buffer
      - .address_space:  global
        .offset:         24
        .size:           8
        .value_kind:     global_buffer
      - .offset:         32
        .size:           4
        .value_kind:     by_value
      - .offset:         36
        .size:           4
        .value_kind:     by_value
      - .offset:         40
        .size:           4
        .value_kind:     by_value
      - .offset:         44
        .size:           4
        .value_kind:     by_value
      - .offset:         48
        .size:           4
        .value_kind:     by_value
      - .offset:         52
        .size:           4
        .value_kind:     by_value
      - .offset:         56
        .size:           4
        .value_kind:     by_value
      - .offset:         60
        .size:           4
        .value_kind:     by_value
    .group_segment_fixed_size: 49248
    .kernarg_segment_align: 8
    .kernarg_segment_size: 64
    .language:       OpenCL C
    .language_version:
      - 2
      - 0
    .max_flat_workgroup_size: 1024
    .name:           _Z19_skinny_gemm_kernelILi2ELi2ELi6ELi16ELi4EEvPKhS1_P6__halfPKfiiiiiiii
    .private_segment_fixed_size: 0
    .sgpr_count:     69
    .sgpr_spill_count: 0
    .symbol:         _Z19_skinny_gemm_kernelILi2ELi2ELi6ELi16ELi4EEvPKhS1_P6__halfPKfiiiiiiii.kd
    .uniform_work_group_size: 1
    .uses_dynamic_stack: false
    .vgpr_count:     61
    .vgpr_spill_count: 0
    .wavefront_size: 64
  - .agpr_count:     0
    .args:
      - .address_space:  global
        .offset:         0
        .size:           8
        .value_kind:     global_buffer
      - .address_space:  global
        .offset:         8
        .size:           8
        .value_kind:     global_buffer
      - .address_space:  global
        .offset:         16
        .size:           8
        .value_kind:     global_buffer
      - .address_space:  global
        .offset:         24
        .size:           8
        .value_kind:     global_buffer
      - .offset:         32
        .size:           4
        .value_kind:     by_value
      - .offset:         36
        .size:           4
        .value_kind:     by_value
      - .offset:         40
        .size:           4
        .value_kind:     by_value
      - .offset:         44
        .size:           4
        .value_kind:     by_value
      - .offset:         48
        .size:           4
        .value_kind:     by_value
      - .offset:         52
        .size:           4
        .value_kind:     by_value
      - .offset:         56
        .size:           4
        .value_kind:     by_value
      - .offset:         60
        .size:           4
        .value_kind:     by_value
    .group_segment_fixed_size: 49248
    .kernarg_segment_align: 8
    .kernarg_segment_size: 64
    .language:       OpenCL C
    .language_version:
      - 2
      - 0
    .max_flat_workgroup_size: 1024
    .name:           _Z19_skinny_gemm_kernelILi2ELi2ELi6ELi32ELi4EEvPKhS1_P6__halfPKfiiiiiiii
    .private_segment_fixed_size: 0
    .sgpr_count:     106
    .sgpr_spill_count: 37
    .symbol:         _Z19_skinny_gemm_kernelILi2ELi2ELi6ELi32ELi4EEvPKhS1_P6__halfPKfiiiiiiii.kd
    .uniform_work_group_size: 1
    .uses_dynamic_stack: false
    .vgpr_count:     100
    .vgpr_spill_count: 0
    .wavefront_size: 64
  - .agpr_count:     0
    .args:
      - .address_space:  global
        .offset:         0
        .size:           8
        .value_kind:     global_buffer
      - .address_space:  global
        .offset:         8
        .size:           8
        .value_kind:     global_buffer
      - .address_space:  global
        .offset:         16
        .size:           8
        .value_kind:     global_buffer
      - .address_space:  global
        .offset:         24
        .size:           8
        .value_kind:     global_buffer
      - .offset:         32
        .size:           4
        .value_kind:     by_value
      - .offset:         36
        .size:           4
        .value_kind:     by_value
      - .offset:         40
        .size:           4
        .value_kind:     by_value
      - .offset:         44
        .size:           4
        .value_kind:     by_value
      - .offset:         48
        .size:           4
        .value_kind:     by_value
      - .offset:         52
        .size:           4
        .value_kind:     by_value
      - .offset:         56
        .size:           4
        .value_kind:     by_value
      - .offset:         60
        .size:           4
        .value_kind:     by_value
    .group_segment_fixed_size: 10260
    .kernarg_segment_align: 8
    .kernarg_segment_size: 64
    .language:       OpenCL C
    .language_version:
      - 2
      - 0
    .max_flat_workgroup_size: 1024
    .name:           _Z19_skinny_gemm_kernelILi2ELi3ELi1ELi16ELi4EEvPKhS1_P6__halfPKfiiiiiiii
    .private_segment_fixed_size: 0
    .sgpr_count:     73
    .sgpr_spill_count: 0
    .symbol:         _Z19_skinny_gemm_kernelILi2ELi3ELi1ELi16ELi4EEvPKhS1_P6__halfPKfiiiiiiii.kd
    .uniform_work_group_size: 1
    .uses_dynamic_stack: false
    .vgpr_count:     78
    .vgpr_spill_count: 0
    .wavefront_size: 64
  - .agpr_count:     0
    .args:
      - .address_space:  global
        .offset:         0
        .size:           8
        .value_kind:     global_buffer
      - .address_space:  global
        .offset:         8
        .size:           8
        .value_kind:     global_buffer
      - .address_space:  global
        .offset:         16
        .size:           8
        .value_kind:     global_buffer
      - .address_space:  global
        .offset:         24
        .size:           8
        .value_kind:     global_buffer
      - .offset:         32
        .size:           4
        .value_kind:     by_value
      - .offset:         36
        .size:           4
        .value_kind:     by_value
      - .offset:         40
        .size:           4
        .value_kind:     by_value
      - .offset:         44
        .size:           4
        .value_kind:     by_value
      - .offset:         48
        .size:           4
        .value_kind:     by_value
      - .offset:         52
        .size:           4
        .value_kind:     by_value
      - .offset:         56
        .size:           4
        .value_kind:     by_value
      - .offset:         60
        .size:           4
        .value_kind:     by_value
    .group_segment_fixed_size: 20500
    .kernarg_segment_align: 8
    .kernarg_segment_size: 64
    .language:       OpenCL C
    .language_version:
      - 2
      - 0
    .max_flat_workgroup_size: 1024
    .name:           _Z19_skinny_gemm_kernelILi2ELi3ELi1ELi16ELi8EEvPKhS1_P6__halfPKfiiiiiiii
    .private_segment_fixed_size: 0
    .sgpr_count:     73
    .sgpr_spill_count: 0
    .symbol:         _Z19_skinny_gemm_kernelILi2ELi3ELi1ELi16ELi8EEvPKhS1_P6__halfPKfiiiiiiii.kd
    .uniform_work_group_size: 1
    .uses_dynamic_stack: false
    .vgpr_count:     102
    .vgpr_spill_count: 0
    .wavefront_size: 64
  - .agpr_count:     0
    .args:
      - .address_space:  global
        .offset:         0
        .size:           8
        .value_kind:     global_buffer
      - .address_space:  global
        .offset:         8
        .size:           8
        .value_kind:     global_buffer
      - .address_space:  global
        .offset:         16
        .size:           8
        .value_kind:     global_buffer
      - .address_space:  global
        .offset:         24
        .size:           8
        .value_kind:     global_buffer
      - .offset:         32
        .size:           4
        .value_kind:     by_value
      - .offset:         36
        .size:           4
        .value_kind:     by_value
      - .offset:         40
        .size:           4
        .value_kind:     by_value
      - .offset:         44
        .size:           4
        .value_kind:     by_value
      - .offset:         48
        .size:           4
        .value_kind:     by_value
      - .offset:         52
        .size:           4
        .value_kind:     by_value
      - .offset:         56
        .size:           4
        .value_kind:     by_value
      - .offset:         60
        .size:           4
        .value_kind:     by_value
    .group_segment_fixed_size: 10260
    .kernarg_segment_align: 8
    .kernarg_segment_size: 64
    .language:       OpenCL C
    .language_version:
      - 2
      - 0
    .max_flat_workgroup_size: 1024
    .name:           _Z19_skinny_gemm_kernelILi2ELi3ELi1ELi32ELi4EEvPKhS1_P6__halfPKfiiiiiiii
    .private_segment_fixed_size: 0
    .sgpr_count:     106
    .sgpr_spill_count: 31
    .symbol:         _Z19_skinny_gemm_kernelILi2ELi3ELi1ELi32ELi4EEvPKhS1_P6__halfPKfiiiiiiii.kd
    .uniform_work_group_size: 1
    .uses_dynamic_stack: false
    .vgpr_count:     93
    .vgpr_spill_count: 0
    .wavefront_size: 64
  - .agpr_count:     0
    .args:
      - .address_space:  global
        .offset:         0
        .size:           8
        .value_kind:     global_buffer
      - .address_space:  global
        .offset:         8
        .size:           8
        .value_kind:     global_buffer
      - .address_space:  global
        .offset:         16
        .size:           8
        .value_kind:     global_buffer
      - .address_space:  global
        .offset:         24
        .size:           8
        .value_kind:     global_buffer
      - .offset:         32
        .size:           4
        .value_kind:     by_value
      - .offset:         36
        .size:           4
        .value_kind:     by_value
      - .offset:         40
        .size:           4
        .value_kind:     by_value
      - .offset:         44
        .size:           4
        .value_kind:     by_value
      - .offset:         48
        .size:           4
        .value_kind:     by_value
      - .offset:         52
        .size:           4
        .value_kind:     by_value
      - .offset:         56
        .size:           4
        .value_kind:     by_value
      - .offset:         60
        .size:           4
        .value_kind:     by_value
    .group_segment_fixed_size: 20500
    .kernarg_segment_align: 8
    .kernarg_segment_size: 64
    .language:       OpenCL C
    .language_version:
      - 2
      - 0
    .max_flat_workgroup_size: 1024
    .name:           _Z19_skinny_gemm_kernelILi2ELi3ELi1ELi32ELi8EEvPKhS1_P6__halfPKfiiiiiiii
    .private_segment_fixed_size: 0
    .sgpr_count:     106
    .sgpr_spill_count: 31
    .symbol:         _Z19_skinny_gemm_kernelILi2ELi3ELi1ELi32ELi8EEvPKhS1_P6__halfPKfiiiiiiii.kd
    .uniform_work_group_size: 1
    .uses_dynamic_stack: false
    .vgpr_count:     102
    .vgpr_spill_count: 0
    .wavefront_size: 64
  - .agpr_count:     0
    .args:
      - .address_space:  global
        .offset:         0
        .size:           8
        .value_kind:     global_buffer
      - .address_space:  global
        .offset:         8
        .size:           8
        .value_kind:     global_buffer
      - .address_space:  global
        .offset:         16
        .size:           8
        .value_kind:     global_buffer
      - .address_space:  global
        .offset:         24
        .size:           8
        .value_kind:     global_buffer
      - .offset:         32
        .size:           4
        .value_kind:     by_value
      - .offset:         36
        .size:           4
        .value_kind:     by_value
      - .offset:         40
        .size:           4
        .value_kind:     by_value
      - .offset:         44
        .size:           4
        .value_kind:     by_value
      - .offset:         48
        .size:           4
        .value_kind:     by_value
      - .offset:         52
        .size:           4
        .value_kind:     by_value
      - .offset:         56
        .size:           4
        .value_kind:     by_value
      - .offset:         60
        .size:           4
        .value_kind:     by_value
    .group_segment_fixed_size: 20520
    .kernarg_segment_align: 8
    .kernarg_segment_size: 64
    .language:       OpenCL C
    .language_version:
      - 2
      - 0
    .max_flat_workgroup_size: 1024
    .name:           _Z19_skinny_gemm_kernelILi2ELi3ELi2ELi16ELi4EEvPKhS1_P6__halfPKfiiiiiiii
    .private_segment_fixed_size: 0
    .sgpr_count:     73
    .sgpr_spill_count: 0
    .symbol:         _Z19_skinny_gemm_kernelILi2ELi3ELi2ELi16ELi4EEvPKhS1_P6__halfPKfiiiiiiii.kd
    .uniform_work_group_size: 1
    .uses_dynamic_stack: false
    .vgpr_count:     78
    .vgpr_spill_count: 0
    .wavefront_size: 64
  - .agpr_count:     0
    .args:
      - .address_space:  global
        .offset:         0
        .size:           8
        .value_kind:     global_buffer
      - .address_space:  global
        .offset:         8
        .size:           8
        .value_kind:     global_buffer
      - .address_space:  global
        .offset:         16
        .size:           8
        .value_kind:     global_buffer
      - .address_space:  global
        .offset:         24
        .size:           8
        .value_kind:     global_buffer
      - .offset:         32
        .size:           4
        .value_kind:     by_value
      - .offset:         36
        .size:           4
        .value_kind:     by_value
      - .offset:         40
        .size:           4
        .value_kind:     by_value
      - .offset:         44
        .size:           4
        .value_kind:     by_value
      - .offset:         48
        .size:           4
        .value_kind:     by_value
      - .offset:         52
        .size:           4
        .value_kind:     by_value
      - .offset:         56
        .size:           4
        .value_kind:     by_value
      - .offset:         60
        .size:           4
        .value_kind:     by_value
    .group_segment_fixed_size: 41000
    .kernarg_segment_align: 8
    .kernarg_segment_size: 64
    .language:       OpenCL C
    .language_version:
      - 2
      - 0
    .max_flat_workgroup_size: 1024
    .name:           _Z19_skinny_gemm_kernelILi2ELi3ELi2ELi16ELi8EEvPKhS1_P6__halfPKfiiiiiiii
    .private_segment_fixed_size: 0
    .sgpr_count:     73
    .sgpr_spill_count: 0
    .symbol:         _Z19_skinny_gemm_kernelILi2ELi3ELi2ELi16ELi8EEvPKhS1_P6__halfPKfiiiiiiii.kd
    .uniform_work_group_size: 1
    .uses_dynamic_stack: false
    .vgpr_count:     102
    .vgpr_spill_count: 0
    .wavefront_size: 64
  - .agpr_count:     0
    .args:
      - .address_space:  global
        .offset:         0
        .size:           8
        .value_kind:     global_buffer
      - .address_space:  global
        .offset:         8
        .size:           8
        .value_kind:     global_buffer
      - .address_space:  global
        .offset:         16
        .size:           8
        .value_kind:     global_buffer
      - .address_space:  global
        .offset:         24
        .size:           8
        .value_kind:     global_buffer
      - .offset:         32
        .size:           4
        .value_kind:     by_value
      - .offset:         36
        .size:           4
        .value_kind:     by_value
      - .offset:         40
        .size:           4
        .value_kind:     by_value
      - .offset:         44
        .size:           4
        .value_kind:     by_value
      - .offset:         48
        .size:           4
        .value_kind:     by_value
      - .offset:         52
        .size:           4
        .value_kind:     by_value
      - .offset:         56
        .size:           4
        .value_kind:     by_value
      - .offset:         60
        .size:           4
        .value_kind:     by_value
    .group_segment_fixed_size: 20520
    .kernarg_segment_align: 8
    .kernarg_segment_size: 64
    .language:       OpenCL C
    .language_version:
      - 2
      - 0
    .max_flat_workgroup_size: 1024
    .name:           _Z19_skinny_gemm_kernelILi2ELi3ELi2ELi32ELi4EEvPKhS1_P6__halfPKfiiiiiiii
    .private_segment_fixed_size: 0
    .sgpr_count:     106
    .sgpr_spill_count: 31
    .symbol:         _Z19_skinny_gemm_kernelILi2ELi3ELi2ELi32ELi4EEvPKhS1_P6__halfPKfiiiiiiii.kd
    .uniform_work_group_size: 1
    .uses_dynamic_stack: false
    .vgpr_count:     93
    .vgpr_spill_count: 0
    .wavefront_size: 64
  - .agpr_count:     0
    .args:
      - .address_space:  global
        .offset:         0
        .size:           8
        .value_kind:     global_buffer
      - .address_space:  global
        .offset:         8
        .size:           8
        .value_kind:     global_buffer
      - .address_space:  global
        .offset:         16
        .size:           8
        .value_kind:     global_buffer
      - .address_space:  global
        .offset:         24
        .size:           8
        .value_kind:     global_buffer
      - .offset:         32
        .size:           4
        .value_kind:     by_value
      - .offset:         36
        .size:           4
        .value_kind:     by_value
      - .offset:         40
        .size:           4
        .value_kind:     by_value
      - .offset:         44
        .size:           4
        .value_kind:     by_value
      - .offset:         48
        .size:           4
        .value_kind:     by_value
      - .offset:         52
        .size:           4
        .value_kind:     by_value
      - .offset:         56
        .size:           4
        .value_kind:     by_value
      - .offset:         60
        .size:           4
        .value_kind:     by_value
    .group_segment_fixed_size: 41000
    .kernarg_segment_align: 8
    .kernarg_segment_size: 64
    .language:       OpenCL C
    .language_version:
      - 2
      - 0
    .max_flat_workgroup_size: 1024
    .name:           _Z19_skinny_gemm_kernelILi2ELi3ELi2ELi32ELi8EEvPKhS1_P6__halfPKfiiiiiiii
    .private_segment_fixed_size: 0
    .sgpr_count:     106
    .sgpr_spill_count: 31
    .symbol:         _Z19_skinny_gemm_kernelILi2ELi3ELi2ELi32ELi8EEvPKhS1_P6__halfPKfiiiiiiii.kd
    .uniform_work_group_size: 1
    .uses_dynamic_stack: false
    .vgpr_count:     102
    .vgpr_spill_count: 0
    .wavefront_size: 64
  - .agpr_count:     0
    .args:
      - .address_space:  global
        .offset:         0
        .size:           8
        .value_kind:     global_buffer
      - .address_space:  global
        .offset:         8
        .size:           8
        .value_kind:     global_buffer
      - .address_space:  global
        .offset:         16
        .size:           8
        .value_kind:     global_buffer
      - .address_space:  global
        .offset:         24
        .size:           8
        .value_kind:     global_buffer
      - .offset:         32
        .size:           4
        .value_kind:     by_value
      - .offset:         36
        .size:           4
        .value_kind:     by_value
      - .offset:         40
        .size:           4
        .value_kind:     by_value
      - .offset:         44
        .size:           4
        .value_kind:     by_value
      - .offset:         48
        .size:           4
        .value_kind:     by_value
      - .offset:         52
        .size:           4
        .value_kind:     by_value
      - .offset:         56
        .size:           4
        .value_kind:     by_value
      - .offset:         60
        .size:           4
        .value_kind:     by_value
    .group_segment_fixed_size: 30780
    .kernarg_segment_align: 8
    .kernarg_segment_size: 64
    .language:       OpenCL C
    .language_version:
      - 2
      - 0
    .max_flat_workgroup_size: 1024
    .name:           _Z19_skinny_gemm_kernelILi2ELi3ELi3ELi16ELi4EEvPKhS1_P6__halfPKfiiiiiiii
    .private_segment_fixed_size: 0
    .sgpr_count:     73
    .sgpr_spill_count: 0
    .symbol:         _Z19_skinny_gemm_kernelILi2ELi3ELi3ELi16ELi4EEvPKhS1_P6__halfPKfiiiiiiii.kd
    .uniform_work_group_size: 1
    .uses_dynamic_stack: false
    .vgpr_count:     78
    .vgpr_spill_count: 0
    .wavefront_size: 64
  - .agpr_count:     0
    .args:
      - .address_space:  global
        .offset:         0
        .size:           8
        .value_kind:     global_buffer
      - .address_space:  global
        .offset:         8
        .size:           8
        .value_kind:     global_buffer
      - .address_space:  global
        .offset:         16
        .size:           8
        .value_kind:     global_buffer
      - .address_space:  global
        .offset:         24
        .size:           8
        .value_kind:     global_buffer
      - .offset:         32
        .size:           4
        .value_kind:     by_value
      - .offset:         36
        .size:           4
        .value_kind:     by_value
      - .offset:         40
        .size:           4
        .value_kind:     by_value
      - .offset:         44
        .size:           4
        .value_kind:     by_value
      - .offset:         48
        .size:           4
        .value_kind:     by_value
      - .offset:         52
        .size:           4
        .value_kind:     by_value
      - .offset:         56
        .size:           4
        .value_kind:     by_value
      - .offset:         60
        .size:           4
        .value_kind:     by_value
    .group_segment_fixed_size: 61500
    .kernarg_segment_align: 8
    .kernarg_segment_size: 64
    .language:       OpenCL C
    .language_version:
      - 2
      - 0
    .max_flat_workgroup_size: 1024
    .name:           _Z19_skinny_gemm_kernelILi2ELi3ELi3ELi16ELi8EEvPKhS1_P6__halfPKfiiiiiiii
    .private_segment_fixed_size: 0
    .sgpr_count:     73
    .sgpr_spill_count: 0
    .symbol:         _Z19_skinny_gemm_kernelILi2ELi3ELi3ELi16ELi8EEvPKhS1_P6__halfPKfiiiiiiii.kd
    .uniform_work_group_size: 1
    .uses_dynamic_stack: false
    .vgpr_count:     102
    .vgpr_spill_count: 0
    .wavefront_size: 64
  - .agpr_count:     0
    .args:
      - .address_space:  global
        .offset:         0
        .size:           8
        .value_kind:     global_buffer
      - .address_space:  global
        .offset:         8
        .size:           8
        .value_kind:     global_buffer
      - .address_space:  global
        .offset:         16
        .size:           8
        .value_kind:     global_buffer
      - .address_space:  global
        .offset:         24
        .size:           8
        .value_kind:     global_buffer
      - .offset:         32
        .size:           4
        .value_kind:     by_value
      - .offset:         36
        .size:           4
        .value_kind:     by_value
      - .offset:         40
        .size:           4
        .value_kind:     by_value
      - .offset:         44
        .size:           4
        .value_kind:     by_value
      - .offset:         48
        .size:           4
        .value_kind:     by_value
      - .offset:         52
        .size:           4
        .value_kind:     by_value
      - .offset:         56
        .size:           4
        .value_kind:     by_value
      - .offset:         60
        .size:           4
        .value_kind:     by_value
    .group_segment_fixed_size: 30780
    .kernarg_segment_align: 8
    .kernarg_segment_size: 64
    .language:       OpenCL C
    .language_version:
      - 2
      - 0
    .max_flat_workgroup_size: 1024
    .name:           _Z19_skinny_gemm_kernelILi2ELi3ELi3ELi32ELi4EEvPKhS1_P6__halfPKfiiiiiiii
    .private_segment_fixed_size: 0
    .sgpr_count:     106
    .sgpr_spill_count: 31
    .symbol:         _Z19_skinny_gemm_kernelILi2ELi3ELi3ELi32ELi4EEvPKhS1_P6__halfPKfiiiiiiii.kd
    .uniform_work_group_size: 1
    .uses_dynamic_stack: false
    .vgpr_count:     93
    .vgpr_spill_count: 0
    .wavefront_size: 64
  - .agpr_count:     0
    .args:
      - .address_space:  global
        .offset:         0
        .size:           8
        .value_kind:     global_buffer
      - .address_space:  global
        .offset:         8
        .size:           8
        .value_kind:     global_buffer
      - .address_space:  global
        .offset:         16
        .size:           8
        .value_kind:     global_buffer
      - .address_space:  global
        .offset:         24
        .size:           8
        .value_kind:     global_buffer
      - .offset:         32
        .size:           4
        .value_kind:     by_value
      - .offset:         36
        .size:           4
        .value_kind:     by_value
      - .offset:         40
        .size:           4
        .value_kind:     by_value
      - .offset:         44
        .size:           4
        .value_kind:     by_value
      - .offset:         48
        .size:           4
        .value_kind:     by_value
      - .offset:         52
        .size:           4
        .value_kind:     by_value
      - .offset:         56
        .size:           4
        .value_kind:     by_value
      - .offset:         60
        .size:           4
        .value_kind:     by_value
    .group_segment_fixed_size: 61500
    .kernarg_segment_align: 8
    .kernarg_segment_size: 64
    .language:       OpenCL C
    .language_version:
      - 2
      - 0
    .max_flat_workgroup_size: 1024
    .name:           _Z19_skinny_gemm_kernelILi2ELi3ELi3ELi32ELi8EEvPKhS1_P6__halfPKfiiiiiiii
    .private_segment_fixed_size: 0
    .sgpr_count:     106
    .sgpr_spill_count: 31
    .symbol:         _Z19_skinny_gemm_kernelILi2ELi3ELi3ELi32ELi8EEvPKhS1_P6__halfPKfiiiiiiii.kd
    .uniform_work_group_size: 1
    .uses_dynamic_stack: false
    .vgpr_count:     102
    .vgpr_spill_count: 0
    .wavefront_size: 64
  - .agpr_count:     0
    .args:
      - .address_space:  global
        .offset:         0
        .size:           8
        .value_kind:     global_buffer
      - .address_space:  global
        .offset:         8
        .size:           8
        .value_kind:     global_buffer
      - .address_space:  global
        .offset:         16
        .size:           8
        .value_kind:     global_buffer
      - .address_space:  global
        .offset:         24
        .size:           8
        .value_kind:     global_buffer
      - .offset:         32
        .size:           4
        .value_kind:     by_value
      - .offset:         36
        .size:           4
        .value_kind:     by_value
      - .offset:         40
        .size:           4
        .value_kind:     by_value
      - .offset:         44
        .size:           4
        .value_kind:     by_value
      - .offset:         48
        .size:           4
        .value_kind:     by_value
      - .offset:         52
        .size:           4
        .value_kind:     by_value
      - .offset:         56
        .size:           4
        .value_kind:     by_value
      - .offset:         60
        .size:           4
        .value_kind:     by_value
    .group_segment_fixed_size: 41040
    .kernarg_segment_align: 8
    .kernarg_segment_size: 64
    .language:       OpenCL C
    .language_version:
      - 2
      - 0
    .max_flat_workgroup_size: 1024
    .name:           _Z19_skinny_gemm_kernelILi2ELi3ELi4ELi16ELi4EEvPKhS1_P6__halfPKfiiiiiiii
    .private_segment_fixed_size: 0
    .sgpr_count:     73
    .sgpr_spill_count: 0
    .symbol:         _Z19_skinny_gemm_kernelILi2ELi3ELi4ELi16ELi4EEvPKhS1_P6__halfPKfiiiiiiii.kd
    .uniform_work_group_size: 1
    .uses_dynamic_stack: false
    .vgpr_count:     78
    .vgpr_spill_count: 0
    .wavefront_size: 64
  - .agpr_count:     0
    .args:
      - .address_space:  global
        .offset:         0
        .size:           8
        .value_kind:     global_buffer
      - .address_space:  global
        .offset:         8
        .size:           8
        .value_kind:     global_buffer
      - .address_space:  global
        .offset:         16
        .size:           8
        .value_kind:     global_buffer
      - .address_space:  global
        .offset:         24
        .size:           8
        .value_kind:     global_buffer
      - .offset:         32
        .size:           4
        .value_kind:     by_value
      - .offset:         36
        .size:           4
        .value_kind:     by_value
      - .offset:         40
        .size:           4
        .value_kind:     by_value
      - .offset:         44
        .size:           4
        .value_kind:     by_value
      - .offset:         48
        .size:           4
        .value_kind:     by_value
      - .offset:         52
        .size:           4
        .value_kind:     by_value
      - .offset:         56
        .size:           4
        .value_kind:     by_value
      - .offset:         60
        .size:           4
        .value_kind:     by_value
    .group_segment_fixed_size: 41040
    .kernarg_segment_align: 8
    .kernarg_segment_size: 64
    .language:       OpenCL C
    .language_version:
      - 2
      - 0
    .max_flat_workgroup_size: 1024
    .name:           _Z19_skinny_gemm_kernelILi2ELi3ELi4ELi32ELi4EEvPKhS1_P6__halfPKfiiiiiiii
    .private_segment_fixed_size: 0
    .sgpr_count:     106
    .sgpr_spill_count: 31
    .symbol:         _Z19_skinny_gemm_kernelILi2ELi3ELi4ELi32ELi4EEvPKhS1_P6__halfPKfiiiiiiii.kd
    .uniform_work_group_size: 1
    .uses_dynamic_stack: false
    .vgpr_count:     93
    .vgpr_spill_count: 0
    .wavefront_size: 64
  - .agpr_count:     0
    .args:
      - .address_space:  global
        .offset:         0
        .size:           8
        .value_kind:     global_buffer
      - .address_space:  global
        .offset:         8
        .size:           8
        .value_kind:     global_buffer
      - .address_space:  global
        .offset:         16
        .size:           8
        .value_kind:     global_buffer
      - .address_space:  global
        .offset:         24
        .size:           8
        .value_kind:     global_buffer
      - .offset:         32
        .size:           4
        .value_kind:     by_value
      - .offset:         36
        .size:           4
        .value_kind:     by_value
      - .offset:         40
        .size:           4
        .value_kind:     by_value
      - .offset:         44
        .size:           4
        .value_kind:     by_value
      - .offset:         48
        .size:           4
        .value_kind:     by_value
      - .offset:         52
        .size:           4
        .value_kind:     by_value
      - .offset:         56
        .size:           4
        .value_kind:     by_value
      - .offset:         60
        .size:           4
        .value_kind:     by_value
    .group_segment_fixed_size: 51300
    .kernarg_segment_align: 8
    .kernarg_segment_size: 64
    .language:       OpenCL C
    .language_version:
      - 2
      - 0
    .max_flat_workgroup_size: 1024
    .name:           _Z19_skinny_gemm_kernelILi2ELi3ELi5ELi16ELi4EEvPKhS1_P6__halfPKfiiiiiiii
    .private_segment_fixed_size: 0
    .sgpr_count:     73
    .sgpr_spill_count: 0
    .symbol:         _Z19_skinny_gemm_kernelILi2ELi3ELi5ELi16ELi4EEvPKhS1_P6__halfPKfiiiiiiii.kd
    .uniform_work_group_size: 1
    .uses_dynamic_stack: false
    .vgpr_count:     78
    .vgpr_spill_count: 0
    .wavefront_size: 64
  - .agpr_count:     0
    .args:
      - .address_space:  global
        .offset:         0
        .size:           8
        .value_kind:     global_buffer
      - .address_space:  global
        .offset:         8
        .size:           8
        .value_kind:     global_buffer
      - .address_space:  global
        .offset:         16
        .size:           8
        .value_kind:     global_buffer
      - .address_space:  global
        .offset:         24
        .size:           8
        .value_kind:     global_buffer
      - .offset:         32
        .size:           4
        .value_kind:     by_value
      - .offset:         36
        .size:           4
        .value_kind:     by_value
      - .offset:         40
        .size:           4
        .value_kind:     by_value
      - .offset:         44
        .size:           4
        .value_kind:     by_value
      - .offset:         48
        .size:           4
        .value_kind:     by_value
      - .offset:         52
        .size:           4
        .value_kind:     by_value
      - .offset:         56
        .size:           4
        .value_kind:     by_value
      - .offset:         60
        .size:           4
        .value_kind:     by_value
    .group_segment_fixed_size: 51300
    .kernarg_segment_align: 8
    .kernarg_segment_size: 64
    .language:       OpenCL C
    .language_version:
      - 2
      - 0
    .max_flat_workgroup_size: 1024
    .name:           _Z19_skinny_gemm_kernelILi2ELi3ELi5ELi32ELi4EEvPKhS1_P6__halfPKfiiiiiiii
    .private_segment_fixed_size: 0
    .sgpr_count:     106
    .sgpr_spill_count: 31
    .symbol:         _Z19_skinny_gemm_kernelILi2ELi3ELi5ELi32ELi4EEvPKhS1_P6__halfPKfiiiiiiii.kd
    .uniform_work_group_size: 1
    .uses_dynamic_stack: false
    .vgpr_count:     93
    .vgpr_spill_count: 0
    .wavefront_size: 64
  - .agpr_count:     0
    .args:
      - .address_space:  global
        .offset:         0
        .size:           8
        .value_kind:     global_buffer
      - .address_space:  global
        .offset:         8
        .size:           8
        .value_kind:     global_buffer
      - .address_space:  global
        .offset:         16
        .size:           8
        .value_kind:     global_buffer
      - .address_space:  global
        .offset:         24
        .size:           8
        .value_kind:     global_buffer
      - .offset:         32
        .size:           4
        .value_kind:     by_value
      - .offset:         36
        .size:           4
        .value_kind:     by_value
      - .offset:         40
        .size:           4
        .value_kind:     by_value
      - .offset:         44
        .size:           4
        .value_kind:     by_value
      - .offset:         48
        .size:           4
        .value_kind:     by_value
      - .offset:         52
        .size:           4
        .value_kind:     by_value
      - .offset:         56
        .size:           4
        .value_kind:     by_value
      - .offset:         60
        .size:           4
        .value_kind:     by_value
    .group_segment_fixed_size: 61560
    .kernarg_segment_align: 8
    .kernarg_segment_size: 64
    .language:       OpenCL C
    .language_version:
      - 2
      - 0
    .max_flat_workgroup_size: 1024
    .name:           _Z19_skinny_gemm_kernelILi2ELi3ELi6ELi16ELi4EEvPKhS1_P6__halfPKfiiiiiiii
    .private_segment_fixed_size: 0
    .sgpr_count:     73
    .sgpr_spill_count: 0
    .symbol:         _Z19_skinny_gemm_kernelILi2ELi3ELi6ELi16ELi4EEvPKhS1_P6__halfPKfiiiiiiii.kd
    .uniform_work_group_size: 1
    .uses_dynamic_stack: false
    .vgpr_count:     78
    .vgpr_spill_count: 0
    .wavefront_size: 64
  - .agpr_count:     0
    .args:
      - .address_space:  global
        .offset:         0
        .size:           8
        .value_kind:     global_buffer
      - .address_space:  global
        .offset:         8
        .size:           8
        .value_kind:     global_buffer
      - .address_space:  global
        .offset:         16
        .size:           8
        .value_kind:     global_buffer
      - .address_space:  global
        .offset:         24
        .size:           8
        .value_kind:     global_buffer
      - .offset:         32
        .size:           4
        .value_kind:     by_value
      - .offset:         36
        .size:           4
        .value_kind:     by_value
      - .offset:         40
        .size:           4
        .value_kind:     by_value
      - .offset:         44
        .size:           4
        .value_kind:     by_value
      - .offset:         48
        .size:           4
        .value_kind:     by_value
      - .offset:         52
        .size:           4
        .value_kind:     by_value
      - .offset:         56
        .size:           4
        .value_kind:     by_value
      - .offset:         60
        .size:           4
        .value_kind:     by_value
    .group_segment_fixed_size: 61560
    .kernarg_segment_align: 8
    .kernarg_segment_size: 64
    .language:       OpenCL C
    .language_version:
      - 2
      - 0
    .max_flat_workgroup_size: 1024
    .name:           _Z19_skinny_gemm_kernelILi2ELi3ELi6ELi32ELi4EEvPKhS1_P6__halfPKfiiiiiiii
    .private_segment_fixed_size: 0
    .sgpr_count:     106
    .sgpr_spill_count: 31
    .symbol:         _Z19_skinny_gemm_kernelILi2ELi3ELi6ELi32ELi4EEvPKhS1_P6__halfPKfiiiiiiii.kd
    .uniform_work_group_size: 1
    .uses_dynamic_stack: false
    .vgpr_count:     94
    .vgpr_spill_count: 0
    .wavefront_size: 64
  - .agpr_count:     0
    .args:
      - .address_space:  global
        .offset:         0
        .size:           8
        .value_kind:     global_buffer
      - .address_space:  global
        .offset:         8
        .size:           8
        .value_kind:     global_buffer
      - .address_space:  global
        .offset:         16
        .size:           8
        .value_kind:     global_buffer
      - .address_space:  global
        .offset:         24
        .size:           8
        .value_kind:     global_buffer
      - .offset:         32
        .size:           4
        .value_kind:     by_value
      - .offset:         36
        .size:           4
        .value_kind:     by_value
      - .offset:         40
        .size:           4
        .value_kind:     by_value
      - .offset:         44
        .size:           4
        .value_kind:     by_value
      - .offset:         48
        .size:           4
        .value_kind:     by_value
      - .offset:         52
        .size:           4
        .value_kind:     by_value
      - .offset:         56
        .size:           4
        .value_kind:     by_value
      - .offset:         60
        .size:           4
        .value_kind:     by_value
    .group_segment_fixed_size: 12312
    .kernarg_segment_align: 8
    .kernarg_segment_size: 64
    .language:       OpenCL C
    .language_version:
      - 2
      - 0
    .max_flat_workgroup_size: 1024
    .name:           _Z19_skinny_gemm_kernelILi2ELi4ELi1ELi16ELi4EEvPKhS1_P6__halfPKfiiiiiiii
    .private_segment_fixed_size: 0
    .sgpr_count:     73
    .sgpr_spill_count: 0
    .symbol:         _Z19_skinny_gemm_kernelILi2ELi4ELi1ELi16ELi4EEvPKhS1_P6__halfPKfiiiiiiii.kd
    .uniform_work_group_size: 1
    .uses_dynamic_stack: false
    .vgpr_count:     88
    .vgpr_spill_count: 0
    .wavefront_size: 64
  - .agpr_count:     0
    .args:
      - .address_space:  global
        .offset:         0
        .size:           8
        .value_kind:     global_buffer
      - .address_space:  global
        .offset:         8
        .size:           8
        .value_kind:     global_buffer
      - .address_space:  global
        .offset:         16
        .size:           8
        .value_kind:     global_buffer
      - .address_space:  global
        .offset:         24
        .size:           8
        .value_kind:     global_buffer
      - .offset:         32
        .size:           4
        .value_kind:     by_value
      - .offset:         36
        .size:           4
        .value_kind:     by_value
      - .offset:         40
        .size:           4
        .value_kind:     by_value
      - .offset:         44
        .size:           4
        .value_kind:     by_value
      - .offset:         48
        .size:           4
        .value_kind:     by_value
      - .offset:         52
        .size:           4
        .value_kind:     by_value
      - .offset:         56
        .size:           4
        .value_kind:     by_value
      - .offset:         60
        .size:           4
        .value_kind:     by_value
    .group_segment_fixed_size: 24600
    .kernarg_segment_align: 8
    .kernarg_segment_size: 64
    .language:       OpenCL C
    .language_version:
      - 2
      - 0
    .max_flat_workgroup_size: 1024
    .name:           _Z19_skinny_gemm_kernelILi2ELi4ELi1ELi16ELi8EEvPKhS1_P6__halfPKfiiiiiiii
    .private_segment_fixed_size: 0
    .sgpr_count:     73
    .sgpr_spill_count: 0
    .symbol:         _Z19_skinny_gemm_kernelILi2ELi4ELi1ELi16ELi8EEvPKhS1_P6__halfPKfiiiiiiii.kd
    .uniform_work_group_size: 1
    .uses_dynamic_stack: false
    .vgpr_count:     112
    .vgpr_spill_count: 0
    .wavefront_size: 64
  - .agpr_count:     0
    .args:
      - .address_space:  global
        .offset:         0
        .size:           8
        .value_kind:     global_buffer
      - .address_space:  global
        .offset:         8
        .size:           8
        .value_kind:     global_buffer
      - .address_space:  global
        .offset:         16
        .size:           8
        .value_kind:     global_buffer
      - .address_space:  global
        .offset:         24
        .size:           8
        .value_kind:     global_buffer
      - .offset:         32
        .size:           4
        .value_kind:     by_value
      - .offset:         36
        .size:           4
        .value_kind:     by_value
      - .offset:         40
        .size:           4
        .value_kind:     by_value
      - .offset:         44
        .size:           4
        .value_kind:     by_value
      - .offset:         48
        .size:           4
        .value_kind:     by_value
      - .offset:         52
        .size:           4
        .value_kind:     by_value
      - .offset:         56
        .size:           4
        .value_kind:     by_value
      - .offset:         60
        .size:           4
        .value_kind:     by_value
    .group_segment_fixed_size: 12312
    .kernarg_segment_align: 8
    .kernarg_segment_size: 64
    .language:       OpenCL C
    .language_version:
      - 2
      - 0
    .max_flat_workgroup_size: 1024
    .name:           _Z19_skinny_gemm_kernelILi2ELi4ELi1ELi32ELi4EEvPKhS1_P6__halfPKfiiiiiiii
    .private_segment_fixed_size: 0
    .sgpr_count:     106
    .sgpr_spill_count: 30
    .symbol:         _Z19_skinny_gemm_kernelILi2ELi4ELi1ELi32ELi4EEvPKhS1_P6__halfPKfiiiiiiii.kd
    .uniform_work_group_size: 1
    .uses_dynamic_stack: false
    .vgpr_count:     128
    .vgpr_spill_count: 0
    .wavefront_size: 64
  - .agpr_count:     0
    .args:
      - .address_space:  global
        .offset:         0
        .size:           8
        .value_kind:     global_buffer
      - .address_space:  global
        .offset:         8
        .size:           8
        .value_kind:     global_buffer
      - .address_space:  global
        .offset:         16
        .size:           8
        .value_kind:     global_buffer
      - .address_space:  global
        .offset:         24
        .size:           8
        .value_kind:     global_buffer
      - .offset:         32
        .size:           4
        .value_kind:     by_value
      - .offset:         36
        .size:           4
        .value_kind:     by_value
      - .offset:         40
        .size:           4
        .value_kind:     by_value
      - .offset:         44
        .size:           4
        .value_kind:     by_value
      - .offset:         48
        .size:           4
        .value_kind:     by_value
      - .offset:         52
        .size:           4
        .value_kind:     by_value
      - .offset:         56
        .size:           4
        .value_kind:     by_value
      - .offset:         60
        .size:           4
        .value_kind:     by_value
    .group_segment_fixed_size: 24600
    .kernarg_segment_align: 8
    .kernarg_segment_size: 64
    .language:       OpenCL C
    .language_version:
      - 2
      - 0
    .max_flat_workgroup_size: 1024
    .name:           _Z19_skinny_gemm_kernelILi2ELi4ELi1ELi32ELi8EEvPKhS1_P6__halfPKfiiiiiiii
    .private_segment_fixed_size: 0
    .sgpr_count:     106
    .sgpr_spill_count: 30
    .symbol:         _Z19_skinny_gemm_kernelILi2ELi4ELi1ELi32ELi8EEvPKhS1_P6__halfPKfiiiiiiii.kd
    .uniform_work_group_size: 1
    .uses_dynamic_stack: false
    .vgpr_count:     128
    .vgpr_spill_count: 0
    .wavefront_size: 64
  - .agpr_count:     0
    .args:
      - .address_space:  global
        .offset:         0
        .size:           8
        .value_kind:     global_buffer
      - .address_space:  global
        .offset:         8
        .size:           8
        .value_kind:     global_buffer
      - .address_space:  global
        .offset:         16
        .size:           8
        .value_kind:     global_buffer
      - .address_space:  global
        .offset:         24
        .size:           8
        .value_kind:     global_buffer
      - .offset:         32
        .size:           4
        .value_kind:     by_value
      - .offset:         36
        .size:           4
        .value_kind:     by_value
      - .offset:         40
        .size:           4
        .value_kind:     by_value
      - .offset:         44
        .size:           4
        .value_kind:     by_value
      - .offset:         48
        .size:           4
        .value_kind:     by_value
      - .offset:         52
        .size:           4
        .value_kind:     by_value
      - .offset:         56
        .size:           4
        .value_kind:     by_value
      - .offset:         60
        .size:           4
        .value_kind:     by_value
    .group_segment_fixed_size: 24624
    .kernarg_segment_align: 8
    .kernarg_segment_size: 64
    .language:       OpenCL C
    .language_version:
      - 2
      - 0
    .max_flat_workgroup_size: 1024
    .name:           _Z19_skinny_gemm_kernelILi2ELi4ELi2ELi16ELi4EEvPKhS1_P6__halfPKfiiiiiiii
    .private_segment_fixed_size: 0
    .sgpr_count:     73
    .sgpr_spill_count: 0
    .symbol:         _Z19_skinny_gemm_kernelILi2ELi4ELi2ELi16ELi4EEvPKhS1_P6__halfPKfiiiiiiii.kd
    .uniform_work_group_size: 1
    .uses_dynamic_stack: false
    .vgpr_count:     88
    .vgpr_spill_count: 0
    .wavefront_size: 64
  - .agpr_count:     0
    .args:
      - .address_space:  global
        .offset:         0
        .size:           8
        .value_kind:     global_buffer
      - .address_space:  global
        .offset:         8
        .size:           8
        .value_kind:     global_buffer
      - .address_space:  global
        .offset:         16
        .size:           8
        .value_kind:     global_buffer
      - .address_space:  global
        .offset:         24
        .size:           8
        .value_kind:     global_buffer
      - .offset:         32
        .size:           4
        .value_kind:     by_value
      - .offset:         36
        .size:           4
        .value_kind:     by_value
      - .offset:         40
        .size:           4
        .value_kind:     by_value
      - .offset:         44
        .size:           4
        .value_kind:     by_value
      - .offset:         48
        .size:           4
        .value_kind:     by_value
      - .offset:         52
        .size:           4
        .value_kind:     by_value
      - .offset:         56
        .size:           4
        .value_kind:     by_value
      - .offset:         60
        .size:           4
        .value_kind:     by_value
    .group_segment_fixed_size: 49200
    .kernarg_segment_align: 8
    .kernarg_segment_size: 64
    .language:       OpenCL C
    .language_version:
      - 2
      - 0
    .max_flat_workgroup_size: 1024
    .name:           _Z19_skinny_gemm_kernelILi2ELi4ELi2ELi16ELi8EEvPKhS1_P6__halfPKfiiiiiiii
    .private_segment_fixed_size: 0
    .sgpr_count:     73
    .sgpr_spill_count: 0
    .symbol:         _Z19_skinny_gemm_kernelILi2ELi4ELi2ELi16ELi8EEvPKhS1_P6__halfPKfiiiiiiii.kd
    .uniform_work_group_size: 1
    .uses_dynamic_stack: false
    .vgpr_count:     112
    .vgpr_spill_count: 0
    .wavefront_size: 64
  - .agpr_count:     0
    .args:
      - .address_space:  global
        .offset:         0
        .size:           8
        .value_kind:     global_buffer
      - .address_space:  global
        .offset:         8
        .size:           8
        .value_kind:     global_buffer
      - .address_space:  global
        .offset:         16
        .size:           8
        .value_kind:     global_buffer
      - .address_space:  global
        .offset:         24
        .size:           8
        .value_kind:     global_buffer
      - .offset:         32
        .size:           4
        .value_kind:     by_value
      - .offset:         36
        .size:           4
        .value_kind:     by_value
      - .offset:         40
        .size:           4
        .value_kind:     by_value
      - .offset:         44
        .size:           4
        .value_kind:     by_value
      - .offset:         48
        .size:           4
        .value_kind:     by_value
      - .offset:         52
        .size:           4
        .value_kind:     by_value
      - .offset:         56
        .size:           4
        .value_kind:     by_value
      - .offset:         60
        .size:           4
        .value_kind:     by_value
    .group_segment_fixed_size: 24624
    .kernarg_segment_align: 8
    .kernarg_segment_size: 64
    .language:       OpenCL C
    .language_version:
      - 2
      - 0
    .max_flat_workgroup_size: 1024
    .name:           _Z19_skinny_gemm_kernelILi2ELi4ELi2ELi32ELi4EEvPKhS1_P6__halfPKfiiiiiiii
    .private_segment_fixed_size: 0
    .sgpr_count:     106
    .sgpr_spill_count: 30
    .symbol:         _Z19_skinny_gemm_kernelILi2ELi4ELi2ELi32ELi4EEvPKhS1_P6__halfPKfiiiiiiii.kd
    .uniform_work_group_size: 1
    .uses_dynamic_stack: false
    .vgpr_count:     128
    .vgpr_spill_count: 0
    .wavefront_size: 64
  - .agpr_count:     0
    .args:
      - .address_space:  global
        .offset:         0
        .size:           8
        .value_kind:     global_buffer
      - .address_space:  global
        .offset:         8
        .size:           8
        .value_kind:     global_buffer
      - .address_space:  global
        .offset:         16
        .size:           8
        .value_kind:     global_buffer
      - .address_space:  global
        .offset:         24
        .size:           8
        .value_kind:     global_buffer
      - .offset:         32
        .size:           4
        .value_kind:     by_value
      - .offset:         36
        .size:           4
        .value_kind:     by_value
      - .offset:         40
        .size:           4
        .value_kind:     by_value
      - .offset:         44
        .size:           4
        .value_kind:     by_value
      - .offset:         48
        .size:           4
        .value_kind:     by_value
      - .offset:         52
        .size:           4
        .value_kind:     by_value
      - .offset:         56
        .size:           4
        .value_kind:     by_value
      - .offset:         60
        .size:           4
        .value_kind:     by_value
    .group_segment_fixed_size: 49200
    .kernarg_segment_align: 8
    .kernarg_segment_size: 64
    .language:       OpenCL C
    .language_version:
      - 2
      - 0
    .max_flat_workgroup_size: 1024
    .name:           _Z19_skinny_gemm_kernelILi2ELi4ELi2ELi32ELi8EEvPKhS1_P6__halfPKfiiiiiiii
    .private_segment_fixed_size: 0
    .sgpr_count:     106
    .sgpr_spill_count: 30
    .symbol:         _Z19_skinny_gemm_kernelILi2ELi4ELi2ELi32ELi8EEvPKhS1_P6__halfPKfiiiiiiii.kd
    .uniform_work_group_size: 1
    .uses_dynamic_stack: false
    .vgpr_count:     128
    .vgpr_spill_count: 0
    .wavefront_size: 64
  - .agpr_count:     0
    .args:
      - .address_space:  global
        .offset:         0
        .size:           8
        .value_kind:     global_buffer
      - .address_space:  global
        .offset:         8
        .size:           8
        .value_kind:     global_buffer
      - .address_space:  global
        .offset:         16
        .size:           8
        .value_kind:     global_buffer
      - .address_space:  global
        .offset:         24
        .size:           8
        .value_kind:     global_buffer
      - .offset:         32
        .size:           4
        .value_kind:     by_value
      - .offset:         36
        .size:           4
        .value_kind:     by_value
      - .offset:         40
        .size:           4
        .value_kind:     by_value
      - .offset:         44
        .size:           4
        .value_kind:     by_value
      - .offset:         48
        .size:           4
        .value_kind:     by_value
      - .offset:         52
        .size:           4
        .value_kind:     by_value
      - .offset:         56
        .size:           4
        .value_kind:     by_value
      - .offset:         60
        .size:           4
        .value_kind:     by_value
    .group_segment_fixed_size: 36936
    .kernarg_segment_align: 8
    .kernarg_segment_size: 64
    .language:       OpenCL C
    .language_version:
      - 2
      - 0
    .max_flat_workgroup_size: 1024
    .name:           _Z19_skinny_gemm_kernelILi2ELi4ELi3ELi16ELi4EEvPKhS1_P6__halfPKfiiiiiiii
    .private_segment_fixed_size: 0
    .sgpr_count:     73
    .sgpr_spill_count: 0
    .symbol:         _Z19_skinny_gemm_kernelILi2ELi4ELi3ELi16ELi4EEvPKhS1_P6__halfPKfiiiiiiii.kd
    .uniform_work_group_size: 1
    .uses_dynamic_stack: false
    .vgpr_count:     88
    .vgpr_spill_count: 0
    .wavefront_size: 64
  - .agpr_count:     0
    .args:
      - .address_space:  global
        .offset:         0
        .size:           8
        .value_kind:     global_buffer
      - .address_space:  global
        .offset:         8
        .size:           8
        .value_kind:     global_buffer
      - .address_space:  global
        .offset:         16
        .size:           8
        .value_kind:     global_buffer
      - .address_space:  global
        .offset:         24
        .size:           8
        .value_kind:     global_buffer
      - .offset:         32
        .size:           4
        .value_kind:     by_value
      - .offset:         36
        .size:           4
        .value_kind:     by_value
      - .offset:         40
        .size:           4
        .value_kind:     by_value
      - .offset:         44
        .size:           4
        .value_kind:     by_value
      - .offset:         48
        .size:           4
        .value_kind:     by_value
      - .offset:         52
        .size:           4
        .value_kind:     by_value
      - .offset:         56
        .size:           4
        .value_kind:     by_value
      - .offset:         60
        .size:           4
        .value_kind:     by_value
    .group_segment_fixed_size: 36936
    .kernarg_segment_align: 8
    .kernarg_segment_size: 64
    .language:       OpenCL C
    .language_version:
      - 2
      - 0
    .max_flat_workgroup_size: 1024
    .name:           _Z19_skinny_gemm_kernelILi2ELi4ELi3ELi32ELi4EEvPKhS1_P6__halfPKfiiiiiiii
    .private_segment_fixed_size: 0
    .sgpr_count:     106
    .sgpr_spill_count: 30
    .symbol:         _Z19_skinny_gemm_kernelILi2ELi4ELi3ELi32ELi4EEvPKhS1_P6__halfPKfiiiiiiii.kd
    .uniform_work_group_size: 1
    .uses_dynamic_stack: false
    .vgpr_count:     128
    .vgpr_spill_count: 0
    .wavefront_size: 64
  - .agpr_count:     0
    .args:
      - .address_space:  global
        .offset:         0
        .size:           8
        .value_kind:     global_buffer
      - .address_space:  global
        .offset:         8
        .size:           8
        .value_kind:     global_buffer
      - .address_space:  global
        .offset:         16
        .size:           8
        .value_kind:     global_buffer
      - .address_space:  global
        .offset:         24
        .size:           8
        .value_kind:     global_buffer
      - .offset:         32
        .size:           4
        .value_kind:     by_value
      - .offset:         36
        .size:           4
        .value_kind:     by_value
      - .offset:         40
        .size:           4
        .value_kind:     by_value
      - .offset:         44
        .size:           4
        .value_kind:     by_value
      - .offset:         48
        .size:           4
        .value_kind:     by_value
      - .offset:         52
        .size:           4
        .value_kind:     by_value
      - .offset:         56
        .size:           4
        .value_kind:     by_value
      - .offset:         60
        .size:           4
        .value_kind:     by_value
    .group_segment_fixed_size: 49248
    .kernarg_segment_align: 8
    .kernarg_segment_size: 64
    .language:       OpenCL C
    .language_version:
      - 2
      - 0
    .max_flat_workgroup_size: 1024
    .name:           _Z19_skinny_gemm_kernelILi2ELi4ELi4ELi16ELi4EEvPKhS1_P6__halfPKfiiiiiiii
    .private_segment_fixed_size: 0
    .sgpr_count:     73
    .sgpr_spill_count: 0
    .symbol:         _Z19_skinny_gemm_kernelILi2ELi4ELi4ELi16ELi4EEvPKhS1_P6__halfPKfiiiiiiii.kd
    .uniform_work_group_size: 1
    .uses_dynamic_stack: false
    .vgpr_count:     88
    .vgpr_spill_count: 0
    .wavefront_size: 64
  - .agpr_count:     0
    .args:
      - .address_space:  global
        .offset:         0
        .size:           8
        .value_kind:     global_buffer
      - .address_space:  global
        .offset:         8
        .size:           8
        .value_kind:     global_buffer
      - .address_space:  global
        .offset:         16
        .size:           8
        .value_kind:     global_buffer
      - .address_space:  global
        .offset:         24
        .size:           8
        .value_kind:     global_buffer
      - .offset:         32
        .size:           4
        .value_kind:     by_value
      - .offset:         36
        .size:           4
        .value_kind:     by_value
      - .offset:         40
        .size:           4
        .value_kind:     by_value
      - .offset:         44
        .size:           4
        .value_kind:     by_value
      - .offset:         48
        .size:           4
        .value_kind:     by_value
      - .offset:         52
        .size:           4
        .value_kind:     by_value
      - .offset:         56
        .size:           4
        .value_kind:     by_value
      - .offset:         60
        .size:           4
        .value_kind:     by_value
    .group_segment_fixed_size: 49248
    .kernarg_segment_align: 8
    .kernarg_segment_size: 64
    .language:       OpenCL C
    .language_version:
      - 2
      - 0
    .max_flat_workgroup_size: 1024
    .name:           _Z19_skinny_gemm_kernelILi2ELi4ELi4ELi32ELi4EEvPKhS1_P6__halfPKfiiiiiiii
    .private_segment_fixed_size: 0
    .sgpr_count:     106
    .sgpr_spill_count: 30
    .symbol:         _Z19_skinny_gemm_kernelILi2ELi4ELi4ELi32ELi4EEvPKhS1_P6__halfPKfiiiiiiii.kd
    .uniform_work_group_size: 1
    .uses_dynamic_stack: false
    .vgpr_count:     128
    .vgpr_spill_count: 0
    .wavefront_size: 64
  - .agpr_count:     0
    .args:
      - .address_space:  global
        .offset:         0
        .size:           8
        .value_kind:     global_buffer
      - .address_space:  global
        .offset:         8
        .size:           8
        .value_kind:     global_buffer
      - .address_space:  global
        .offset:         16
        .size:           8
        .value_kind:     global_buffer
      - .address_space:  global
        .offset:         24
        .size:           8
        .value_kind:     global_buffer
      - .offset:         32
        .size:           4
        .value_kind:     by_value
      - .offset:         36
        .size:           4
        .value_kind:     by_value
      - .offset:         40
        .size:           4
        .value_kind:     by_value
      - .offset:         44
        .size:           4
        .value_kind:     by_value
      - .offset:         48
        .size:           4
        .value_kind:     by_value
      - .offset:         52
        .size:           4
        .value_kind:     by_value
      - .offset:         56
        .size:           4
        .value_kind:     by_value
      - .offset:         60
        .size:           4
        .value_kind:     by_value
    .group_segment_fixed_size: 61560
    .kernarg_segment_align: 8
    .kernarg_segment_size: 64
    .language:       OpenCL C
    .language_version:
      - 2
      - 0
    .max_flat_workgroup_size: 1024
    .name:           _Z19_skinny_gemm_kernelILi2ELi4ELi5ELi16ELi4EEvPKhS1_P6__halfPKfiiiiiiii
    .private_segment_fixed_size: 0
    .sgpr_count:     73
    .sgpr_spill_count: 0
    .symbol:         _Z19_skinny_gemm_kernelILi2ELi4ELi5ELi16ELi4EEvPKhS1_P6__halfPKfiiiiiiii.kd
    .uniform_work_group_size: 1
    .uses_dynamic_stack: false
    .vgpr_count:     90
    .vgpr_spill_count: 0
    .wavefront_size: 64
  - .agpr_count:     0
    .args:
      - .address_space:  global
        .offset:         0
        .size:           8
        .value_kind:     global_buffer
      - .address_space:  global
        .offset:         8
        .size:           8
        .value_kind:     global_buffer
      - .address_space:  global
        .offset:         16
        .size:           8
        .value_kind:     global_buffer
      - .address_space:  global
        .offset:         24
        .size:           8
        .value_kind:     global_buffer
      - .offset:         32
        .size:           4
        .value_kind:     by_value
      - .offset:         36
        .size:           4
        .value_kind:     by_value
      - .offset:         40
        .size:           4
        .value_kind:     by_value
      - .offset:         44
        .size:           4
        .value_kind:     by_value
      - .offset:         48
        .size:           4
        .value_kind:     by_value
      - .offset:         52
        .size:           4
        .value_kind:     by_value
      - .offset:         56
        .size:           4
        .value_kind:     by_value
      - .offset:         60
        .size:           4
        .value_kind:     by_value
    .group_segment_fixed_size: 61560
    .kernarg_segment_align: 8
    .kernarg_segment_size: 64
    .language:       OpenCL C
    .language_version:
      - 2
      - 0
    .max_flat_workgroup_size: 1024
    .name:           _Z19_skinny_gemm_kernelILi2ELi4ELi5ELi32ELi4EEvPKhS1_P6__halfPKfiiiiiiii
    .private_segment_fixed_size: 12
    .sgpr_count:     106
    .sgpr_spill_count: 30
    .symbol:         _Z19_skinny_gemm_kernelILi2ELi4ELi5ELi32ELi4EEvPKhS1_P6__halfPKfiiiiiiii.kd
    .uniform_work_group_size: 1
    .uses_dynamic_stack: false
    .vgpr_count:     128
    .vgpr_spill_count: 2
    .wavefront_size: 64
  - .agpr_count:     0
    .args:
      - .address_space:  global
        .offset:         0
        .size:           8
        .value_kind:     global_buffer
      - .address_space:  global
        .offset:         8
        .size:           8
        .value_kind:     global_buffer
      - .address_space:  global
        .offset:         16
        .size:           8
        .value_kind:     global_buffer
      - .address_space:  global
        .offset:         24
        .size:           8
        .value_kind:     global_buffer
      - .offset:         32
        .size:           4
        .value_kind:     by_value
      - .offset:         36
        .size:           4
        .value_kind:     by_value
      - .offset:         40
        .size:           4
        .value_kind:     by_value
      - .offset:         44
        .size:           4
        .value_kind:     by_value
      - .offset:         48
        .size:           4
        .value_kind:     by_value
      - .offset:         52
        .size:           4
        .value_kind:     by_value
      - .offset:         56
        .size:           4
        .value_kind:     by_value
      - .offset:         60
        .size:           4
        .value_kind:     by_value
    .group_segment_fixed_size: 14364
    .kernarg_segment_align: 8
    .kernarg_segment_size: 64
    .language:       OpenCL C
    .language_version:
      - 2
      - 0
    .max_flat_workgroup_size: 1024
    .name:           _Z19_skinny_gemm_kernelILi2ELi5ELi1ELi16ELi4EEvPKhS1_P6__halfPKfiiiiiiii
    .private_segment_fixed_size: 0
    .sgpr_count:     77
    .sgpr_spill_count: 0
    .symbol:         _Z19_skinny_gemm_kernelILi2ELi5ELi1ELi16ELi4EEvPKhS1_P6__halfPKfiiiiiiii.kd
    .uniform_work_group_size: 1
    .uses_dynamic_stack: false
    .vgpr_count:     94
    .vgpr_spill_count: 0
    .wavefront_size: 64
  - .agpr_count:     0
    .args:
      - .address_space:  global
        .offset:         0
        .size:           8
        .value_kind:     global_buffer
      - .address_space:  global
        .offset:         8
        .size:           8
        .value_kind:     global_buffer
      - .address_space:  global
        .offset:         16
        .size:           8
        .value_kind:     global_buffer
      - .address_space:  global
        .offset:         24
        .size:           8
        .value_kind:     global_buffer
      - .offset:         32
        .size:           4
        .value_kind:     by_value
      - .offset:         36
        .size:           4
        .value_kind:     by_value
      - .offset:         40
        .size:           4
        .value_kind:     by_value
      - .offset:         44
        .size:           4
        .value_kind:     by_value
      - .offset:         48
        .size:           4
        .value_kind:     by_value
      - .offset:         52
        .size:           4
        .value_kind:     by_value
      - .offset:         56
        .size:           4
        .value_kind:     by_value
      - .offset:         60
        .size:           4
        .value_kind:     by_value
    .group_segment_fixed_size: 28700
    .kernarg_segment_align: 8
    .kernarg_segment_size: 64
    .language:       OpenCL C
    .language_version:
      - 2
      - 0
    .max_flat_workgroup_size: 1024
    .name:           _Z19_skinny_gemm_kernelILi2ELi5ELi1ELi16ELi8EEvPKhS1_P6__halfPKfiiiiiiii
    .private_segment_fixed_size: 0
    .sgpr_count:     77
    .sgpr_spill_count: 0
    .symbol:         _Z19_skinny_gemm_kernelILi2ELi5ELi1ELi16ELi8EEvPKhS1_P6__halfPKfiiiiiiii.kd
    .uniform_work_group_size: 1
    .uses_dynamic_stack: false
    .vgpr_count:     120
    .vgpr_spill_count: 0
    .wavefront_size: 64
  - .agpr_count:     0
    .args:
      - .address_space:  global
        .offset:         0
        .size:           8
        .value_kind:     global_buffer
      - .address_space:  global
        .offset:         8
        .size:           8
        .value_kind:     global_buffer
      - .address_space:  global
        .offset:         16
        .size:           8
        .value_kind:     global_buffer
      - .address_space:  global
        .offset:         24
        .size:           8
        .value_kind:     global_buffer
      - .offset:         32
        .size:           4
        .value_kind:     by_value
      - .offset:         36
        .size:           4
        .value_kind:     by_value
      - .offset:         40
        .size:           4
        .value_kind:     by_value
      - .offset:         44
        .size:           4
        .value_kind:     by_value
      - .offset:         48
        .size:           4
        .value_kind:     by_value
      - .offset:         52
        .size:           4
        .value_kind:     by_value
      - .offset:         56
        .size:           4
        .value_kind:     by_value
      - .offset:         60
        .size:           4
        .value_kind:     by_value
    .group_segment_fixed_size: 14364
    .kernarg_segment_align: 8
    .kernarg_segment_size: 64
    .language:       OpenCL C
    .language_version:
      - 2
      - 0
    .max_flat_workgroup_size: 1024
    .name:           _Z19_skinny_gemm_kernelILi2ELi5ELi1ELi32ELi4EEvPKhS1_P6__halfPKfiiiiiiii
    .private_segment_fixed_size: 92
    .sgpr_count:     106
    .sgpr_spill_count: 32
    .symbol:         _Z19_skinny_gemm_kernelILi2ELi5ELi1ELi32ELi4EEvPKhS1_P6__halfPKfiiiiiiii.kd
    .uniform_work_group_size: 1
    .uses_dynamic_stack: false
    .vgpr_count:     128
    .vgpr_spill_count: 22
    .wavefront_size: 64
  - .agpr_count:     0
    .args:
      - .address_space:  global
        .offset:         0
        .size:           8
        .value_kind:     global_buffer
      - .address_space:  global
        .offset:         8
        .size:           8
        .value_kind:     global_buffer
      - .address_space:  global
        .offset:         16
        .size:           8
        .value_kind:     global_buffer
      - .address_space:  global
        .offset:         24
        .size:           8
        .value_kind:     global_buffer
      - .offset:         32
        .size:           4
        .value_kind:     by_value
      - .offset:         36
        .size:           4
        .value_kind:     by_value
      - .offset:         40
        .size:           4
        .value_kind:     by_value
      - .offset:         44
        .size:           4
        .value_kind:     by_value
      - .offset:         48
        .size:           4
        .value_kind:     by_value
      - .offset:         52
        .size:           4
        .value_kind:     by_value
      - .offset:         56
        .size:           4
        .value_kind:     by_value
      - .offset:         60
        .size:           4
        .value_kind:     by_value
    .group_segment_fixed_size: 28700
    .kernarg_segment_align: 8
    .kernarg_segment_size: 64
    .language:       OpenCL C
    .language_version:
      - 2
      - 0
    .max_flat_workgroup_size: 1024
    .name:           _Z19_skinny_gemm_kernelILi2ELi5ELi1ELi32ELi8EEvPKhS1_P6__halfPKfiiiiiiii
    .private_segment_fixed_size: 84
    .sgpr_count:     106
    .sgpr_spill_count: 32
    .symbol:         _Z19_skinny_gemm_kernelILi2ELi5ELi1ELi32ELi8EEvPKhS1_P6__halfPKfiiiiiiii.kd
    .uniform_work_group_size: 1
    .uses_dynamic_stack: false
    .vgpr_count:     128
    .vgpr_spill_count: 20
    .wavefront_size: 64
  - .agpr_count:     0
    .args:
      - .address_space:  global
        .offset:         0
        .size:           8
        .value_kind:     global_buffer
      - .address_space:  global
        .offset:         8
        .size:           8
        .value_kind:     global_buffer
      - .address_space:  global
        .offset:         16
        .size:           8
        .value_kind:     global_buffer
      - .address_space:  global
        .offset:         24
        .size:           8
        .value_kind:     global_buffer
      - .offset:         32
        .size:           4
        .value_kind:     by_value
      - .offset:         36
        .size:           4
        .value_kind:     by_value
      - .offset:         40
        .size:           4
        .value_kind:     by_value
      - .offset:         44
        .size:           4
        .value_kind:     by_value
      - .offset:         48
        .size:           4
        .value_kind:     by_value
      - .offset:         52
        .size:           4
        .value_kind:     by_value
      - .offset:         56
        .size:           4
        .value_kind:     by_value
      - .offset:         60
        .size:           4
        .value_kind:     by_value
    .group_segment_fixed_size: 28728
    .kernarg_segment_align: 8
    .kernarg_segment_size: 64
    .language:       OpenCL C
    .language_version:
      - 2
      - 0
    .max_flat_workgroup_size: 1024
    .name:           _Z19_skinny_gemm_kernelILi2ELi5ELi2ELi16ELi4EEvPKhS1_P6__halfPKfiiiiiiii
    .private_segment_fixed_size: 0
    .sgpr_count:     77
    .sgpr_spill_count: 0
    .symbol:         _Z19_skinny_gemm_kernelILi2ELi5ELi2ELi16ELi4EEvPKhS1_P6__halfPKfiiiiiiii.kd
    .uniform_work_group_size: 1
    .uses_dynamic_stack: false
    .vgpr_count:     94
    .vgpr_spill_count: 0
    .wavefront_size: 64
  - .agpr_count:     0
    .args:
      - .address_space:  global
        .offset:         0
        .size:           8
        .value_kind:     global_buffer
      - .address_space:  global
        .offset:         8
        .size:           8
        .value_kind:     global_buffer
      - .address_space:  global
        .offset:         16
        .size:           8
        .value_kind:     global_buffer
      - .address_space:  global
        .offset:         24
        .size:           8
        .value_kind:     global_buffer
      - .offset:         32
        .size:           4
        .value_kind:     by_value
      - .offset:         36
        .size:           4
        .value_kind:     by_value
      - .offset:         40
        .size:           4
        .value_kind:     by_value
      - .offset:         44
        .size:           4
        .value_kind:     by_value
      - .offset:         48
        .size:           4
        .value_kind:     by_value
      - .offset:         52
        .size:           4
        .value_kind:     by_value
      - .offset:         56
        .size:           4
        .value_kind:     by_value
      - .offset:         60
        .size:           4
        .value_kind:     by_value
    .group_segment_fixed_size: 57400
    .kernarg_segment_align: 8
    .kernarg_segment_size: 64
    .language:       OpenCL C
    .language_version:
      - 2
      - 0
    .max_flat_workgroup_size: 1024
    .name:           _Z19_skinny_gemm_kernelILi2ELi5ELi2ELi16ELi8EEvPKhS1_P6__halfPKfiiiiiiii
    .private_segment_fixed_size: 0
    .sgpr_count:     77
    .sgpr_spill_count: 0
    .symbol:         _Z19_skinny_gemm_kernelILi2ELi5ELi2ELi16ELi8EEvPKhS1_P6__halfPKfiiiiiiii.kd
    .uniform_work_group_size: 1
    .uses_dynamic_stack: false
    .vgpr_count:     120
    .vgpr_spill_count: 0
    .wavefront_size: 64
  - .agpr_count:     0
    .args:
      - .address_space:  global
        .offset:         0
        .size:           8
        .value_kind:     global_buffer
      - .address_space:  global
        .offset:         8
        .size:           8
        .value_kind:     global_buffer
      - .address_space:  global
        .offset:         16
        .size:           8
        .value_kind:     global_buffer
      - .address_space:  global
        .offset:         24
        .size:           8
        .value_kind:     global_buffer
      - .offset:         32
        .size:           4
        .value_kind:     by_value
      - .offset:         36
        .size:           4
        .value_kind:     by_value
      - .offset:         40
        .size:           4
        .value_kind:     by_value
      - .offset:         44
        .size:           4
        .value_kind:     by_value
      - .offset:         48
        .size:           4
        .value_kind:     by_value
      - .offset:         52
        .size:           4
        .value_kind:     by_value
      - .offset:         56
        .size:           4
        .value_kind:     by_value
      - .offset:         60
        .size:           4
        .value_kind:     by_value
    .group_segment_fixed_size: 28728
    .kernarg_segment_align: 8
    .kernarg_segment_size: 64
    .language:       OpenCL C
    .language_version:
      - 2
      - 0
    .max_flat_workgroup_size: 1024
    .name:           _Z19_skinny_gemm_kernelILi2ELi5ELi2ELi32ELi4EEvPKhS1_P6__halfPKfiiiiiiii
    .private_segment_fixed_size: 92
    .sgpr_count:     106
    .sgpr_spill_count: 32
    .symbol:         _Z19_skinny_gemm_kernelILi2ELi5ELi2ELi32ELi4EEvPKhS1_P6__halfPKfiiiiiiii.kd
    .uniform_work_group_size: 1
    .uses_dynamic_stack: false
    .vgpr_count:     128
    .vgpr_spill_count: 22
    .wavefront_size: 64
  - .agpr_count:     0
    .args:
      - .address_space:  global
        .offset:         0
        .size:           8
        .value_kind:     global_buffer
      - .address_space:  global
        .offset:         8
        .size:           8
        .value_kind:     global_buffer
      - .address_space:  global
        .offset:         16
        .size:           8
        .value_kind:     global_buffer
      - .address_space:  global
        .offset:         24
        .size:           8
        .value_kind:     global_buffer
      - .offset:         32
        .size:           4
        .value_kind:     by_value
      - .offset:         36
        .size:           4
        .value_kind:     by_value
      - .offset:         40
        .size:           4
        .value_kind:     by_value
      - .offset:         44
        .size:           4
        .value_kind:     by_value
      - .offset:         48
        .size:           4
        .value_kind:     by_value
      - .offset:         52
        .size:           4
        .value_kind:     by_value
      - .offset:         56
        .size:           4
        .value_kind:     by_value
      - .offset:         60
        .size:           4
        .value_kind:     by_value
    .group_segment_fixed_size: 57400
    .kernarg_segment_align: 8
    .kernarg_segment_size: 64
    .language:       OpenCL C
    .language_version:
      - 2
      - 0
    .max_flat_workgroup_size: 1024
    .name:           _Z19_skinny_gemm_kernelILi2ELi5ELi2ELi32ELi8EEvPKhS1_P6__halfPKfiiiiiiii
    .private_segment_fixed_size: 84
    .sgpr_count:     106
    .sgpr_spill_count: 32
    .symbol:         _Z19_skinny_gemm_kernelILi2ELi5ELi2ELi32ELi8EEvPKhS1_P6__halfPKfiiiiiiii.kd
    .uniform_work_group_size: 1
    .uses_dynamic_stack: false
    .vgpr_count:     128
    .vgpr_spill_count: 20
    .wavefront_size: 64
  - .agpr_count:     0
    .args:
      - .address_space:  global
        .offset:         0
        .size:           8
        .value_kind:     global_buffer
      - .address_space:  global
        .offset:         8
        .size:           8
        .value_kind:     global_buffer
      - .address_space:  global
        .offset:         16
        .size:           8
        .value_kind:     global_buffer
      - .address_space:  global
        .offset:         24
        .size:           8
        .value_kind:     global_buffer
      - .offset:         32
        .size:           4
        .value_kind:     by_value
      - .offset:         36
        .size:           4
        .value_kind:     by_value
      - .offset:         40
        .size:           4
        .value_kind:     by_value
      - .offset:         44
        .size:           4
        .value_kind:     by_value
      - .offset:         48
        .size:           4
        .value_kind:     by_value
      - .offset:         52
        .size:           4
        .value_kind:     by_value
      - .offset:         56
        .size:           4
        .value_kind:     by_value
      - .offset:         60
        .size:           4
        .value_kind:     by_value
    .group_segment_fixed_size: 43092
    .kernarg_segment_align: 8
    .kernarg_segment_size: 64
    .language:       OpenCL C
    .language_version:
      - 2
      - 0
    .max_flat_workgroup_size: 1024
    .name:           _Z19_skinny_gemm_kernelILi2ELi5ELi3ELi16ELi4EEvPKhS1_P6__halfPKfiiiiiiii
    .private_segment_fixed_size: 0
    .sgpr_count:     77
    .sgpr_spill_count: 0
    .symbol:         _Z19_skinny_gemm_kernelILi2ELi5ELi3ELi16ELi4EEvPKhS1_P6__halfPKfiiiiiiii.kd
    .uniform_work_group_size: 1
    .uses_dynamic_stack: false
    .vgpr_count:     94
    .vgpr_spill_count: 0
    .wavefront_size: 64
  - .agpr_count:     0
    .args:
      - .address_space:  global
        .offset:         0
        .size:           8
        .value_kind:     global_buffer
      - .address_space:  global
        .offset:         8
        .size:           8
        .value_kind:     global_buffer
      - .address_space:  global
        .offset:         16
        .size:           8
        .value_kind:     global_buffer
      - .address_space:  global
        .offset:         24
        .size:           8
        .value_kind:     global_buffer
      - .offset:         32
        .size:           4
        .value_kind:     by_value
      - .offset:         36
        .size:           4
        .value_kind:     by_value
      - .offset:         40
        .size:           4
        .value_kind:     by_value
      - .offset:         44
        .size:           4
        .value_kind:     by_value
      - .offset:         48
        .size:           4
        .value_kind:     by_value
      - .offset:         52
        .size:           4
        .value_kind:     by_value
      - .offset:         56
        .size:           4
        .value_kind:     by_value
      - .offset:         60
        .size:           4
        .value_kind:     by_value
    .group_segment_fixed_size: 43092
    .kernarg_segment_align: 8
    .kernarg_segment_size: 64
    .language:       OpenCL C
    .language_version:
      - 2
      - 0
    .max_flat_workgroup_size: 1024
    .name:           _Z19_skinny_gemm_kernelILi2ELi5ELi3ELi32ELi4EEvPKhS1_P6__halfPKfiiiiiiii
    .private_segment_fixed_size: 92
    .sgpr_count:     106
    .sgpr_spill_count: 32
    .symbol:         _Z19_skinny_gemm_kernelILi2ELi5ELi3ELi32ELi4EEvPKhS1_P6__halfPKfiiiiiiii.kd
    .uniform_work_group_size: 1
    .uses_dynamic_stack: false
    .vgpr_count:     128
    .vgpr_spill_count: 22
    .wavefront_size: 64
  - .agpr_count:     0
    .args:
      - .address_space:  global
        .offset:         0
        .size:           8
        .value_kind:     global_buffer
      - .address_space:  global
        .offset:         8
        .size:           8
        .value_kind:     global_buffer
      - .address_space:  global
        .offset:         16
        .size:           8
        .value_kind:     global_buffer
      - .address_space:  global
        .offset:         24
        .size:           8
        .value_kind:     global_buffer
      - .offset:         32
        .size:           4
        .value_kind:     by_value
      - .offset:         36
        .size:           4
        .value_kind:     by_value
      - .offset:         40
        .size:           4
        .value_kind:     by_value
      - .offset:         44
        .size:           4
        .value_kind:     by_value
      - .offset:         48
        .size:           4
        .value_kind:     by_value
      - .offset:         52
        .size:           4
        .value_kind:     by_value
      - .offset:         56
        .size:           4
        .value_kind:     by_value
      - .offset:         60
        .size:           4
        .value_kind:     by_value
    .group_segment_fixed_size: 57456
    .kernarg_segment_align: 8
    .kernarg_segment_size: 64
    .language:       OpenCL C
    .language_version:
      - 2
      - 0
    .max_flat_workgroup_size: 1024
    .name:           _Z19_skinny_gemm_kernelILi2ELi5ELi4ELi16ELi4EEvPKhS1_P6__halfPKfiiiiiiii
    .private_segment_fixed_size: 0
    .sgpr_count:     77
    .sgpr_spill_count: 0
    .symbol:         _Z19_skinny_gemm_kernelILi2ELi5ELi4ELi16ELi4EEvPKhS1_P6__halfPKfiiiiiiii.kd
    .uniform_work_group_size: 1
    .uses_dynamic_stack: false
    .vgpr_count:     94
    .vgpr_spill_count: 0
    .wavefront_size: 64
  - .agpr_count:     0
    .args:
      - .address_space:  global
        .offset:         0
        .size:           8
        .value_kind:     global_buffer
      - .address_space:  global
        .offset:         8
        .size:           8
        .value_kind:     global_buffer
      - .address_space:  global
        .offset:         16
        .size:           8
        .value_kind:     global_buffer
      - .address_space:  global
        .offset:         24
        .size:           8
        .value_kind:     global_buffer
      - .offset:         32
        .size:           4
        .value_kind:     by_value
      - .offset:         36
        .size:           4
        .value_kind:     by_value
      - .offset:         40
        .size:           4
        .value_kind:     by_value
      - .offset:         44
        .size:           4
        .value_kind:     by_value
      - .offset:         48
        .size:           4
        .value_kind:     by_value
      - .offset:         52
        .size:           4
        .value_kind:     by_value
      - .offset:         56
        .size:           4
        .value_kind:     by_value
      - .offset:         60
        .size:           4
        .value_kind:     by_value
    .group_segment_fixed_size: 57456
    .kernarg_segment_align: 8
    .kernarg_segment_size: 64
    .language:       OpenCL C
    .language_version:
      - 2
      - 0
    .max_flat_workgroup_size: 1024
    .name:           _Z19_skinny_gemm_kernelILi2ELi5ELi4ELi32ELi4EEvPKhS1_P6__halfPKfiiiiiiii
    .private_segment_fixed_size: 92
    .sgpr_count:     106
    .sgpr_spill_count: 32
    .symbol:         _Z19_skinny_gemm_kernelILi2ELi5ELi4ELi32ELi4EEvPKhS1_P6__halfPKfiiiiiiii.kd
    .uniform_work_group_size: 1
    .uses_dynamic_stack: false
    .vgpr_count:     128
    .vgpr_spill_count: 22
    .wavefront_size: 64
  - .agpr_count:     0
    .args:
      - .address_space:  global
        .offset:         0
        .size:           8
        .value_kind:     global_buffer
      - .address_space:  global
        .offset:         8
        .size:           8
        .value_kind:     global_buffer
      - .address_space:  global
        .offset:         16
        .size:           8
        .value_kind:     global_buffer
      - .address_space:  global
        .offset:         24
        .size:           8
        .value_kind:     global_buffer
      - .offset:         32
        .size:           4
        .value_kind:     by_value
      - .offset:         36
        .size:           4
        .value_kind:     by_value
      - .offset:         40
        .size:           4
        .value_kind:     by_value
      - .offset:         44
        .size:           4
        .value_kind:     by_value
      - .offset:         48
        .size:           4
        .value_kind:     by_value
      - .offset:         52
        .size:           4
        .value_kind:     by_value
      - .offset:         56
        .size:           4
        .value_kind:     by_value
      - .offset:         60
        .size:           4
        .value_kind:     by_value
    .group_segment_fixed_size: 16416
    .kernarg_segment_align: 8
    .kernarg_segment_size: 64
    .language:       OpenCL C
    .language_version:
      - 2
      - 0
    .max_flat_workgroup_size: 1024
    .name:           _Z19_skinny_gemm_kernelILi2ELi6ELi1ELi16ELi4EEvPKhS1_P6__halfPKfiiiiiiii
    .private_segment_fixed_size: 0
    .sgpr_count:     79
    .sgpr_spill_count: 0
    .symbol:         _Z19_skinny_gemm_kernelILi2ELi6ELi1ELi16ELi4EEvPKhS1_P6__halfPKfiiiiiiii.kd
    .uniform_work_group_size: 1
    .uses_dynamic_stack: false
    .vgpr_count:     106
    .vgpr_spill_count: 0
    .wavefront_size: 64
  - .agpr_count:     0
    .args:
      - .address_space:  global
        .offset:         0
        .size:           8
        .value_kind:     global_buffer
      - .address_space:  global
        .offset:         8
        .size:           8
        .value_kind:     global_buffer
      - .address_space:  global
        .offset:         16
        .size:           8
        .value_kind:     global_buffer
      - .address_space:  global
        .offset:         24
        .size:           8
        .value_kind:     global_buffer
      - .offset:         32
        .size:           4
        .value_kind:     by_value
      - .offset:         36
        .size:           4
        .value_kind:     by_value
      - .offset:         40
        .size:           4
        .value_kind:     by_value
      - .offset:         44
        .size:           4
        .value_kind:     by_value
      - .offset:         48
        .size:           4
        .value_kind:     by_value
      - .offset:         52
        .size:           4
        .value_kind:     by_value
      - .offset:         56
        .size:           4
        .value_kind:     by_value
      - .offset:         60
        .size:           4
        .value_kind:     by_value
    .group_segment_fixed_size: 32800
    .kernarg_segment_align: 8
    .kernarg_segment_size: 64
    .language:       OpenCL C
    .language_version:
      - 2
      - 0
    .max_flat_workgroup_size: 1024
    .name:           _Z19_skinny_gemm_kernelILi2ELi6ELi1ELi16ELi8EEvPKhS1_P6__halfPKfiiiiiiii
    .private_segment_fixed_size: 0
    .sgpr_count:     79
    .sgpr_spill_count: 0
    .symbol:         _Z19_skinny_gemm_kernelILi2ELi6ELi1ELi16ELi8EEvPKhS1_P6__halfPKfiiiiiiii.kd
    .uniform_work_group_size: 1
    .uses_dynamic_stack: false
    .vgpr_count:     124
    .vgpr_spill_count: 0
    .wavefront_size: 64
  - .agpr_count:     0
    .args:
      - .address_space:  global
        .offset:         0
        .size:           8
        .value_kind:     global_buffer
      - .address_space:  global
        .offset:         8
        .size:           8
        .value_kind:     global_buffer
      - .address_space:  global
        .offset:         16
        .size:           8
        .value_kind:     global_buffer
      - .address_space:  global
        .offset:         24
        .size:           8
        .value_kind:     global_buffer
      - .offset:         32
        .size:           4
        .value_kind:     by_value
      - .offset:         36
        .size:           4
        .value_kind:     by_value
      - .offset:         40
        .size:           4
        .value_kind:     by_value
      - .offset:         44
        .size:           4
        .value_kind:     by_value
      - .offset:         48
        .size:           4
        .value_kind:     by_value
      - .offset:         52
        .size:           4
        .value_kind:     by_value
      - .offset:         56
        .size:           4
        .value_kind:     by_value
      - .offset:         60
        .size:           4
        .value_kind:     by_value
    .group_segment_fixed_size: 16416
    .kernarg_segment_align: 8
    .kernarg_segment_size: 64
    .language:       OpenCL C
    .language_version:
      - 2
      - 0
    .max_flat_workgroup_size: 1024
    .name:           _Z19_skinny_gemm_kernelILi2ELi6ELi1ELi32ELi4EEvPKhS1_P6__halfPKfiiiiiiii
    .private_segment_fixed_size: 108
    .sgpr_count:     106
    .sgpr_spill_count: 77
    .symbol:         _Z19_skinny_gemm_kernelILi2ELi6ELi1ELi32ELi4EEvPKhS1_P6__halfPKfiiiiiiii.kd
    .uniform_work_group_size: 1
    .uses_dynamic_stack: false
    .vgpr_count:     128
    .vgpr_spill_count: 28
    .wavefront_size: 64
  - .agpr_count:     0
    .args:
      - .address_space:  global
        .offset:         0
        .size:           8
        .value_kind:     global_buffer
      - .address_space:  global
        .offset:         8
        .size:           8
        .value_kind:     global_buffer
      - .address_space:  global
        .offset:         16
        .size:           8
        .value_kind:     global_buffer
      - .address_space:  global
        .offset:         24
        .size:           8
        .value_kind:     global_buffer
      - .offset:         32
        .size:           4
        .value_kind:     by_value
      - .offset:         36
        .size:           4
        .value_kind:     by_value
      - .offset:         40
        .size:           4
        .value_kind:     by_value
      - .offset:         44
        .size:           4
        .value_kind:     by_value
      - .offset:         48
        .size:           4
        .value_kind:     by_value
      - .offset:         52
        .size:           4
        .value_kind:     by_value
      - .offset:         56
        .size:           4
        .value_kind:     by_value
      - .offset:         60
        .size:           4
        .value_kind:     by_value
    .group_segment_fixed_size: 32800
    .kernarg_segment_align: 8
    .kernarg_segment_size: 64
    .language:       OpenCL C
    .language_version:
      - 2
      - 0
    .max_flat_workgroup_size: 1024
    .name:           _Z19_skinny_gemm_kernelILi2ELi6ELi1ELi32ELi8EEvPKhS1_P6__halfPKfiiiiiiii
    .private_segment_fixed_size: 104
    .sgpr_count:     106
    .sgpr_spill_count: 77
    .symbol:         _Z19_skinny_gemm_kernelILi2ELi6ELi1ELi32ELi8EEvPKhS1_P6__halfPKfiiiiiiii.kd
    .uniform_work_group_size: 1
    .uses_dynamic_stack: false
    .vgpr_count:     128
    .vgpr_spill_count: 29
    .wavefront_size: 64
  - .agpr_count:     0
    .args:
      - .address_space:  global
        .offset:         0
        .size:           8
        .value_kind:     global_buffer
      - .address_space:  global
        .offset:         8
        .size:           8
        .value_kind:     global_buffer
      - .address_space:  global
        .offset:         16
        .size:           8
        .value_kind:     global_buffer
      - .address_space:  global
        .offset:         24
        .size:           8
        .value_kind:     global_buffer
      - .offset:         32
        .size:           4
        .value_kind:     by_value
      - .offset:         36
        .size:           4
        .value_kind:     by_value
      - .offset:         40
        .size:           4
        .value_kind:     by_value
      - .offset:         44
        .size:           4
        .value_kind:     by_value
      - .offset:         48
        .size:           4
        .value_kind:     by_value
      - .offset:         52
        .size:           4
        .value_kind:     by_value
      - .offset:         56
        .size:           4
        .value_kind:     by_value
      - .offset:         60
        .size:           4
        .value_kind:     by_value
    .group_segment_fixed_size: 32832
    .kernarg_segment_align: 8
    .kernarg_segment_size: 64
    .language:       OpenCL C
    .language_version:
      - 2
      - 0
    .max_flat_workgroup_size: 1024
    .name:           _Z19_skinny_gemm_kernelILi2ELi6ELi2ELi16ELi4EEvPKhS1_P6__halfPKfiiiiiiii
    .private_segment_fixed_size: 0
    .sgpr_count:     79
    .sgpr_spill_count: 0
    .symbol:         _Z19_skinny_gemm_kernelILi2ELi6ELi2ELi16ELi4EEvPKhS1_P6__halfPKfiiiiiiii.kd
    .uniform_work_group_size: 1
    .uses_dynamic_stack: false
    .vgpr_count:     106
    .vgpr_spill_count: 0
    .wavefront_size: 64
  - .agpr_count:     0
    .args:
      - .address_space:  global
        .offset:         0
        .size:           8
        .value_kind:     global_buffer
      - .address_space:  global
        .offset:         8
        .size:           8
        .value_kind:     global_buffer
      - .address_space:  global
        .offset:         16
        .size:           8
        .value_kind:     global_buffer
      - .address_space:  global
        .offset:         24
        .size:           8
        .value_kind:     global_buffer
      - .offset:         32
        .size:           4
        .value_kind:     by_value
      - .offset:         36
        .size:           4
        .value_kind:     by_value
      - .offset:         40
        .size:           4
        .value_kind:     by_value
      - .offset:         44
        .size:           4
        .value_kind:     by_value
      - .offset:         48
        .size:           4
        .value_kind:     by_value
      - .offset:         52
        .size:           4
        .value_kind:     by_value
      - .offset:         56
        .size:           4
        .value_kind:     by_value
      - .offset:         60
        .size:           4
        .value_kind:     by_value
    .group_segment_fixed_size: 32832
    .kernarg_segment_align: 8
    .kernarg_segment_size: 64
    .language:       OpenCL C
    .language_version:
      - 2
      - 0
    .max_flat_workgroup_size: 1024
    .name:           _Z19_skinny_gemm_kernelILi2ELi6ELi2ELi32ELi4EEvPKhS1_P6__halfPKfiiiiiiii
    .private_segment_fixed_size: 108
    .sgpr_count:     106
    .sgpr_spill_count: 77
    .symbol:         _Z19_skinny_gemm_kernelILi2ELi6ELi2ELi32ELi4EEvPKhS1_P6__halfPKfiiiiiiii.kd
    .uniform_work_group_size: 1
    .uses_dynamic_stack: false
    .vgpr_count:     128
    .vgpr_spill_count: 28
    .wavefront_size: 64
  - .agpr_count:     0
    .args:
      - .address_space:  global
        .offset:         0
        .size:           8
        .value_kind:     global_buffer
      - .address_space:  global
        .offset:         8
        .size:           8
        .value_kind:     global_buffer
      - .address_space:  global
        .offset:         16
        .size:           8
        .value_kind:     global_buffer
      - .address_space:  global
        .offset:         24
        .size:           8
        .value_kind:     global_buffer
      - .offset:         32
        .size:           4
        .value_kind:     by_value
      - .offset:         36
        .size:           4
        .value_kind:     by_value
      - .offset:         40
        .size:           4
        .value_kind:     by_value
      - .offset:         44
        .size:           4
        .value_kind:     by_value
      - .offset:         48
        .size:           4
        .value_kind:     by_value
      - .offset:         52
        .size:           4
        .value_kind:     by_value
      - .offset:         56
        .size:           4
        .value_kind:     by_value
      - .offset:         60
        .size:           4
        .value_kind:     by_value
    .group_segment_fixed_size: 49248
    .kernarg_segment_align: 8
    .kernarg_segment_size: 64
    .language:       OpenCL C
    .language_version:
      - 2
      - 0
    .max_flat_workgroup_size: 1024
    .name:           _Z19_skinny_gemm_kernelILi2ELi6ELi3ELi16ELi4EEvPKhS1_P6__halfPKfiiiiiiii
    .private_segment_fixed_size: 0
    .sgpr_count:     79
    .sgpr_spill_count: 0
    .symbol:         _Z19_skinny_gemm_kernelILi2ELi6ELi3ELi16ELi4EEvPKhS1_P6__halfPKfiiiiiiii.kd
    .uniform_work_group_size: 1
    .uses_dynamic_stack: false
    .vgpr_count:     108
    .vgpr_spill_count: 0
    .wavefront_size: 64
  - .agpr_count:     0
    .args:
      - .address_space:  global
        .offset:         0
        .size:           8
        .value_kind:     global_buffer
      - .address_space:  global
        .offset:         8
        .size:           8
        .value_kind:     global_buffer
      - .address_space:  global
        .offset:         16
        .size:           8
        .value_kind:     global_buffer
      - .address_space:  global
        .offset:         24
        .size:           8
        .value_kind:     global_buffer
      - .offset:         32
        .size:           4
        .value_kind:     by_value
      - .offset:         36
        .size:           4
        .value_kind:     by_value
      - .offset:         40
        .size:           4
        .value_kind:     by_value
      - .offset:         44
        .size:           4
        .value_kind:     by_value
      - .offset:         48
        .size:           4
        .value_kind:     by_value
      - .offset:         52
        .size:           4
        .value_kind:     by_value
      - .offset:         56
        .size:           4
        .value_kind:     by_value
      - .offset:         60
        .size:           4
        .value_kind:     by_value
    .group_segment_fixed_size: 49248
    .kernarg_segment_align: 8
    .kernarg_segment_size: 64
    .language:       OpenCL C
    .language_version:
      - 2
      - 0
    .max_flat_workgroup_size: 1024
    .name:           _Z19_skinny_gemm_kernelILi2ELi6ELi3ELi32ELi4EEvPKhS1_P6__halfPKfiiiiiiii
    .private_segment_fixed_size: 112
    .sgpr_count:     106
    .sgpr_spill_count: 77
    .symbol:         _Z19_skinny_gemm_kernelILi2ELi6ELi3ELi32ELi4EEvPKhS1_P6__halfPKfiiiiiiii.kd
    .uniform_work_group_size: 1
    .uses_dynamic_stack: false
    .vgpr_count:     128
    .vgpr_spill_count: 29
    .wavefront_size: 64
  - .agpr_count:     0
    .args:
      - .address_space:  global
        .offset:         0
        .size:           8
        .value_kind:     global_buffer
      - .address_space:  global
        .offset:         8
        .size:           8
        .value_kind:     global_buffer
      - .address_space:  global
        .offset:         16
        .size:           8
        .value_kind:     global_buffer
      - .address_space:  global
        .offset:         24
        .size:           8
        .value_kind:     global_buffer
      - .offset:         32
        .size:           4
        .value_kind:     by_value
      - .offset:         36
        .size:           4
        .value_kind:     by_value
      - .offset:         40
        .size:           4
        .value_kind:     by_value
      - .offset:         44
        .size:           4
        .value_kind:     by_value
      - .offset:         48
        .size:           4
        .value_kind:     by_value
      - .offset:         52
        .size:           4
        .value_kind:     by_value
      - .offset:         56
        .size:           4
        .value_kind:     by_value
      - .offset:         60
        .size:           4
        .value_kind:     by_value
    .group_segment_fixed_size: 8208
    .kernarg_segment_align: 8
    .kernarg_segment_size: 64
    .language:       OpenCL C
    .language_version:
      - 2
      - 0
    .max_flat_workgroup_size: 1024
    .name:           _Z19_skinny_gemm_kernelILi3ELi1ELi1ELi16ELi4EEvPKhS1_P6__halfPKfiiiiiiii
    .private_segment_fixed_size: 0
    .sgpr_count:     64
    .sgpr_spill_count: 0
    .symbol:         _Z19_skinny_gemm_kernelILi3ELi1ELi1ELi16ELi4EEvPKhS1_P6__halfPKfiiiiiiii.kd
    .uniform_work_group_size: 1
    .uses_dynamic_stack: false
    .vgpr_count:     57
    .vgpr_spill_count: 0
    .wavefront_size: 64
  - .agpr_count:     0
    .args:
      - .address_space:  global
        .offset:         0
        .size:           8
        .value_kind:     global_buffer
      - .address_space:  global
        .offset:         8
        .size:           8
        .value_kind:     global_buffer
      - .address_space:  global
        .offset:         16
        .size:           8
        .value_kind:     global_buffer
      - .address_space:  global
        .offset:         24
        .size:           8
        .value_kind:     global_buffer
      - .offset:         32
        .size:           4
        .value_kind:     by_value
      - .offset:         36
        .size:           4
        .value_kind:     by_value
      - .offset:         40
        .size:           4
        .value_kind:     by_value
      - .offset:         44
        .size:           4
        .value_kind:     by_value
      - .offset:         48
        .size:           4
        .value_kind:     by_value
      - .offset:         52
        .size:           4
        .value_kind:     by_value
      - .offset:         56
        .size:           4
        .value_kind:     by_value
      - .offset:         60
        .size:           4
        .value_kind:     by_value
    .group_segment_fixed_size: 16400
    .kernarg_segment_align: 8
    .kernarg_segment_size: 64
    .language:       OpenCL C
    .language_version:
      - 2
      - 0
    .max_flat_workgroup_size: 1024
    .name:           _Z19_skinny_gemm_kernelILi3ELi1ELi1ELi16ELi8EEvPKhS1_P6__halfPKfiiiiiiii
    .private_segment_fixed_size: 0
    .sgpr_count:     64
    .sgpr_spill_count: 0
    .symbol:         _Z19_skinny_gemm_kernelILi3ELi1ELi1ELi16ELi8EEvPKhS1_P6__halfPKfiiiiiiii.kd
    .uniform_work_group_size: 1
    .uses_dynamic_stack: false
    .vgpr_count:     60
    .vgpr_spill_count: 0
    .wavefront_size: 64
  - .agpr_count:     0
    .args:
      - .address_space:  global
        .offset:         0
        .size:           8
        .value_kind:     global_buffer
      - .address_space:  global
        .offset:         8
        .size:           8
        .value_kind:     global_buffer
      - .address_space:  global
        .offset:         16
        .size:           8
        .value_kind:     global_buffer
      - .address_space:  global
        .offset:         24
        .size:           8
        .value_kind:     global_buffer
      - .offset:         32
        .size:           4
        .value_kind:     by_value
      - .offset:         36
        .size:           4
        .value_kind:     by_value
      - .offset:         40
        .size:           4
        .value_kind:     by_value
      - .offset:         44
        .size:           4
        .value_kind:     by_value
      - .offset:         48
        .size:           4
        .value_kind:     by_value
      - .offset:         52
        .size:           4
        .value_kind:     by_value
      - .offset:         56
        .size:           4
        .value_kind:     by_value
      - .offset:         60
        .size:           4
        .value_kind:     by_value
    .group_segment_fixed_size: 8208
    .kernarg_segment_align: 8
    .kernarg_segment_size: 64
    .language:       OpenCL C
    .language_version:
      - 2
      - 0
    .max_flat_workgroup_size: 1024
    .name:           _Z19_skinny_gemm_kernelILi3ELi1ELi1ELi32ELi4EEvPKhS1_P6__halfPKfiiiiiiii
    .private_segment_fixed_size: 0
    .sgpr_count:     84
    .sgpr_spill_count: 0
    .symbol:         _Z19_skinny_gemm_kernelILi3ELi1ELi1ELi32ELi4EEvPKhS1_P6__halfPKfiiiiiiii.kd
    .uniform_work_group_size: 1
    .uses_dynamic_stack: false
    .vgpr_count:     79
    .vgpr_spill_count: 0
    .wavefront_size: 64
  - .agpr_count:     0
    .args:
      - .address_space:  global
        .offset:         0
        .size:           8
        .value_kind:     global_buffer
      - .address_space:  global
        .offset:         8
        .size:           8
        .value_kind:     global_buffer
      - .address_space:  global
        .offset:         16
        .size:           8
        .value_kind:     global_buffer
      - .address_space:  global
        .offset:         24
        .size:           8
        .value_kind:     global_buffer
      - .offset:         32
        .size:           4
        .value_kind:     by_value
      - .offset:         36
        .size:           4
        .value_kind:     by_value
      - .offset:         40
        .size:           4
        .value_kind:     by_value
      - .offset:         44
        .size:           4
        .value_kind:     by_value
      - .offset:         48
        .size:           4
        .value_kind:     by_value
      - .offset:         52
        .size:           4
        .value_kind:     by_value
      - .offset:         56
        .size:           4
        .value_kind:     by_value
      - .offset:         60
        .size:           4
        .value_kind:     by_value
    .group_segment_fixed_size: 16400
    .kernarg_segment_align: 8
    .kernarg_segment_size: 64
    .language:       OpenCL C
    .language_version:
      - 2
      - 0
    .max_flat_workgroup_size: 1024
    .name:           _Z19_skinny_gemm_kernelILi3ELi1ELi1ELi32ELi8EEvPKhS1_P6__halfPKfiiiiiiii
    .private_segment_fixed_size: 0
    .sgpr_count:     84
    .sgpr_spill_count: 0
    .symbol:         _Z19_skinny_gemm_kernelILi3ELi1ELi1ELi32ELi8EEvPKhS1_P6__halfPKfiiiiiiii.kd
    .uniform_work_group_size: 1
    .uses_dynamic_stack: false
    .vgpr_count:     87
    .vgpr_spill_count: 0
    .wavefront_size: 64
  - .agpr_count:     0
    .args:
      - .address_space:  global
        .offset:         0
        .size:           8
        .value_kind:     global_buffer
      - .address_space:  global
        .offset:         8
        .size:           8
        .value_kind:     global_buffer
      - .address_space:  global
        .offset:         16
        .size:           8
        .value_kind:     global_buffer
      - .address_space:  global
        .offset:         24
        .size:           8
        .value_kind:     global_buffer
      - .offset:         32
        .size:           4
        .value_kind:     by_value
      - .offset:         36
        .size:           4
        .value_kind:     by_value
      - .offset:         40
        .size:           4
        .value_kind:     by_value
      - .offset:         44
        .size:           4
        .value_kind:     by_value
      - .offset:         48
        .size:           4
        .value_kind:     by_value
      - .offset:         52
        .size:           4
        .value_kind:     by_value
      - .offset:         56
        .size:           4
        .value_kind:     by_value
      - .offset:         60
        .size:           4
        .value_kind:     by_value
    .group_segment_fixed_size: 16416
    .kernarg_segment_align: 8
    .kernarg_segment_size: 64
    .language:       OpenCL C
    .language_version:
      - 2
      - 0
    .max_flat_workgroup_size: 1024
    .name:           _Z19_skinny_gemm_kernelILi3ELi1ELi2ELi16ELi4EEvPKhS1_P6__halfPKfiiiiiiii
    .private_segment_fixed_size: 0
    .sgpr_count:     64
    .sgpr_spill_count: 0
    .symbol:         _Z19_skinny_gemm_kernelILi3ELi1ELi2ELi16ELi4EEvPKhS1_P6__halfPKfiiiiiiii.kd
    .uniform_work_group_size: 1
    .uses_dynamic_stack: false
    .vgpr_count:     57
    .vgpr_spill_count: 0
    .wavefront_size: 64
  - .agpr_count:     0
    .args:
      - .address_space:  global
        .offset:         0
        .size:           8
        .value_kind:     global_buffer
      - .address_space:  global
        .offset:         8
        .size:           8
        .value_kind:     global_buffer
      - .address_space:  global
        .offset:         16
        .size:           8
        .value_kind:     global_buffer
      - .address_space:  global
        .offset:         24
        .size:           8
        .value_kind:     global_buffer
      - .offset:         32
        .size:           4
        .value_kind:     by_value
      - .offset:         36
        .size:           4
        .value_kind:     by_value
      - .offset:         40
        .size:           4
        .value_kind:     by_value
      - .offset:         44
        .size:           4
        .value_kind:     by_value
      - .offset:         48
        .size:           4
        .value_kind:     by_value
      - .offset:         52
        .size:           4
        .value_kind:     by_value
      - .offset:         56
        .size:           4
        .value_kind:     by_value
      - .offset:         60
        .size:           4
        .value_kind:     by_value
    .group_segment_fixed_size: 32800
    .kernarg_segment_align: 8
    .kernarg_segment_size: 64
    .language:       OpenCL C
    .language_version:
      - 2
      - 0
    .max_flat_workgroup_size: 1024
    .name:           _Z19_skinny_gemm_kernelILi3ELi1ELi2ELi16ELi8EEvPKhS1_P6__halfPKfiiiiiiii
    .private_segment_fixed_size: 0
    .sgpr_count:     64
    .sgpr_spill_count: 0
    .symbol:         _Z19_skinny_gemm_kernelILi3ELi1ELi2ELi16ELi8EEvPKhS1_P6__halfPKfiiiiiiii.kd
    .uniform_work_group_size: 1
    .uses_dynamic_stack: false
    .vgpr_count:     60
    .vgpr_spill_count: 0
    .wavefront_size: 64
  - .agpr_count:     0
    .args:
      - .address_space:  global
        .offset:         0
        .size:           8
        .value_kind:     global_buffer
      - .address_space:  global
        .offset:         8
        .size:           8
        .value_kind:     global_buffer
      - .address_space:  global
        .offset:         16
        .size:           8
        .value_kind:     global_buffer
      - .address_space:  global
        .offset:         24
        .size:           8
        .value_kind:     global_buffer
      - .offset:         32
        .size:           4
        .value_kind:     by_value
      - .offset:         36
        .size:           4
        .value_kind:     by_value
      - .offset:         40
        .size:           4
        .value_kind:     by_value
      - .offset:         44
        .size:           4
        .value_kind:     by_value
      - .offset:         48
        .size:           4
        .value_kind:     by_value
      - .offset:         52
        .size:           4
        .value_kind:     by_value
      - .offset:         56
        .size:           4
        .value_kind:     by_value
      - .offset:         60
        .size:           4
        .value_kind:     by_value
    .group_segment_fixed_size: 16416
    .kernarg_segment_align: 8
    .kernarg_segment_size: 64
    .language:       OpenCL C
    .language_version:
      - 2
      - 0
    .max_flat_workgroup_size: 1024
    .name:           _Z19_skinny_gemm_kernelILi3ELi1ELi2ELi32ELi4EEvPKhS1_P6__halfPKfiiiiiiii
    .private_segment_fixed_size: 0
    .sgpr_count:     84
    .sgpr_spill_count: 0
    .symbol:         _Z19_skinny_gemm_kernelILi3ELi1ELi2ELi32ELi4EEvPKhS1_P6__halfPKfiiiiiiii.kd
    .uniform_work_group_size: 1
    .uses_dynamic_stack: false
    .vgpr_count:     79
    .vgpr_spill_count: 0
    .wavefront_size: 64
  - .agpr_count:     0
    .args:
      - .address_space:  global
        .offset:         0
        .size:           8
        .value_kind:     global_buffer
      - .address_space:  global
        .offset:         8
        .size:           8
        .value_kind:     global_buffer
      - .address_space:  global
        .offset:         16
        .size:           8
        .value_kind:     global_buffer
      - .address_space:  global
        .offset:         24
        .size:           8
        .value_kind:     global_buffer
      - .offset:         32
        .size:           4
        .value_kind:     by_value
      - .offset:         36
        .size:           4
        .value_kind:     by_value
      - .offset:         40
        .size:           4
        .value_kind:     by_value
      - .offset:         44
        .size:           4
        .value_kind:     by_value
      - .offset:         48
        .size:           4
        .value_kind:     by_value
      - .offset:         52
        .size:           4
        .value_kind:     by_value
      - .offset:         56
        .size:           4
        .value_kind:     by_value
      - .offset:         60
        .size:           4
        .value_kind:     by_value
    .group_segment_fixed_size: 32800
    .kernarg_segment_align: 8
    .kernarg_segment_size: 64
    .language:       OpenCL C
    .language_version:
      - 2
      - 0
    .max_flat_workgroup_size: 1024
    .name:           _Z19_skinny_gemm_kernelILi3ELi1ELi2ELi32ELi8EEvPKhS1_P6__halfPKfiiiiiiii
    .private_segment_fixed_size: 0
    .sgpr_count:     84
    .sgpr_spill_count: 0
    .symbol:         _Z19_skinny_gemm_kernelILi3ELi1ELi2ELi32ELi8EEvPKhS1_P6__halfPKfiiiiiiii.kd
    .uniform_work_group_size: 1
    .uses_dynamic_stack: false
    .vgpr_count:     87
    .vgpr_spill_count: 0
    .wavefront_size: 64
  - .agpr_count:     0
    .args:
      - .address_space:  global
        .offset:         0
        .size:           8
        .value_kind:     global_buffer
      - .address_space:  global
        .offset:         8
        .size:           8
        .value_kind:     global_buffer
      - .address_space:  global
        .offset:         16
        .size:           8
        .value_kind:     global_buffer
      - .address_space:  global
        .offset:         24
        .size:           8
        .value_kind:     global_buffer
      - .offset:         32
        .size:           4
        .value_kind:     by_value
      - .offset:         36
        .size:           4
        .value_kind:     by_value
      - .offset:         40
        .size:           4
        .value_kind:     by_value
      - .offset:         44
        .size:           4
        .value_kind:     by_value
      - .offset:         48
        .size:           4
        .value_kind:     by_value
      - .offset:         52
        .size:           4
        .value_kind:     by_value
      - .offset:         56
        .size:           4
        .value_kind:     by_value
      - .offset:         60
        .size:           4
        .value_kind:     by_value
    .group_segment_fixed_size: 24624
    .kernarg_segment_align: 8
    .kernarg_segment_size: 64
    .language:       OpenCL C
    .language_version:
      - 2
      - 0
    .max_flat_workgroup_size: 1024
    .name:           _Z19_skinny_gemm_kernelILi3ELi1ELi3ELi16ELi4EEvPKhS1_P6__halfPKfiiiiiiii
    .private_segment_fixed_size: 0
    .sgpr_count:     64
    .sgpr_spill_count: 0
    .symbol:         _Z19_skinny_gemm_kernelILi3ELi1ELi3ELi16ELi4EEvPKhS1_P6__halfPKfiiiiiiii.kd
    .uniform_work_group_size: 1
    .uses_dynamic_stack: false
    .vgpr_count:     57
    .vgpr_spill_count: 0
    .wavefront_size: 64
  - .agpr_count:     0
    .args:
      - .address_space:  global
        .offset:         0
        .size:           8
        .value_kind:     global_buffer
      - .address_space:  global
        .offset:         8
        .size:           8
        .value_kind:     global_buffer
      - .address_space:  global
        .offset:         16
        .size:           8
        .value_kind:     global_buffer
      - .address_space:  global
        .offset:         24
        .size:           8
        .value_kind:     global_buffer
      - .offset:         32
        .size:           4
        .value_kind:     by_value
      - .offset:         36
        .size:           4
        .value_kind:     by_value
      - .offset:         40
        .size:           4
        .value_kind:     by_value
      - .offset:         44
        .size:           4
        .value_kind:     by_value
      - .offset:         48
        .size:           4
        .value_kind:     by_value
      - .offset:         52
        .size:           4
        .value_kind:     by_value
      - .offset:         56
        .size:           4
        .value_kind:     by_value
      - .offset:         60
        .size:           4
        .value_kind:     by_value
    .group_segment_fixed_size: 49200
    .kernarg_segment_align: 8
    .kernarg_segment_size: 64
    .language:       OpenCL C
    .language_version:
      - 2
      - 0
    .max_flat_workgroup_size: 1024
    .name:           _Z19_skinny_gemm_kernelILi3ELi1ELi3ELi16ELi8EEvPKhS1_P6__halfPKfiiiiiiii
    .private_segment_fixed_size: 0
    .sgpr_count:     64
    .sgpr_spill_count: 0
    .symbol:         _Z19_skinny_gemm_kernelILi3ELi1ELi3ELi16ELi8EEvPKhS1_P6__halfPKfiiiiiiii.kd
    .uniform_work_group_size: 1
    .uses_dynamic_stack: false
    .vgpr_count:     60
    .vgpr_spill_count: 0
    .wavefront_size: 64
  - .agpr_count:     0
    .args:
      - .address_space:  global
        .offset:         0
        .size:           8
        .value_kind:     global_buffer
      - .address_space:  global
        .offset:         8
        .size:           8
        .value_kind:     global_buffer
      - .address_space:  global
        .offset:         16
        .size:           8
        .value_kind:     global_buffer
      - .address_space:  global
        .offset:         24
        .size:           8
        .value_kind:     global_buffer
      - .offset:         32
        .size:           4
        .value_kind:     by_value
      - .offset:         36
        .size:           4
        .value_kind:     by_value
      - .offset:         40
        .size:           4
        .value_kind:     by_value
      - .offset:         44
        .size:           4
        .value_kind:     by_value
      - .offset:         48
        .size:           4
        .value_kind:     by_value
      - .offset:         52
        .size:           4
        .value_kind:     by_value
      - .offset:         56
        .size:           4
        .value_kind:     by_value
      - .offset:         60
        .size:           4
        .value_kind:     by_value
    .group_segment_fixed_size: 24624
    .kernarg_segment_align: 8
    .kernarg_segment_size: 64
    .language:       OpenCL C
    .language_version:
      - 2
      - 0
    .max_flat_workgroup_size: 1024
    .name:           _Z19_skinny_gemm_kernelILi3ELi1ELi3ELi32ELi4EEvPKhS1_P6__halfPKfiiiiiiii
    .private_segment_fixed_size: 0
    .sgpr_count:     84
    .sgpr_spill_count: 0
    .symbol:         _Z19_skinny_gemm_kernelILi3ELi1ELi3ELi32ELi4EEvPKhS1_P6__halfPKfiiiiiiii.kd
    .uniform_work_group_size: 1
    .uses_dynamic_stack: false
    .vgpr_count:     79
    .vgpr_spill_count: 0
    .wavefront_size: 64
  - .agpr_count:     0
    .args:
      - .address_space:  global
        .offset:         0
        .size:           8
        .value_kind:     global_buffer
      - .address_space:  global
        .offset:         8
        .size:           8
        .value_kind:     global_buffer
      - .address_space:  global
        .offset:         16
        .size:           8
        .value_kind:     global_buffer
      - .address_space:  global
        .offset:         24
        .size:           8
        .value_kind:     global_buffer
      - .offset:         32
        .size:           4
        .value_kind:     by_value
      - .offset:         36
        .size:           4
        .value_kind:     by_value
      - .offset:         40
        .size:           4
        .value_kind:     by_value
      - .offset:         44
        .size:           4
        .value_kind:     by_value
      - .offset:         48
        .size:           4
        .value_kind:     by_value
      - .offset:         52
        .size:           4
        .value_kind:     by_value
      - .offset:         56
        .size:           4
        .value_kind:     by_value
      - .offset:         60
        .size:           4
        .value_kind:     by_value
    .group_segment_fixed_size: 49200
    .kernarg_segment_align: 8
    .kernarg_segment_size: 64
    .language:       OpenCL C
    .language_version:
      - 2
      - 0
    .max_flat_workgroup_size: 1024
    .name:           _Z19_skinny_gemm_kernelILi3ELi1ELi3ELi32ELi8EEvPKhS1_P6__halfPKfiiiiiiii
    .private_segment_fixed_size: 0
    .sgpr_count:     84
    .sgpr_spill_count: 0
    .symbol:         _Z19_skinny_gemm_kernelILi3ELi1ELi3ELi32ELi8EEvPKhS1_P6__halfPKfiiiiiiii.kd
    .uniform_work_group_size: 1
    .uses_dynamic_stack: false
    .vgpr_count:     87
    .vgpr_spill_count: 0
    .wavefront_size: 64
  - .agpr_count:     0
    .args:
      - .address_space:  global
        .offset:         0
        .size:           8
        .value_kind:     global_buffer
      - .address_space:  global
        .offset:         8
        .size:           8
        .value_kind:     global_buffer
      - .address_space:  global
        .offset:         16
        .size:           8
        .value_kind:     global_buffer
      - .address_space:  global
        .offset:         24
        .size:           8
        .value_kind:     global_buffer
      - .offset:         32
        .size:           4
        .value_kind:     by_value
      - .offset:         36
        .size:           4
        .value_kind:     by_value
      - .offset:         40
        .size:           4
        .value_kind:     by_value
      - .offset:         44
        .size:           4
        .value_kind:     by_value
      - .offset:         48
        .size:           4
        .value_kind:     by_value
      - .offset:         52
        .size:           4
        .value_kind:     by_value
      - .offset:         56
        .size:           4
        .value_kind:     by_value
      - .offset:         60
        .size:           4
        .value_kind:     by_value
    .group_segment_fixed_size: 32832
    .kernarg_segment_align: 8
    .kernarg_segment_size: 64
    .language:       OpenCL C
    .language_version:
      - 2
      - 0
    .max_flat_workgroup_size: 1024
    .name:           _Z19_skinny_gemm_kernelILi3ELi1ELi4ELi16ELi4EEvPKhS1_P6__halfPKfiiiiiiii
    .private_segment_fixed_size: 0
    .sgpr_count:     64
    .sgpr_spill_count: 0
    .symbol:         _Z19_skinny_gemm_kernelILi3ELi1ELi4ELi16ELi4EEvPKhS1_P6__halfPKfiiiiiiii.kd
    .uniform_work_group_size: 1
    .uses_dynamic_stack: false
    .vgpr_count:     57
    .vgpr_spill_count: 0
    .wavefront_size: 64
  - .agpr_count:     0
    .args:
      - .address_space:  global
        .offset:         0
        .size:           8
        .value_kind:     global_buffer
      - .address_space:  global
        .offset:         8
        .size:           8
        .value_kind:     global_buffer
      - .address_space:  global
        .offset:         16
        .size:           8
        .value_kind:     global_buffer
      - .address_space:  global
        .offset:         24
        .size:           8
        .value_kind:     global_buffer
      - .offset:         32
        .size:           4
        .value_kind:     by_value
      - .offset:         36
        .size:           4
        .value_kind:     by_value
      - .offset:         40
        .size:           4
        .value_kind:     by_value
      - .offset:         44
        .size:           4
        .value_kind:     by_value
      - .offset:         48
        .size:           4
        .value_kind:     by_value
      - .offset:         52
        .size:           4
        .value_kind:     by_value
      - .offset:         56
        .size:           4
        .value_kind:     by_value
      - .offset:         60
        .size:           4
        .value_kind:     by_value
    .group_segment_fixed_size: 32832
    .kernarg_segment_align: 8
    .kernarg_segment_size: 64
    .language:       OpenCL C
    .language_version:
      - 2
      - 0
    .max_flat_workgroup_size: 1024
    .name:           _Z19_skinny_gemm_kernelILi3ELi1ELi4ELi32ELi4EEvPKhS1_P6__halfPKfiiiiiiii
    .private_segment_fixed_size: 0
    .sgpr_count:     84
    .sgpr_spill_count: 0
    .symbol:         _Z19_skinny_gemm_kernelILi3ELi1ELi4ELi32ELi4EEvPKhS1_P6__halfPKfiiiiiiii.kd
    .uniform_work_group_size: 1
    .uses_dynamic_stack: false
    .vgpr_count:     79
    .vgpr_spill_count: 0
    .wavefront_size: 64
  - .agpr_count:     0
    .args:
      - .address_space:  global
        .offset:         0
        .size:           8
        .value_kind:     global_buffer
      - .address_space:  global
        .offset:         8
        .size:           8
        .value_kind:     global_buffer
      - .address_space:  global
        .offset:         16
        .size:           8
        .value_kind:     global_buffer
      - .address_space:  global
        .offset:         24
        .size:           8
        .value_kind:     global_buffer
      - .offset:         32
        .size:           4
        .value_kind:     by_value
      - .offset:         36
        .size:           4
        .value_kind:     by_value
      - .offset:         40
        .size:           4
        .value_kind:     by_value
      - .offset:         44
        .size:           4
        .value_kind:     by_value
      - .offset:         48
        .size:           4
        .value_kind:     by_value
      - .offset:         52
        .size:           4
        .value_kind:     by_value
      - .offset:         56
        .size:           4
        .value_kind:     by_value
      - .offset:         60
        .size:           4
        .value_kind:     by_value
    .group_segment_fixed_size: 41040
    .kernarg_segment_align: 8
    .kernarg_segment_size: 64
    .language:       OpenCL C
    .language_version:
      - 2
      - 0
    .max_flat_workgroup_size: 1024
    .name:           _Z19_skinny_gemm_kernelILi3ELi1ELi5ELi16ELi4EEvPKhS1_P6__halfPKfiiiiiiii
    .private_segment_fixed_size: 0
    .sgpr_count:     64
    .sgpr_spill_count: 0
    .symbol:         _Z19_skinny_gemm_kernelILi3ELi1ELi5ELi16ELi4EEvPKhS1_P6__halfPKfiiiiiiii.kd
    .uniform_work_group_size: 1
    .uses_dynamic_stack: false
    .vgpr_count:     57
    .vgpr_spill_count: 0
    .wavefront_size: 64
  - .agpr_count:     0
    .args:
      - .address_space:  global
        .offset:         0
        .size:           8
        .value_kind:     global_buffer
      - .address_space:  global
        .offset:         8
        .size:           8
        .value_kind:     global_buffer
      - .address_space:  global
        .offset:         16
        .size:           8
        .value_kind:     global_buffer
      - .address_space:  global
        .offset:         24
        .size:           8
        .value_kind:     global_buffer
      - .offset:         32
        .size:           4
        .value_kind:     by_value
      - .offset:         36
        .size:           4
        .value_kind:     by_value
      - .offset:         40
        .size:           4
        .value_kind:     by_value
      - .offset:         44
        .size:           4
        .value_kind:     by_value
      - .offset:         48
        .size:           4
        .value_kind:     by_value
      - .offset:         52
        .size:           4
        .value_kind:     by_value
      - .offset:         56
        .size:           4
        .value_kind:     by_value
      - .offset:         60
        .size:           4
        .value_kind:     by_value
    .group_segment_fixed_size: 41040
    .kernarg_segment_align: 8
    .kernarg_segment_size: 64
    .language:       OpenCL C
    .language_version:
      - 2
      - 0
    .max_flat_workgroup_size: 1024
    .name:           _Z19_skinny_gemm_kernelILi3ELi1ELi5ELi32ELi4EEvPKhS1_P6__halfPKfiiiiiiii
    .private_segment_fixed_size: 0
    .sgpr_count:     84
    .sgpr_spill_count: 0
    .symbol:         _Z19_skinny_gemm_kernelILi3ELi1ELi5ELi32ELi4EEvPKhS1_P6__halfPKfiiiiiiii.kd
    .uniform_work_group_size: 1
    .uses_dynamic_stack: false
    .vgpr_count:     79
    .vgpr_spill_count: 0
    .wavefront_size: 64
  - .agpr_count:     0
    .args:
      - .address_space:  global
        .offset:         0
        .size:           8
        .value_kind:     global_buffer
      - .address_space:  global
        .offset:         8
        .size:           8
        .value_kind:     global_buffer
      - .address_space:  global
        .offset:         16
        .size:           8
        .value_kind:     global_buffer
      - .address_space:  global
        .offset:         24
        .size:           8
        .value_kind:     global_buffer
      - .offset:         32
        .size:           4
        .value_kind:     by_value
      - .offset:         36
        .size:           4
        .value_kind:     by_value
      - .offset:         40
        .size:           4
        .value_kind:     by_value
      - .offset:         44
        .size:           4
        .value_kind:     by_value
      - .offset:         48
        .size:           4
        .value_kind:     by_value
      - .offset:         52
        .size:           4
        .value_kind:     by_value
      - .offset:         56
        .size:           4
        .value_kind:     by_value
      - .offset:         60
        .size:           4
        .value_kind:     by_value
    .group_segment_fixed_size: 49248
    .kernarg_segment_align: 8
    .kernarg_segment_size: 64
    .language:       OpenCL C
    .language_version:
      - 2
      - 0
    .max_flat_workgroup_size: 1024
    .name:           _Z19_skinny_gemm_kernelILi3ELi1ELi6ELi16ELi4EEvPKhS1_P6__halfPKfiiiiiiii
    .private_segment_fixed_size: 0
    .sgpr_count:     64
    .sgpr_spill_count: 0
    .symbol:         _Z19_skinny_gemm_kernelILi3ELi1ELi6ELi16ELi4EEvPKhS1_P6__halfPKfiiiiiiii.kd
    .uniform_work_group_size: 1
    .uses_dynamic_stack: false
    .vgpr_count:     57
    .vgpr_spill_count: 0
    .wavefront_size: 64
  - .agpr_count:     0
    .args:
      - .address_space:  global
        .offset:         0
        .size:           8
        .value_kind:     global_buffer
      - .address_space:  global
        .offset:         8
        .size:           8
        .value_kind:     global_buffer
      - .address_space:  global
        .offset:         16
        .size:           8
        .value_kind:     global_buffer
      - .address_space:  global
        .offset:         24
        .size:           8
        .value_kind:     global_buffer
      - .offset:         32
        .size:           4
        .value_kind:     by_value
      - .offset:         36
        .size:           4
        .value_kind:     by_value
      - .offset:         40
        .size:           4
        .value_kind:     by_value
      - .offset:         44
        .size:           4
        .value_kind:     by_value
      - .offset:         48
        .size:           4
        .value_kind:     by_value
      - .offset:         52
        .size:           4
        .value_kind:     by_value
      - .offset:         56
        .size:           4
        .value_kind:     by_value
      - .offset:         60
        .size:           4
        .value_kind:     by_value
    .group_segment_fixed_size: 49248
    .kernarg_segment_align: 8
    .kernarg_segment_size: 64
    .language:       OpenCL C
    .language_version:
      - 2
      - 0
    .max_flat_workgroup_size: 1024
    .name:           _Z19_skinny_gemm_kernelILi3ELi1ELi6ELi32ELi4EEvPKhS1_P6__halfPKfiiiiiiii
    .private_segment_fixed_size: 0
    .sgpr_count:     84
    .sgpr_spill_count: 0
    .symbol:         _Z19_skinny_gemm_kernelILi3ELi1ELi6ELi32ELi4EEvPKhS1_P6__halfPKfiiiiiiii.kd
    .uniform_work_group_size: 1
    .uses_dynamic_stack: false
    .vgpr_count:     80
    .vgpr_spill_count: 0
    .wavefront_size: 64
  - .agpr_count:     0
    .args:
      - .address_space:  global
        .offset:         0
        .size:           8
        .value_kind:     global_buffer
      - .address_space:  global
        .offset:         8
        .size:           8
        .value_kind:     global_buffer
      - .address_space:  global
        .offset:         16
        .size:           8
        .value_kind:     global_buffer
      - .address_space:  global
        .offset:         24
        .size:           8
        .value_kind:     global_buffer
      - .offset:         32
        .size:           4
        .value_kind:     by_value
      - .offset:         36
        .size:           4
        .value_kind:     by_value
      - .offset:         40
        .size:           4
        .value_kind:     by_value
      - .offset:         44
        .size:           4
        .value_kind:     by_value
      - .offset:         48
        .size:           4
        .value_kind:     by_value
      - .offset:         52
        .size:           4
        .value_kind:     by_value
      - .offset:         56
        .size:           4
        .value_kind:     by_value
      - .offset:         60
        .size:           4
        .value_kind:     by_value
    .group_segment_fixed_size: 10260
    .kernarg_segment_align: 8
    .kernarg_segment_size: 64
    .language:       OpenCL C
    .language_version:
      - 2
      - 0
    .max_flat_workgroup_size: 1024
    .name:           _Z19_skinny_gemm_kernelILi3ELi2ELi1ELi16ELi4EEvPKhS1_P6__halfPKfiiiiiiii
    .private_segment_fixed_size: 0
    .sgpr_count:     71
    .sgpr_spill_count: 0
    .symbol:         _Z19_skinny_gemm_kernelILi3ELi2ELi1ELi16ELi4EEvPKhS1_P6__halfPKfiiiiiiii.kd
    .uniform_work_group_size: 1
    .uses_dynamic_stack: false
    .vgpr_count:     88
    .vgpr_spill_count: 0
    .wavefront_size: 64
  - .agpr_count:     0
    .args:
      - .address_space:  global
        .offset:         0
        .size:           8
        .value_kind:     global_buffer
      - .address_space:  global
        .offset:         8
        .size:           8
        .value_kind:     global_buffer
      - .address_space:  global
        .offset:         16
        .size:           8
        .value_kind:     global_buffer
      - .address_space:  global
        .offset:         24
        .size:           8
        .value_kind:     global_buffer
      - .offset:         32
        .size:           4
        .value_kind:     by_value
      - .offset:         36
        .size:           4
        .value_kind:     by_value
      - .offset:         40
        .size:           4
        .value_kind:     by_value
      - .offset:         44
        .size:           4
        .value_kind:     by_value
      - .offset:         48
        .size:           4
        .value_kind:     by_value
      - .offset:         52
        .size:           4
        .value_kind:     by_value
      - .offset:         56
        .size:           4
        .value_kind:     by_value
      - .offset:         60
        .size:           4
        .value_kind:     by_value
    .group_segment_fixed_size: 20500
    .kernarg_segment_align: 8
    .kernarg_segment_size: 64
    .language:       OpenCL C
    .language_version:
      - 2
      - 0
    .max_flat_workgroup_size: 1024
    .name:           _Z19_skinny_gemm_kernelILi3ELi2ELi1ELi16ELi8EEvPKhS1_P6__halfPKfiiiiiiii
    .private_segment_fixed_size: 0
    .sgpr_count:     71
    .sgpr_spill_count: 0
    .symbol:         _Z19_skinny_gemm_kernelILi3ELi2ELi1ELi16ELi8EEvPKhS1_P6__halfPKfiiiiiiii.kd
    .uniform_work_group_size: 1
    .uses_dynamic_stack: false
    .vgpr_count:     114
    .vgpr_spill_count: 0
    .wavefront_size: 64
  - .agpr_count:     0
    .args:
      - .address_space:  global
        .offset:         0
        .size:           8
        .value_kind:     global_buffer
      - .address_space:  global
        .offset:         8
        .size:           8
        .value_kind:     global_buffer
      - .address_space:  global
        .offset:         16
        .size:           8
        .value_kind:     global_buffer
      - .address_space:  global
        .offset:         24
        .size:           8
        .value_kind:     global_buffer
      - .offset:         32
        .size:           4
        .value_kind:     by_value
      - .offset:         36
        .size:           4
        .value_kind:     by_value
      - .offset:         40
        .size:           4
        .value_kind:     by_value
      - .offset:         44
        .size:           4
        .value_kind:     by_value
      - .offset:         48
        .size:           4
        .value_kind:     by_value
      - .offset:         52
        .size:           4
        .value_kind:     by_value
      - .offset:         56
        .size:           4
        .value_kind:     by_value
      - .offset:         60
        .size:           4
        .value_kind:     by_value
    .group_segment_fixed_size: 10260
    .kernarg_segment_align: 8
    .kernarg_segment_size: 64
    .language:       OpenCL C
    .language_version:
      - 2
      - 0
    .max_flat_workgroup_size: 1024
    .name:           _Z19_skinny_gemm_kernelILi3ELi2ELi1ELi32ELi4EEvPKhS1_P6__halfPKfiiiiiiii
    .private_segment_fixed_size: 0
    .sgpr_count:     106
    .sgpr_spill_count: 41
    .symbol:         _Z19_skinny_gemm_kernelILi3ELi2ELi1ELi32ELi4EEvPKhS1_P6__halfPKfiiiiiiii.kd
    .uniform_work_group_size: 1
    .uses_dynamic_stack: false
    .vgpr_count:     100
    .vgpr_spill_count: 0
    .wavefront_size: 64
  - .agpr_count:     0
    .args:
      - .address_space:  global
        .offset:         0
        .size:           8
        .value_kind:     global_buffer
      - .address_space:  global
        .offset:         8
        .size:           8
        .value_kind:     global_buffer
      - .address_space:  global
        .offset:         16
        .size:           8
        .value_kind:     global_buffer
      - .address_space:  global
        .offset:         24
        .size:           8
        .value_kind:     global_buffer
      - .offset:         32
        .size:           4
        .value_kind:     by_value
      - .offset:         36
        .size:           4
        .value_kind:     by_value
      - .offset:         40
        .size:           4
        .value_kind:     by_value
      - .offset:         44
        .size:           4
        .value_kind:     by_value
      - .offset:         48
        .size:           4
        .value_kind:     by_value
      - .offset:         52
        .size:           4
        .value_kind:     by_value
      - .offset:         56
        .size:           4
        .value_kind:     by_value
      - .offset:         60
        .size:           4
        .value_kind:     by_value
    .group_segment_fixed_size: 20500
    .kernarg_segment_align: 8
    .kernarg_segment_size: 64
    .language:       OpenCL C
    .language_version:
      - 2
      - 0
    .max_flat_workgroup_size: 1024
    .name:           _Z19_skinny_gemm_kernelILi3ELi2ELi1ELi32ELi8EEvPKhS1_P6__halfPKfiiiiiiii
    .private_segment_fixed_size: 0
    .sgpr_count:     106
    .sgpr_spill_count: 37
    .symbol:         _Z19_skinny_gemm_kernelILi3ELi2ELi1ELi32ELi8EEvPKhS1_P6__halfPKfiiiiiiii.kd
    .uniform_work_group_size: 1
    .uses_dynamic_stack: false
    .vgpr_count:     106
    .vgpr_spill_count: 0
    .wavefront_size: 64
  - .agpr_count:     0
    .args:
      - .address_space:  global
        .offset:         0
        .size:           8
        .value_kind:     global_buffer
      - .address_space:  global
        .offset:         8
        .size:           8
        .value_kind:     global_buffer
      - .address_space:  global
        .offset:         16
        .size:           8
        .value_kind:     global_buffer
      - .address_space:  global
        .offset:         24
        .size:           8
        .value_kind:     global_buffer
      - .offset:         32
        .size:           4
        .value_kind:     by_value
      - .offset:         36
        .size:           4
        .value_kind:     by_value
      - .offset:         40
        .size:           4
        .value_kind:     by_value
      - .offset:         44
        .size:           4
        .value_kind:     by_value
      - .offset:         48
        .size:           4
        .value_kind:     by_value
      - .offset:         52
        .size:           4
        .value_kind:     by_value
      - .offset:         56
        .size:           4
        .value_kind:     by_value
      - .offset:         60
        .size:           4
        .value_kind:     by_value
    .group_segment_fixed_size: 20520
    .kernarg_segment_align: 8
    .kernarg_segment_size: 64
    .language:       OpenCL C
    .language_version:
      - 2
      - 0
    .max_flat_workgroup_size: 1024
    .name:           _Z19_skinny_gemm_kernelILi3ELi2ELi2ELi16ELi4EEvPKhS1_P6__halfPKfiiiiiiii
    .private_segment_fixed_size: 0
    .sgpr_count:     71
    .sgpr_spill_count: 0
    .symbol:         _Z19_skinny_gemm_kernelILi3ELi2ELi2ELi16ELi4EEvPKhS1_P6__halfPKfiiiiiiii.kd
    .uniform_work_group_size: 1
    .uses_dynamic_stack: false
    .vgpr_count:     88
    .vgpr_spill_count: 0
    .wavefront_size: 64
  - .agpr_count:     0
    .args:
      - .address_space:  global
        .offset:         0
        .size:           8
        .value_kind:     global_buffer
      - .address_space:  global
        .offset:         8
        .size:           8
        .value_kind:     global_buffer
      - .address_space:  global
        .offset:         16
        .size:           8
        .value_kind:     global_buffer
      - .address_space:  global
        .offset:         24
        .size:           8
        .value_kind:     global_buffer
      - .offset:         32
        .size:           4
        .value_kind:     by_value
      - .offset:         36
        .size:           4
        .value_kind:     by_value
      - .offset:         40
        .size:           4
        .value_kind:     by_value
      - .offset:         44
        .size:           4
        .value_kind:     by_value
      - .offset:         48
        .size:           4
        .value_kind:     by_value
      - .offset:         52
        .size:           4
        .value_kind:     by_value
      - .offset:         56
        .size:           4
        .value_kind:     by_value
      - .offset:         60
        .size:           4
        .value_kind:     by_value
    .group_segment_fixed_size: 41000
    .kernarg_segment_align: 8
    .kernarg_segment_size: 64
    .language:       OpenCL C
    .language_version:
      - 2
      - 0
    .max_flat_workgroup_size: 1024
    .name:           _Z19_skinny_gemm_kernelILi3ELi2ELi2ELi16ELi8EEvPKhS1_P6__halfPKfiiiiiiii
    .private_segment_fixed_size: 0
    .sgpr_count:     71
    .sgpr_spill_count: 0
    .symbol:         _Z19_skinny_gemm_kernelILi3ELi2ELi2ELi16ELi8EEvPKhS1_P6__halfPKfiiiiiiii.kd
    .uniform_work_group_size: 1
    .uses_dynamic_stack: false
    .vgpr_count:     114
    .vgpr_spill_count: 0
    .wavefront_size: 64
  - .agpr_count:     0
    .args:
      - .address_space:  global
        .offset:         0
        .size:           8
        .value_kind:     global_buffer
      - .address_space:  global
        .offset:         8
        .size:           8
        .value_kind:     global_buffer
      - .address_space:  global
        .offset:         16
        .size:           8
        .value_kind:     global_buffer
      - .address_space:  global
        .offset:         24
        .size:           8
        .value_kind:     global_buffer
      - .offset:         32
        .size:           4
        .value_kind:     by_value
      - .offset:         36
        .size:           4
        .value_kind:     by_value
      - .offset:         40
        .size:           4
        .value_kind:     by_value
      - .offset:         44
        .size:           4
        .value_kind:     by_value
      - .offset:         48
        .size:           4
        .value_kind:     by_value
      - .offset:         52
        .size:           4
        .value_kind:     by_value
      - .offset:         56
        .size:           4
        .value_kind:     by_value
      - .offset:         60
        .size:           4
        .value_kind:     by_value
    .group_segment_fixed_size: 20520
    .kernarg_segment_align: 8
    .kernarg_segment_size: 64
    .language:       OpenCL C
    .language_version:
      - 2
      - 0
    .max_flat_workgroup_size: 1024
    .name:           _Z19_skinny_gemm_kernelILi3ELi2ELi2ELi32ELi4EEvPKhS1_P6__halfPKfiiiiiiii
    .private_segment_fixed_size: 0
    .sgpr_count:     106
    .sgpr_spill_count: 37
    .symbol:         _Z19_skinny_gemm_kernelILi3ELi2ELi2ELi32ELi4EEvPKhS1_P6__halfPKfiiiiiiii.kd
    .uniform_work_group_size: 1
    .uses_dynamic_stack: false
    .vgpr_count:     100
    .vgpr_spill_count: 0
    .wavefront_size: 64
  - .agpr_count:     0
    .args:
      - .address_space:  global
        .offset:         0
        .size:           8
        .value_kind:     global_buffer
      - .address_space:  global
        .offset:         8
        .size:           8
        .value_kind:     global_buffer
      - .address_space:  global
        .offset:         16
        .size:           8
        .value_kind:     global_buffer
      - .address_space:  global
        .offset:         24
        .size:           8
        .value_kind:     global_buffer
      - .offset:         32
        .size:           4
        .value_kind:     by_value
      - .offset:         36
        .size:           4
        .value_kind:     by_value
      - .offset:         40
        .size:           4
        .value_kind:     by_value
      - .offset:         44
        .size:           4
        .value_kind:     by_value
      - .offset:         48
        .size:           4
        .value_kind:     by_value
      - .offset:         52
        .size:           4
        .value_kind:     by_value
      - .offset:         56
        .size:           4
        .value_kind:     by_value
      - .offset:         60
        .size:           4
        .value_kind:     by_value
    .group_segment_fixed_size: 41000
    .kernarg_segment_align: 8
    .kernarg_segment_size: 64
    .language:       OpenCL C
    .language_version:
      - 2
      - 0
    .max_flat_workgroup_size: 1024
    .name:           _Z19_skinny_gemm_kernelILi3ELi2ELi2ELi32ELi8EEvPKhS1_P6__halfPKfiiiiiiii
    .private_segment_fixed_size: 0
    .sgpr_count:     106
    .sgpr_spill_count: 37
    .symbol:         _Z19_skinny_gemm_kernelILi3ELi2ELi2ELi32ELi8EEvPKhS1_P6__halfPKfiiiiiiii.kd
    .uniform_work_group_size: 1
    .uses_dynamic_stack: false
    .vgpr_count:     106
    .vgpr_spill_count: 0
    .wavefront_size: 64
  - .agpr_count:     0
    .args:
      - .address_space:  global
        .offset:         0
        .size:           8
        .value_kind:     global_buffer
      - .address_space:  global
        .offset:         8
        .size:           8
        .value_kind:     global_buffer
      - .address_space:  global
        .offset:         16
        .size:           8
        .value_kind:     global_buffer
      - .address_space:  global
        .offset:         24
        .size:           8
        .value_kind:     global_buffer
      - .offset:         32
        .size:           4
        .value_kind:     by_value
      - .offset:         36
        .size:           4
        .value_kind:     by_value
      - .offset:         40
        .size:           4
        .value_kind:     by_value
      - .offset:         44
        .size:           4
        .value_kind:     by_value
      - .offset:         48
        .size:           4
        .value_kind:     by_value
      - .offset:         52
        .size:           4
        .value_kind:     by_value
      - .offset:         56
        .size:           4
        .value_kind:     by_value
      - .offset:         60
        .size:           4
        .value_kind:     by_value
    .group_segment_fixed_size: 30780
    .kernarg_segment_align: 8
    .kernarg_segment_size: 64
    .language:       OpenCL C
    .language_version:
      - 2
      - 0
    .max_flat_workgroup_size: 1024
    .name:           _Z19_skinny_gemm_kernelILi3ELi2ELi3ELi16ELi4EEvPKhS1_P6__halfPKfiiiiiiii
    .private_segment_fixed_size: 0
    .sgpr_count:     71
    .sgpr_spill_count: 0
    .symbol:         _Z19_skinny_gemm_kernelILi3ELi2ELi3ELi16ELi4EEvPKhS1_P6__halfPKfiiiiiiii.kd
    .uniform_work_group_size: 1
    .uses_dynamic_stack: false
    .vgpr_count:     88
    .vgpr_spill_count: 0
    .wavefront_size: 64
  - .agpr_count:     0
    .args:
      - .address_space:  global
        .offset:         0
        .size:           8
        .value_kind:     global_buffer
      - .address_space:  global
        .offset:         8
        .size:           8
        .value_kind:     global_buffer
      - .address_space:  global
        .offset:         16
        .size:           8
        .value_kind:     global_buffer
      - .address_space:  global
        .offset:         24
        .size:           8
        .value_kind:     global_buffer
      - .offset:         32
        .size:           4
        .value_kind:     by_value
      - .offset:         36
        .size:           4
        .value_kind:     by_value
      - .offset:         40
        .size:           4
        .value_kind:     by_value
      - .offset:         44
        .size:           4
        .value_kind:     by_value
      - .offset:         48
        .size:           4
        .value_kind:     by_value
      - .offset:         52
        .size:           4
        .value_kind:     by_value
      - .offset:         56
        .size:           4
        .value_kind:     by_value
      - .offset:         60
        .size:           4
        .value_kind:     by_value
    .group_segment_fixed_size: 61500
    .kernarg_segment_align: 8
    .kernarg_segment_size: 64
    .language:       OpenCL C
    .language_version:
      - 2
      - 0
    .max_flat_workgroup_size: 1024
    .name:           _Z19_skinny_gemm_kernelILi3ELi2ELi3ELi16ELi8EEvPKhS1_P6__halfPKfiiiiiiii
    .private_segment_fixed_size: 0
    .sgpr_count:     71
    .sgpr_spill_count: 0
    .symbol:         _Z19_skinny_gemm_kernelILi3ELi2ELi3ELi16ELi8EEvPKhS1_P6__halfPKfiiiiiiii.kd
    .uniform_work_group_size: 1
    .uses_dynamic_stack: false
    .vgpr_count:     114
    .vgpr_spill_count: 0
    .wavefront_size: 64
  - .agpr_count:     0
    .args:
      - .address_space:  global
        .offset:         0
        .size:           8
        .value_kind:     global_buffer
      - .address_space:  global
        .offset:         8
        .size:           8
        .value_kind:     global_buffer
      - .address_space:  global
        .offset:         16
        .size:           8
        .value_kind:     global_buffer
      - .address_space:  global
        .offset:         24
        .size:           8
        .value_kind:     global_buffer
      - .offset:         32
        .size:           4
        .value_kind:     by_value
      - .offset:         36
        .size:           4
        .value_kind:     by_value
      - .offset:         40
        .size:           4
        .value_kind:     by_value
      - .offset:         44
        .size:           4
        .value_kind:     by_value
      - .offset:         48
        .size:           4
        .value_kind:     by_value
      - .offset:         52
        .size:           4
        .value_kind:     by_value
      - .offset:         56
        .size:           4
        .value_kind:     by_value
      - .offset:         60
        .size:           4
        .value_kind:     by_value
    .group_segment_fixed_size: 30780
    .kernarg_segment_align: 8
    .kernarg_segment_size: 64
    .language:       OpenCL C
    .language_version:
      - 2
      - 0
    .max_flat_workgroup_size: 1024
    .name:           _Z19_skinny_gemm_kernelILi3ELi2ELi3ELi32ELi4EEvPKhS1_P6__halfPKfiiiiiiii
    .private_segment_fixed_size: 0
    .sgpr_count:     106
    .sgpr_spill_count: 37
    .symbol:         _Z19_skinny_gemm_kernelILi3ELi2ELi3ELi32ELi4EEvPKhS1_P6__halfPKfiiiiiiii.kd
    .uniform_work_group_size: 1
    .uses_dynamic_stack: false
    .vgpr_count:     100
    .vgpr_spill_count: 0
    .wavefront_size: 64
  - .agpr_count:     0
    .args:
      - .address_space:  global
        .offset:         0
        .size:           8
        .value_kind:     global_buffer
      - .address_space:  global
        .offset:         8
        .size:           8
        .value_kind:     global_buffer
      - .address_space:  global
        .offset:         16
        .size:           8
        .value_kind:     global_buffer
      - .address_space:  global
        .offset:         24
        .size:           8
        .value_kind:     global_buffer
      - .offset:         32
        .size:           4
        .value_kind:     by_value
      - .offset:         36
        .size:           4
        .value_kind:     by_value
      - .offset:         40
        .size:           4
        .value_kind:     by_value
      - .offset:         44
        .size:           4
        .value_kind:     by_value
      - .offset:         48
        .size:           4
        .value_kind:     by_value
      - .offset:         52
        .size:           4
        .value_kind:     by_value
      - .offset:         56
        .size:           4
        .value_kind:     by_value
      - .offset:         60
        .size:           4
        .value_kind:     by_value
    .group_segment_fixed_size: 61500
    .kernarg_segment_align: 8
    .kernarg_segment_size: 64
    .language:       OpenCL C
    .language_version:
      - 2
      - 0
    .max_flat_workgroup_size: 1024
    .name:           _Z19_skinny_gemm_kernelILi3ELi2ELi3ELi32ELi8EEvPKhS1_P6__halfPKfiiiiiiii
    .private_segment_fixed_size: 0
    .sgpr_count:     106
    .sgpr_spill_count: 37
    .symbol:         _Z19_skinny_gemm_kernelILi3ELi2ELi3ELi32ELi8EEvPKhS1_P6__halfPKfiiiiiiii.kd
    .uniform_work_group_size: 1
    .uses_dynamic_stack: false
    .vgpr_count:     106
    .vgpr_spill_count: 0
    .wavefront_size: 64
  - .agpr_count:     0
    .args:
      - .address_space:  global
        .offset:         0
        .size:           8
        .value_kind:     global_buffer
      - .address_space:  global
        .offset:         8
        .size:           8
        .value_kind:     global_buffer
      - .address_space:  global
        .offset:         16
        .size:           8
        .value_kind:     global_buffer
      - .address_space:  global
        .offset:         24
        .size:           8
        .value_kind:     global_buffer
      - .offset:         32
        .size:           4
        .value_kind:     by_value
      - .offset:         36
        .size:           4
        .value_kind:     by_value
      - .offset:         40
        .size:           4
        .value_kind:     by_value
      - .offset:         44
        .size:           4
        .value_kind:     by_value
      - .offset:         48
        .size:           4
        .value_kind:     by_value
      - .offset:         52
        .size:           4
        .value_kind:     by_value
      - .offset:         56
        .size:           4
        .value_kind:     by_value
      - .offset:         60
        .size:           4
        .value_kind:     by_value
    .group_segment_fixed_size: 41040
    .kernarg_segment_align: 8
    .kernarg_segment_size: 64
    .language:       OpenCL C
    .language_version:
      - 2
      - 0
    .max_flat_workgroup_size: 1024
    .name:           _Z19_skinny_gemm_kernelILi3ELi2ELi4ELi16ELi4EEvPKhS1_P6__halfPKfiiiiiiii
    .private_segment_fixed_size: 0
    .sgpr_count:     71
    .sgpr_spill_count: 0
    .symbol:         _Z19_skinny_gemm_kernelILi3ELi2ELi4ELi16ELi4EEvPKhS1_P6__halfPKfiiiiiiii.kd
    .uniform_work_group_size: 1
    .uses_dynamic_stack: false
    .vgpr_count:     88
    .vgpr_spill_count: 0
    .wavefront_size: 64
  - .agpr_count:     0
    .args:
      - .address_space:  global
        .offset:         0
        .size:           8
        .value_kind:     global_buffer
      - .address_space:  global
        .offset:         8
        .size:           8
        .value_kind:     global_buffer
      - .address_space:  global
        .offset:         16
        .size:           8
        .value_kind:     global_buffer
      - .address_space:  global
        .offset:         24
        .size:           8
        .value_kind:     global_buffer
      - .offset:         32
        .size:           4
        .value_kind:     by_value
      - .offset:         36
        .size:           4
        .value_kind:     by_value
      - .offset:         40
        .size:           4
        .value_kind:     by_value
      - .offset:         44
        .size:           4
        .value_kind:     by_value
      - .offset:         48
        .size:           4
        .value_kind:     by_value
      - .offset:         52
        .size:           4
        .value_kind:     by_value
      - .offset:         56
        .size:           4
        .value_kind:     by_value
      - .offset:         60
        .size:           4
        .value_kind:     by_value
    .group_segment_fixed_size: 41040
    .kernarg_segment_align: 8
    .kernarg_segment_size: 64
    .language:       OpenCL C
    .language_version:
      - 2
      - 0
    .max_flat_workgroup_size: 1024
    .name:           _Z19_skinny_gemm_kernelILi3ELi2ELi4ELi32ELi4EEvPKhS1_P6__halfPKfiiiiiiii
    .private_segment_fixed_size: 0
    .sgpr_count:     106
    .sgpr_spill_count: 37
    .symbol:         _Z19_skinny_gemm_kernelILi3ELi2ELi4ELi32ELi4EEvPKhS1_P6__halfPKfiiiiiiii.kd
    .uniform_work_group_size: 1
    .uses_dynamic_stack: false
    .vgpr_count:     100
    .vgpr_spill_count: 0
    .wavefront_size: 64
  - .agpr_count:     0
    .args:
      - .address_space:  global
        .offset:         0
        .size:           8
        .value_kind:     global_buffer
      - .address_space:  global
        .offset:         8
        .size:           8
        .value_kind:     global_buffer
      - .address_space:  global
        .offset:         16
        .size:           8
        .value_kind:     global_buffer
      - .address_space:  global
        .offset:         24
        .size:           8
        .value_kind:     global_buffer
      - .offset:         32
        .size:           4
        .value_kind:     by_value
      - .offset:         36
        .size:           4
        .value_kind:     by_value
      - .offset:         40
        .size:           4
        .value_kind:     by_value
      - .offset:         44
        .size:           4
        .value_kind:     by_value
      - .offset:         48
        .size:           4
        .value_kind:     by_value
      - .offset:         52
        .size:           4
        .value_kind:     by_value
      - .offset:         56
        .size:           4
        .value_kind:     by_value
      - .offset:         60
        .size:           4
        .value_kind:     by_value
    .group_segment_fixed_size: 51300
    .kernarg_segment_align: 8
    .kernarg_segment_size: 64
    .language:       OpenCL C
    .language_version:
      - 2
      - 0
    .max_flat_workgroup_size: 1024
    .name:           _Z19_skinny_gemm_kernelILi3ELi2ELi5ELi16ELi4EEvPKhS1_P6__halfPKfiiiiiiii
    .private_segment_fixed_size: 0
    .sgpr_count:     71
    .sgpr_spill_count: 0
    .symbol:         _Z19_skinny_gemm_kernelILi3ELi2ELi5ELi16ELi4EEvPKhS1_P6__halfPKfiiiiiiii.kd
    .uniform_work_group_size: 1
    .uses_dynamic_stack: false
    .vgpr_count:     88
    .vgpr_spill_count: 0
    .wavefront_size: 64
  - .agpr_count:     0
    .args:
      - .address_space:  global
        .offset:         0
        .size:           8
        .value_kind:     global_buffer
      - .address_space:  global
        .offset:         8
        .size:           8
        .value_kind:     global_buffer
      - .address_space:  global
        .offset:         16
        .size:           8
        .value_kind:     global_buffer
      - .address_space:  global
        .offset:         24
        .size:           8
        .value_kind:     global_buffer
      - .offset:         32
        .size:           4
        .value_kind:     by_value
      - .offset:         36
        .size:           4
        .value_kind:     by_value
      - .offset:         40
        .size:           4
        .value_kind:     by_value
      - .offset:         44
        .size:           4
        .value_kind:     by_value
      - .offset:         48
        .size:           4
        .value_kind:     by_value
      - .offset:         52
        .size:           4
        .value_kind:     by_value
      - .offset:         56
        .size:           4
        .value_kind:     by_value
      - .offset:         60
        .size:           4
        .value_kind:     by_value
    .group_segment_fixed_size: 51300
    .kernarg_segment_align: 8
    .kernarg_segment_size: 64
    .language:       OpenCL C
    .language_version:
      - 2
      - 0
    .max_flat_workgroup_size: 1024
    .name:           _Z19_skinny_gemm_kernelILi3ELi2ELi5ELi32ELi4EEvPKhS1_P6__halfPKfiiiiiiii
    .private_segment_fixed_size: 0
    .sgpr_count:     106
    .sgpr_spill_count: 37
    .symbol:         _Z19_skinny_gemm_kernelILi3ELi2ELi5ELi32ELi4EEvPKhS1_P6__halfPKfiiiiiiii.kd
    .uniform_work_group_size: 1
    .uses_dynamic_stack: false
    .vgpr_count:     100
    .vgpr_spill_count: 0
    .wavefront_size: 64
  - .agpr_count:     0
    .args:
      - .address_space:  global
        .offset:         0
        .size:           8
        .value_kind:     global_buffer
      - .address_space:  global
        .offset:         8
        .size:           8
        .value_kind:     global_buffer
      - .address_space:  global
        .offset:         16
        .size:           8
        .value_kind:     global_buffer
      - .address_space:  global
        .offset:         24
        .size:           8
        .value_kind:     global_buffer
      - .offset:         32
        .size:           4
        .value_kind:     by_value
      - .offset:         36
        .size:           4
        .value_kind:     by_value
      - .offset:         40
        .size:           4
        .value_kind:     by_value
      - .offset:         44
        .size:           4
        .value_kind:     by_value
      - .offset:         48
        .size:           4
        .value_kind:     by_value
      - .offset:         52
        .size:           4
        .value_kind:     by_value
      - .offset:         56
        .size:           4
        .value_kind:     by_value
      - .offset:         60
        .size:           4
        .value_kind:     by_value
    .group_segment_fixed_size: 61560
    .kernarg_segment_align: 8
    .kernarg_segment_size: 64
    .language:       OpenCL C
    .language_version:
      - 2
      - 0
    .max_flat_workgroup_size: 1024
    .name:           _Z19_skinny_gemm_kernelILi3ELi2ELi6ELi16ELi4EEvPKhS1_P6__halfPKfiiiiiiii
    .private_segment_fixed_size: 0
    .sgpr_count:     71
    .sgpr_spill_count: 0
    .symbol:         _Z19_skinny_gemm_kernelILi3ELi2ELi6ELi16ELi4EEvPKhS1_P6__halfPKfiiiiiiii.kd
    .uniform_work_group_size: 1
    .uses_dynamic_stack: false
    .vgpr_count:     89
    .vgpr_spill_count: 0
    .wavefront_size: 64
  - .agpr_count:     0
    .args:
      - .address_space:  global
        .offset:         0
        .size:           8
        .value_kind:     global_buffer
      - .address_space:  global
        .offset:         8
        .size:           8
        .value_kind:     global_buffer
      - .address_space:  global
        .offset:         16
        .size:           8
        .value_kind:     global_buffer
      - .address_space:  global
        .offset:         24
        .size:           8
        .value_kind:     global_buffer
      - .offset:         32
        .size:           4
        .value_kind:     by_value
      - .offset:         36
        .size:           4
        .value_kind:     by_value
      - .offset:         40
        .size:           4
        .value_kind:     by_value
      - .offset:         44
        .size:           4
        .value_kind:     by_value
      - .offset:         48
        .size:           4
        .value_kind:     by_value
      - .offset:         52
        .size:           4
        .value_kind:     by_value
      - .offset:         56
        .size:           4
        .value_kind:     by_value
      - .offset:         60
        .size:           4
        .value_kind:     by_value
    .group_segment_fixed_size: 61560
    .kernarg_segment_align: 8
    .kernarg_segment_size: 64
    .language:       OpenCL C
    .language_version:
      - 2
      - 0
    .max_flat_workgroup_size: 1024
    .name:           _Z19_skinny_gemm_kernelILi3ELi2ELi6ELi32ELi4EEvPKhS1_P6__halfPKfiiiiiiii
    .private_segment_fixed_size: 0
    .sgpr_count:     106
    .sgpr_spill_count: 37
    .symbol:         _Z19_skinny_gemm_kernelILi3ELi2ELi6ELi32ELi4EEvPKhS1_P6__halfPKfiiiiiiii.kd
    .uniform_work_group_size: 1
    .uses_dynamic_stack: false
    .vgpr_count:     101
    .vgpr_spill_count: 0
    .wavefront_size: 64
  - .agpr_count:     0
    .args:
      - .address_space:  global
        .offset:         0
        .size:           8
        .value_kind:     global_buffer
      - .address_space:  global
        .offset:         8
        .size:           8
        .value_kind:     global_buffer
      - .address_space:  global
        .offset:         16
        .size:           8
        .value_kind:     global_buffer
      - .address_space:  global
        .offset:         24
        .size:           8
        .value_kind:     global_buffer
      - .offset:         32
        .size:           4
        .value_kind:     by_value
      - .offset:         36
        .size:           4
        .value_kind:     by_value
      - .offset:         40
        .size:           4
        .value_kind:     by_value
      - .offset:         44
        .size:           4
        .value_kind:     by_value
      - .offset:         48
        .size:           4
        .value_kind:     by_value
      - .offset:         52
        .size:           4
        .value_kind:     by_value
      - .offset:         56
        .size:           4
        .value_kind:     by_value
      - .offset:         60
        .size:           4
        .value_kind:     by_value
    .group_segment_fixed_size: 12312
    .kernarg_segment_align: 8
    .kernarg_segment_size: 64
    .language:       OpenCL C
    .language_version:
      - 2
      - 0
    .max_flat_workgroup_size: 1024
    .name:           _Z19_skinny_gemm_kernelILi3ELi3ELi1ELi16ELi4EEvPKhS1_P6__halfPKfiiiiiiii
    .private_segment_fixed_size: 0
    .sgpr_count:     73
    .sgpr_spill_count: 0
    .symbol:         _Z19_skinny_gemm_kernelILi3ELi3ELi1ELi16ELi4EEvPKhS1_P6__halfPKfiiiiiiii.kd
    .uniform_work_group_size: 1
    .uses_dynamic_stack: false
    .vgpr_count:     102
    .vgpr_spill_count: 0
    .wavefront_size: 64
  - .agpr_count:     0
    .args:
      - .address_space:  global
        .offset:         0
        .size:           8
        .value_kind:     global_buffer
      - .address_space:  global
        .offset:         8
        .size:           8
        .value_kind:     global_buffer
      - .address_space:  global
        .offset:         16
        .size:           8
        .value_kind:     global_buffer
      - .address_space:  global
        .offset:         24
        .size:           8
        .value_kind:     global_buffer
      - .offset:         32
        .size:           4
        .value_kind:     by_value
      - .offset:         36
        .size:           4
        .value_kind:     by_value
      - .offset:         40
        .size:           4
        .value_kind:     by_value
      - .offset:         44
        .size:           4
        .value_kind:     by_value
      - .offset:         48
        .size:           4
        .value_kind:     by_value
      - .offset:         52
        .size:           4
        .value_kind:     by_value
      - .offset:         56
        .size:           4
        .value_kind:     by_value
      - .offset:         60
        .size:           4
        .value_kind:     by_value
    .group_segment_fixed_size: 24600
    .kernarg_segment_align: 8
    .kernarg_segment_size: 64
    .language:       OpenCL C
    .language_version:
      - 2
      - 0
    .max_flat_workgroup_size: 1024
    .name:           _Z19_skinny_gemm_kernelILi3ELi3ELi1ELi16ELi8EEvPKhS1_P6__halfPKfiiiiiiii
    .private_segment_fixed_size: 0
    .sgpr_count:     73
    .sgpr_spill_count: 0
    .symbol:         _Z19_skinny_gemm_kernelILi3ELi3ELi1ELi16ELi8EEvPKhS1_P6__halfPKfiiiiiiii.kd
    .uniform_work_group_size: 1
    .uses_dynamic_stack: false
    .vgpr_count:     126
    .vgpr_spill_count: 0
    .wavefront_size: 64
  - .agpr_count:     0
    .args:
      - .address_space:  global
        .offset:         0
        .size:           8
        .value_kind:     global_buffer
      - .address_space:  global
        .offset:         8
        .size:           8
        .value_kind:     global_buffer
      - .address_space:  global
        .offset:         16
        .size:           8
        .value_kind:     global_buffer
      - .address_space:  global
        .offset:         24
        .size:           8
        .value_kind:     global_buffer
      - .offset:         32
        .size:           4
        .value_kind:     by_value
      - .offset:         36
        .size:           4
        .value_kind:     by_value
      - .offset:         40
        .size:           4
        .value_kind:     by_value
      - .offset:         44
        .size:           4
        .value_kind:     by_value
      - .offset:         48
        .size:           4
        .value_kind:     by_value
      - .offset:         52
        .size:           4
        .value_kind:     by_value
      - .offset:         56
        .size:           4
        .value_kind:     by_value
      - .offset:         60
        .size:           4
        .value_kind:     by_value
    .group_segment_fixed_size: 12312
    .kernarg_segment_align: 8
    .kernarg_segment_size: 64
    .language:       OpenCL C
    .language_version:
      - 2
      - 0
    .max_flat_workgroup_size: 1024
    .name:           _Z19_skinny_gemm_kernelILi3ELi3ELi1ELi32ELi4EEvPKhS1_P6__halfPKfiiiiiiii
    .private_segment_fixed_size: 0
    .sgpr_count:     106
    .sgpr_spill_count: 32
    .symbol:         _Z19_skinny_gemm_kernelILi3ELi3ELi1ELi32ELi4EEvPKhS1_P6__halfPKfiiiiiiii.kd
    .uniform_work_group_size: 1
    .uses_dynamic_stack: false
    .vgpr_count:     94
    .vgpr_spill_count: 0
    .wavefront_size: 64
  - .agpr_count:     0
    .args:
      - .address_space:  global
        .offset:         0
        .size:           8
        .value_kind:     global_buffer
      - .address_space:  global
        .offset:         8
        .size:           8
        .value_kind:     global_buffer
      - .address_space:  global
        .offset:         16
        .size:           8
        .value_kind:     global_buffer
      - .address_space:  global
        .offset:         24
        .size:           8
        .value_kind:     global_buffer
      - .offset:         32
        .size:           4
        .value_kind:     by_value
      - .offset:         36
        .size:           4
        .value_kind:     by_value
      - .offset:         40
        .size:           4
        .value_kind:     by_value
      - .offset:         44
        .size:           4
        .value_kind:     by_value
      - .offset:         48
        .size:           4
        .value_kind:     by_value
      - .offset:         52
        .size:           4
        .value_kind:     by_value
      - .offset:         56
        .size:           4
        .value_kind:     by_value
      - .offset:         60
        .size:           4
        .value_kind:     by_value
    .group_segment_fixed_size: 24600
    .kernarg_segment_align: 8
    .kernarg_segment_size: 64
    .language:       OpenCL C
    .language_version:
      - 2
      - 0
    .max_flat_workgroup_size: 1024
    .name:           _Z19_skinny_gemm_kernelILi3ELi3ELi1ELi32ELi8EEvPKhS1_P6__halfPKfiiiiiiii
    .private_segment_fixed_size: 0
    .sgpr_count:     106
    .sgpr_spill_count: 32
    .symbol:         _Z19_skinny_gemm_kernelILi3ELi3ELi1ELi32ELi8EEvPKhS1_P6__halfPKfiiiiiiii.kd
    .uniform_work_group_size: 1
    .uses_dynamic_stack: false
    .vgpr_count:     102
    .vgpr_spill_count: 0
    .wavefront_size: 64
  - .agpr_count:     0
    .args:
      - .address_space:  global
        .offset:         0
        .size:           8
        .value_kind:     global_buffer
      - .address_space:  global
        .offset:         8
        .size:           8
        .value_kind:     global_buffer
      - .address_space:  global
        .offset:         16
        .size:           8
        .value_kind:     global_buffer
      - .address_space:  global
        .offset:         24
        .size:           8
        .value_kind:     global_buffer
      - .offset:         32
        .size:           4
        .value_kind:     by_value
      - .offset:         36
        .size:           4
        .value_kind:     by_value
      - .offset:         40
        .size:           4
        .value_kind:     by_value
      - .offset:         44
        .size:           4
        .value_kind:     by_value
      - .offset:         48
        .size:           4
        .value_kind:     by_value
      - .offset:         52
        .size:           4
        .value_kind:     by_value
      - .offset:         56
        .size:           4
        .value_kind:     by_value
      - .offset:         60
        .size:           4
        .value_kind:     by_value
    .group_segment_fixed_size: 24624
    .kernarg_segment_align: 8
    .kernarg_segment_size: 64
    .language:       OpenCL C
    .language_version:
      - 2
      - 0
    .max_flat_workgroup_size: 1024
    .name:           _Z19_skinny_gemm_kernelILi3ELi3ELi2ELi16ELi4EEvPKhS1_P6__halfPKfiiiiiiii
    .private_segment_fixed_size: 0
    .sgpr_count:     73
    .sgpr_spill_count: 0
    .symbol:         _Z19_skinny_gemm_kernelILi3ELi3ELi2ELi16ELi4EEvPKhS1_P6__halfPKfiiiiiiii.kd
    .uniform_work_group_size: 1
    .uses_dynamic_stack: false
    .vgpr_count:     102
    .vgpr_spill_count: 0
    .wavefront_size: 64
  - .agpr_count:     0
    .args:
      - .address_space:  global
        .offset:         0
        .size:           8
        .value_kind:     global_buffer
      - .address_space:  global
        .offset:         8
        .size:           8
        .value_kind:     global_buffer
      - .address_space:  global
        .offset:         16
        .size:           8
        .value_kind:     global_buffer
      - .address_space:  global
        .offset:         24
        .size:           8
        .value_kind:     global_buffer
      - .offset:         32
        .size:           4
        .value_kind:     by_value
      - .offset:         36
        .size:           4
        .value_kind:     by_value
      - .offset:         40
        .size:           4
        .value_kind:     by_value
      - .offset:         44
        .size:           4
        .value_kind:     by_value
      - .offset:         48
        .size:           4
        .value_kind:     by_value
      - .offset:         52
        .size:           4
        .value_kind:     by_value
      - .offset:         56
        .size:           4
        .value_kind:     by_value
      - .offset:         60
        .size:           4
        .value_kind:     by_value
    .group_segment_fixed_size: 49200
    .kernarg_segment_align: 8
    .kernarg_segment_size: 64
    .language:       OpenCL C
    .language_version:
      - 2
      - 0
    .max_flat_workgroup_size: 1024
    .name:           _Z19_skinny_gemm_kernelILi3ELi3ELi2ELi16ELi8EEvPKhS1_P6__halfPKfiiiiiiii
    .private_segment_fixed_size: 0
    .sgpr_count:     73
    .sgpr_spill_count: 0
    .symbol:         _Z19_skinny_gemm_kernelILi3ELi3ELi2ELi16ELi8EEvPKhS1_P6__halfPKfiiiiiiii.kd
    .uniform_work_group_size: 1
    .uses_dynamic_stack: false
    .vgpr_count:     126
    .vgpr_spill_count: 0
    .wavefront_size: 64
  - .agpr_count:     0
    .args:
      - .address_space:  global
        .offset:         0
        .size:           8
        .value_kind:     global_buffer
      - .address_space:  global
        .offset:         8
        .size:           8
        .value_kind:     global_buffer
      - .address_space:  global
        .offset:         16
        .size:           8
        .value_kind:     global_buffer
      - .address_space:  global
        .offset:         24
        .size:           8
        .value_kind:     global_buffer
      - .offset:         32
        .size:           4
        .value_kind:     by_value
      - .offset:         36
        .size:           4
        .value_kind:     by_value
      - .offset:         40
        .size:           4
        .value_kind:     by_value
      - .offset:         44
        .size:           4
        .value_kind:     by_value
      - .offset:         48
        .size:           4
        .value_kind:     by_value
      - .offset:         52
        .size:           4
        .value_kind:     by_value
      - .offset:         56
        .size:           4
        .value_kind:     by_value
      - .offset:         60
        .size:           4
        .value_kind:     by_value
    .group_segment_fixed_size: 24624
    .kernarg_segment_align: 8
    .kernarg_segment_size: 64
    .language:       OpenCL C
    .language_version:
      - 2
      - 0
    .max_flat_workgroup_size: 1024
    .name:           _Z19_skinny_gemm_kernelILi3ELi3ELi2ELi32ELi4EEvPKhS1_P6__halfPKfiiiiiiii
    .private_segment_fixed_size: 0
    .sgpr_count:     106
    .sgpr_spill_count: 32
    .symbol:         _Z19_skinny_gemm_kernelILi3ELi3ELi2ELi32ELi4EEvPKhS1_P6__halfPKfiiiiiiii.kd
    .uniform_work_group_size: 1
    .uses_dynamic_stack: false
    .vgpr_count:     94
    .vgpr_spill_count: 0
    .wavefront_size: 64
  - .agpr_count:     0
    .args:
      - .address_space:  global
        .offset:         0
        .size:           8
        .value_kind:     global_buffer
      - .address_space:  global
        .offset:         8
        .size:           8
        .value_kind:     global_buffer
      - .address_space:  global
        .offset:         16
        .size:           8
        .value_kind:     global_buffer
      - .address_space:  global
        .offset:         24
        .size:           8
        .value_kind:     global_buffer
      - .offset:         32
        .size:           4
        .value_kind:     by_value
      - .offset:         36
        .size:           4
        .value_kind:     by_value
      - .offset:         40
        .size:           4
        .value_kind:     by_value
      - .offset:         44
        .size:           4
        .value_kind:     by_value
      - .offset:         48
        .size:           4
        .value_kind:     by_value
      - .offset:         52
        .size:           4
        .value_kind:     by_value
      - .offset:         56
        .size:           4
        .value_kind:     by_value
      - .offset:         60
        .size:           4
        .value_kind:     by_value
    .group_segment_fixed_size: 49200
    .kernarg_segment_align: 8
    .kernarg_segment_size: 64
    .language:       OpenCL C
    .language_version:
      - 2
      - 0
    .max_flat_workgroup_size: 1024
    .name:           _Z19_skinny_gemm_kernelILi3ELi3ELi2ELi32ELi8EEvPKhS1_P6__halfPKfiiiiiiii
    .private_segment_fixed_size: 0
    .sgpr_count:     106
    .sgpr_spill_count: 32
    .symbol:         _Z19_skinny_gemm_kernelILi3ELi3ELi2ELi32ELi8EEvPKhS1_P6__halfPKfiiiiiiii.kd
    .uniform_work_group_size: 1
    .uses_dynamic_stack: false
    .vgpr_count:     102
    .vgpr_spill_count: 0
    .wavefront_size: 64
  - .agpr_count:     0
    .args:
      - .address_space:  global
        .offset:         0
        .size:           8
        .value_kind:     global_buffer
      - .address_space:  global
        .offset:         8
        .size:           8
        .value_kind:     global_buffer
      - .address_space:  global
        .offset:         16
        .size:           8
        .value_kind:     global_buffer
      - .address_space:  global
        .offset:         24
        .size:           8
        .value_kind:     global_buffer
      - .offset:         32
        .size:           4
        .value_kind:     by_value
      - .offset:         36
        .size:           4
        .value_kind:     by_value
      - .offset:         40
        .size:           4
        .value_kind:     by_value
      - .offset:         44
        .size:           4
        .value_kind:     by_value
      - .offset:         48
        .size:           4
        .value_kind:     by_value
      - .offset:         52
        .size:           4
        .value_kind:     by_value
      - .offset:         56
        .size:           4
        .value_kind:     by_value
      - .offset:         60
        .size:           4
        .value_kind:     by_value
    .group_segment_fixed_size: 36936
    .kernarg_segment_align: 8
    .kernarg_segment_size: 64
    .language:       OpenCL C
    .language_version:
      - 2
      - 0
    .max_flat_workgroup_size: 1024
    .name:           _Z19_skinny_gemm_kernelILi3ELi3ELi3ELi16ELi4EEvPKhS1_P6__halfPKfiiiiiiii
    .private_segment_fixed_size: 0
    .sgpr_count:     73
    .sgpr_spill_count: 0
    .symbol:         _Z19_skinny_gemm_kernelILi3ELi3ELi3ELi16ELi4EEvPKhS1_P6__halfPKfiiiiiiii.kd
    .uniform_work_group_size: 1
    .uses_dynamic_stack: false
    .vgpr_count:     102
    .vgpr_spill_count: 0
    .wavefront_size: 64
  - .agpr_count:     0
    .args:
      - .address_space:  global
        .offset:         0
        .size:           8
        .value_kind:     global_buffer
      - .address_space:  global
        .offset:         8
        .size:           8
        .value_kind:     global_buffer
      - .address_space:  global
        .offset:         16
        .size:           8
        .value_kind:     global_buffer
      - .address_space:  global
        .offset:         24
        .size:           8
        .value_kind:     global_buffer
      - .offset:         32
        .size:           4
        .value_kind:     by_value
      - .offset:         36
        .size:           4
        .value_kind:     by_value
      - .offset:         40
        .size:           4
        .value_kind:     by_value
      - .offset:         44
        .size:           4
        .value_kind:     by_value
      - .offset:         48
        .size:           4
        .value_kind:     by_value
      - .offset:         52
        .size:           4
        .value_kind:     by_value
      - .offset:         56
        .size:           4
        .value_kind:     by_value
      - .offset:         60
        .size:           4
        .value_kind:     by_value
    .group_segment_fixed_size: 36936
    .kernarg_segment_align: 8
    .kernarg_segment_size: 64
    .language:       OpenCL C
    .language_version:
      - 2
      - 0
    .max_flat_workgroup_size: 1024
    .name:           _Z19_skinny_gemm_kernelILi3ELi3ELi3ELi32ELi4EEvPKhS1_P6__halfPKfiiiiiiii
    .private_segment_fixed_size: 0
    .sgpr_count:     106
    .sgpr_spill_count: 32
    .symbol:         _Z19_skinny_gemm_kernelILi3ELi3ELi3ELi32ELi4EEvPKhS1_P6__halfPKfiiiiiiii.kd
    .uniform_work_group_size: 1
    .uses_dynamic_stack: false
    .vgpr_count:     94
    .vgpr_spill_count: 0
    .wavefront_size: 64
  - .agpr_count:     0
    .args:
      - .address_space:  global
        .offset:         0
        .size:           8
        .value_kind:     global_buffer
      - .address_space:  global
        .offset:         8
        .size:           8
        .value_kind:     global_buffer
      - .address_space:  global
        .offset:         16
        .size:           8
        .value_kind:     global_buffer
      - .address_space:  global
        .offset:         24
        .size:           8
        .value_kind:     global_buffer
      - .offset:         32
        .size:           4
        .value_kind:     by_value
      - .offset:         36
        .size:           4
        .value_kind:     by_value
      - .offset:         40
        .size:           4
        .value_kind:     by_value
      - .offset:         44
        .size:           4
        .value_kind:     by_value
      - .offset:         48
        .size:           4
        .value_kind:     by_value
      - .offset:         52
        .size:           4
        .value_kind:     by_value
      - .offset:         56
        .size:           4
        .value_kind:     by_value
      - .offset:         60
        .size:           4
        .value_kind:     by_value
    .group_segment_fixed_size: 49248
    .kernarg_segment_align: 8
    .kernarg_segment_size: 64
    .language:       OpenCL C
    .language_version:
      - 2
      - 0
    .max_flat_workgroup_size: 1024
    .name:           _Z19_skinny_gemm_kernelILi3ELi3ELi4ELi16ELi4EEvPKhS1_P6__halfPKfiiiiiiii
    .private_segment_fixed_size: 0
    .sgpr_count:     73
    .sgpr_spill_count: 0
    .symbol:         _Z19_skinny_gemm_kernelILi3ELi3ELi4ELi16ELi4EEvPKhS1_P6__halfPKfiiiiiiii.kd
    .uniform_work_group_size: 1
    .uses_dynamic_stack: false
    .vgpr_count:     102
    .vgpr_spill_count: 0
    .wavefront_size: 64
  - .agpr_count:     0
    .args:
      - .address_space:  global
        .offset:         0
        .size:           8
        .value_kind:     global_buffer
      - .address_space:  global
        .offset:         8
        .size:           8
        .value_kind:     global_buffer
      - .address_space:  global
        .offset:         16
        .size:           8
        .value_kind:     global_buffer
      - .address_space:  global
        .offset:         24
        .size:           8
        .value_kind:     global_buffer
      - .offset:         32
        .size:           4
        .value_kind:     by_value
      - .offset:         36
        .size:           4
        .value_kind:     by_value
      - .offset:         40
        .size:           4
        .value_kind:     by_value
      - .offset:         44
        .size:           4
        .value_kind:     by_value
      - .offset:         48
        .size:           4
        .value_kind:     by_value
      - .offset:         52
        .size:           4
        .value_kind:     by_value
      - .offset:         56
        .size:           4
        .value_kind:     by_value
      - .offset:         60
        .size:           4
        .value_kind:     by_value
    .group_segment_fixed_size: 49248
    .kernarg_segment_align: 8
    .kernarg_segment_size: 64
    .language:       OpenCL C
    .language_version:
      - 2
      - 0
    .max_flat_workgroup_size: 1024
    .name:           _Z19_skinny_gemm_kernelILi3ELi3ELi4ELi32ELi4EEvPKhS1_P6__halfPKfiiiiiiii
    .private_segment_fixed_size: 0
    .sgpr_count:     106
    .sgpr_spill_count: 32
    .symbol:         _Z19_skinny_gemm_kernelILi3ELi3ELi4ELi32ELi4EEvPKhS1_P6__halfPKfiiiiiiii.kd
    .uniform_work_group_size: 1
    .uses_dynamic_stack: false
    .vgpr_count:     94
    .vgpr_spill_count: 0
    .wavefront_size: 64
  - .agpr_count:     0
    .args:
      - .address_space:  global
        .offset:         0
        .size:           8
        .value_kind:     global_buffer
      - .address_space:  global
        .offset:         8
        .size:           8
        .value_kind:     global_buffer
      - .address_space:  global
        .offset:         16
        .size:           8
        .value_kind:     global_buffer
      - .address_space:  global
        .offset:         24
        .size:           8
        .value_kind:     global_buffer
      - .offset:         32
        .size:           4
        .value_kind:     by_value
      - .offset:         36
        .size:           4
        .value_kind:     by_value
      - .offset:         40
        .size:           4
        .value_kind:     by_value
      - .offset:         44
        .size:           4
        .value_kind:     by_value
      - .offset:         48
        .size:           4
        .value_kind:     by_value
      - .offset:         52
        .size:           4
        .value_kind:     by_value
      - .offset:         56
        .size:           4
        .value_kind:     by_value
      - .offset:         60
        .size:           4
        .value_kind:     by_value
    .group_segment_fixed_size: 61560
    .kernarg_segment_align: 8
    .kernarg_segment_size: 64
    .language:       OpenCL C
    .language_version:
      - 2
      - 0
    .max_flat_workgroup_size: 1024
    .name:           _Z19_skinny_gemm_kernelILi3ELi3ELi5ELi16ELi4EEvPKhS1_P6__halfPKfiiiiiiii
    .private_segment_fixed_size: 0
    .sgpr_count:     73
    .sgpr_spill_count: 0
    .symbol:         _Z19_skinny_gemm_kernelILi3ELi3ELi5ELi16ELi4EEvPKhS1_P6__halfPKfiiiiiiii.kd
    .uniform_work_group_size: 1
    .uses_dynamic_stack: false
    .vgpr_count:     102
    .vgpr_spill_count: 0
    .wavefront_size: 64
  - .agpr_count:     0
    .args:
      - .address_space:  global
        .offset:         0
        .size:           8
        .value_kind:     global_buffer
      - .address_space:  global
        .offset:         8
        .size:           8
        .value_kind:     global_buffer
      - .address_space:  global
        .offset:         16
        .size:           8
        .value_kind:     global_buffer
      - .address_space:  global
        .offset:         24
        .size:           8
        .value_kind:     global_buffer
      - .offset:         32
        .size:           4
        .value_kind:     by_value
      - .offset:         36
        .size:           4
        .value_kind:     by_value
      - .offset:         40
        .size:           4
        .value_kind:     by_value
      - .offset:         44
        .size:           4
        .value_kind:     by_value
      - .offset:         48
        .size:           4
        .value_kind:     by_value
      - .offset:         52
        .size:           4
        .value_kind:     by_value
      - .offset:         56
        .size:           4
        .value_kind:     by_value
      - .offset:         60
        .size:           4
        .value_kind:     by_value
    .group_segment_fixed_size: 61560
    .kernarg_segment_align: 8
    .kernarg_segment_size: 64
    .language:       OpenCL C
    .language_version:
      - 2
      - 0
    .max_flat_workgroup_size: 1024
    .name:           _Z19_skinny_gemm_kernelILi3ELi3ELi5ELi32ELi4EEvPKhS1_P6__halfPKfiiiiiiii
    .private_segment_fixed_size: 0
    .sgpr_count:     106
    .sgpr_spill_count: 32
    .symbol:         _Z19_skinny_gemm_kernelILi3ELi3ELi5ELi32ELi4EEvPKhS1_P6__halfPKfiiiiiiii.kd
    .uniform_work_group_size: 1
    .uses_dynamic_stack: false
    .vgpr_count:     94
    .vgpr_spill_count: 0
    .wavefront_size: 64
  - .agpr_count:     0
    .args:
      - .address_space:  global
        .offset:         0
        .size:           8
        .value_kind:     global_buffer
      - .address_space:  global
        .offset:         8
        .size:           8
        .value_kind:     global_buffer
      - .address_space:  global
        .offset:         16
        .size:           8
        .value_kind:     global_buffer
      - .address_space:  global
        .offset:         24
        .size:           8
        .value_kind:     global_buffer
      - .offset:         32
        .size:           4
        .value_kind:     by_value
      - .offset:         36
        .size:           4
        .value_kind:     by_value
      - .offset:         40
        .size:           4
        .value_kind:     by_value
      - .offset:         44
        .size:           4
        .value_kind:     by_value
      - .offset:         48
        .size:           4
        .value_kind:     by_value
      - .offset:         52
        .size:           4
        .value_kind:     by_value
      - .offset:         56
        .size:           4
        .value_kind:     by_value
      - .offset:         60
        .size:           4
        .value_kind:     by_value
    .group_segment_fixed_size: 14364
    .kernarg_segment_align: 8
    .kernarg_segment_size: 64
    .language:       OpenCL C
    .language_version:
      - 2
      - 0
    .max_flat_workgroup_size: 1024
    .name:           _Z19_skinny_gemm_kernelILi3ELi4ELi1ELi16ELi4EEvPKhS1_P6__halfPKfiiiiiiii
    .private_segment_fixed_size: 0
    .sgpr_count:     75
    .sgpr_spill_count: 0
    .symbol:         _Z19_skinny_gemm_kernelILi3ELi4ELi1ELi16ELi4EEvPKhS1_P6__halfPKfiiiiiiii.kd
    .uniform_work_group_size: 1
    .uses_dynamic_stack: false
    .vgpr_count:     116
    .vgpr_spill_count: 0
    .wavefront_size: 64
  - .agpr_count:     0
    .args:
      - .address_space:  global
        .offset:         0
        .size:           8
        .value_kind:     global_buffer
      - .address_space:  global
        .offset:         8
        .size:           8
        .value_kind:     global_buffer
      - .address_space:  global
        .offset:         16
        .size:           8
        .value_kind:     global_buffer
      - .address_space:  global
        .offset:         24
        .size:           8
        .value_kind:     global_buffer
      - .offset:         32
        .size:           4
        .value_kind:     by_value
      - .offset:         36
        .size:           4
        .value_kind:     by_value
      - .offset:         40
        .size:           4
        .value_kind:     by_value
      - .offset:         44
        .size:           4
        .value_kind:     by_value
      - .offset:         48
        .size:           4
        .value_kind:     by_value
      - .offset:         52
        .size:           4
        .value_kind:     by_value
      - .offset:         56
        .size:           4
        .value_kind:     by_value
      - .offset:         60
        .size:           4
        .value_kind:     by_value
    .group_segment_fixed_size: 28700
    .kernarg_segment_align: 8
    .kernarg_segment_size: 64
    .language:       OpenCL C
    .language_version:
      - 2
      - 0
    .max_flat_workgroup_size: 1024
    .name:           _Z19_skinny_gemm_kernelILi3ELi4ELi1ELi16ELi8EEvPKhS1_P6__halfPKfiiiiiiii
    .private_segment_fixed_size: 48
    .sgpr_count:     75
    .sgpr_spill_count: 0
    .symbol:         _Z19_skinny_gemm_kernelILi3ELi4ELi1ELi16ELi8EEvPKhS1_P6__halfPKfiiiiiiii.kd
    .uniform_work_group_size: 1
    .uses_dynamic_stack: false
    .vgpr_count:     128
    .vgpr_spill_count: 11
    .wavefront_size: 64
  - .agpr_count:     0
    .args:
      - .address_space:  global
        .offset:         0
        .size:           8
        .value_kind:     global_buffer
      - .address_space:  global
        .offset:         8
        .size:           8
        .value_kind:     global_buffer
      - .address_space:  global
        .offset:         16
        .size:           8
        .value_kind:     global_buffer
      - .address_space:  global
        .offset:         24
        .size:           8
        .value_kind:     global_buffer
      - .offset:         32
        .size:           4
        .value_kind:     by_value
      - .offset:         36
        .size:           4
        .value_kind:     by_value
      - .offset:         40
        .size:           4
        .value_kind:     by_value
      - .offset:         44
        .size:           4
        .value_kind:     by_value
      - .offset:         48
        .size:           4
        .value_kind:     by_value
      - .offset:         52
        .size:           4
        .value_kind:     by_value
      - .offset:         56
        .size:           4
        .value_kind:     by_value
      - .offset:         60
        .size:           4
        .value_kind:     by_value
    .group_segment_fixed_size: 14364
    .kernarg_segment_align: 8
    .kernarg_segment_size: 64
    .language:       OpenCL C
    .language_version:
      - 2
      - 0
    .max_flat_workgroup_size: 1024
    .name:           _Z19_skinny_gemm_kernelILi3ELi4ELi1ELi32ELi4EEvPKhS1_P6__halfPKfiiiiiiii
    .private_segment_fixed_size: 0
    .sgpr_count:     106
    .sgpr_spill_count: 30
    .symbol:         _Z19_skinny_gemm_kernelILi3ELi4ELi1ELi32ELi4EEvPKhS1_P6__halfPKfiiiiiiii.kd
    .uniform_work_group_size: 1
    .uses_dynamic_stack: false
    .vgpr_count:     128
    .vgpr_spill_count: 0
    .wavefront_size: 64
  - .agpr_count:     0
    .args:
      - .address_space:  global
        .offset:         0
        .size:           8
        .value_kind:     global_buffer
      - .address_space:  global
        .offset:         8
        .size:           8
        .value_kind:     global_buffer
      - .address_space:  global
        .offset:         16
        .size:           8
        .value_kind:     global_buffer
      - .address_space:  global
        .offset:         24
        .size:           8
        .value_kind:     global_buffer
      - .offset:         32
        .size:           4
        .value_kind:     by_value
      - .offset:         36
        .size:           4
        .value_kind:     by_value
      - .offset:         40
        .size:           4
        .value_kind:     by_value
      - .offset:         44
        .size:           4
        .value_kind:     by_value
      - .offset:         48
        .size:           4
        .value_kind:     by_value
      - .offset:         52
        .size:           4
        .value_kind:     by_value
      - .offset:         56
        .size:           4
        .value_kind:     by_value
      - .offset:         60
        .size:           4
        .value_kind:     by_value
    .group_segment_fixed_size: 28700
    .kernarg_segment_align: 8
    .kernarg_segment_size: 64
    .language:       OpenCL C
    .language_version:
      - 2
      - 0
    .max_flat_workgroup_size: 1024
    .name:           _Z19_skinny_gemm_kernelILi3ELi4ELi1ELi32ELi8EEvPKhS1_P6__halfPKfiiiiiiii
    .private_segment_fixed_size: 0
    .sgpr_count:     106
    .sgpr_spill_count: 30
    .symbol:         _Z19_skinny_gemm_kernelILi3ELi4ELi1ELi32ELi8EEvPKhS1_P6__halfPKfiiiiiiii.kd
    .uniform_work_group_size: 1
    .uses_dynamic_stack: false
    .vgpr_count:     128
    .vgpr_spill_count: 0
    .wavefront_size: 64
  - .agpr_count:     0
    .args:
      - .address_space:  global
        .offset:         0
        .size:           8
        .value_kind:     global_buffer
      - .address_space:  global
        .offset:         8
        .size:           8
        .value_kind:     global_buffer
      - .address_space:  global
        .offset:         16
        .size:           8
        .value_kind:     global_buffer
      - .address_space:  global
        .offset:         24
        .size:           8
        .value_kind:     global_buffer
      - .offset:         32
        .size:           4
        .value_kind:     by_value
      - .offset:         36
        .size:           4
        .value_kind:     by_value
      - .offset:         40
        .size:           4
        .value_kind:     by_value
      - .offset:         44
        .size:           4
        .value_kind:     by_value
      - .offset:         48
        .size:           4
        .value_kind:     by_value
      - .offset:         52
        .size:           4
        .value_kind:     by_value
      - .offset:         56
        .size:           4
        .value_kind:     by_value
      - .offset:         60
        .size:           4
        .value_kind:     by_value
    .group_segment_fixed_size: 28728
    .kernarg_segment_align: 8
    .kernarg_segment_size: 64
    .language:       OpenCL C
    .language_version:
      - 2
      - 0
    .max_flat_workgroup_size: 1024
    .name:           _Z19_skinny_gemm_kernelILi3ELi4ELi2ELi16ELi4EEvPKhS1_P6__halfPKfiiiiiiii
    .private_segment_fixed_size: 0
    .sgpr_count:     75
    .sgpr_spill_count: 0
    .symbol:         _Z19_skinny_gemm_kernelILi3ELi4ELi2ELi16ELi4EEvPKhS1_P6__halfPKfiiiiiiii.kd
    .uniform_work_group_size: 1
    .uses_dynamic_stack: false
    .vgpr_count:     116
    .vgpr_spill_count: 0
    .wavefront_size: 64
  - .agpr_count:     0
    .args:
      - .address_space:  global
        .offset:         0
        .size:           8
        .value_kind:     global_buffer
      - .address_space:  global
        .offset:         8
        .size:           8
        .value_kind:     global_buffer
      - .address_space:  global
        .offset:         16
        .size:           8
        .value_kind:     global_buffer
      - .address_space:  global
        .offset:         24
        .size:           8
        .value_kind:     global_buffer
      - .offset:         32
        .size:           4
        .value_kind:     by_value
      - .offset:         36
        .size:           4
        .value_kind:     by_value
      - .offset:         40
        .size:           4
        .value_kind:     by_value
      - .offset:         44
        .size:           4
        .value_kind:     by_value
      - .offset:         48
        .size:           4
        .value_kind:     by_value
      - .offset:         52
        .size:           4
        .value_kind:     by_value
      - .offset:         56
        .size:           4
        .value_kind:     by_value
      - .offset:         60
        .size:           4
        .value_kind:     by_value
    .group_segment_fixed_size: 57400
    .kernarg_segment_align: 8
    .kernarg_segment_size: 64
    .language:       OpenCL C
    .language_version:
      - 2
      - 0
    .max_flat_workgroup_size: 1024
    .name:           _Z19_skinny_gemm_kernelILi3ELi4ELi2ELi16ELi8EEvPKhS1_P6__halfPKfiiiiiiii
    .private_segment_fixed_size: 48
    .sgpr_count:     75
    .sgpr_spill_count: 0
    .symbol:         _Z19_skinny_gemm_kernelILi3ELi4ELi2ELi16ELi8EEvPKhS1_P6__halfPKfiiiiiiii.kd
    .uniform_work_group_size: 1
    .uses_dynamic_stack: false
    .vgpr_count:     128
    .vgpr_spill_count: 11
    .wavefront_size: 64
  - .agpr_count:     0
    .args:
      - .address_space:  global
        .offset:         0
        .size:           8
        .value_kind:     global_buffer
      - .address_space:  global
        .offset:         8
        .size:           8
        .value_kind:     global_buffer
      - .address_space:  global
        .offset:         16
        .size:           8
        .value_kind:     global_buffer
      - .address_space:  global
        .offset:         24
        .size:           8
        .value_kind:     global_buffer
      - .offset:         32
        .size:           4
        .value_kind:     by_value
      - .offset:         36
        .size:           4
        .value_kind:     by_value
      - .offset:         40
        .size:           4
        .value_kind:     by_value
      - .offset:         44
        .size:           4
        .value_kind:     by_value
      - .offset:         48
        .size:           4
        .value_kind:     by_value
      - .offset:         52
        .size:           4
        .value_kind:     by_value
      - .offset:         56
        .size:           4
        .value_kind:     by_value
      - .offset:         60
        .size:           4
        .value_kind:     by_value
    .group_segment_fixed_size: 28728
    .kernarg_segment_align: 8
    .kernarg_segment_size: 64
    .language:       OpenCL C
    .language_version:
      - 2
      - 0
    .max_flat_workgroup_size: 1024
    .name:           _Z19_skinny_gemm_kernelILi3ELi4ELi2ELi32ELi4EEvPKhS1_P6__halfPKfiiiiiiii
    .private_segment_fixed_size: 0
    .sgpr_count:     106
    .sgpr_spill_count: 30
    .symbol:         _Z19_skinny_gemm_kernelILi3ELi4ELi2ELi32ELi4EEvPKhS1_P6__halfPKfiiiiiiii.kd
    .uniform_work_group_size: 1
    .uses_dynamic_stack: false
    .vgpr_count:     128
    .vgpr_spill_count: 0
    .wavefront_size: 64
  - .agpr_count:     0
    .args:
      - .address_space:  global
        .offset:         0
        .size:           8
        .value_kind:     global_buffer
      - .address_space:  global
        .offset:         8
        .size:           8
        .value_kind:     global_buffer
      - .address_space:  global
        .offset:         16
        .size:           8
        .value_kind:     global_buffer
      - .address_space:  global
        .offset:         24
        .size:           8
        .value_kind:     global_buffer
      - .offset:         32
        .size:           4
        .value_kind:     by_value
      - .offset:         36
        .size:           4
        .value_kind:     by_value
      - .offset:         40
        .size:           4
        .value_kind:     by_value
      - .offset:         44
        .size:           4
        .value_kind:     by_value
      - .offset:         48
        .size:           4
        .value_kind:     by_value
      - .offset:         52
        .size:           4
        .value_kind:     by_value
      - .offset:         56
        .size:           4
        .value_kind:     by_value
      - .offset:         60
        .size:           4
        .value_kind:     by_value
    .group_segment_fixed_size: 57400
    .kernarg_segment_align: 8
    .kernarg_segment_size: 64
    .language:       OpenCL C
    .language_version:
      - 2
      - 0
    .max_flat_workgroup_size: 1024
    .name:           _Z19_skinny_gemm_kernelILi3ELi4ELi2ELi32ELi8EEvPKhS1_P6__halfPKfiiiiiiii
    .private_segment_fixed_size: 0
    .sgpr_count:     106
    .sgpr_spill_count: 30
    .symbol:         _Z19_skinny_gemm_kernelILi3ELi4ELi2ELi32ELi8EEvPKhS1_P6__halfPKfiiiiiiii.kd
    .uniform_work_group_size: 1
    .uses_dynamic_stack: false
    .vgpr_count:     128
    .vgpr_spill_count: 0
    .wavefront_size: 64
  - .agpr_count:     0
    .args:
      - .address_space:  global
        .offset:         0
        .size:           8
        .value_kind:     global_buffer
      - .address_space:  global
        .offset:         8
        .size:           8
        .value_kind:     global_buffer
      - .address_space:  global
        .offset:         16
        .size:           8
        .value_kind:     global_buffer
      - .address_space:  global
        .offset:         24
        .size:           8
        .value_kind:     global_buffer
      - .offset:         32
        .size:           4
        .value_kind:     by_value
      - .offset:         36
        .size:           4
        .value_kind:     by_value
      - .offset:         40
        .size:           4
        .value_kind:     by_value
      - .offset:         44
        .size:           4
        .value_kind:     by_value
      - .offset:         48
        .size:           4
        .value_kind:     by_value
      - .offset:         52
        .size:           4
        .value_kind:     by_value
      - .offset:         56
        .size:           4
        .value_kind:     by_value
      - .offset:         60
        .size:           4
        .value_kind:     by_value
    .group_segment_fixed_size: 43092
    .kernarg_segment_align: 8
    .kernarg_segment_size: 64
    .language:       OpenCL C
    .language_version:
      - 2
      - 0
    .max_flat_workgroup_size: 1024
    .name:           _Z19_skinny_gemm_kernelILi3ELi4ELi3ELi16ELi4EEvPKhS1_P6__halfPKfiiiiiiii
    .private_segment_fixed_size: 0
    .sgpr_count:     75
    .sgpr_spill_count: 0
    .symbol:         _Z19_skinny_gemm_kernelILi3ELi4ELi3ELi16ELi4EEvPKhS1_P6__halfPKfiiiiiiii.kd
    .uniform_work_group_size: 1
    .uses_dynamic_stack: false
    .vgpr_count:     116
    .vgpr_spill_count: 0
    .wavefront_size: 64
  - .agpr_count:     0
    .args:
      - .address_space:  global
        .offset:         0
        .size:           8
        .value_kind:     global_buffer
      - .address_space:  global
        .offset:         8
        .size:           8
        .value_kind:     global_buffer
      - .address_space:  global
        .offset:         16
        .size:           8
        .value_kind:     global_buffer
      - .address_space:  global
        .offset:         24
        .size:           8
        .value_kind:     global_buffer
      - .offset:         32
        .size:           4
        .value_kind:     by_value
      - .offset:         36
        .size:           4
        .value_kind:     by_value
      - .offset:         40
        .size:           4
        .value_kind:     by_value
      - .offset:         44
        .size:           4
        .value_kind:     by_value
      - .offset:         48
        .size:           4
        .value_kind:     by_value
      - .offset:         52
        .size:           4
        .value_kind:     by_value
      - .offset:         56
        .size:           4
        .value_kind:     by_value
      - .offset:         60
        .size:           4
        .value_kind:     by_value
    .group_segment_fixed_size: 43092
    .kernarg_segment_align: 8
    .kernarg_segment_size: 64
    .language:       OpenCL C
    .language_version:
      - 2
      - 0
    .max_flat_workgroup_size: 1024
    .name:           _Z19_skinny_gemm_kernelILi3ELi4ELi3ELi32ELi4EEvPKhS1_P6__halfPKfiiiiiiii
    .private_segment_fixed_size: 0
    .sgpr_count:     106
    .sgpr_spill_count: 30
    .symbol:         _Z19_skinny_gemm_kernelILi3ELi4ELi3ELi32ELi4EEvPKhS1_P6__halfPKfiiiiiiii.kd
    .uniform_work_group_size: 1
    .uses_dynamic_stack: false
    .vgpr_count:     128
    .vgpr_spill_count: 0
    .wavefront_size: 64
  - .agpr_count:     0
    .args:
      - .address_space:  global
        .offset:         0
        .size:           8
        .value_kind:     global_buffer
      - .address_space:  global
        .offset:         8
        .size:           8
        .value_kind:     global_buffer
      - .address_space:  global
        .offset:         16
        .size:           8
        .value_kind:     global_buffer
      - .address_space:  global
        .offset:         24
        .size:           8
        .value_kind:     global_buffer
      - .offset:         32
        .size:           4
        .value_kind:     by_value
      - .offset:         36
        .size:           4
        .value_kind:     by_value
      - .offset:         40
        .size:           4
        .value_kind:     by_value
      - .offset:         44
        .size:           4
        .value_kind:     by_value
      - .offset:         48
        .size:           4
        .value_kind:     by_value
      - .offset:         52
        .size:           4
        .value_kind:     by_value
      - .offset:         56
        .size:           4
        .value_kind:     by_value
      - .offset:         60
        .size:           4
        .value_kind:     by_value
    .group_segment_fixed_size: 57456
    .kernarg_segment_align: 8
    .kernarg_segment_size: 64
    .language:       OpenCL C
    .language_version:
      - 2
      - 0
    .max_flat_workgroup_size: 1024
    .name:           _Z19_skinny_gemm_kernelILi3ELi4ELi4ELi16ELi4EEvPKhS1_P6__halfPKfiiiiiiii
    .private_segment_fixed_size: 0
    .sgpr_count:     75
    .sgpr_spill_count: 0
    .symbol:         _Z19_skinny_gemm_kernelILi3ELi4ELi4ELi16ELi4EEvPKhS1_P6__halfPKfiiiiiiii.kd
    .uniform_work_group_size: 1
    .uses_dynamic_stack: false
    .vgpr_count:     116
    .vgpr_spill_count: 0
    .wavefront_size: 64
  - .agpr_count:     0
    .args:
      - .address_space:  global
        .offset:         0
        .size:           8
        .value_kind:     global_buffer
      - .address_space:  global
        .offset:         8
        .size:           8
        .value_kind:     global_buffer
      - .address_space:  global
        .offset:         16
        .size:           8
        .value_kind:     global_buffer
      - .address_space:  global
        .offset:         24
        .size:           8
        .value_kind:     global_buffer
      - .offset:         32
        .size:           4
        .value_kind:     by_value
      - .offset:         36
        .size:           4
        .value_kind:     by_value
      - .offset:         40
        .size:           4
        .value_kind:     by_value
      - .offset:         44
        .size:           4
        .value_kind:     by_value
      - .offset:         48
        .size:           4
        .value_kind:     by_value
      - .offset:         52
        .size:           4
        .value_kind:     by_value
      - .offset:         56
        .size:           4
        .value_kind:     by_value
      - .offset:         60
        .size:           4
        .value_kind:     by_value
    .group_segment_fixed_size: 57456
    .kernarg_segment_align: 8
    .kernarg_segment_size: 64
    .language:       OpenCL C
    .language_version:
      - 2
      - 0
    .max_flat_workgroup_size: 1024
    .name:           _Z19_skinny_gemm_kernelILi3ELi4ELi4ELi32ELi4EEvPKhS1_P6__halfPKfiiiiiiii
    .private_segment_fixed_size: 0
    .sgpr_count:     106
    .sgpr_spill_count: 30
    .symbol:         _Z19_skinny_gemm_kernelILi3ELi4ELi4ELi32ELi4EEvPKhS1_P6__halfPKfiiiiiiii.kd
    .uniform_work_group_size: 1
    .uses_dynamic_stack: false
    .vgpr_count:     128
    .vgpr_spill_count: 0
    .wavefront_size: 64
  - .agpr_count:     0
    .args:
      - .address_space:  global
        .offset:         0
        .size:           8
        .value_kind:     global_buffer
      - .address_space:  global
        .offset:         8
        .size:           8
        .value_kind:     global_buffer
      - .address_space:  global
        .offset:         16
        .size:           8
        .value_kind:     global_buffer
      - .address_space:  global
        .offset:         24
        .size:           8
        .value_kind:     global_buffer
      - .offset:         32
        .size:           4
        .value_kind:     by_value
      - .offset:         36
        .size:           4
        .value_kind:     by_value
      - .offset:         40
        .size:           4
        .value_kind:     by_value
      - .offset:         44
        .size:           4
        .value_kind:     by_value
      - .offset:         48
        .size:           4
        .value_kind:     by_value
      - .offset:         52
        .size:           4
        .value_kind:     by_value
      - .offset:         56
        .size:           4
        .value_kind:     by_value
      - .offset:         60
        .size:           4
        .value_kind:     by_value
    .group_segment_fixed_size: 16416
    .kernarg_segment_align: 8
    .kernarg_segment_size: 64
    .language:       OpenCL C
    .language_version:
      - 2
      - 0
    .max_flat_workgroup_size: 1024
    .name:           _Z19_skinny_gemm_kernelILi3ELi5ELi1ELi16ELi4EEvPKhS1_P6__halfPKfiiiiiiii
    .private_segment_fixed_size: 0
    .sgpr_count:     79
    .sgpr_spill_count: 0
    .symbol:         _Z19_skinny_gemm_kernelILi3ELi5ELi1ELi16ELi4EEvPKhS1_P6__halfPKfiiiiiiii.kd
    .uniform_work_group_size: 1
    .uses_dynamic_stack: false
    .vgpr_count:     126
    .vgpr_spill_count: 0
    .wavefront_size: 64
  - .agpr_count:     0
    .args:
      - .address_space:  global
        .offset:         0
        .size:           8
        .value_kind:     global_buffer
      - .address_space:  global
        .offset:         8
        .size:           8
        .value_kind:     global_buffer
      - .address_space:  global
        .offset:         16
        .size:           8
        .value_kind:     global_buffer
      - .address_space:  global
        .offset:         24
        .size:           8
        .value_kind:     global_buffer
      - .offset:         32
        .size:           4
        .value_kind:     by_value
      - .offset:         36
        .size:           4
        .value_kind:     by_value
      - .offset:         40
        .size:           4
        .value_kind:     by_value
      - .offset:         44
        .size:           4
        .value_kind:     by_value
      - .offset:         48
        .size:           4
        .value_kind:     by_value
      - .offset:         52
        .size:           4
        .value_kind:     by_value
      - .offset:         56
        .size:           4
        .value_kind:     by_value
      - .offset:         60
        .size:           4
        .value_kind:     by_value
    .group_segment_fixed_size: 32800
    .kernarg_segment_align: 8
    .kernarg_segment_size: 64
    .language:       OpenCL C
    .language_version:
      - 2
      - 0
    .max_flat_workgroup_size: 1024
    .name:           _Z19_skinny_gemm_kernelILi3ELi5ELi1ELi16ELi8EEvPKhS1_P6__halfPKfiiiiiiii
    .private_segment_fixed_size: 136
    .sgpr_count:     79
    .sgpr_spill_count: 0
    .symbol:         _Z19_skinny_gemm_kernelILi3ELi5ELi1ELi16ELi8EEvPKhS1_P6__halfPKfiiiiiiii.kd
    .uniform_work_group_size: 1
    .uses_dynamic_stack: false
    .vgpr_count:     128
    .vgpr_spill_count: 57
    .wavefront_size: 64
  - .agpr_count:     0
    .args:
      - .address_space:  global
        .offset:         0
        .size:           8
        .value_kind:     global_buffer
      - .address_space:  global
        .offset:         8
        .size:           8
        .value_kind:     global_buffer
      - .address_space:  global
        .offset:         16
        .size:           8
        .value_kind:     global_buffer
      - .address_space:  global
        .offset:         24
        .size:           8
        .value_kind:     global_buffer
      - .offset:         32
        .size:           4
        .value_kind:     by_value
      - .offset:         36
        .size:           4
        .value_kind:     by_value
      - .offset:         40
        .size:           4
        .value_kind:     by_value
      - .offset:         44
        .size:           4
        .value_kind:     by_value
      - .offset:         48
        .size:           4
        .value_kind:     by_value
      - .offset:         52
        .size:           4
        .value_kind:     by_value
      - .offset:         56
        .size:           4
        .value_kind:     by_value
      - .offset:         60
        .size:           4
        .value_kind:     by_value
    .group_segment_fixed_size: 16416
    .kernarg_segment_align: 8
    .kernarg_segment_size: 64
    .language:       OpenCL C
    .language_version:
      - 2
      - 0
    .max_flat_workgroup_size: 1024
    .name:           _Z19_skinny_gemm_kernelILi3ELi5ELi1ELi32ELi4EEvPKhS1_P6__halfPKfiiiiiiii
    .private_segment_fixed_size: 92
    .sgpr_count:     106
    .sgpr_spill_count: 32
    .symbol:         _Z19_skinny_gemm_kernelILi3ELi5ELi1ELi32ELi4EEvPKhS1_P6__halfPKfiiiiiiii.kd
    .uniform_work_group_size: 1
    .uses_dynamic_stack: false
    .vgpr_count:     128
    .vgpr_spill_count: 22
    .wavefront_size: 64
  - .agpr_count:     0
    .args:
      - .address_space:  global
        .offset:         0
        .size:           8
        .value_kind:     global_buffer
      - .address_space:  global
        .offset:         8
        .size:           8
        .value_kind:     global_buffer
      - .address_space:  global
        .offset:         16
        .size:           8
        .value_kind:     global_buffer
      - .address_space:  global
        .offset:         24
        .size:           8
        .value_kind:     global_buffer
      - .offset:         32
        .size:           4
        .value_kind:     by_value
      - .offset:         36
        .size:           4
        .value_kind:     by_value
      - .offset:         40
        .size:           4
        .value_kind:     by_value
      - .offset:         44
        .size:           4
        .value_kind:     by_value
      - .offset:         48
        .size:           4
        .value_kind:     by_value
      - .offset:         52
        .size:           4
        .value_kind:     by_value
      - .offset:         56
        .size:           4
        .value_kind:     by_value
      - .offset:         60
        .size:           4
        .value_kind:     by_value
    .group_segment_fixed_size: 32800
    .kernarg_segment_align: 8
    .kernarg_segment_size: 64
    .language:       OpenCL C
    .language_version:
      - 2
      - 0
    .max_flat_workgroup_size: 1024
    .name:           _Z19_skinny_gemm_kernelILi3ELi5ELi1ELi32ELi8EEvPKhS1_P6__halfPKfiiiiiiii
    .private_segment_fixed_size: 84
    .sgpr_count:     106
    .sgpr_spill_count: 32
    .symbol:         _Z19_skinny_gemm_kernelILi3ELi5ELi1ELi32ELi8EEvPKhS1_P6__halfPKfiiiiiiii.kd
    .uniform_work_group_size: 1
    .uses_dynamic_stack: false
    .vgpr_count:     128
    .vgpr_spill_count: 20
    .wavefront_size: 64
  - .agpr_count:     0
    .args:
      - .address_space:  global
        .offset:         0
        .size:           8
        .value_kind:     global_buffer
      - .address_space:  global
        .offset:         8
        .size:           8
        .value_kind:     global_buffer
      - .address_space:  global
        .offset:         16
        .size:           8
        .value_kind:     global_buffer
      - .address_space:  global
        .offset:         24
        .size:           8
        .value_kind:     global_buffer
      - .offset:         32
        .size:           4
        .value_kind:     by_value
      - .offset:         36
        .size:           4
        .value_kind:     by_value
      - .offset:         40
        .size:           4
        .value_kind:     by_value
      - .offset:         44
        .size:           4
        .value_kind:     by_value
      - .offset:         48
        .size:           4
        .value_kind:     by_value
      - .offset:         52
        .size:           4
        .value_kind:     by_value
      - .offset:         56
        .size:           4
        .value_kind:     by_value
      - .offset:         60
        .size:           4
        .value_kind:     by_value
    .group_segment_fixed_size: 32832
    .kernarg_segment_align: 8
    .kernarg_segment_size: 64
    .language:       OpenCL C
    .language_version:
      - 2
      - 0
    .max_flat_workgroup_size: 1024
    .name:           _Z19_skinny_gemm_kernelILi3ELi5ELi2ELi16ELi4EEvPKhS1_P6__halfPKfiiiiiiii
    .private_segment_fixed_size: 0
    .sgpr_count:     79
    .sgpr_spill_count: 0
    .symbol:         _Z19_skinny_gemm_kernelILi3ELi5ELi2ELi16ELi4EEvPKhS1_P6__halfPKfiiiiiiii.kd
    .uniform_work_group_size: 1
    .uses_dynamic_stack: false
    .vgpr_count:     126
    .vgpr_spill_count: 0
    .wavefront_size: 64
  - .agpr_count:     0
    .args:
      - .address_space:  global
        .offset:         0
        .size:           8
        .value_kind:     global_buffer
      - .address_space:  global
        .offset:         8
        .size:           8
        .value_kind:     global_buffer
      - .address_space:  global
        .offset:         16
        .size:           8
        .value_kind:     global_buffer
      - .address_space:  global
        .offset:         24
        .size:           8
        .value_kind:     global_buffer
      - .offset:         32
        .size:           4
        .value_kind:     by_value
      - .offset:         36
        .size:           4
        .value_kind:     by_value
      - .offset:         40
        .size:           4
        .value_kind:     by_value
      - .offset:         44
        .size:           4
        .value_kind:     by_value
      - .offset:         48
        .size:           4
        .value_kind:     by_value
      - .offset:         52
        .size:           4
        .value_kind:     by_value
      - .offset:         56
        .size:           4
        .value_kind:     by_value
      - .offset:         60
        .size:           4
        .value_kind:     by_value
    .group_segment_fixed_size: 32832
    .kernarg_segment_align: 8
    .kernarg_segment_size: 64
    .language:       OpenCL C
    .language_version:
      - 2
      - 0
    .max_flat_workgroup_size: 1024
    .name:           _Z19_skinny_gemm_kernelILi3ELi5ELi2ELi32ELi4EEvPKhS1_P6__halfPKfiiiiiiii
    .private_segment_fixed_size: 92
    .sgpr_count:     106
    .sgpr_spill_count: 32
    .symbol:         _Z19_skinny_gemm_kernelILi3ELi5ELi2ELi32ELi4EEvPKhS1_P6__halfPKfiiiiiiii.kd
    .uniform_work_group_size: 1
    .uses_dynamic_stack: false
    .vgpr_count:     128
    .vgpr_spill_count: 22
    .wavefront_size: 64
  - .agpr_count:     0
    .args:
      - .address_space:  global
        .offset:         0
        .size:           8
        .value_kind:     global_buffer
      - .address_space:  global
        .offset:         8
        .size:           8
        .value_kind:     global_buffer
      - .address_space:  global
        .offset:         16
        .size:           8
        .value_kind:     global_buffer
      - .address_space:  global
        .offset:         24
        .size:           8
        .value_kind:     global_buffer
      - .offset:         32
        .size:           4
        .value_kind:     by_value
      - .offset:         36
        .size:           4
        .value_kind:     by_value
      - .offset:         40
        .size:           4
        .value_kind:     by_value
      - .offset:         44
        .size:           4
        .value_kind:     by_value
      - .offset:         48
        .size:           4
        .value_kind:     by_value
      - .offset:         52
        .size:           4
        .value_kind:     by_value
      - .offset:         56
        .size:           4
        .value_kind:     by_value
      - .offset:         60
        .size:           4
        .value_kind:     by_value
    .group_segment_fixed_size: 49248
    .kernarg_segment_align: 8
    .kernarg_segment_size: 64
    .language:       OpenCL C
    .language_version:
      - 2
      - 0
    .max_flat_workgroup_size: 1024
    .name:           _Z19_skinny_gemm_kernelILi3ELi5ELi3ELi16ELi4EEvPKhS1_P6__halfPKfiiiiiiii
    .private_segment_fixed_size: 0
    .sgpr_count:     79
    .sgpr_spill_count: 0
    .symbol:         _Z19_skinny_gemm_kernelILi3ELi5ELi3ELi16ELi4EEvPKhS1_P6__halfPKfiiiiiiii.kd
    .uniform_work_group_size: 1
    .uses_dynamic_stack: false
    .vgpr_count:     126
    .vgpr_spill_count: 0
    .wavefront_size: 64
  - .agpr_count:     0
    .args:
      - .address_space:  global
        .offset:         0
        .size:           8
        .value_kind:     global_buffer
      - .address_space:  global
        .offset:         8
        .size:           8
        .value_kind:     global_buffer
      - .address_space:  global
        .offset:         16
        .size:           8
        .value_kind:     global_buffer
      - .address_space:  global
        .offset:         24
        .size:           8
        .value_kind:     global_buffer
      - .offset:         32
        .size:           4
        .value_kind:     by_value
      - .offset:         36
        .size:           4
        .value_kind:     by_value
      - .offset:         40
        .size:           4
        .value_kind:     by_value
      - .offset:         44
        .size:           4
        .value_kind:     by_value
      - .offset:         48
        .size:           4
        .value_kind:     by_value
      - .offset:         52
        .size:           4
        .value_kind:     by_value
      - .offset:         56
        .size:           4
        .value_kind:     by_value
      - .offset:         60
        .size:           4
        .value_kind:     by_value
    .group_segment_fixed_size: 49248
    .kernarg_segment_align: 8
    .kernarg_segment_size: 64
    .language:       OpenCL C
    .language_version:
      - 2
      - 0
    .max_flat_workgroup_size: 1024
    .name:           _Z19_skinny_gemm_kernelILi3ELi5ELi3ELi32ELi4EEvPKhS1_P6__halfPKfiiiiiiii
    .private_segment_fixed_size: 92
    .sgpr_count:     106
    .sgpr_spill_count: 32
    .symbol:         _Z19_skinny_gemm_kernelILi3ELi5ELi3ELi32ELi4EEvPKhS1_P6__halfPKfiiiiiiii.kd
    .uniform_work_group_size: 1
    .uses_dynamic_stack: false
    .vgpr_count:     128
    .vgpr_spill_count: 22
    .wavefront_size: 64
  - .agpr_count:     0
    .args:
      - .address_space:  global
        .offset:         0
        .size:           8
        .value_kind:     global_buffer
      - .address_space:  global
        .offset:         8
        .size:           8
        .value_kind:     global_buffer
      - .address_space:  global
        .offset:         16
        .size:           8
        .value_kind:     global_buffer
      - .address_space:  global
        .offset:         24
        .size:           8
        .value_kind:     global_buffer
      - .offset:         32
        .size:           4
        .value_kind:     by_value
      - .offset:         36
        .size:           4
        .value_kind:     by_value
      - .offset:         40
        .size:           4
        .value_kind:     by_value
      - .offset:         44
        .size:           4
        .value_kind:     by_value
      - .offset:         48
        .size:           4
        .value_kind:     by_value
      - .offset:         52
        .size:           4
        .value_kind:     by_value
      - .offset:         56
        .size:           4
        .value_kind:     by_value
      - .offset:         60
        .size:           4
        .value_kind:     by_value
    .group_segment_fixed_size: 18468
    .kernarg_segment_align: 8
    .kernarg_segment_size: 64
    .language:       OpenCL C
    .language_version:
      - 2
      - 0
    .max_flat_workgroup_size: 1024
    .name:           _Z19_skinny_gemm_kernelILi3ELi6ELi1ELi16ELi4EEvPKhS1_P6__halfPKfiiiiiiii
    .private_segment_fixed_size: 20
    .sgpr_count:     81
    .sgpr_spill_count: 0
    .symbol:         _Z19_skinny_gemm_kernelILi3ELi6ELi1ELi16ELi4EEvPKhS1_P6__halfPKfiiiiiiii.kd
    .uniform_work_group_size: 1
    .uses_dynamic_stack: false
    .vgpr_count:     128
    .vgpr_spill_count: 4
    .wavefront_size: 64
  - .agpr_count:     0
    .args:
      - .address_space:  global
        .offset:         0
        .size:           8
        .value_kind:     global_buffer
      - .address_space:  global
        .offset:         8
        .size:           8
        .value_kind:     global_buffer
      - .address_space:  global
        .offset:         16
        .size:           8
        .value_kind:     global_buffer
      - .address_space:  global
        .offset:         24
        .size:           8
        .value_kind:     global_buffer
      - .offset:         32
        .size:           4
        .value_kind:     by_value
      - .offset:         36
        .size:           4
        .value_kind:     by_value
      - .offset:         40
        .size:           4
        .value_kind:     by_value
      - .offset:         44
        .size:           4
        .value_kind:     by_value
      - .offset:         48
        .size:           4
        .value_kind:     by_value
      - .offset:         52
        .size:           4
        .value_kind:     by_value
      - .offset:         56
        .size:           4
        .value_kind:     by_value
      - .offset:         60
        .size:           4
        .value_kind:     by_value
    .group_segment_fixed_size: 36900
    .kernarg_segment_align: 8
    .kernarg_segment_size: 64
    .language:       OpenCL C
    .language_version:
      - 2
      - 0
    .max_flat_workgroup_size: 1024
    .name:           _Z19_skinny_gemm_kernelILi3ELi6ELi1ELi16ELi8EEvPKhS1_P6__halfPKfiiiiiiii
    .private_segment_fixed_size: 164
    .sgpr_count:     81
    .sgpr_spill_count: 0
    .symbol:         _Z19_skinny_gemm_kernelILi3ELi6ELi1ELi16ELi8EEvPKhS1_P6__halfPKfiiiiiiii.kd
    .uniform_work_group_size: 1
    .uses_dynamic_stack: false
    .vgpr_count:     128
    .vgpr_spill_count: 88
    .wavefront_size: 64
  - .agpr_count:     0
    .args:
      - .address_space:  global
        .offset:         0
        .size:           8
        .value_kind:     global_buffer
      - .address_space:  global
        .offset:         8
        .size:           8
        .value_kind:     global_buffer
      - .address_space:  global
        .offset:         16
        .size:           8
        .value_kind:     global_buffer
      - .address_space:  global
        .offset:         24
        .size:           8
        .value_kind:     global_buffer
      - .offset:         32
        .size:           4
        .value_kind:     by_value
      - .offset:         36
        .size:           4
        .value_kind:     by_value
      - .offset:         40
        .size:           4
        .value_kind:     by_value
      - .offset:         44
        .size:           4
        .value_kind:     by_value
      - .offset:         48
        .size:           4
        .value_kind:     by_value
      - .offset:         52
        .size:           4
        .value_kind:     by_value
      - .offset:         56
        .size:           4
        .value_kind:     by_value
      - .offset:         60
        .size:           4
        .value_kind:     by_value
    .group_segment_fixed_size: 18468
    .kernarg_segment_align: 8
    .kernarg_segment_size: 64
    .language:       OpenCL C
    .language_version:
      - 2
      - 0
    .max_flat_workgroup_size: 1024
    .name:           _Z19_skinny_gemm_kernelILi3ELi6ELi1ELi32ELi4EEvPKhS1_P6__halfPKfiiiiiiii
    .private_segment_fixed_size: 108
    .sgpr_count:     106
    .sgpr_spill_count: 77
    .symbol:         _Z19_skinny_gemm_kernelILi3ELi6ELi1ELi32ELi4EEvPKhS1_P6__halfPKfiiiiiiii.kd
    .uniform_work_group_size: 1
    .uses_dynamic_stack: false
    .vgpr_count:     128
    .vgpr_spill_count: 28
    .wavefront_size: 64
  - .agpr_count:     0
    .args:
      - .address_space:  global
        .offset:         0
        .size:           8
        .value_kind:     global_buffer
      - .address_space:  global
        .offset:         8
        .size:           8
        .value_kind:     global_buffer
      - .address_space:  global
        .offset:         16
        .size:           8
        .value_kind:     global_buffer
      - .address_space:  global
        .offset:         24
        .size:           8
        .value_kind:     global_buffer
      - .offset:         32
        .size:           4
        .value_kind:     by_value
      - .offset:         36
        .size:           4
        .value_kind:     by_value
      - .offset:         40
        .size:           4
        .value_kind:     by_value
      - .offset:         44
        .size:           4
        .value_kind:     by_value
      - .offset:         48
        .size:           4
        .value_kind:     by_value
      - .offset:         52
        .size:           4
        .value_kind:     by_value
      - .offset:         56
        .size:           4
        .value_kind:     by_value
      - .offset:         60
        .size:           4
        .value_kind:     by_value
    .group_segment_fixed_size: 36900
    .kernarg_segment_align: 8
    .kernarg_segment_size: 64
    .language:       OpenCL C
    .language_version:
      - 2
      - 0
    .max_flat_workgroup_size: 1024
    .name:           _Z19_skinny_gemm_kernelILi3ELi6ELi1ELi32ELi8EEvPKhS1_P6__halfPKfiiiiiiii
    .private_segment_fixed_size: 104
    .sgpr_count:     106
    .sgpr_spill_count: 77
    .symbol:         _Z19_skinny_gemm_kernelILi3ELi6ELi1ELi32ELi8EEvPKhS1_P6__halfPKfiiiiiiii.kd
    .uniform_work_group_size: 1
    .uses_dynamic_stack: false
    .vgpr_count:     128
    .vgpr_spill_count: 29
    .wavefront_size: 64
  - .agpr_count:     0
    .args:
      - .address_space:  global
        .offset:         0
        .size:           8
        .value_kind:     global_buffer
      - .address_space:  global
        .offset:         8
        .size:           8
        .value_kind:     global_buffer
      - .address_space:  global
        .offset:         16
        .size:           8
        .value_kind:     global_buffer
      - .address_space:  global
        .offset:         24
        .size:           8
        .value_kind:     global_buffer
      - .offset:         32
        .size:           4
        .value_kind:     by_value
      - .offset:         36
        .size:           4
        .value_kind:     by_value
      - .offset:         40
        .size:           4
        .value_kind:     by_value
      - .offset:         44
        .size:           4
        .value_kind:     by_value
      - .offset:         48
        .size:           4
        .value_kind:     by_value
      - .offset:         52
        .size:           4
        .value_kind:     by_value
      - .offset:         56
        .size:           4
        .value_kind:     by_value
      - .offset:         60
        .size:           4
        .value_kind:     by_value
    .group_segment_fixed_size: 36936
    .kernarg_segment_align: 8
    .kernarg_segment_size: 64
    .language:       OpenCL C
    .language_version:
      - 2
      - 0
    .max_flat_workgroup_size: 1024
    .name:           _Z19_skinny_gemm_kernelILi3ELi6ELi2ELi16ELi4EEvPKhS1_P6__halfPKfiiiiiiii
    .private_segment_fixed_size: 20
    .sgpr_count:     81
    .sgpr_spill_count: 0
    .symbol:         _Z19_skinny_gemm_kernelILi3ELi6ELi2ELi16ELi4EEvPKhS1_P6__halfPKfiiiiiiii.kd
    .uniform_work_group_size: 1
    .uses_dynamic_stack: false
    .vgpr_count:     128
    .vgpr_spill_count: 4
    .wavefront_size: 64
  - .agpr_count:     0
    .args:
      - .address_space:  global
        .offset:         0
        .size:           8
        .value_kind:     global_buffer
      - .address_space:  global
        .offset:         8
        .size:           8
        .value_kind:     global_buffer
      - .address_space:  global
        .offset:         16
        .size:           8
        .value_kind:     global_buffer
      - .address_space:  global
        .offset:         24
        .size:           8
        .value_kind:     global_buffer
      - .offset:         32
        .size:           4
        .value_kind:     by_value
      - .offset:         36
        .size:           4
        .value_kind:     by_value
      - .offset:         40
        .size:           4
        .value_kind:     by_value
      - .offset:         44
        .size:           4
        .value_kind:     by_value
      - .offset:         48
        .size:           4
        .value_kind:     by_value
      - .offset:         52
        .size:           4
        .value_kind:     by_value
      - .offset:         56
        .size:           4
        .value_kind:     by_value
      - .offset:         60
        .size:           4
        .value_kind:     by_value
    .group_segment_fixed_size: 36936
    .kernarg_segment_align: 8
    .kernarg_segment_size: 64
    .language:       OpenCL C
    .language_version:
      - 2
      - 0
    .max_flat_workgroup_size: 1024
    .name:           _Z19_skinny_gemm_kernelILi3ELi6ELi2ELi32ELi4EEvPKhS1_P6__halfPKfiiiiiiii
    .private_segment_fixed_size: 108
    .sgpr_count:     106
    .sgpr_spill_count: 77
    .symbol:         _Z19_skinny_gemm_kernelILi3ELi6ELi2ELi32ELi4EEvPKhS1_P6__halfPKfiiiiiiii.kd
    .uniform_work_group_size: 1
    .uses_dynamic_stack: false
    .vgpr_count:     128
    .vgpr_spill_count: 28
    .wavefront_size: 64
  - .agpr_count:     0
    .args:
      - .address_space:  global
        .offset:         0
        .size:           8
        .value_kind:     global_buffer
      - .address_space:  global
        .offset:         8
        .size:           8
        .value_kind:     global_buffer
      - .address_space:  global
        .offset:         16
        .size:           8
        .value_kind:     global_buffer
      - .address_space:  global
        .offset:         24
        .size:           8
        .value_kind:     global_buffer
      - .offset:         32
        .size:           4
        .value_kind:     by_value
      - .offset:         36
        .size:           4
        .value_kind:     by_value
      - .offset:         40
        .size:           4
        .value_kind:     by_value
      - .offset:         44
        .size:           4
        .value_kind:     by_value
      - .offset:         48
        .size:           4
        .value_kind:     by_value
      - .offset:         52
        .size:           4
        .value_kind:     by_value
      - .offset:         56
        .size:           4
        .value_kind:     by_value
      - .offset:         60
        .size:           4
        .value_kind:     by_value
    .group_segment_fixed_size: 55404
    .kernarg_segment_align: 8
    .kernarg_segment_size: 64
    .language:       OpenCL C
    .language_version:
      - 2
      - 0
    .max_flat_workgroup_size: 1024
    .name:           _Z19_skinny_gemm_kernelILi3ELi6ELi3ELi16ELi4EEvPKhS1_P6__halfPKfiiiiiiii
    .private_segment_fixed_size: 20
    .sgpr_count:     81
    .sgpr_spill_count: 0
    .symbol:         _Z19_skinny_gemm_kernelILi3ELi6ELi3ELi16ELi4EEvPKhS1_P6__halfPKfiiiiiiii.kd
    .uniform_work_group_size: 1
    .uses_dynamic_stack: false
    .vgpr_count:     128
    .vgpr_spill_count: 4
    .wavefront_size: 64
  - .agpr_count:     0
    .args:
      - .address_space:  global
        .offset:         0
        .size:           8
        .value_kind:     global_buffer
      - .address_space:  global
        .offset:         8
        .size:           8
        .value_kind:     global_buffer
      - .address_space:  global
        .offset:         16
        .size:           8
        .value_kind:     global_buffer
      - .address_space:  global
        .offset:         24
        .size:           8
        .value_kind:     global_buffer
      - .offset:         32
        .size:           4
        .value_kind:     by_value
      - .offset:         36
        .size:           4
        .value_kind:     by_value
      - .offset:         40
        .size:           4
        .value_kind:     by_value
      - .offset:         44
        .size:           4
        .value_kind:     by_value
      - .offset:         48
        .size:           4
        .value_kind:     by_value
      - .offset:         52
        .size:           4
        .value_kind:     by_value
      - .offset:         56
        .size:           4
        .value_kind:     by_value
      - .offset:         60
        .size:           4
        .value_kind:     by_value
    .group_segment_fixed_size: 55404
    .kernarg_segment_align: 8
    .kernarg_segment_size: 64
    .language:       OpenCL C
    .language_version:
      - 2
      - 0
    .max_flat_workgroup_size: 1024
    .name:           _Z19_skinny_gemm_kernelILi3ELi6ELi3ELi32ELi4EEvPKhS1_P6__halfPKfiiiiiiii
    .private_segment_fixed_size: 112
    .sgpr_count:     106
    .sgpr_spill_count: 77
    .symbol:         _Z19_skinny_gemm_kernelILi3ELi6ELi3ELi32ELi4EEvPKhS1_P6__halfPKfiiiiiiii.kd
    .uniform_work_group_size: 1
    .uses_dynamic_stack: false
    .vgpr_count:     128
    .vgpr_spill_count: 29
    .wavefront_size: 64
  - .agpr_count:     0
    .args:
      - .address_space:  global
        .offset:         0
        .size:           8
        .value_kind:     global_buffer
      - .address_space:  global
        .offset:         8
        .size:           8
        .value_kind:     global_buffer
      - .address_space:  global
        .offset:         16
        .size:           8
        .value_kind:     global_buffer
      - .address_space:  global
        .offset:         24
        .size:           8
        .value_kind:     global_buffer
      - .offset:         32
        .size:           4
        .value_kind:     by_value
      - .offset:         36
        .size:           4
        .value_kind:     by_value
      - .offset:         40
        .size:           4
        .value_kind:     by_value
      - .offset:         44
        .size:           4
        .value_kind:     by_value
      - .offset:         48
        .size:           4
        .value_kind:     by_value
      - .offset:         52
        .size:           4
        .value_kind:     by_value
      - .offset:         56
        .size:           4
        .value_kind:     by_value
      - .offset:         60
        .size:           4
        .value_kind:     by_value
    .group_segment_fixed_size: 10260
    .kernarg_segment_align: 8
    .kernarg_segment_size: 64
    .language:       OpenCL C
    .language_version:
      - 2
      - 0
    .max_flat_workgroup_size: 1024
    .name:           _Z19_skinny_gemm_kernelILi4ELi1ELi1ELi16ELi4EEvPKhS1_P6__halfPKfiiiiiiii
    .private_segment_fixed_size: 0
    .sgpr_count:     62
    .sgpr_spill_count: 0
    .symbol:         _Z19_skinny_gemm_kernelILi4ELi1ELi1ELi16ELi4EEvPKhS1_P6__halfPKfiiiiiiii.kd
    .uniform_work_group_size: 1
    .uses_dynamic_stack: false
    .vgpr_count:     61
    .vgpr_spill_count: 0
    .wavefront_size: 64
  - .agpr_count:     0
    .args:
      - .address_space:  global
        .offset:         0
        .size:           8
        .value_kind:     global_buffer
      - .address_space:  global
        .offset:         8
        .size:           8
        .value_kind:     global_buffer
      - .address_space:  global
        .offset:         16
        .size:           8
        .value_kind:     global_buffer
      - .address_space:  global
        .offset:         24
        .size:           8
        .value_kind:     global_buffer
      - .offset:         32
        .size:           4
        .value_kind:     by_value
      - .offset:         36
        .size:           4
        .value_kind:     by_value
      - .offset:         40
        .size:           4
        .value_kind:     by_value
      - .offset:         44
        .size:           4
        .value_kind:     by_value
      - .offset:         48
        .size:           4
        .value_kind:     by_value
      - .offset:         52
        .size:           4
        .value_kind:     by_value
      - .offset:         56
        .size:           4
        .value_kind:     by_value
      - .offset:         60
        .size:           4
        .value_kind:     by_value
    .group_segment_fixed_size: 20500
    .kernarg_segment_align: 8
    .kernarg_segment_size: 64
    .language:       OpenCL C
    .language_version:
      - 2
      - 0
    .max_flat_workgroup_size: 1024
    .name:           _Z19_skinny_gemm_kernelILi4ELi1ELi1ELi16ELi8EEvPKhS1_P6__halfPKfiiiiiiii
    .private_segment_fixed_size: 0
    .sgpr_count:     62
    .sgpr_spill_count: 0
    .symbol:         _Z19_skinny_gemm_kernelILi4ELi1ELi1ELi16ELi8EEvPKhS1_P6__halfPKfiiiiiiii.kd
    .uniform_work_group_size: 1
    .uses_dynamic_stack: false
    .vgpr_count:     68
    .vgpr_spill_count: 0
    .wavefront_size: 64
  - .agpr_count:     0
    .args:
      - .address_space:  global
        .offset:         0
        .size:           8
        .value_kind:     global_buffer
      - .address_space:  global
        .offset:         8
        .size:           8
        .value_kind:     global_buffer
      - .address_space:  global
        .offset:         16
        .size:           8
        .value_kind:     global_buffer
      - .address_space:  global
        .offset:         24
        .size:           8
        .value_kind:     global_buffer
      - .offset:         32
        .size:           4
        .value_kind:     by_value
      - .offset:         36
        .size:           4
        .value_kind:     by_value
      - .offset:         40
        .size:           4
        .value_kind:     by_value
      - .offset:         44
        .size:           4
        .value_kind:     by_value
      - .offset:         48
        .size:           4
        .value_kind:     by_value
      - .offset:         52
        .size:           4
        .value_kind:     by_value
      - .offset:         56
        .size:           4
        .value_kind:     by_value
      - .offset:         60
        .size:           4
        .value_kind:     by_value
    .group_segment_fixed_size: 10260
    .kernarg_segment_align: 8
    .kernarg_segment_size: 64
    .language:       OpenCL C
    .language_version:
      - 2
      - 0
    .max_flat_workgroup_size: 1024
    .name:           _Z19_skinny_gemm_kernelILi4ELi1ELi1ELi32ELi4EEvPKhS1_P6__halfPKfiiiiiiii
    .private_segment_fixed_size: 0
    .sgpr_count:     83
    .sgpr_spill_count: 0
    .symbol:         _Z19_skinny_gemm_kernelILi4ELi1ELi1ELi32ELi4EEvPKhS1_P6__halfPKfiiiiiiii.kd
    .uniform_work_group_size: 1
    .uses_dynamic_stack: false
    .vgpr_count:     79
    .vgpr_spill_count: 0
    .wavefront_size: 64
  - .agpr_count:     0
    .args:
      - .address_space:  global
        .offset:         0
        .size:           8
        .value_kind:     global_buffer
      - .address_space:  global
        .offset:         8
        .size:           8
        .value_kind:     global_buffer
      - .address_space:  global
        .offset:         16
        .size:           8
        .value_kind:     global_buffer
      - .address_space:  global
        .offset:         24
        .size:           8
        .value_kind:     global_buffer
      - .offset:         32
        .size:           4
        .value_kind:     by_value
      - .offset:         36
        .size:           4
        .value_kind:     by_value
      - .offset:         40
        .size:           4
        .value_kind:     by_value
      - .offset:         44
        .size:           4
        .value_kind:     by_value
      - .offset:         48
        .size:           4
        .value_kind:     by_value
      - .offset:         52
        .size:           4
        .value_kind:     by_value
      - .offset:         56
        .size:           4
        .value_kind:     by_value
      - .offset:         60
        .size:           4
        .value_kind:     by_value
    .group_segment_fixed_size: 20500
    .kernarg_segment_align: 8
    .kernarg_segment_size: 64
    .language:       OpenCL C
    .language_version:
      - 2
      - 0
    .max_flat_workgroup_size: 1024
    .name:           _Z19_skinny_gemm_kernelILi4ELi1ELi1ELi32ELi8EEvPKhS1_P6__halfPKfiiiiiiii
    .private_segment_fixed_size: 0
    .sgpr_count:     83
    .sgpr_spill_count: 0
    .symbol:         _Z19_skinny_gemm_kernelILi4ELi1ELi1ELi32ELi8EEvPKhS1_P6__halfPKfiiiiiiii.kd
    .uniform_work_group_size: 1
    .uses_dynamic_stack: false
    .vgpr_count:     87
    .vgpr_spill_count: 0
    .wavefront_size: 64
  - .agpr_count:     0
    .args:
      - .address_space:  global
        .offset:         0
        .size:           8
        .value_kind:     global_buffer
      - .address_space:  global
        .offset:         8
        .size:           8
        .value_kind:     global_buffer
      - .address_space:  global
        .offset:         16
        .size:           8
        .value_kind:     global_buffer
      - .address_space:  global
        .offset:         24
        .size:           8
        .value_kind:     global_buffer
      - .offset:         32
        .size:           4
        .value_kind:     by_value
      - .offset:         36
        .size:           4
        .value_kind:     by_value
      - .offset:         40
        .size:           4
        .value_kind:     by_value
      - .offset:         44
        .size:           4
        .value_kind:     by_value
      - .offset:         48
        .size:           4
        .value_kind:     by_value
      - .offset:         52
        .size:           4
        .value_kind:     by_value
      - .offset:         56
        .size:           4
        .value_kind:     by_value
      - .offset:         60
        .size:           4
        .value_kind:     by_value
    .group_segment_fixed_size: 20520
    .kernarg_segment_align: 8
    .kernarg_segment_size: 64
    .language:       OpenCL C
    .language_version:
      - 2
      - 0
    .max_flat_workgroup_size: 1024
    .name:           _Z19_skinny_gemm_kernelILi4ELi1ELi2ELi16ELi4EEvPKhS1_P6__halfPKfiiiiiiii
    .private_segment_fixed_size: 0
    .sgpr_count:     62
    .sgpr_spill_count: 0
    .symbol:         _Z19_skinny_gemm_kernelILi4ELi1ELi2ELi16ELi4EEvPKhS1_P6__halfPKfiiiiiiii.kd
    .uniform_work_group_size: 1
    .uses_dynamic_stack: false
    .vgpr_count:     61
    .vgpr_spill_count: 0
    .wavefront_size: 64
  - .agpr_count:     0
    .args:
      - .address_space:  global
        .offset:         0
        .size:           8
        .value_kind:     global_buffer
      - .address_space:  global
        .offset:         8
        .size:           8
        .value_kind:     global_buffer
      - .address_space:  global
        .offset:         16
        .size:           8
        .value_kind:     global_buffer
      - .address_space:  global
        .offset:         24
        .size:           8
        .value_kind:     global_buffer
      - .offset:         32
        .size:           4
        .value_kind:     by_value
      - .offset:         36
        .size:           4
        .value_kind:     by_value
      - .offset:         40
        .size:           4
        .value_kind:     by_value
      - .offset:         44
        .size:           4
        .value_kind:     by_value
      - .offset:         48
        .size:           4
        .value_kind:     by_value
      - .offset:         52
        .size:           4
        .value_kind:     by_value
      - .offset:         56
        .size:           4
        .value_kind:     by_value
      - .offset:         60
        .size:           4
        .value_kind:     by_value
    .group_segment_fixed_size: 41000
    .kernarg_segment_align: 8
    .kernarg_segment_size: 64
    .language:       OpenCL C
    .language_version:
      - 2
      - 0
    .max_flat_workgroup_size: 1024
    .name:           _Z19_skinny_gemm_kernelILi4ELi1ELi2ELi16ELi8EEvPKhS1_P6__halfPKfiiiiiiii
    .private_segment_fixed_size: 0
    .sgpr_count:     62
    .sgpr_spill_count: 0
    .symbol:         _Z19_skinny_gemm_kernelILi4ELi1ELi2ELi16ELi8EEvPKhS1_P6__halfPKfiiiiiiii.kd
    .uniform_work_group_size: 1
    .uses_dynamic_stack: false
    .vgpr_count:     68
    .vgpr_spill_count: 0
    .wavefront_size: 64
  - .agpr_count:     0
    .args:
      - .address_space:  global
        .offset:         0
        .size:           8
        .value_kind:     global_buffer
      - .address_space:  global
        .offset:         8
        .size:           8
        .value_kind:     global_buffer
      - .address_space:  global
        .offset:         16
        .size:           8
        .value_kind:     global_buffer
      - .address_space:  global
        .offset:         24
        .size:           8
        .value_kind:     global_buffer
      - .offset:         32
        .size:           4
        .value_kind:     by_value
      - .offset:         36
        .size:           4
        .value_kind:     by_value
      - .offset:         40
        .size:           4
        .value_kind:     by_value
      - .offset:         44
        .size:           4
        .value_kind:     by_value
      - .offset:         48
        .size:           4
        .value_kind:     by_value
      - .offset:         52
        .size:           4
        .value_kind:     by_value
      - .offset:         56
        .size:           4
        .value_kind:     by_value
      - .offset:         60
        .size:           4
        .value_kind:     by_value
    .group_segment_fixed_size: 20520
    .kernarg_segment_align: 8
    .kernarg_segment_size: 64
    .language:       OpenCL C
    .language_version:
      - 2
      - 0
    .max_flat_workgroup_size: 1024
    .name:           _Z19_skinny_gemm_kernelILi4ELi1ELi2ELi32ELi4EEvPKhS1_P6__halfPKfiiiiiiii
    .private_segment_fixed_size: 0
    .sgpr_count:     83
    .sgpr_spill_count: 0
    .symbol:         _Z19_skinny_gemm_kernelILi4ELi1ELi2ELi32ELi4EEvPKhS1_P6__halfPKfiiiiiiii.kd
    .uniform_work_group_size: 1
    .uses_dynamic_stack: false
    .vgpr_count:     79
    .vgpr_spill_count: 0
    .wavefront_size: 64
  - .agpr_count:     0
    .args:
      - .address_space:  global
        .offset:         0
        .size:           8
        .value_kind:     global_buffer
      - .address_space:  global
        .offset:         8
        .size:           8
        .value_kind:     global_buffer
      - .address_space:  global
        .offset:         16
        .size:           8
        .value_kind:     global_buffer
      - .address_space:  global
        .offset:         24
        .size:           8
        .value_kind:     global_buffer
      - .offset:         32
        .size:           4
        .value_kind:     by_value
      - .offset:         36
        .size:           4
        .value_kind:     by_value
      - .offset:         40
        .size:           4
        .value_kind:     by_value
      - .offset:         44
        .size:           4
        .value_kind:     by_value
      - .offset:         48
        .size:           4
        .value_kind:     by_value
      - .offset:         52
        .size:           4
        .value_kind:     by_value
      - .offset:         56
        .size:           4
        .value_kind:     by_value
      - .offset:         60
        .size:           4
        .value_kind:     by_value
    .group_segment_fixed_size: 41000
    .kernarg_segment_align: 8
    .kernarg_segment_size: 64
    .language:       OpenCL C
    .language_version:
      - 2
      - 0
    .max_flat_workgroup_size: 1024
    .name:           _Z19_skinny_gemm_kernelILi4ELi1ELi2ELi32ELi8EEvPKhS1_P6__halfPKfiiiiiiii
    .private_segment_fixed_size: 0
    .sgpr_count:     83
    .sgpr_spill_count: 0
    .symbol:         _Z19_skinny_gemm_kernelILi4ELi1ELi2ELi32ELi8EEvPKhS1_P6__halfPKfiiiiiiii.kd
    .uniform_work_group_size: 1
    .uses_dynamic_stack: false
    .vgpr_count:     87
    .vgpr_spill_count: 0
    .wavefront_size: 64
  - .agpr_count:     0
    .args:
      - .address_space:  global
        .offset:         0
        .size:           8
        .value_kind:     global_buffer
      - .address_space:  global
        .offset:         8
        .size:           8
        .value_kind:     global_buffer
      - .address_space:  global
        .offset:         16
        .size:           8
        .value_kind:     global_buffer
      - .address_space:  global
        .offset:         24
        .size:           8
        .value_kind:     global_buffer
      - .offset:         32
        .size:           4
        .value_kind:     by_value
      - .offset:         36
        .size:           4
        .value_kind:     by_value
      - .offset:         40
        .size:           4
        .value_kind:     by_value
      - .offset:         44
        .size:           4
        .value_kind:     by_value
      - .offset:         48
        .size:           4
        .value_kind:     by_value
      - .offset:         52
        .size:           4
        .value_kind:     by_value
      - .offset:         56
        .size:           4
        .value_kind:     by_value
      - .offset:         60
        .size:           4
        .value_kind:     by_value
    .group_segment_fixed_size: 30780
    .kernarg_segment_align: 8
    .kernarg_segment_size: 64
    .language:       OpenCL C
    .language_version:
      - 2
      - 0
    .max_flat_workgroup_size: 1024
    .name:           _Z19_skinny_gemm_kernelILi4ELi1ELi3ELi16ELi4EEvPKhS1_P6__halfPKfiiiiiiii
    .private_segment_fixed_size: 0
    .sgpr_count:     62
    .sgpr_spill_count: 0
    .symbol:         _Z19_skinny_gemm_kernelILi4ELi1ELi3ELi16ELi4EEvPKhS1_P6__halfPKfiiiiiiii.kd
    .uniform_work_group_size: 1
    .uses_dynamic_stack: false
    .vgpr_count:     61
    .vgpr_spill_count: 0
    .wavefront_size: 64
  - .agpr_count:     0
    .args:
      - .address_space:  global
        .offset:         0
        .size:           8
        .value_kind:     global_buffer
      - .address_space:  global
        .offset:         8
        .size:           8
        .value_kind:     global_buffer
      - .address_space:  global
        .offset:         16
        .size:           8
        .value_kind:     global_buffer
      - .address_space:  global
        .offset:         24
        .size:           8
        .value_kind:     global_buffer
      - .offset:         32
        .size:           4
        .value_kind:     by_value
      - .offset:         36
        .size:           4
        .value_kind:     by_value
      - .offset:         40
        .size:           4
        .value_kind:     by_value
      - .offset:         44
        .size:           4
        .value_kind:     by_value
      - .offset:         48
        .size:           4
        .value_kind:     by_value
      - .offset:         52
        .size:           4
        .value_kind:     by_value
      - .offset:         56
        .size:           4
        .value_kind:     by_value
      - .offset:         60
        .size:           4
        .value_kind:     by_value
    .group_segment_fixed_size: 61500
    .kernarg_segment_align: 8
    .kernarg_segment_size: 64
    .language:       OpenCL C
    .language_version:
      - 2
      - 0
    .max_flat_workgroup_size: 1024
    .name:           _Z19_skinny_gemm_kernelILi4ELi1ELi3ELi16ELi8EEvPKhS1_P6__halfPKfiiiiiiii
    .private_segment_fixed_size: 0
    .sgpr_count:     62
    .sgpr_spill_count: 0
    .symbol:         _Z19_skinny_gemm_kernelILi4ELi1ELi3ELi16ELi8EEvPKhS1_P6__halfPKfiiiiiiii.kd
    .uniform_work_group_size: 1
    .uses_dynamic_stack: false
    .vgpr_count:     68
    .vgpr_spill_count: 0
    .wavefront_size: 64
  - .agpr_count:     0
    .args:
      - .address_space:  global
        .offset:         0
        .size:           8
        .value_kind:     global_buffer
      - .address_space:  global
        .offset:         8
        .size:           8
        .value_kind:     global_buffer
      - .address_space:  global
        .offset:         16
        .size:           8
        .value_kind:     global_buffer
      - .address_space:  global
        .offset:         24
        .size:           8
        .value_kind:     global_buffer
      - .offset:         32
        .size:           4
        .value_kind:     by_value
      - .offset:         36
        .size:           4
        .value_kind:     by_value
      - .offset:         40
        .size:           4
        .value_kind:     by_value
      - .offset:         44
        .size:           4
        .value_kind:     by_value
      - .offset:         48
        .size:           4
        .value_kind:     by_value
      - .offset:         52
        .size:           4
        .value_kind:     by_value
      - .offset:         56
        .size:           4
        .value_kind:     by_value
      - .offset:         60
        .size:           4
        .value_kind:     by_value
    .group_segment_fixed_size: 30780
    .kernarg_segment_align: 8
    .kernarg_segment_size: 64
    .language:       OpenCL C
    .language_version:
      - 2
      - 0
    .max_flat_workgroup_size: 1024
    .name:           _Z19_skinny_gemm_kernelILi4ELi1ELi3ELi32ELi4EEvPKhS1_P6__halfPKfiiiiiiii
    .private_segment_fixed_size: 0
    .sgpr_count:     83
    .sgpr_spill_count: 0
    .symbol:         _Z19_skinny_gemm_kernelILi4ELi1ELi3ELi32ELi4EEvPKhS1_P6__halfPKfiiiiiiii.kd
    .uniform_work_group_size: 1
    .uses_dynamic_stack: false
    .vgpr_count:     79
    .vgpr_spill_count: 0
    .wavefront_size: 64
  - .agpr_count:     0
    .args:
      - .address_space:  global
        .offset:         0
        .size:           8
        .value_kind:     global_buffer
      - .address_space:  global
        .offset:         8
        .size:           8
        .value_kind:     global_buffer
      - .address_space:  global
        .offset:         16
        .size:           8
        .value_kind:     global_buffer
      - .address_space:  global
        .offset:         24
        .size:           8
        .value_kind:     global_buffer
      - .offset:         32
        .size:           4
        .value_kind:     by_value
      - .offset:         36
        .size:           4
        .value_kind:     by_value
      - .offset:         40
        .size:           4
        .value_kind:     by_value
      - .offset:         44
        .size:           4
        .value_kind:     by_value
      - .offset:         48
        .size:           4
        .value_kind:     by_value
      - .offset:         52
        .size:           4
        .value_kind:     by_value
      - .offset:         56
        .size:           4
        .value_kind:     by_value
      - .offset:         60
        .size:           4
        .value_kind:     by_value
    .group_segment_fixed_size: 61500
    .kernarg_segment_align: 8
    .kernarg_segment_size: 64
    .language:       OpenCL C
    .language_version:
      - 2
      - 0
    .max_flat_workgroup_size: 1024
    .name:           _Z19_skinny_gemm_kernelILi4ELi1ELi3ELi32ELi8EEvPKhS1_P6__halfPKfiiiiiiii
    .private_segment_fixed_size: 0
    .sgpr_count:     83
    .sgpr_spill_count: 0
    .symbol:         _Z19_skinny_gemm_kernelILi4ELi1ELi3ELi32ELi8EEvPKhS1_P6__halfPKfiiiiiiii.kd
    .uniform_work_group_size: 1
    .uses_dynamic_stack: false
    .vgpr_count:     87
    .vgpr_spill_count: 0
    .wavefront_size: 64
  - .agpr_count:     0
    .args:
      - .address_space:  global
        .offset:         0
        .size:           8
        .value_kind:     global_buffer
      - .address_space:  global
        .offset:         8
        .size:           8
        .value_kind:     global_buffer
      - .address_space:  global
        .offset:         16
        .size:           8
        .value_kind:     global_buffer
      - .address_space:  global
        .offset:         24
        .size:           8
        .value_kind:     global_buffer
      - .offset:         32
        .size:           4
        .value_kind:     by_value
      - .offset:         36
        .size:           4
        .value_kind:     by_value
      - .offset:         40
        .size:           4
        .value_kind:     by_value
      - .offset:         44
        .size:           4
        .value_kind:     by_value
      - .offset:         48
        .size:           4
        .value_kind:     by_value
      - .offset:         52
        .size:           4
        .value_kind:     by_value
      - .offset:         56
        .size:           4
        .value_kind:     by_value
      - .offset:         60
        .size:           4
        .value_kind:     by_value
    .group_segment_fixed_size: 41040
    .kernarg_segment_align: 8
    .kernarg_segment_size: 64
    .language:       OpenCL C
    .language_version:
      - 2
      - 0
    .max_flat_workgroup_size: 1024
    .name:           _Z19_skinny_gemm_kernelILi4ELi1ELi4ELi16ELi4EEvPKhS1_P6__halfPKfiiiiiiii
    .private_segment_fixed_size: 0
    .sgpr_count:     62
    .sgpr_spill_count: 0
    .symbol:         _Z19_skinny_gemm_kernelILi4ELi1ELi4ELi16ELi4EEvPKhS1_P6__halfPKfiiiiiiii.kd
    .uniform_work_group_size: 1
    .uses_dynamic_stack: false
    .vgpr_count:     61
    .vgpr_spill_count: 0
    .wavefront_size: 64
  - .agpr_count:     0
    .args:
      - .address_space:  global
        .offset:         0
        .size:           8
        .value_kind:     global_buffer
      - .address_space:  global
        .offset:         8
        .size:           8
        .value_kind:     global_buffer
      - .address_space:  global
        .offset:         16
        .size:           8
        .value_kind:     global_buffer
      - .address_space:  global
        .offset:         24
        .size:           8
        .value_kind:     global_buffer
      - .offset:         32
        .size:           4
        .value_kind:     by_value
      - .offset:         36
        .size:           4
        .value_kind:     by_value
      - .offset:         40
        .size:           4
        .value_kind:     by_value
      - .offset:         44
        .size:           4
        .value_kind:     by_value
      - .offset:         48
        .size:           4
        .value_kind:     by_value
      - .offset:         52
        .size:           4
        .value_kind:     by_value
      - .offset:         56
        .size:           4
        .value_kind:     by_value
      - .offset:         60
        .size:           4
        .value_kind:     by_value
    .group_segment_fixed_size: 41040
    .kernarg_segment_align: 8
    .kernarg_segment_size: 64
    .language:       OpenCL C
    .language_version:
      - 2
      - 0
    .max_flat_workgroup_size: 1024
    .name:           _Z19_skinny_gemm_kernelILi4ELi1ELi4ELi32ELi4EEvPKhS1_P6__halfPKfiiiiiiii
    .private_segment_fixed_size: 0
    .sgpr_count:     83
    .sgpr_spill_count: 0
    .symbol:         _Z19_skinny_gemm_kernelILi4ELi1ELi4ELi32ELi4EEvPKhS1_P6__halfPKfiiiiiiii.kd
    .uniform_work_group_size: 1
    .uses_dynamic_stack: false
    .vgpr_count:     79
    .vgpr_spill_count: 0
    .wavefront_size: 64
  - .agpr_count:     0
    .args:
      - .address_space:  global
        .offset:         0
        .size:           8
        .value_kind:     global_buffer
      - .address_space:  global
        .offset:         8
        .size:           8
        .value_kind:     global_buffer
      - .address_space:  global
        .offset:         16
        .size:           8
        .value_kind:     global_buffer
      - .address_space:  global
        .offset:         24
        .size:           8
        .value_kind:     global_buffer
      - .offset:         32
        .size:           4
        .value_kind:     by_value
      - .offset:         36
        .size:           4
        .value_kind:     by_value
      - .offset:         40
        .size:           4
        .value_kind:     by_value
      - .offset:         44
        .size:           4
        .value_kind:     by_value
      - .offset:         48
        .size:           4
        .value_kind:     by_value
      - .offset:         52
        .size:           4
        .value_kind:     by_value
      - .offset:         56
        .size:           4
        .value_kind:     by_value
      - .offset:         60
        .size:           4
        .value_kind:     by_value
    .group_segment_fixed_size: 51300
    .kernarg_segment_align: 8
    .kernarg_segment_size: 64
    .language:       OpenCL C
    .language_version:
      - 2
      - 0
    .max_flat_workgroup_size: 1024
    .name:           _Z19_skinny_gemm_kernelILi4ELi1ELi5ELi16ELi4EEvPKhS1_P6__halfPKfiiiiiiii
    .private_segment_fixed_size: 0
    .sgpr_count:     62
    .sgpr_spill_count: 0
    .symbol:         _Z19_skinny_gemm_kernelILi4ELi1ELi5ELi16ELi4EEvPKhS1_P6__halfPKfiiiiiiii.kd
    .uniform_work_group_size: 1
    .uses_dynamic_stack: false
    .vgpr_count:     61
    .vgpr_spill_count: 0
    .wavefront_size: 64
  - .agpr_count:     0
    .args:
      - .address_space:  global
        .offset:         0
        .size:           8
        .value_kind:     global_buffer
      - .address_space:  global
        .offset:         8
        .size:           8
        .value_kind:     global_buffer
      - .address_space:  global
        .offset:         16
        .size:           8
        .value_kind:     global_buffer
      - .address_space:  global
        .offset:         24
        .size:           8
        .value_kind:     global_buffer
      - .offset:         32
        .size:           4
        .value_kind:     by_value
      - .offset:         36
        .size:           4
        .value_kind:     by_value
      - .offset:         40
        .size:           4
        .value_kind:     by_value
      - .offset:         44
        .size:           4
        .value_kind:     by_value
      - .offset:         48
        .size:           4
        .value_kind:     by_value
      - .offset:         52
        .size:           4
        .value_kind:     by_value
      - .offset:         56
        .size:           4
        .value_kind:     by_value
      - .offset:         60
        .size:           4
        .value_kind:     by_value
    .group_segment_fixed_size: 51300
    .kernarg_segment_align: 8
    .kernarg_segment_size: 64
    .language:       OpenCL C
    .language_version:
      - 2
      - 0
    .max_flat_workgroup_size: 1024
    .name:           _Z19_skinny_gemm_kernelILi4ELi1ELi5ELi32ELi4EEvPKhS1_P6__halfPKfiiiiiiii
    .private_segment_fixed_size: 0
    .sgpr_count:     83
    .sgpr_spill_count: 0
    .symbol:         _Z19_skinny_gemm_kernelILi4ELi1ELi5ELi32ELi4EEvPKhS1_P6__halfPKfiiiiiiii.kd
    .uniform_work_group_size: 1
    .uses_dynamic_stack: false
    .vgpr_count:     80
    .vgpr_spill_count: 0
    .wavefront_size: 64
  - .agpr_count:     0
    .args:
      - .address_space:  global
        .offset:         0
        .size:           8
        .value_kind:     global_buffer
      - .address_space:  global
        .offset:         8
        .size:           8
        .value_kind:     global_buffer
      - .address_space:  global
        .offset:         16
        .size:           8
        .value_kind:     global_buffer
      - .address_space:  global
        .offset:         24
        .size:           8
        .value_kind:     global_buffer
      - .offset:         32
        .size:           4
        .value_kind:     by_value
      - .offset:         36
        .size:           4
        .value_kind:     by_value
      - .offset:         40
        .size:           4
        .value_kind:     by_value
      - .offset:         44
        .size:           4
        .value_kind:     by_value
      - .offset:         48
        .size:           4
        .value_kind:     by_value
      - .offset:         52
        .size:           4
        .value_kind:     by_value
      - .offset:         56
        .size:           4
        .value_kind:     by_value
      - .offset:         60
        .size:           4
        .value_kind:     by_value
    .group_segment_fixed_size: 61560
    .kernarg_segment_align: 8
    .kernarg_segment_size: 64
    .language:       OpenCL C
    .language_version:
      - 2
      - 0
    .max_flat_workgroup_size: 1024
    .name:           _Z19_skinny_gemm_kernelILi4ELi1ELi6ELi16ELi4EEvPKhS1_P6__halfPKfiiiiiiii
    .private_segment_fixed_size: 0
    .sgpr_count:     62
    .sgpr_spill_count: 0
    .symbol:         _Z19_skinny_gemm_kernelILi4ELi1ELi6ELi16ELi4EEvPKhS1_P6__halfPKfiiiiiiii.kd
    .uniform_work_group_size: 1
    .uses_dynamic_stack: false
    .vgpr_count:     61
    .vgpr_spill_count: 0
    .wavefront_size: 64
  - .agpr_count:     0
    .args:
      - .address_space:  global
        .offset:         0
        .size:           8
        .value_kind:     global_buffer
      - .address_space:  global
        .offset:         8
        .size:           8
        .value_kind:     global_buffer
      - .address_space:  global
        .offset:         16
        .size:           8
        .value_kind:     global_buffer
      - .address_space:  global
        .offset:         24
        .size:           8
        .value_kind:     global_buffer
      - .offset:         32
        .size:           4
        .value_kind:     by_value
      - .offset:         36
        .size:           4
        .value_kind:     by_value
      - .offset:         40
        .size:           4
        .value_kind:     by_value
      - .offset:         44
        .size:           4
        .value_kind:     by_value
      - .offset:         48
        .size:           4
        .value_kind:     by_value
      - .offset:         52
        .size:           4
        .value_kind:     by_value
      - .offset:         56
        .size:           4
        .value_kind:     by_value
      - .offset:         60
        .size:           4
        .value_kind:     by_value
    .group_segment_fixed_size: 61560
    .kernarg_segment_align: 8
    .kernarg_segment_size: 64
    .language:       OpenCL C
    .language_version:
      - 2
      - 0
    .max_flat_workgroup_size: 1024
    .name:           _Z19_skinny_gemm_kernelILi4ELi1ELi6ELi32ELi4EEvPKhS1_P6__halfPKfiiiiiiii
    .private_segment_fixed_size: 0
    .sgpr_count:     83
    .sgpr_spill_count: 0
    .symbol:         _Z19_skinny_gemm_kernelILi4ELi1ELi6ELi32ELi4EEvPKhS1_P6__halfPKfiiiiiiii.kd
    .uniform_work_group_size: 1
    .uses_dynamic_stack: false
    .vgpr_count:     80
    .vgpr_spill_count: 0
    .wavefront_size: 64
  - .agpr_count:     0
    .args:
      - .address_space:  global
        .offset:         0
        .size:           8
        .value_kind:     global_buffer
      - .address_space:  global
        .offset:         8
        .size:           8
        .value_kind:     global_buffer
      - .address_space:  global
        .offset:         16
        .size:           8
        .value_kind:     global_buffer
      - .address_space:  global
        .offset:         24
        .size:           8
        .value_kind:     global_buffer
      - .offset:         32
        .size:           4
        .value_kind:     by_value
      - .offset:         36
        .size:           4
        .value_kind:     by_value
      - .offset:         40
        .size:           4
        .value_kind:     by_value
      - .offset:         44
        .size:           4
        .value_kind:     by_value
      - .offset:         48
        .size:           4
        .value_kind:     by_value
      - .offset:         52
        .size:           4
        .value_kind:     by_value
      - .offset:         56
        .size:           4
        .value_kind:     by_value
      - .offset:         60
        .size:           4
        .value_kind:     by_value
    .group_segment_fixed_size: 12312
    .kernarg_segment_align: 8
    .kernarg_segment_size: 64
    .language:       OpenCL C
    .language_version:
      - 2
      - 0
    .max_flat_workgroup_size: 1024
    .name:           _Z19_skinny_gemm_kernelILi4ELi2ELi1ELi16ELi4EEvPKhS1_P6__halfPKfiiiiiiii
    .private_segment_fixed_size: 0
    .sgpr_count:     69
    .sgpr_spill_count: 0
    .symbol:         _Z19_skinny_gemm_kernelILi4ELi2ELi1ELi16ELi4EEvPKhS1_P6__halfPKfiiiiiiii.kd
    .uniform_work_group_size: 1
    .uses_dynamic_stack: false
    .vgpr_count:     107
    .vgpr_spill_count: 0
    .wavefront_size: 64
  - .agpr_count:     0
    .args:
      - .address_space:  global
        .offset:         0
        .size:           8
        .value_kind:     global_buffer
      - .address_space:  global
        .offset:         8
        .size:           8
        .value_kind:     global_buffer
      - .address_space:  global
        .offset:         16
        .size:           8
        .value_kind:     global_buffer
      - .address_space:  global
        .offset:         24
        .size:           8
        .value_kind:     global_buffer
      - .offset:         32
        .size:           4
        .value_kind:     by_value
      - .offset:         36
        .size:           4
        .value_kind:     by_value
      - .offset:         40
        .size:           4
        .value_kind:     by_value
      - .offset:         44
        .size:           4
        .value_kind:     by_value
      - .offset:         48
        .size:           4
        .value_kind:     by_value
      - .offset:         52
        .size:           4
        .value_kind:     by_value
      - .offset:         56
        .size:           4
        .value_kind:     by_value
      - .offset:         60
        .size:           4
        .value_kind:     by_value
    .group_segment_fixed_size: 24600
    .kernarg_segment_align: 8
    .kernarg_segment_size: 64
    .language:       OpenCL C
    .language_version:
      - 2
      - 0
    .max_flat_workgroup_size: 1024
    .name:           _Z19_skinny_gemm_kernelILi4ELi2ELi1ELi16ELi8EEvPKhS1_P6__halfPKfiiiiiiii
    .private_segment_fixed_size: 28
    .sgpr_count:     69
    .sgpr_spill_count: 0
    .symbol:         _Z19_skinny_gemm_kernelILi4ELi2ELi1ELi16ELi8EEvPKhS1_P6__halfPKfiiiiiiii.kd
    .uniform_work_group_size: 1
    .uses_dynamic_stack: false
    .vgpr_count:     128
    .vgpr_spill_count: 6
    .wavefront_size: 64
  - .agpr_count:     0
    .args:
      - .address_space:  global
        .offset:         0
        .size:           8
        .value_kind:     global_buffer
      - .address_space:  global
        .offset:         8
        .size:           8
        .value_kind:     global_buffer
      - .address_space:  global
        .offset:         16
        .size:           8
        .value_kind:     global_buffer
      - .address_space:  global
        .offset:         24
        .size:           8
        .value_kind:     global_buffer
      - .offset:         32
        .size:           4
        .value_kind:     by_value
      - .offset:         36
        .size:           4
        .value_kind:     by_value
      - .offset:         40
        .size:           4
        .value_kind:     by_value
      - .offset:         44
        .size:           4
        .value_kind:     by_value
      - .offset:         48
        .size:           4
        .value_kind:     by_value
      - .offset:         52
        .size:           4
        .value_kind:     by_value
      - .offset:         56
        .size:           4
        .value_kind:     by_value
      - .offset:         60
        .size:           4
        .value_kind:     by_value
    .group_segment_fixed_size: 12312
    .kernarg_segment_align: 8
    .kernarg_segment_size: 64
    .language:       OpenCL C
    .language_version:
      - 2
      - 0
    .max_flat_workgroup_size: 1024
    .name:           _Z19_skinny_gemm_kernelILi4ELi2ELi1ELi32ELi4EEvPKhS1_P6__halfPKfiiiiiiii
    .private_segment_fixed_size: 0
    .sgpr_count:     106
    .sgpr_spill_count: 41
    .symbol:         _Z19_skinny_gemm_kernelILi4ELi2ELi1ELi32ELi4EEvPKhS1_P6__halfPKfiiiiiiii.kd
    .uniform_work_group_size: 1
    .uses_dynamic_stack: false
    .vgpr_count:     100
    .vgpr_spill_count: 0
    .wavefront_size: 64
  - .agpr_count:     0
    .args:
      - .address_space:  global
        .offset:         0
        .size:           8
        .value_kind:     global_buffer
      - .address_space:  global
        .offset:         8
        .size:           8
        .value_kind:     global_buffer
      - .address_space:  global
        .offset:         16
        .size:           8
        .value_kind:     global_buffer
      - .address_space:  global
        .offset:         24
        .size:           8
        .value_kind:     global_buffer
      - .offset:         32
        .size:           4
        .value_kind:     by_value
      - .offset:         36
        .size:           4
        .value_kind:     by_value
      - .offset:         40
        .size:           4
        .value_kind:     by_value
      - .offset:         44
        .size:           4
        .value_kind:     by_value
      - .offset:         48
        .size:           4
        .value_kind:     by_value
      - .offset:         52
        .size:           4
        .value_kind:     by_value
      - .offset:         56
        .size:           4
        .value_kind:     by_value
      - .offset:         60
        .size:           4
        .value_kind:     by_value
    .group_segment_fixed_size: 24600
    .kernarg_segment_align: 8
    .kernarg_segment_size: 64
    .language:       OpenCL C
    .language_version:
      - 2
      - 0
    .max_flat_workgroup_size: 1024
    .name:           _Z19_skinny_gemm_kernelILi4ELi2ELi1ELi32ELi8EEvPKhS1_P6__halfPKfiiiiiiii
    .private_segment_fixed_size: 0
    .sgpr_count:     106
    .sgpr_spill_count: 37
    .symbol:         _Z19_skinny_gemm_kernelILi4ELi2ELi1ELi32ELi8EEvPKhS1_P6__halfPKfiiiiiiii.kd
    .uniform_work_group_size: 1
    .uses_dynamic_stack: false
    .vgpr_count:     106
    .vgpr_spill_count: 0
    .wavefront_size: 64
  - .agpr_count:     0
    .args:
      - .address_space:  global
        .offset:         0
        .size:           8
        .value_kind:     global_buffer
      - .address_space:  global
        .offset:         8
        .size:           8
        .value_kind:     global_buffer
      - .address_space:  global
        .offset:         16
        .size:           8
        .value_kind:     global_buffer
      - .address_space:  global
        .offset:         24
        .size:           8
        .value_kind:     global_buffer
      - .offset:         32
        .size:           4
        .value_kind:     by_value
      - .offset:         36
        .size:           4
        .value_kind:     by_value
      - .offset:         40
        .size:           4
        .value_kind:     by_value
      - .offset:         44
        .size:           4
        .value_kind:     by_value
      - .offset:         48
        .size:           4
        .value_kind:     by_value
      - .offset:         52
        .size:           4
        .value_kind:     by_value
      - .offset:         56
        .size:           4
        .value_kind:     by_value
      - .offset:         60
        .size:           4
        .value_kind:     by_value
    .group_segment_fixed_size: 24624
    .kernarg_segment_align: 8
    .kernarg_segment_size: 64
    .language:       OpenCL C
    .language_version:
      - 2
      - 0
    .max_flat_workgroup_size: 1024
    .name:           _Z19_skinny_gemm_kernelILi4ELi2ELi2ELi16ELi4EEvPKhS1_P6__halfPKfiiiiiiii
    .private_segment_fixed_size: 0
    .sgpr_count:     69
    .sgpr_spill_count: 0
    .symbol:         _Z19_skinny_gemm_kernelILi4ELi2ELi2ELi16ELi4EEvPKhS1_P6__halfPKfiiiiiiii.kd
    .uniform_work_group_size: 1
    .uses_dynamic_stack: false
    .vgpr_count:     107
    .vgpr_spill_count: 0
    .wavefront_size: 64
  - .agpr_count:     0
    .args:
      - .address_space:  global
        .offset:         0
        .size:           8
        .value_kind:     global_buffer
      - .address_space:  global
        .offset:         8
        .size:           8
        .value_kind:     global_buffer
      - .address_space:  global
        .offset:         16
        .size:           8
        .value_kind:     global_buffer
      - .address_space:  global
        .offset:         24
        .size:           8
        .value_kind:     global_buffer
      - .offset:         32
        .size:           4
        .value_kind:     by_value
      - .offset:         36
        .size:           4
        .value_kind:     by_value
      - .offset:         40
        .size:           4
        .value_kind:     by_value
      - .offset:         44
        .size:           4
        .value_kind:     by_value
      - .offset:         48
        .size:           4
        .value_kind:     by_value
      - .offset:         52
        .size:           4
        .value_kind:     by_value
      - .offset:         56
        .size:           4
        .value_kind:     by_value
      - .offset:         60
        .size:           4
        .value_kind:     by_value
    .group_segment_fixed_size: 49200
    .kernarg_segment_align: 8
    .kernarg_segment_size: 64
    .language:       OpenCL C
    .language_version:
      - 2
      - 0
    .max_flat_workgroup_size: 1024
    .name:           _Z19_skinny_gemm_kernelILi4ELi2ELi2ELi16ELi8EEvPKhS1_P6__halfPKfiiiiiiii
    .private_segment_fixed_size: 28
    .sgpr_count:     69
    .sgpr_spill_count: 0
    .symbol:         _Z19_skinny_gemm_kernelILi4ELi2ELi2ELi16ELi8EEvPKhS1_P6__halfPKfiiiiiiii.kd
    .uniform_work_group_size: 1
    .uses_dynamic_stack: false
    .vgpr_count:     128
    .vgpr_spill_count: 6
    .wavefront_size: 64
  - .agpr_count:     0
    .args:
      - .address_space:  global
        .offset:         0
        .size:           8
        .value_kind:     global_buffer
      - .address_space:  global
        .offset:         8
        .size:           8
        .value_kind:     global_buffer
      - .address_space:  global
        .offset:         16
        .size:           8
        .value_kind:     global_buffer
      - .address_space:  global
        .offset:         24
        .size:           8
        .value_kind:     global_buffer
      - .offset:         32
        .size:           4
        .value_kind:     by_value
      - .offset:         36
        .size:           4
        .value_kind:     by_value
      - .offset:         40
        .size:           4
        .value_kind:     by_value
      - .offset:         44
        .size:           4
        .value_kind:     by_value
      - .offset:         48
        .size:           4
        .value_kind:     by_value
      - .offset:         52
        .size:           4
        .value_kind:     by_value
      - .offset:         56
        .size:           4
        .value_kind:     by_value
      - .offset:         60
        .size:           4
        .value_kind:     by_value
    .group_segment_fixed_size: 24624
    .kernarg_segment_align: 8
    .kernarg_segment_size: 64
    .language:       OpenCL C
    .language_version:
      - 2
      - 0
    .max_flat_workgroup_size: 1024
    .name:           _Z19_skinny_gemm_kernelILi4ELi2ELi2ELi32ELi4EEvPKhS1_P6__halfPKfiiiiiiii
    .private_segment_fixed_size: 0
    .sgpr_count:     106
    .sgpr_spill_count: 41
    .symbol:         _Z19_skinny_gemm_kernelILi4ELi2ELi2ELi32ELi4EEvPKhS1_P6__halfPKfiiiiiiii.kd
    .uniform_work_group_size: 1
    .uses_dynamic_stack: false
    .vgpr_count:     100
    .vgpr_spill_count: 0
    .wavefront_size: 64
  - .agpr_count:     0
    .args:
      - .address_space:  global
        .offset:         0
        .size:           8
        .value_kind:     global_buffer
      - .address_space:  global
        .offset:         8
        .size:           8
        .value_kind:     global_buffer
      - .address_space:  global
        .offset:         16
        .size:           8
        .value_kind:     global_buffer
      - .address_space:  global
        .offset:         24
        .size:           8
        .value_kind:     global_buffer
      - .offset:         32
        .size:           4
        .value_kind:     by_value
      - .offset:         36
        .size:           4
        .value_kind:     by_value
      - .offset:         40
        .size:           4
        .value_kind:     by_value
      - .offset:         44
        .size:           4
        .value_kind:     by_value
      - .offset:         48
        .size:           4
        .value_kind:     by_value
      - .offset:         52
        .size:           4
        .value_kind:     by_value
      - .offset:         56
        .size:           4
        .value_kind:     by_value
      - .offset:         60
        .size:           4
        .value_kind:     by_value
    .group_segment_fixed_size: 49200
    .kernarg_segment_align: 8
    .kernarg_segment_size: 64
    .language:       OpenCL C
    .language_version:
      - 2
      - 0
    .max_flat_workgroup_size: 1024
    .name:           _Z19_skinny_gemm_kernelILi4ELi2ELi2ELi32ELi8EEvPKhS1_P6__halfPKfiiiiiiii
    .private_segment_fixed_size: 0
    .sgpr_count:     106
    .sgpr_spill_count: 37
    .symbol:         _Z19_skinny_gemm_kernelILi4ELi2ELi2ELi32ELi8EEvPKhS1_P6__halfPKfiiiiiiii.kd
    .uniform_work_group_size: 1
    .uses_dynamic_stack: false
    .vgpr_count:     106
    .vgpr_spill_count: 0
    .wavefront_size: 64
  - .agpr_count:     0
    .args:
      - .address_space:  global
        .offset:         0
        .size:           8
        .value_kind:     global_buffer
      - .address_space:  global
        .offset:         8
        .size:           8
        .value_kind:     global_buffer
      - .address_space:  global
        .offset:         16
        .size:           8
        .value_kind:     global_buffer
      - .address_space:  global
        .offset:         24
        .size:           8
        .value_kind:     global_buffer
      - .offset:         32
        .size:           4
        .value_kind:     by_value
      - .offset:         36
        .size:           4
        .value_kind:     by_value
      - .offset:         40
        .size:           4
        .value_kind:     by_value
      - .offset:         44
        .size:           4
        .value_kind:     by_value
      - .offset:         48
        .size:           4
        .value_kind:     by_value
      - .offset:         52
        .size:           4
        .value_kind:     by_value
      - .offset:         56
        .size:           4
        .value_kind:     by_value
      - .offset:         60
        .size:           4
        .value_kind:     by_value
    .group_segment_fixed_size: 36936
    .kernarg_segment_align: 8
    .kernarg_segment_size: 64
    .language:       OpenCL C
    .language_version:
      - 2
      - 0
    .max_flat_workgroup_size: 1024
    .name:           _Z19_skinny_gemm_kernelILi4ELi2ELi3ELi16ELi4EEvPKhS1_P6__halfPKfiiiiiiii
    .private_segment_fixed_size: 0
    .sgpr_count:     69
    .sgpr_spill_count: 0
    .symbol:         _Z19_skinny_gemm_kernelILi4ELi2ELi3ELi16ELi4EEvPKhS1_P6__halfPKfiiiiiiii.kd
    .uniform_work_group_size: 1
    .uses_dynamic_stack: false
    .vgpr_count:     107
    .vgpr_spill_count: 0
    .wavefront_size: 64
  - .agpr_count:     0
    .args:
      - .address_space:  global
        .offset:         0
        .size:           8
        .value_kind:     global_buffer
      - .address_space:  global
        .offset:         8
        .size:           8
        .value_kind:     global_buffer
      - .address_space:  global
        .offset:         16
        .size:           8
        .value_kind:     global_buffer
      - .address_space:  global
        .offset:         24
        .size:           8
        .value_kind:     global_buffer
      - .offset:         32
        .size:           4
        .value_kind:     by_value
      - .offset:         36
        .size:           4
        .value_kind:     by_value
      - .offset:         40
        .size:           4
        .value_kind:     by_value
      - .offset:         44
        .size:           4
        .value_kind:     by_value
      - .offset:         48
        .size:           4
        .value_kind:     by_value
      - .offset:         52
        .size:           4
        .value_kind:     by_value
      - .offset:         56
        .size:           4
        .value_kind:     by_value
      - .offset:         60
        .size:           4
        .value_kind:     by_value
    .group_segment_fixed_size: 36936
    .kernarg_segment_align: 8
    .kernarg_segment_size: 64
    .language:       OpenCL C
    .language_version:
      - 2
      - 0
    .max_flat_workgroup_size: 1024
    .name:           _Z19_skinny_gemm_kernelILi4ELi2ELi3ELi32ELi4EEvPKhS1_P6__halfPKfiiiiiiii
    .private_segment_fixed_size: 0
    .sgpr_count:     106
    .sgpr_spill_count: 41
    .symbol:         _Z19_skinny_gemm_kernelILi4ELi2ELi3ELi32ELi4EEvPKhS1_P6__halfPKfiiiiiiii.kd
    .uniform_work_group_size: 1
    .uses_dynamic_stack: false
    .vgpr_count:     100
    .vgpr_spill_count: 0
    .wavefront_size: 64
  - .agpr_count:     0
    .args:
      - .address_space:  global
        .offset:         0
        .size:           8
        .value_kind:     global_buffer
      - .address_space:  global
        .offset:         8
        .size:           8
        .value_kind:     global_buffer
      - .address_space:  global
        .offset:         16
        .size:           8
        .value_kind:     global_buffer
      - .address_space:  global
        .offset:         24
        .size:           8
        .value_kind:     global_buffer
      - .offset:         32
        .size:           4
        .value_kind:     by_value
      - .offset:         36
        .size:           4
        .value_kind:     by_value
      - .offset:         40
        .size:           4
        .value_kind:     by_value
      - .offset:         44
        .size:           4
        .value_kind:     by_value
      - .offset:         48
        .size:           4
        .value_kind:     by_value
      - .offset:         52
        .size:           4
        .value_kind:     by_value
      - .offset:         56
        .size:           4
        .value_kind:     by_value
      - .offset:         60
        .size:           4
        .value_kind:     by_value
    .group_segment_fixed_size: 49248
    .kernarg_segment_align: 8
    .kernarg_segment_size: 64
    .language:       OpenCL C
    .language_version:
      - 2
      - 0
    .max_flat_workgroup_size: 1024
    .name:           _Z19_skinny_gemm_kernelILi4ELi2ELi4ELi16ELi4EEvPKhS1_P6__halfPKfiiiiiiii
    .private_segment_fixed_size: 0
    .sgpr_count:     69
    .sgpr_spill_count: 0
    .symbol:         _Z19_skinny_gemm_kernelILi4ELi2ELi4ELi16ELi4EEvPKhS1_P6__halfPKfiiiiiiii.kd
    .uniform_work_group_size: 1
    .uses_dynamic_stack: false
    .vgpr_count:     107
    .vgpr_spill_count: 0
    .wavefront_size: 64
  - .agpr_count:     0
    .args:
      - .address_space:  global
        .offset:         0
        .size:           8
        .value_kind:     global_buffer
      - .address_space:  global
        .offset:         8
        .size:           8
        .value_kind:     global_buffer
      - .address_space:  global
        .offset:         16
        .size:           8
        .value_kind:     global_buffer
      - .address_space:  global
        .offset:         24
        .size:           8
        .value_kind:     global_buffer
      - .offset:         32
        .size:           4
        .value_kind:     by_value
      - .offset:         36
        .size:           4
        .value_kind:     by_value
      - .offset:         40
        .size:           4
        .value_kind:     by_value
      - .offset:         44
        .size:           4
        .value_kind:     by_value
      - .offset:         48
        .size:           4
        .value_kind:     by_value
      - .offset:         52
        .size:           4
        .value_kind:     by_value
      - .offset:         56
        .size:           4
        .value_kind:     by_value
      - .offset:         60
        .size:           4
        .value_kind:     by_value
    .group_segment_fixed_size: 49248
    .kernarg_segment_align: 8
    .kernarg_segment_size: 64
    .language:       OpenCL C
    .language_version:
      - 2
      - 0
    .max_flat_workgroup_size: 1024
    .name:           _Z19_skinny_gemm_kernelILi4ELi2ELi4ELi32ELi4EEvPKhS1_P6__halfPKfiiiiiiii
    .private_segment_fixed_size: 0
    .sgpr_count:     106
    .sgpr_spill_count: 41
    .symbol:         _Z19_skinny_gemm_kernelILi4ELi2ELi4ELi32ELi4EEvPKhS1_P6__halfPKfiiiiiiii.kd
    .uniform_work_group_size: 1
    .uses_dynamic_stack: false
    .vgpr_count:     100
    .vgpr_spill_count: 0
    .wavefront_size: 64
  - .agpr_count:     0
    .args:
      - .address_space:  global
        .offset:         0
        .size:           8
        .value_kind:     global_buffer
      - .address_space:  global
        .offset:         8
        .size:           8
        .value_kind:     global_buffer
      - .address_space:  global
        .offset:         16
        .size:           8
        .value_kind:     global_buffer
      - .address_space:  global
        .offset:         24
        .size:           8
        .value_kind:     global_buffer
      - .offset:         32
        .size:           4
        .value_kind:     by_value
      - .offset:         36
        .size:           4
        .value_kind:     by_value
      - .offset:         40
        .size:           4
        .value_kind:     by_value
      - .offset:         44
        .size:           4
        .value_kind:     by_value
      - .offset:         48
        .size:           4
        .value_kind:     by_value
      - .offset:         52
        .size:           4
        .value_kind:     by_value
      - .offset:         56
        .size:           4
        .value_kind:     by_value
      - .offset:         60
        .size:           4
        .value_kind:     by_value
    .group_segment_fixed_size: 61560
    .kernarg_segment_align: 8
    .kernarg_segment_size: 64
    .language:       OpenCL C
    .language_version:
      - 2
      - 0
    .max_flat_workgroup_size: 1024
    .name:           _Z19_skinny_gemm_kernelILi4ELi2ELi5ELi16ELi4EEvPKhS1_P6__halfPKfiiiiiiii
    .private_segment_fixed_size: 0
    .sgpr_count:     69
    .sgpr_spill_count: 0
    .symbol:         _Z19_skinny_gemm_kernelILi4ELi2ELi5ELi16ELi4EEvPKhS1_P6__halfPKfiiiiiiii.kd
    .uniform_work_group_size: 1
    .uses_dynamic_stack: false
    .vgpr_count:     108
    .vgpr_spill_count: 0
    .wavefront_size: 64
  - .agpr_count:     0
    .args:
      - .address_space:  global
        .offset:         0
        .size:           8
        .value_kind:     global_buffer
      - .address_space:  global
        .offset:         8
        .size:           8
        .value_kind:     global_buffer
      - .address_space:  global
        .offset:         16
        .size:           8
        .value_kind:     global_buffer
      - .address_space:  global
        .offset:         24
        .size:           8
        .value_kind:     global_buffer
      - .offset:         32
        .size:           4
        .value_kind:     by_value
      - .offset:         36
        .size:           4
        .value_kind:     by_value
      - .offset:         40
        .size:           4
        .value_kind:     by_value
      - .offset:         44
        .size:           4
        .value_kind:     by_value
      - .offset:         48
        .size:           4
        .value_kind:     by_value
      - .offset:         52
        .size:           4
        .value_kind:     by_value
      - .offset:         56
        .size:           4
        .value_kind:     by_value
      - .offset:         60
        .size:           4
        .value_kind:     by_value
    .group_segment_fixed_size: 61560
    .kernarg_segment_align: 8
    .kernarg_segment_size: 64
    .language:       OpenCL C
    .language_version:
      - 2
      - 0
    .max_flat_workgroup_size: 1024
    .name:           _Z19_skinny_gemm_kernelILi4ELi2ELi5ELi32ELi4EEvPKhS1_P6__halfPKfiiiiiiii
    .private_segment_fixed_size: 0
    .sgpr_count:     106
    .sgpr_spill_count: 37
    .symbol:         _Z19_skinny_gemm_kernelILi4ELi2ELi5ELi32ELi4EEvPKhS1_P6__halfPKfiiiiiiii.kd
    .uniform_work_group_size: 1
    .uses_dynamic_stack: false
    .vgpr_count:     101
    .vgpr_spill_count: 0
    .wavefront_size: 64
  - .agpr_count:     0
    .args:
      - .address_space:  global
        .offset:         0
        .size:           8
        .value_kind:     global_buffer
      - .address_space:  global
        .offset:         8
        .size:           8
        .value_kind:     global_buffer
      - .address_space:  global
        .offset:         16
        .size:           8
        .value_kind:     global_buffer
      - .address_space:  global
        .offset:         24
        .size:           8
        .value_kind:     global_buffer
      - .offset:         32
        .size:           4
        .value_kind:     by_value
      - .offset:         36
        .size:           4
        .value_kind:     by_value
      - .offset:         40
        .size:           4
        .value_kind:     by_value
      - .offset:         44
        .size:           4
        .value_kind:     by_value
      - .offset:         48
        .size:           4
        .value_kind:     by_value
      - .offset:         52
        .size:           4
        .value_kind:     by_value
      - .offset:         56
        .size:           4
        .value_kind:     by_value
      - .offset:         60
        .size:           4
        .value_kind:     by_value
    .group_segment_fixed_size: 14364
    .kernarg_segment_align: 8
    .kernarg_segment_size: 64
    .language:       OpenCL C
    .language_version:
      - 2
      - 0
    .max_flat_workgroup_size: 1024
    .name:           _Z19_skinny_gemm_kernelILi4ELi3ELi1ELi16ELi4EEvPKhS1_P6__halfPKfiiiiiiii
    .private_segment_fixed_size: 0
    .sgpr_count:     73
    .sgpr_spill_count: 0
    .symbol:         _Z19_skinny_gemm_kernelILi4ELi3ELi1ELi16ELi4EEvPKhS1_P6__halfPKfiiiiiiii.kd
    .uniform_work_group_size: 1
    .uses_dynamic_stack: false
    .vgpr_count:     124
    .vgpr_spill_count: 0
    .wavefront_size: 64
  - .agpr_count:     0
    .args:
      - .address_space:  global
        .offset:         0
        .size:           8
        .value_kind:     global_buffer
      - .address_space:  global
        .offset:         8
        .size:           8
        .value_kind:     global_buffer
      - .address_space:  global
        .offset:         16
        .size:           8
        .value_kind:     global_buffer
      - .address_space:  global
        .offset:         24
        .size:           8
        .value_kind:     global_buffer
      - .offset:         32
        .size:           4
        .value_kind:     by_value
      - .offset:         36
        .size:           4
        .value_kind:     by_value
      - .offset:         40
        .size:           4
        .value_kind:     by_value
      - .offset:         44
        .size:           4
        .value_kind:     by_value
      - .offset:         48
        .size:           4
        .value_kind:     by_value
      - .offset:         52
        .size:           4
        .value_kind:     by_value
      - .offset:         56
        .size:           4
        .value_kind:     by_value
      - .offset:         60
        .size:           4
        .value_kind:     by_value
    .group_segment_fixed_size: 28700
    .kernarg_segment_align: 8
    .kernarg_segment_size: 64
    .language:       OpenCL C
    .language_version:
      - 2
      - 0
    .max_flat_workgroup_size: 1024
    .name:           _Z19_skinny_gemm_kernelILi4ELi3ELi1ELi16ELi8EEvPKhS1_P6__halfPKfiiiiiiii
    .private_segment_fixed_size: 152
    .sgpr_count:     73
    .sgpr_spill_count: 0
    .symbol:         _Z19_skinny_gemm_kernelILi4ELi3ELi1ELi16ELi8EEvPKhS1_P6__halfPKfiiiiiiii.kd
    .uniform_work_group_size: 1
    .uses_dynamic_stack: false
    .vgpr_count:     128
    .vgpr_spill_count: 61
    .wavefront_size: 64
  - .agpr_count:     0
    .args:
      - .address_space:  global
        .offset:         0
        .size:           8
        .value_kind:     global_buffer
      - .address_space:  global
        .offset:         8
        .size:           8
        .value_kind:     global_buffer
      - .address_space:  global
        .offset:         16
        .size:           8
        .value_kind:     global_buffer
      - .address_space:  global
        .offset:         24
        .size:           8
        .value_kind:     global_buffer
      - .offset:         32
        .size:           4
        .value_kind:     by_value
      - .offset:         36
        .size:           4
        .value_kind:     by_value
      - .offset:         40
        .size:           4
        .value_kind:     by_value
      - .offset:         44
        .size:           4
        .value_kind:     by_value
      - .offset:         48
        .size:           4
        .value_kind:     by_value
      - .offset:         52
        .size:           4
        .value_kind:     by_value
      - .offset:         56
        .size:           4
        .value_kind:     by_value
      - .offset:         60
        .size:           4
        .value_kind:     by_value
    .group_segment_fixed_size: 14364
    .kernarg_segment_align: 8
    .kernarg_segment_size: 64
    .language:       OpenCL C
    .language_version:
      - 2
      - 0
    .max_flat_workgroup_size: 1024
    .name:           _Z19_skinny_gemm_kernelILi4ELi3ELi1ELi32ELi4EEvPKhS1_P6__halfPKfiiiiiiii
    .private_segment_fixed_size: 0
    .sgpr_count:     106
    .sgpr_spill_count: 31
    .symbol:         _Z19_skinny_gemm_kernelILi4ELi3ELi1ELi32ELi4EEvPKhS1_P6__halfPKfiiiiiiii.kd
    .uniform_work_group_size: 1
    .uses_dynamic_stack: false
    .vgpr_count:     94
    .vgpr_spill_count: 0
    .wavefront_size: 64
  - .agpr_count:     0
    .args:
      - .address_space:  global
        .offset:         0
        .size:           8
        .value_kind:     global_buffer
      - .address_space:  global
        .offset:         8
        .size:           8
        .value_kind:     global_buffer
      - .address_space:  global
        .offset:         16
        .size:           8
        .value_kind:     global_buffer
      - .address_space:  global
        .offset:         24
        .size:           8
        .value_kind:     global_buffer
      - .offset:         32
        .size:           4
        .value_kind:     by_value
      - .offset:         36
        .size:           4
        .value_kind:     by_value
      - .offset:         40
        .size:           4
        .value_kind:     by_value
      - .offset:         44
        .size:           4
        .value_kind:     by_value
      - .offset:         48
        .size:           4
        .value_kind:     by_value
      - .offset:         52
        .size:           4
        .value_kind:     by_value
      - .offset:         56
        .size:           4
        .value_kind:     by_value
      - .offset:         60
        .size:           4
        .value_kind:     by_value
    .group_segment_fixed_size: 28700
    .kernarg_segment_align: 8
    .kernarg_segment_size: 64
    .language:       OpenCL C
    .language_version:
      - 2
      - 0
    .max_flat_workgroup_size: 1024
    .name:           _Z19_skinny_gemm_kernelILi4ELi3ELi1ELi32ELi8EEvPKhS1_P6__halfPKfiiiiiiii
    .private_segment_fixed_size: 0
    .sgpr_count:     106
    .sgpr_spill_count: 31
    .symbol:         _Z19_skinny_gemm_kernelILi4ELi3ELi1ELi32ELi8EEvPKhS1_P6__halfPKfiiiiiiii.kd
    .uniform_work_group_size: 1
    .uses_dynamic_stack: false
    .vgpr_count:     102
    .vgpr_spill_count: 0
    .wavefront_size: 64
  - .agpr_count:     0
    .args:
      - .address_space:  global
        .offset:         0
        .size:           8
        .value_kind:     global_buffer
      - .address_space:  global
        .offset:         8
        .size:           8
        .value_kind:     global_buffer
      - .address_space:  global
        .offset:         16
        .size:           8
        .value_kind:     global_buffer
      - .address_space:  global
        .offset:         24
        .size:           8
        .value_kind:     global_buffer
      - .offset:         32
        .size:           4
        .value_kind:     by_value
      - .offset:         36
        .size:           4
        .value_kind:     by_value
      - .offset:         40
        .size:           4
        .value_kind:     by_value
      - .offset:         44
        .size:           4
        .value_kind:     by_value
      - .offset:         48
        .size:           4
        .value_kind:     by_value
      - .offset:         52
        .size:           4
        .value_kind:     by_value
      - .offset:         56
        .size:           4
        .value_kind:     by_value
      - .offset:         60
        .size:           4
        .value_kind:     by_value
    .group_segment_fixed_size: 28728
    .kernarg_segment_align: 8
    .kernarg_segment_size: 64
    .language:       OpenCL C
    .language_version:
      - 2
      - 0
    .max_flat_workgroup_size: 1024
    .name:           _Z19_skinny_gemm_kernelILi4ELi3ELi2ELi16ELi4EEvPKhS1_P6__halfPKfiiiiiiii
    .private_segment_fixed_size: 0
    .sgpr_count:     73
    .sgpr_spill_count: 0
    .symbol:         _Z19_skinny_gemm_kernelILi4ELi3ELi2ELi16ELi4EEvPKhS1_P6__halfPKfiiiiiiii.kd
    .uniform_work_group_size: 1
    .uses_dynamic_stack: false
    .vgpr_count:     124
    .vgpr_spill_count: 0
    .wavefront_size: 64
  - .agpr_count:     0
    .args:
      - .address_space:  global
        .offset:         0
        .size:           8
        .value_kind:     global_buffer
      - .address_space:  global
        .offset:         8
        .size:           8
        .value_kind:     global_buffer
      - .address_space:  global
        .offset:         16
        .size:           8
        .value_kind:     global_buffer
      - .address_space:  global
        .offset:         24
        .size:           8
        .value_kind:     global_buffer
      - .offset:         32
        .size:           4
        .value_kind:     by_value
      - .offset:         36
        .size:           4
        .value_kind:     by_value
      - .offset:         40
        .size:           4
        .value_kind:     by_value
      - .offset:         44
        .size:           4
        .value_kind:     by_value
      - .offset:         48
        .size:           4
        .value_kind:     by_value
      - .offset:         52
        .size:           4
        .value_kind:     by_value
      - .offset:         56
        .size:           4
        .value_kind:     by_value
      - .offset:         60
        .size:           4
        .value_kind:     by_value
    .group_segment_fixed_size: 57400
    .kernarg_segment_align: 8
    .kernarg_segment_size: 64
    .language:       OpenCL C
    .language_version:
      - 2
      - 0
    .max_flat_workgroup_size: 1024
    .name:           _Z19_skinny_gemm_kernelILi4ELi3ELi2ELi16ELi8EEvPKhS1_P6__halfPKfiiiiiiii
    .private_segment_fixed_size: 152
    .sgpr_count:     73
    .sgpr_spill_count: 0
    .symbol:         _Z19_skinny_gemm_kernelILi4ELi3ELi2ELi16ELi8EEvPKhS1_P6__halfPKfiiiiiiii.kd
    .uniform_work_group_size: 1
    .uses_dynamic_stack: false
    .vgpr_count:     128
    .vgpr_spill_count: 61
    .wavefront_size: 64
  - .agpr_count:     0
    .args:
      - .address_space:  global
        .offset:         0
        .size:           8
        .value_kind:     global_buffer
      - .address_space:  global
        .offset:         8
        .size:           8
        .value_kind:     global_buffer
      - .address_space:  global
        .offset:         16
        .size:           8
        .value_kind:     global_buffer
      - .address_space:  global
        .offset:         24
        .size:           8
        .value_kind:     global_buffer
      - .offset:         32
        .size:           4
        .value_kind:     by_value
      - .offset:         36
        .size:           4
        .value_kind:     by_value
      - .offset:         40
        .size:           4
        .value_kind:     by_value
      - .offset:         44
        .size:           4
        .value_kind:     by_value
      - .offset:         48
        .size:           4
        .value_kind:     by_value
      - .offset:         52
        .size:           4
        .value_kind:     by_value
      - .offset:         56
        .size:           4
        .value_kind:     by_value
      - .offset:         60
        .size:           4
        .value_kind:     by_value
    .group_segment_fixed_size: 28728
    .kernarg_segment_align: 8
    .kernarg_segment_size: 64
    .language:       OpenCL C
    .language_version:
      - 2
      - 0
    .max_flat_workgroup_size: 1024
    .name:           _Z19_skinny_gemm_kernelILi4ELi3ELi2ELi32ELi4EEvPKhS1_P6__halfPKfiiiiiiii
    .private_segment_fixed_size: 0
    .sgpr_count:     106
    .sgpr_spill_count: 31
    .symbol:         _Z19_skinny_gemm_kernelILi4ELi3ELi2ELi32ELi4EEvPKhS1_P6__halfPKfiiiiiiii.kd
    .uniform_work_group_size: 1
    .uses_dynamic_stack: false
    .vgpr_count:     94
    .vgpr_spill_count: 0
    .wavefront_size: 64
  - .agpr_count:     0
    .args:
      - .address_space:  global
        .offset:         0
        .size:           8
        .value_kind:     global_buffer
      - .address_space:  global
        .offset:         8
        .size:           8
        .value_kind:     global_buffer
      - .address_space:  global
        .offset:         16
        .size:           8
        .value_kind:     global_buffer
      - .address_space:  global
        .offset:         24
        .size:           8
        .value_kind:     global_buffer
      - .offset:         32
        .size:           4
        .value_kind:     by_value
      - .offset:         36
        .size:           4
        .value_kind:     by_value
      - .offset:         40
        .size:           4
        .value_kind:     by_value
      - .offset:         44
        .size:           4
        .value_kind:     by_value
      - .offset:         48
        .size:           4
        .value_kind:     by_value
      - .offset:         52
        .size:           4
        .value_kind:     by_value
      - .offset:         56
        .size:           4
        .value_kind:     by_value
      - .offset:         60
        .size:           4
        .value_kind:     by_value
    .group_segment_fixed_size: 57400
    .kernarg_segment_align: 8
    .kernarg_segment_size: 64
    .language:       OpenCL C
    .language_version:
      - 2
      - 0
    .max_flat_workgroup_size: 1024
    .name:           _Z19_skinny_gemm_kernelILi4ELi3ELi2ELi32ELi8EEvPKhS1_P6__halfPKfiiiiiiii
    .private_segment_fixed_size: 0
    .sgpr_count:     106
    .sgpr_spill_count: 31
    .symbol:         _Z19_skinny_gemm_kernelILi4ELi3ELi2ELi32ELi8EEvPKhS1_P6__halfPKfiiiiiiii.kd
    .uniform_work_group_size: 1
    .uses_dynamic_stack: false
    .vgpr_count:     102
    .vgpr_spill_count: 0
    .wavefront_size: 64
  - .agpr_count:     0
    .args:
      - .address_space:  global
        .offset:         0
        .size:           8
        .value_kind:     global_buffer
      - .address_space:  global
        .offset:         8
        .size:           8
        .value_kind:     global_buffer
      - .address_space:  global
        .offset:         16
        .size:           8
        .value_kind:     global_buffer
      - .address_space:  global
        .offset:         24
        .size:           8
        .value_kind:     global_buffer
      - .offset:         32
        .size:           4
        .value_kind:     by_value
      - .offset:         36
        .size:           4
        .value_kind:     by_value
      - .offset:         40
        .size:           4
        .value_kind:     by_value
      - .offset:         44
        .size:           4
        .value_kind:     by_value
      - .offset:         48
        .size:           4
        .value_kind:     by_value
      - .offset:         52
        .size:           4
        .value_kind:     by_value
      - .offset:         56
        .size:           4
        .value_kind:     by_value
      - .offset:         60
        .size:           4
        .value_kind:     by_value
    .group_segment_fixed_size: 43092
    .kernarg_segment_align: 8
    .kernarg_segment_size: 64
    .language:       OpenCL C
    .language_version:
      - 2
      - 0
    .max_flat_workgroup_size: 1024
    .name:           _Z19_skinny_gemm_kernelILi4ELi3ELi3ELi16ELi4EEvPKhS1_P6__halfPKfiiiiiiii
    .private_segment_fixed_size: 0
    .sgpr_count:     73
    .sgpr_spill_count: 0
    .symbol:         _Z19_skinny_gemm_kernelILi4ELi3ELi3ELi16ELi4EEvPKhS1_P6__halfPKfiiiiiiii.kd
    .uniform_work_group_size: 1
    .uses_dynamic_stack: false
    .vgpr_count:     124
    .vgpr_spill_count: 0
    .wavefront_size: 64
  - .agpr_count:     0
    .args:
      - .address_space:  global
        .offset:         0
        .size:           8
        .value_kind:     global_buffer
      - .address_space:  global
        .offset:         8
        .size:           8
        .value_kind:     global_buffer
      - .address_space:  global
        .offset:         16
        .size:           8
        .value_kind:     global_buffer
      - .address_space:  global
        .offset:         24
        .size:           8
        .value_kind:     global_buffer
      - .offset:         32
        .size:           4
        .value_kind:     by_value
      - .offset:         36
        .size:           4
        .value_kind:     by_value
      - .offset:         40
        .size:           4
        .value_kind:     by_value
      - .offset:         44
        .size:           4
        .value_kind:     by_value
      - .offset:         48
        .size:           4
        .value_kind:     by_value
      - .offset:         52
        .size:           4
        .value_kind:     by_value
      - .offset:         56
        .size:           4
        .value_kind:     by_value
      - .offset:         60
        .size:           4
        .value_kind:     by_value
    .group_segment_fixed_size: 43092
    .kernarg_segment_align: 8
    .kernarg_segment_size: 64
    .language:       OpenCL C
    .language_version:
      - 2
      - 0
    .max_flat_workgroup_size: 1024
    .name:           _Z19_skinny_gemm_kernelILi4ELi3ELi3ELi32ELi4EEvPKhS1_P6__halfPKfiiiiiiii
    .private_segment_fixed_size: 0
    .sgpr_count:     106
    .sgpr_spill_count: 31
    .symbol:         _Z19_skinny_gemm_kernelILi4ELi3ELi3ELi32ELi4EEvPKhS1_P6__halfPKfiiiiiiii.kd
    .uniform_work_group_size: 1
    .uses_dynamic_stack: false
    .vgpr_count:     94
    .vgpr_spill_count: 0
    .wavefront_size: 64
  - .agpr_count:     0
    .args:
      - .address_space:  global
        .offset:         0
        .size:           8
        .value_kind:     global_buffer
      - .address_space:  global
        .offset:         8
        .size:           8
        .value_kind:     global_buffer
      - .address_space:  global
        .offset:         16
        .size:           8
        .value_kind:     global_buffer
      - .address_space:  global
        .offset:         24
        .size:           8
        .value_kind:     global_buffer
      - .offset:         32
        .size:           4
        .value_kind:     by_value
      - .offset:         36
        .size:           4
        .value_kind:     by_value
      - .offset:         40
        .size:           4
        .value_kind:     by_value
      - .offset:         44
        .size:           4
        .value_kind:     by_value
      - .offset:         48
        .size:           4
        .value_kind:     by_value
      - .offset:         52
        .size:           4
        .value_kind:     by_value
      - .offset:         56
        .size:           4
        .value_kind:     by_value
      - .offset:         60
        .size:           4
        .value_kind:     by_value
    .group_segment_fixed_size: 57456
    .kernarg_segment_align: 8
    .kernarg_segment_size: 64
    .language:       OpenCL C
    .language_version:
      - 2
      - 0
    .max_flat_workgroup_size: 1024
    .name:           _Z19_skinny_gemm_kernelILi4ELi3ELi4ELi16ELi4EEvPKhS1_P6__halfPKfiiiiiiii
    .private_segment_fixed_size: 0
    .sgpr_count:     73
    .sgpr_spill_count: 0
    .symbol:         _Z19_skinny_gemm_kernelILi4ELi3ELi4ELi16ELi4EEvPKhS1_P6__halfPKfiiiiiiii.kd
    .uniform_work_group_size: 1
    .uses_dynamic_stack: false
    .vgpr_count:     124
    .vgpr_spill_count: 0
    .wavefront_size: 64
  - .agpr_count:     0
    .args:
      - .address_space:  global
        .offset:         0
        .size:           8
        .value_kind:     global_buffer
      - .address_space:  global
        .offset:         8
        .size:           8
        .value_kind:     global_buffer
      - .address_space:  global
        .offset:         16
        .size:           8
        .value_kind:     global_buffer
      - .address_space:  global
        .offset:         24
        .size:           8
        .value_kind:     global_buffer
      - .offset:         32
        .size:           4
        .value_kind:     by_value
      - .offset:         36
        .size:           4
        .value_kind:     by_value
      - .offset:         40
        .size:           4
        .value_kind:     by_value
      - .offset:         44
        .size:           4
        .value_kind:     by_value
      - .offset:         48
        .size:           4
        .value_kind:     by_value
      - .offset:         52
        .size:           4
        .value_kind:     by_value
      - .offset:         56
        .size:           4
        .value_kind:     by_value
      - .offset:         60
        .size:           4
        .value_kind:     by_value
    .group_segment_fixed_size: 57456
    .kernarg_segment_align: 8
    .kernarg_segment_size: 64
    .language:       OpenCL C
    .language_version:
      - 2
      - 0
    .max_flat_workgroup_size: 1024
    .name:           _Z19_skinny_gemm_kernelILi4ELi3ELi4ELi32ELi4EEvPKhS1_P6__halfPKfiiiiiiii
    .private_segment_fixed_size: 0
    .sgpr_count:     106
    .sgpr_spill_count: 31
    .symbol:         _Z19_skinny_gemm_kernelILi4ELi3ELi4ELi32ELi4EEvPKhS1_P6__halfPKfiiiiiiii.kd
    .uniform_work_group_size: 1
    .uses_dynamic_stack: false
    .vgpr_count:     94
    .vgpr_spill_count: 0
    .wavefront_size: 64
  - .agpr_count:     0
    .args:
      - .address_space:  global
        .offset:         0
        .size:           8
        .value_kind:     global_buffer
      - .address_space:  global
        .offset:         8
        .size:           8
        .value_kind:     global_buffer
      - .address_space:  global
        .offset:         16
        .size:           8
        .value_kind:     global_buffer
      - .address_space:  global
        .offset:         24
        .size:           8
        .value_kind:     global_buffer
      - .offset:         32
        .size:           4
        .value_kind:     by_value
      - .offset:         36
        .size:           4
        .value_kind:     by_value
      - .offset:         40
        .size:           4
        .value_kind:     by_value
      - .offset:         44
        .size:           4
        .value_kind:     by_value
      - .offset:         48
        .size:           4
        .value_kind:     by_value
      - .offset:         52
        .size:           4
        .value_kind:     by_value
      - .offset:         56
        .size:           4
        .value_kind:     by_value
      - .offset:         60
        .size:           4
        .value_kind:     by_value
    .group_segment_fixed_size: 16416
    .kernarg_segment_align: 8
    .kernarg_segment_size: 64
    .language:       OpenCL C
    .language_version:
      - 2
      - 0
    .max_flat_workgroup_size: 1024
    .name:           _Z19_skinny_gemm_kernelILi4ELi4ELi1ELi16ELi4EEvPKhS1_P6__halfPKfiiiiiiii
    .private_segment_fixed_size: 20
    .sgpr_count:     73
    .sgpr_spill_count: 0
    .symbol:         _Z19_skinny_gemm_kernelILi4ELi4ELi1ELi16ELi4EEvPKhS1_P6__halfPKfiiiiiiii.kd
    .uniform_work_group_size: 1
    .uses_dynamic_stack: false
    .vgpr_count:     128
    .vgpr_spill_count: 4
    .wavefront_size: 64
  - .agpr_count:     0
    .args:
      - .address_space:  global
        .offset:         0
        .size:           8
        .value_kind:     global_buffer
      - .address_space:  global
        .offset:         8
        .size:           8
        .value_kind:     global_buffer
      - .address_space:  global
        .offset:         16
        .size:           8
        .value_kind:     global_buffer
      - .address_space:  global
        .offset:         24
        .size:           8
        .value_kind:     global_buffer
      - .offset:         32
        .size:           4
        .value_kind:     by_value
      - .offset:         36
        .size:           4
        .value_kind:     by_value
      - .offset:         40
        .size:           4
        .value_kind:     by_value
      - .offset:         44
        .size:           4
        .value_kind:     by_value
      - .offset:         48
        .size:           4
        .value_kind:     by_value
      - .offset:         52
        .size:           4
        .value_kind:     by_value
      - .offset:         56
        .size:           4
        .value_kind:     by_value
      - .offset:         60
        .size:           4
        .value_kind:     by_value
    .group_segment_fixed_size: 32800
    .kernarg_segment_align: 8
    .kernarg_segment_size: 64
    .language:       OpenCL C
    .language_version:
      - 2
      - 0
    .max_flat_workgroup_size: 1024
    .name:           _Z19_skinny_gemm_kernelILi4ELi4ELi1ELi16ELi8EEvPKhS1_P6__halfPKfiiiiiiii
    .private_segment_fixed_size: 200
    .sgpr_count:     73
    .sgpr_spill_count: 0
    .symbol:         _Z19_skinny_gemm_kernelILi4ELi4ELi1ELi16ELi8EEvPKhS1_P6__halfPKfiiiiiiii.kd
    .uniform_work_group_size: 1
    .uses_dynamic_stack: false
    .vgpr_count:     128
    .vgpr_spill_count: 101
    .wavefront_size: 64
  - .agpr_count:     0
    .args:
      - .address_space:  global
        .offset:         0
        .size:           8
        .value_kind:     global_buffer
      - .address_space:  global
        .offset:         8
        .size:           8
        .value_kind:     global_buffer
      - .address_space:  global
        .offset:         16
        .size:           8
        .value_kind:     global_buffer
      - .address_space:  global
        .offset:         24
        .size:           8
        .value_kind:     global_buffer
      - .offset:         32
        .size:           4
        .value_kind:     by_value
      - .offset:         36
        .size:           4
        .value_kind:     by_value
      - .offset:         40
        .size:           4
        .value_kind:     by_value
      - .offset:         44
        .size:           4
        .value_kind:     by_value
      - .offset:         48
        .size:           4
        .value_kind:     by_value
      - .offset:         52
        .size:           4
        .value_kind:     by_value
      - .offset:         56
        .size:           4
        .value_kind:     by_value
      - .offset:         60
        .size:           4
        .value_kind:     by_value
    .group_segment_fixed_size: 16416
    .kernarg_segment_align: 8
    .kernarg_segment_size: 64
    .language:       OpenCL C
    .language_version:
      - 2
      - 0
    .max_flat_workgroup_size: 1024
    .name:           _Z19_skinny_gemm_kernelILi4ELi4ELi1ELi32ELi4EEvPKhS1_P6__halfPKfiiiiiiii
    .private_segment_fixed_size: 0
    .sgpr_count:     106
    .sgpr_spill_count: 30
    .symbol:         _Z19_skinny_gemm_kernelILi4ELi4ELi1ELi32ELi4EEvPKhS1_P6__halfPKfiiiiiiii.kd
    .uniform_work_group_size: 1
    .uses_dynamic_stack: false
    .vgpr_count:     128
    .vgpr_spill_count: 0
    .wavefront_size: 64
  - .agpr_count:     0
    .args:
      - .address_space:  global
        .offset:         0
        .size:           8
        .value_kind:     global_buffer
      - .address_space:  global
        .offset:         8
        .size:           8
        .value_kind:     global_buffer
      - .address_space:  global
        .offset:         16
        .size:           8
        .value_kind:     global_buffer
      - .address_space:  global
        .offset:         24
        .size:           8
        .value_kind:     global_buffer
      - .offset:         32
        .size:           4
        .value_kind:     by_value
      - .offset:         36
        .size:           4
        .value_kind:     by_value
      - .offset:         40
        .size:           4
        .value_kind:     by_value
      - .offset:         44
        .size:           4
        .value_kind:     by_value
      - .offset:         48
        .size:           4
        .value_kind:     by_value
      - .offset:         52
        .size:           4
        .value_kind:     by_value
      - .offset:         56
        .size:           4
        .value_kind:     by_value
      - .offset:         60
        .size:           4
        .value_kind:     by_value
    .group_segment_fixed_size: 32800
    .kernarg_segment_align: 8
    .kernarg_segment_size: 64
    .language:       OpenCL C
    .language_version:
      - 2
      - 0
    .max_flat_workgroup_size: 1024
    .name:           _Z19_skinny_gemm_kernelILi4ELi4ELi1ELi32ELi8EEvPKhS1_P6__halfPKfiiiiiiii
    .private_segment_fixed_size: 0
    .sgpr_count:     106
    .sgpr_spill_count: 30
    .symbol:         _Z19_skinny_gemm_kernelILi4ELi4ELi1ELi32ELi8EEvPKhS1_P6__halfPKfiiiiiiii.kd
    .uniform_work_group_size: 1
    .uses_dynamic_stack: false
    .vgpr_count:     128
    .vgpr_spill_count: 0
    .wavefront_size: 64
  - .agpr_count:     0
    .args:
      - .address_space:  global
        .offset:         0
        .size:           8
        .value_kind:     global_buffer
      - .address_space:  global
        .offset:         8
        .size:           8
        .value_kind:     global_buffer
      - .address_space:  global
        .offset:         16
        .size:           8
        .value_kind:     global_buffer
      - .address_space:  global
        .offset:         24
        .size:           8
        .value_kind:     global_buffer
      - .offset:         32
        .size:           4
        .value_kind:     by_value
      - .offset:         36
        .size:           4
        .value_kind:     by_value
      - .offset:         40
        .size:           4
        .value_kind:     by_value
      - .offset:         44
        .size:           4
        .value_kind:     by_value
      - .offset:         48
        .size:           4
        .value_kind:     by_value
      - .offset:         52
        .size:           4
        .value_kind:     by_value
      - .offset:         56
        .size:           4
        .value_kind:     by_value
      - .offset:         60
        .size:           4
        .value_kind:     by_value
    .group_segment_fixed_size: 32832
    .kernarg_segment_align: 8
    .kernarg_segment_size: 64
    .language:       OpenCL C
    .language_version:
      - 2
      - 0
    .max_flat_workgroup_size: 1024
    .name:           _Z19_skinny_gemm_kernelILi4ELi4ELi2ELi16ELi4EEvPKhS1_P6__halfPKfiiiiiiii
    .private_segment_fixed_size: 20
    .sgpr_count:     73
    .sgpr_spill_count: 0
    .symbol:         _Z19_skinny_gemm_kernelILi4ELi4ELi2ELi16ELi4EEvPKhS1_P6__halfPKfiiiiiiii.kd
    .uniform_work_group_size: 1
    .uses_dynamic_stack: false
    .vgpr_count:     128
    .vgpr_spill_count: 4
    .wavefront_size: 64
  - .agpr_count:     0
    .args:
      - .address_space:  global
        .offset:         0
        .size:           8
        .value_kind:     global_buffer
      - .address_space:  global
        .offset:         8
        .size:           8
        .value_kind:     global_buffer
      - .address_space:  global
        .offset:         16
        .size:           8
        .value_kind:     global_buffer
      - .address_space:  global
        .offset:         24
        .size:           8
        .value_kind:     global_buffer
      - .offset:         32
        .size:           4
        .value_kind:     by_value
      - .offset:         36
        .size:           4
        .value_kind:     by_value
      - .offset:         40
        .size:           4
        .value_kind:     by_value
      - .offset:         44
        .size:           4
        .value_kind:     by_value
      - .offset:         48
        .size:           4
        .value_kind:     by_value
      - .offset:         52
        .size:           4
        .value_kind:     by_value
      - .offset:         56
        .size:           4
        .value_kind:     by_value
      - .offset:         60
        .size:           4
        .value_kind:     by_value
    .group_segment_fixed_size: 32832
    .kernarg_segment_align: 8
    .kernarg_segment_size: 64
    .language:       OpenCL C
    .language_version:
      - 2
      - 0
    .max_flat_workgroup_size: 1024
    .name:           _Z19_skinny_gemm_kernelILi4ELi4ELi2ELi32ELi4EEvPKhS1_P6__halfPKfiiiiiiii
    .private_segment_fixed_size: 0
    .sgpr_count:     106
    .sgpr_spill_count: 30
    .symbol:         _Z19_skinny_gemm_kernelILi4ELi4ELi2ELi32ELi4EEvPKhS1_P6__halfPKfiiiiiiii.kd
    .uniform_work_group_size: 1
    .uses_dynamic_stack: false
    .vgpr_count:     128
    .vgpr_spill_count: 0
    .wavefront_size: 64
  - .agpr_count:     0
    .args:
      - .address_space:  global
        .offset:         0
        .size:           8
        .value_kind:     global_buffer
      - .address_space:  global
        .offset:         8
        .size:           8
        .value_kind:     global_buffer
      - .address_space:  global
        .offset:         16
        .size:           8
        .value_kind:     global_buffer
      - .address_space:  global
        .offset:         24
        .size:           8
        .value_kind:     global_buffer
      - .offset:         32
        .size:           4
        .value_kind:     by_value
      - .offset:         36
        .size:           4
        .value_kind:     by_value
      - .offset:         40
        .size:           4
        .value_kind:     by_value
      - .offset:         44
        .size:           4
        .value_kind:     by_value
      - .offset:         48
        .size:           4
        .value_kind:     by_value
      - .offset:         52
        .size:           4
        .value_kind:     by_value
      - .offset:         56
        .size:           4
        .value_kind:     by_value
      - .offset:         60
        .size:           4
        .value_kind:     by_value
    .group_segment_fixed_size: 49248
    .kernarg_segment_align: 8
    .kernarg_segment_size: 64
    .language:       OpenCL C
    .language_version:
      - 2
      - 0
    .max_flat_workgroup_size: 1024
    .name:           _Z19_skinny_gemm_kernelILi4ELi4ELi3ELi16ELi4EEvPKhS1_P6__halfPKfiiiiiiii
    .private_segment_fixed_size: 20
    .sgpr_count:     73
    .sgpr_spill_count: 0
    .symbol:         _Z19_skinny_gemm_kernelILi4ELi4ELi3ELi16ELi4EEvPKhS1_P6__halfPKfiiiiiiii.kd
    .uniform_work_group_size: 1
    .uses_dynamic_stack: false
    .vgpr_count:     128
    .vgpr_spill_count: 4
    .wavefront_size: 64
  - .agpr_count:     0
    .args:
      - .address_space:  global
        .offset:         0
        .size:           8
        .value_kind:     global_buffer
      - .address_space:  global
        .offset:         8
        .size:           8
        .value_kind:     global_buffer
      - .address_space:  global
        .offset:         16
        .size:           8
        .value_kind:     global_buffer
      - .address_space:  global
        .offset:         24
        .size:           8
        .value_kind:     global_buffer
      - .offset:         32
        .size:           4
        .value_kind:     by_value
      - .offset:         36
        .size:           4
        .value_kind:     by_value
      - .offset:         40
        .size:           4
        .value_kind:     by_value
      - .offset:         44
        .size:           4
        .value_kind:     by_value
      - .offset:         48
        .size:           4
        .value_kind:     by_value
      - .offset:         52
        .size:           4
        .value_kind:     by_value
      - .offset:         56
        .size:           4
        .value_kind:     by_value
      - .offset:         60
        .size:           4
        .value_kind:     by_value
    .group_segment_fixed_size: 49248
    .kernarg_segment_align: 8
    .kernarg_segment_size: 64
    .language:       OpenCL C
    .language_version:
      - 2
      - 0
    .max_flat_workgroup_size: 1024
    .name:           _Z19_skinny_gemm_kernelILi4ELi4ELi3ELi32ELi4EEvPKhS1_P6__halfPKfiiiiiiii
    .private_segment_fixed_size: 0
    .sgpr_count:     106
    .sgpr_spill_count: 30
    .symbol:         _Z19_skinny_gemm_kernelILi4ELi4ELi3ELi32ELi4EEvPKhS1_P6__halfPKfiiiiiiii.kd
    .uniform_work_group_size: 1
    .uses_dynamic_stack: false
    .vgpr_count:     128
    .vgpr_spill_count: 0
    .wavefront_size: 64
  - .agpr_count:     0
    .args:
      - .address_space:  global
        .offset:         0
        .size:           8
        .value_kind:     global_buffer
      - .address_space:  global
        .offset:         8
        .size:           8
        .value_kind:     global_buffer
      - .address_space:  global
        .offset:         16
        .size:           8
        .value_kind:     global_buffer
      - .address_space:  global
        .offset:         24
        .size:           8
        .value_kind:     global_buffer
      - .offset:         32
        .size:           4
        .value_kind:     by_value
      - .offset:         36
        .size:           4
        .value_kind:     by_value
      - .offset:         40
        .size:           4
        .value_kind:     by_value
      - .offset:         44
        .size:           4
        .value_kind:     by_value
      - .offset:         48
        .size:           4
        .value_kind:     by_value
      - .offset:         52
        .size:           4
        .value_kind:     by_value
      - .offset:         56
        .size:           4
        .value_kind:     by_value
      - .offset:         60
        .size:           4
        .value_kind:     by_value
    .group_segment_fixed_size: 18468
    .kernarg_segment_align: 8
    .kernarg_segment_size: 64
    .language:       OpenCL C
    .language_version:
      - 2
      - 0
    .max_flat_workgroup_size: 1024
    .name:           _Z19_skinny_gemm_kernelILi4ELi5ELi1ELi16ELi4EEvPKhS1_P6__halfPKfiiiiiiii
    .private_segment_fixed_size: 100
    .sgpr_count:     77
    .sgpr_spill_count: 0
    .symbol:         _Z19_skinny_gemm_kernelILi4ELi5ELi1ELi16ELi4EEvPKhS1_P6__halfPKfiiiiiiii.kd
    .uniform_work_group_size: 1
    .uses_dynamic_stack: false
    .vgpr_count:     128
    .vgpr_spill_count: 24
    .wavefront_size: 64
  - .agpr_count:     0
    .args:
      - .address_space:  global
        .offset:         0
        .size:           8
        .value_kind:     global_buffer
      - .address_space:  global
        .offset:         8
        .size:           8
        .value_kind:     global_buffer
      - .address_space:  global
        .offset:         16
        .size:           8
        .value_kind:     global_buffer
      - .address_space:  global
        .offset:         24
        .size:           8
        .value_kind:     global_buffer
      - .offset:         32
        .size:           4
        .value_kind:     by_value
      - .offset:         36
        .size:           4
        .value_kind:     by_value
      - .offset:         40
        .size:           4
        .value_kind:     by_value
      - .offset:         44
        .size:           4
        .value_kind:     by_value
      - .offset:         48
        .size:           4
        .value_kind:     by_value
      - .offset:         52
        .size:           4
        .value_kind:     by_value
      - .offset:         56
        .size:           4
        .value_kind:     by_value
      - .offset:         60
        .size:           4
        .value_kind:     by_value
    .group_segment_fixed_size: 36900
    .kernarg_segment_align: 8
    .kernarg_segment_size: 64
    .language:       OpenCL C
    .language_version:
      - 2
      - 0
    .max_flat_workgroup_size: 1024
    .name:           _Z19_skinny_gemm_kernelILi4ELi5ELi1ELi16ELi8EEvPKhS1_P6__halfPKfiiiiiiii
    .private_segment_fixed_size: 264
    .sgpr_count:     77
    .sgpr_spill_count: 0
    .symbol:         _Z19_skinny_gemm_kernelILi4ELi5ELi1ELi16ELi8EEvPKhS1_P6__halfPKfiiiiiiii.kd
    .uniform_work_group_size: 1
    .uses_dynamic_stack: false
    .vgpr_count:     128
    .vgpr_spill_count: 157
    .wavefront_size: 64
  - .agpr_count:     0
    .args:
      - .address_space:  global
        .offset:         0
        .size:           8
        .value_kind:     global_buffer
      - .address_space:  global
        .offset:         8
        .size:           8
        .value_kind:     global_buffer
      - .address_space:  global
        .offset:         16
        .size:           8
        .value_kind:     global_buffer
      - .address_space:  global
        .offset:         24
        .size:           8
        .value_kind:     global_buffer
      - .offset:         32
        .size:           4
        .value_kind:     by_value
      - .offset:         36
        .size:           4
        .value_kind:     by_value
      - .offset:         40
        .size:           4
        .value_kind:     by_value
      - .offset:         44
        .size:           4
        .value_kind:     by_value
      - .offset:         48
        .size:           4
        .value_kind:     by_value
      - .offset:         52
        .size:           4
        .value_kind:     by_value
      - .offset:         56
        .size:           4
        .value_kind:     by_value
      - .offset:         60
        .size:           4
        .value_kind:     by_value
    .group_segment_fixed_size: 18468
    .kernarg_segment_align: 8
    .kernarg_segment_size: 64
    .language:       OpenCL C
    .language_version:
      - 2
      - 0
    .max_flat_workgroup_size: 1024
    .name:           _Z19_skinny_gemm_kernelILi4ELi5ELi1ELi32ELi4EEvPKhS1_P6__halfPKfiiiiiiii
    .private_segment_fixed_size: 92
    .sgpr_count:     106
    .sgpr_spill_count: 32
    .symbol:         _Z19_skinny_gemm_kernelILi4ELi5ELi1ELi32ELi4EEvPKhS1_P6__halfPKfiiiiiiii.kd
    .uniform_work_group_size: 1
    .uses_dynamic_stack: false
    .vgpr_count:     128
    .vgpr_spill_count: 22
    .wavefront_size: 64
  - .agpr_count:     0
    .args:
      - .address_space:  global
        .offset:         0
        .size:           8
        .value_kind:     global_buffer
      - .address_space:  global
        .offset:         8
        .size:           8
        .value_kind:     global_buffer
      - .address_space:  global
        .offset:         16
        .size:           8
        .value_kind:     global_buffer
      - .address_space:  global
        .offset:         24
        .size:           8
        .value_kind:     global_buffer
      - .offset:         32
        .size:           4
        .value_kind:     by_value
      - .offset:         36
        .size:           4
        .value_kind:     by_value
      - .offset:         40
        .size:           4
        .value_kind:     by_value
      - .offset:         44
        .size:           4
        .value_kind:     by_value
      - .offset:         48
        .size:           4
        .value_kind:     by_value
      - .offset:         52
        .size:           4
        .value_kind:     by_value
      - .offset:         56
        .size:           4
        .value_kind:     by_value
      - .offset:         60
        .size:           4
        .value_kind:     by_value
    .group_segment_fixed_size: 36900
    .kernarg_segment_align: 8
    .kernarg_segment_size: 64
    .language:       OpenCL C
    .language_version:
      - 2
      - 0
    .max_flat_workgroup_size: 1024
    .name:           _Z19_skinny_gemm_kernelILi4ELi5ELi1ELi32ELi8EEvPKhS1_P6__halfPKfiiiiiiii
    .private_segment_fixed_size: 84
    .sgpr_count:     106
    .sgpr_spill_count: 32
    .symbol:         _Z19_skinny_gemm_kernelILi4ELi5ELi1ELi32ELi8EEvPKhS1_P6__halfPKfiiiiiiii.kd
    .uniform_work_group_size: 1
    .uses_dynamic_stack: false
    .vgpr_count:     128
    .vgpr_spill_count: 20
    .wavefront_size: 64
  - .agpr_count:     0
    .args:
      - .address_space:  global
        .offset:         0
        .size:           8
        .value_kind:     global_buffer
      - .address_space:  global
        .offset:         8
        .size:           8
        .value_kind:     global_buffer
      - .address_space:  global
        .offset:         16
        .size:           8
        .value_kind:     global_buffer
      - .address_space:  global
        .offset:         24
        .size:           8
        .value_kind:     global_buffer
      - .offset:         32
        .size:           4
        .value_kind:     by_value
      - .offset:         36
        .size:           4
        .value_kind:     by_value
      - .offset:         40
        .size:           4
        .value_kind:     by_value
      - .offset:         44
        .size:           4
        .value_kind:     by_value
      - .offset:         48
        .size:           4
        .value_kind:     by_value
      - .offset:         52
        .size:           4
        .value_kind:     by_value
      - .offset:         56
        .size:           4
        .value_kind:     by_value
      - .offset:         60
        .size:           4
        .value_kind:     by_value
    .group_segment_fixed_size: 36936
    .kernarg_segment_align: 8
    .kernarg_segment_size: 64
    .language:       OpenCL C
    .language_version:
      - 2
      - 0
    .max_flat_workgroup_size: 1024
    .name:           _Z19_skinny_gemm_kernelILi4ELi5ELi2ELi16ELi4EEvPKhS1_P6__halfPKfiiiiiiii
    .private_segment_fixed_size: 100
    .sgpr_count:     77
    .sgpr_spill_count: 0
    .symbol:         _Z19_skinny_gemm_kernelILi4ELi5ELi2ELi16ELi4EEvPKhS1_P6__halfPKfiiiiiiii.kd
    .uniform_work_group_size: 1
    .uses_dynamic_stack: false
    .vgpr_count:     128
    .vgpr_spill_count: 24
    .wavefront_size: 64
  - .agpr_count:     0
    .args:
      - .address_space:  global
        .offset:         0
        .size:           8
        .value_kind:     global_buffer
      - .address_space:  global
        .offset:         8
        .size:           8
        .value_kind:     global_buffer
      - .address_space:  global
        .offset:         16
        .size:           8
        .value_kind:     global_buffer
      - .address_space:  global
        .offset:         24
        .size:           8
        .value_kind:     global_buffer
      - .offset:         32
        .size:           4
        .value_kind:     by_value
      - .offset:         36
        .size:           4
        .value_kind:     by_value
      - .offset:         40
        .size:           4
        .value_kind:     by_value
      - .offset:         44
        .size:           4
        .value_kind:     by_value
      - .offset:         48
        .size:           4
        .value_kind:     by_value
      - .offset:         52
        .size:           4
        .value_kind:     by_value
      - .offset:         56
        .size:           4
        .value_kind:     by_value
      - .offset:         60
        .size:           4
        .value_kind:     by_value
    .group_segment_fixed_size: 36936
    .kernarg_segment_align: 8
    .kernarg_segment_size: 64
    .language:       OpenCL C
    .language_version:
      - 2
      - 0
    .max_flat_workgroup_size: 1024
    .name:           _Z19_skinny_gemm_kernelILi4ELi5ELi2ELi32ELi4EEvPKhS1_P6__halfPKfiiiiiiii
    .private_segment_fixed_size: 92
    .sgpr_count:     106
    .sgpr_spill_count: 32
    .symbol:         _Z19_skinny_gemm_kernelILi4ELi5ELi2ELi32ELi4EEvPKhS1_P6__halfPKfiiiiiiii.kd
    .uniform_work_group_size: 1
    .uses_dynamic_stack: false
    .vgpr_count:     128
    .vgpr_spill_count: 22
    .wavefront_size: 64
  - .agpr_count:     0
    .args:
      - .address_space:  global
        .offset:         0
        .size:           8
        .value_kind:     global_buffer
      - .address_space:  global
        .offset:         8
        .size:           8
        .value_kind:     global_buffer
      - .address_space:  global
        .offset:         16
        .size:           8
        .value_kind:     global_buffer
      - .address_space:  global
        .offset:         24
        .size:           8
        .value_kind:     global_buffer
      - .offset:         32
        .size:           4
        .value_kind:     by_value
      - .offset:         36
        .size:           4
        .value_kind:     by_value
      - .offset:         40
        .size:           4
        .value_kind:     by_value
      - .offset:         44
        .size:           4
        .value_kind:     by_value
      - .offset:         48
        .size:           4
        .value_kind:     by_value
      - .offset:         52
        .size:           4
        .value_kind:     by_value
      - .offset:         56
        .size:           4
        .value_kind:     by_value
      - .offset:         60
        .size:           4
        .value_kind:     by_value
    .group_segment_fixed_size: 55404
    .kernarg_segment_align: 8
    .kernarg_segment_size: 64
    .language:       OpenCL C
    .language_version:
      - 2
      - 0
    .max_flat_workgroup_size: 1024
    .name:           _Z19_skinny_gemm_kernelILi4ELi5ELi3ELi16ELi4EEvPKhS1_P6__halfPKfiiiiiiii
    .private_segment_fixed_size: 100
    .sgpr_count:     77
    .sgpr_spill_count: 0
    .symbol:         _Z19_skinny_gemm_kernelILi4ELi5ELi3ELi16ELi4EEvPKhS1_P6__halfPKfiiiiiiii.kd
    .uniform_work_group_size: 1
    .uses_dynamic_stack: false
    .vgpr_count:     128
    .vgpr_spill_count: 24
    .wavefront_size: 64
  - .agpr_count:     0
    .args:
      - .address_space:  global
        .offset:         0
        .size:           8
        .value_kind:     global_buffer
      - .address_space:  global
        .offset:         8
        .size:           8
        .value_kind:     global_buffer
      - .address_space:  global
        .offset:         16
        .size:           8
        .value_kind:     global_buffer
      - .address_space:  global
        .offset:         24
        .size:           8
        .value_kind:     global_buffer
      - .offset:         32
        .size:           4
        .value_kind:     by_value
      - .offset:         36
        .size:           4
        .value_kind:     by_value
      - .offset:         40
        .size:           4
        .value_kind:     by_value
      - .offset:         44
        .size:           4
        .value_kind:     by_value
      - .offset:         48
        .size:           4
        .value_kind:     by_value
      - .offset:         52
        .size:           4
        .value_kind:     by_value
      - .offset:         56
        .size:           4
        .value_kind:     by_value
      - .offset:         60
        .size:           4
        .value_kind:     by_value
    .group_segment_fixed_size: 55404
    .kernarg_segment_align: 8
    .kernarg_segment_size: 64
    .language:       OpenCL C
    .language_version:
      - 2
      - 0
    .max_flat_workgroup_size: 1024
    .name:           _Z19_skinny_gemm_kernelILi4ELi5ELi3ELi32ELi4EEvPKhS1_P6__halfPKfiiiiiiii
    .private_segment_fixed_size: 92
    .sgpr_count:     106
    .sgpr_spill_count: 32
    .symbol:         _Z19_skinny_gemm_kernelILi4ELi5ELi3ELi32ELi4EEvPKhS1_P6__halfPKfiiiiiiii.kd
    .uniform_work_group_size: 1
    .uses_dynamic_stack: false
    .vgpr_count:     128
    .vgpr_spill_count: 22
    .wavefront_size: 64
  - .agpr_count:     0
    .args:
      - .address_space:  global
        .offset:         0
        .size:           8
        .value_kind:     global_buffer
      - .address_space:  global
        .offset:         8
        .size:           8
        .value_kind:     global_buffer
      - .address_space:  global
        .offset:         16
        .size:           8
        .value_kind:     global_buffer
      - .address_space:  global
        .offset:         24
        .size:           8
        .value_kind:     global_buffer
      - .offset:         32
        .size:           4
        .value_kind:     by_value
      - .offset:         36
        .size:           4
        .value_kind:     by_value
      - .offset:         40
        .size:           4
        .value_kind:     by_value
      - .offset:         44
        .size:           4
        .value_kind:     by_value
      - .offset:         48
        .size:           4
        .value_kind:     by_value
      - .offset:         52
        .size:           4
        .value_kind:     by_value
      - .offset:         56
        .size:           4
        .value_kind:     by_value
      - .offset:         60
        .size:           4
        .value_kind:     by_value
    .group_segment_fixed_size: 20520
    .kernarg_segment_align: 8
    .kernarg_segment_size: 64
    .language:       OpenCL C
    .language_version:
      - 2
      - 0
    .max_flat_workgroup_size: 1024
    .name:           _Z19_skinny_gemm_kernelILi4ELi6ELi1ELi16ELi4EEvPKhS1_P6__halfPKfiiiiiiii
    .private_segment_fixed_size: 184
    .sgpr_count:     79
    .sgpr_spill_count: 0
    .symbol:         _Z19_skinny_gemm_kernelILi4ELi6ELi1ELi16ELi4EEvPKhS1_P6__halfPKfiiiiiiii.kd
    .uniform_work_group_size: 1
    .uses_dynamic_stack: false
    .vgpr_count:     128
    .vgpr_spill_count: 93
    .wavefront_size: 64
  - .agpr_count:     0
    .args:
      - .address_space:  global
        .offset:         0
        .size:           8
        .value_kind:     global_buffer
      - .address_space:  global
        .offset:         8
        .size:           8
        .value_kind:     global_buffer
      - .address_space:  global
        .offset:         16
        .size:           8
        .value_kind:     global_buffer
      - .address_space:  global
        .offset:         24
        .size:           8
        .value_kind:     global_buffer
      - .offset:         32
        .size:           4
        .value_kind:     by_value
      - .offset:         36
        .size:           4
        .value_kind:     by_value
      - .offset:         40
        .size:           4
        .value_kind:     by_value
      - .offset:         44
        .size:           4
        .value_kind:     by_value
      - .offset:         48
        .size:           4
        .value_kind:     by_value
      - .offset:         52
        .size:           4
        .value_kind:     by_value
      - .offset:         56
        .size:           4
        .value_kind:     by_value
      - .offset:         60
        .size:           4
        .value_kind:     by_value
    .group_segment_fixed_size: 41000
    .kernarg_segment_align: 8
    .kernarg_segment_size: 64
    .language:       OpenCL C
    .language_version:
      - 2
      - 0
    .max_flat_workgroup_size: 1024
    .name:           _Z19_skinny_gemm_kernelILi4ELi6ELi1ELi16ELi8EEvPKhS1_P6__halfPKfiiiiiiii
    .private_segment_fixed_size: 328
    .sgpr_count:     79
    .sgpr_spill_count: 0
    .symbol:         _Z19_skinny_gemm_kernelILi4ELi6ELi1ELi16ELi8EEvPKhS1_P6__halfPKfiiiiiiii.kd
    .uniform_work_group_size: 1
    .uses_dynamic_stack: false
    .vgpr_count:     128
    .vgpr_spill_count: 209
    .wavefront_size: 64
  - .agpr_count:     0
    .args:
      - .address_space:  global
        .offset:         0
        .size:           8
        .value_kind:     global_buffer
      - .address_space:  global
        .offset:         8
        .size:           8
        .value_kind:     global_buffer
      - .address_space:  global
        .offset:         16
        .size:           8
        .value_kind:     global_buffer
      - .address_space:  global
        .offset:         24
        .size:           8
        .value_kind:     global_buffer
      - .offset:         32
        .size:           4
        .value_kind:     by_value
      - .offset:         36
        .size:           4
        .value_kind:     by_value
      - .offset:         40
        .size:           4
        .value_kind:     by_value
      - .offset:         44
        .size:           4
        .value_kind:     by_value
      - .offset:         48
        .size:           4
        .value_kind:     by_value
      - .offset:         52
        .size:           4
        .value_kind:     by_value
      - .offset:         56
        .size:           4
        .value_kind:     by_value
      - .offset:         60
        .size:           4
        .value_kind:     by_value
    .group_segment_fixed_size: 20520
    .kernarg_segment_align: 8
    .kernarg_segment_size: 64
    .language:       OpenCL C
    .language_version:
      - 2
      - 0
    .max_flat_workgroup_size: 1024
    .name:           _Z19_skinny_gemm_kernelILi4ELi6ELi1ELi32ELi4EEvPKhS1_P6__halfPKfiiiiiiii
    .private_segment_fixed_size: 108
    .sgpr_count:     106
    .sgpr_spill_count: 77
    .symbol:         _Z19_skinny_gemm_kernelILi4ELi6ELi1ELi32ELi4EEvPKhS1_P6__halfPKfiiiiiiii.kd
    .uniform_work_group_size: 1
    .uses_dynamic_stack: false
    .vgpr_count:     128
    .vgpr_spill_count: 28
    .wavefront_size: 64
  - .agpr_count:     0
    .args:
      - .address_space:  global
        .offset:         0
        .size:           8
        .value_kind:     global_buffer
      - .address_space:  global
        .offset:         8
        .size:           8
        .value_kind:     global_buffer
      - .address_space:  global
        .offset:         16
        .size:           8
        .value_kind:     global_buffer
      - .address_space:  global
        .offset:         24
        .size:           8
        .value_kind:     global_buffer
      - .offset:         32
        .size:           4
        .value_kind:     by_value
      - .offset:         36
        .size:           4
        .value_kind:     by_value
      - .offset:         40
        .size:           4
        .value_kind:     by_value
      - .offset:         44
        .size:           4
        .value_kind:     by_value
      - .offset:         48
        .size:           4
        .value_kind:     by_value
      - .offset:         52
        .size:           4
        .value_kind:     by_value
      - .offset:         56
        .size:           4
        .value_kind:     by_value
      - .offset:         60
        .size:           4
        .value_kind:     by_value
    .group_segment_fixed_size: 41000
    .kernarg_segment_align: 8
    .kernarg_segment_size: 64
    .language:       OpenCL C
    .language_version:
      - 2
      - 0
    .max_flat_workgroup_size: 1024
    .name:           _Z19_skinny_gemm_kernelILi4ELi6ELi1ELi32ELi8EEvPKhS1_P6__halfPKfiiiiiiii
    .private_segment_fixed_size: 104
    .sgpr_count:     106
    .sgpr_spill_count: 77
    .symbol:         _Z19_skinny_gemm_kernelILi4ELi6ELi1ELi32ELi8EEvPKhS1_P6__halfPKfiiiiiiii.kd
    .uniform_work_group_size: 1
    .uses_dynamic_stack: false
    .vgpr_count:     128
    .vgpr_spill_count: 29
    .wavefront_size: 64
  - .agpr_count:     0
    .args:
      - .address_space:  global
        .offset:         0
        .size:           8
        .value_kind:     global_buffer
      - .address_space:  global
        .offset:         8
        .size:           8
        .value_kind:     global_buffer
      - .address_space:  global
        .offset:         16
        .size:           8
        .value_kind:     global_buffer
      - .address_space:  global
        .offset:         24
        .size:           8
        .value_kind:     global_buffer
      - .offset:         32
        .size:           4
        .value_kind:     by_value
      - .offset:         36
        .size:           4
        .value_kind:     by_value
      - .offset:         40
        .size:           4
        .value_kind:     by_value
      - .offset:         44
        .size:           4
        .value_kind:     by_value
      - .offset:         48
        .size:           4
        .value_kind:     by_value
      - .offset:         52
        .size:           4
        .value_kind:     by_value
      - .offset:         56
        .size:           4
        .value_kind:     by_value
      - .offset:         60
        .size:           4
        .value_kind:     by_value
    .group_segment_fixed_size: 41040
    .kernarg_segment_align: 8
    .kernarg_segment_size: 64
    .language:       OpenCL C
    .language_version:
      - 2
      - 0
    .max_flat_workgroup_size: 1024
    .name:           _Z19_skinny_gemm_kernelILi4ELi6ELi2ELi16ELi4EEvPKhS1_P6__halfPKfiiiiiiii
    .private_segment_fixed_size: 184
    .sgpr_count:     79
    .sgpr_spill_count: 0
    .symbol:         _Z19_skinny_gemm_kernelILi4ELi6ELi2ELi16ELi4EEvPKhS1_P6__halfPKfiiiiiiii.kd
    .uniform_work_group_size: 1
    .uses_dynamic_stack: false
    .vgpr_count:     128
    .vgpr_spill_count: 93
    .wavefront_size: 64
  - .agpr_count:     0
    .args:
      - .address_space:  global
        .offset:         0
        .size:           8
        .value_kind:     global_buffer
      - .address_space:  global
        .offset:         8
        .size:           8
        .value_kind:     global_buffer
      - .address_space:  global
        .offset:         16
        .size:           8
        .value_kind:     global_buffer
      - .address_space:  global
        .offset:         24
        .size:           8
        .value_kind:     global_buffer
      - .offset:         32
        .size:           4
        .value_kind:     by_value
      - .offset:         36
        .size:           4
        .value_kind:     by_value
      - .offset:         40
        .size:           4
        .value_kind:     by_value
      - .offset:         44
        .size:           4
        .value_kind:     by_value
      - .offset:         48
        .size:           4
        .value_kind:     by_value
      - .offset:         52
        .size:           4
        .value_kind:     by_value
      - .offset:         56
        .size:           4
        .value_kind:     by_value
      - .offset:         60
        .size:           4
        .value_kind:     by_value
    .group_segment_fixed_size: 41040
    .kernarg_segment_align: 8
    .kernarg_segment_size: 64
    .language:       OpenCL C
    .language_version:
      - 2
      - 0
    .max_flat_workgroup_size: 1024
    .name:           _Z19_skinny_gemm_kernelILi4ELi6ELi2ELi32ELi4EEvPKhS1_P6__halfPKfiiiiiiii
    .private_segment_fixed_size: 108
    .sgpr_count:     106
    .sgpr_spill_count: 77
    .symbol:         _Z19_skinny_gemm_kernelILi4ELi6ELi2ELi32ELi4EEvPKhS1_P6__halfPKfiiiiiiii.kd
    .uniform_work_group_size: 1
    .uses_dynamic_stack: false
    .vgpr_count:     128
    .vgpr_spill_count: 28
    .wavefront_size: 64
  - .agpr_count:     0
    .args:
      - .address_space:  global
        .offset:         0
        .size:           8
        .value_kind:     global_buffer
      - .address_space:  global
        .offset:         8
        .size:           8
        .value_kind:     global_buffer
      - .address_space:  global
        .offset:         16
        .size:           8
        .value_kind:     global_buffer
      - .address_space:  global
        .offset:         24
        .size:           8
        .value_kind:     global_buffer
      - .offset:         32
        .size:           4
        .value_kind:     by_value
      - .offset:         36
        .size:           4
        .value_kind:     by_value
      - .offset:         40
        .size:           4
        .value_kind:     by_value
      - .offset:         44
        .size:           4
        .value_kind:     by_value
      - .offset:         48
        .size:           4
        .value_kind:     by_value
      - .offset:         52
        .size:           4
        .value_kind:     by_value
      - .offset:         56
        .size:           4
        .value_kind:     by_value
      - .offset:         60
        .size:           4
        .value_kind:     by_value
    .group_segment_fixed_size: 61560
    .kernarg_segment_align: 8
    .kernarg_segment_size: 64
    .language:       OpenCL C
    .language_version:
      - 2
      - 0
    .max_flat_workgroup_size: 1024
    .name:           _Z19_skinny_gemm_kernelILi4ELi6ELi3ELi16ELi4EEvPKhS1_P6__halfPKfiiiiiiii
    .private_segment_fixed_size: 184
    .sgpr_count:     79
    .sgpr_spill_count: 0
    .symbol:         _Z19_skinny_gemm_kernelILi4ELi6ELi3ELi16ELi4EEvPKhS1_P6__halfPKfiiiiiiii.kd
    .uniform_work_group_size: 1
    .uses_dynamic_stack: false
    .vgpr_count:     128
    .vgpr_spill_count: 93
    .wavefront_size: 64
  - .agpr_count:     0
    .args:
      - .address_space:  global
        .offset:         0
        .size:           8
        .value_kind:     global_buffer
      - .address_space:  global
        .offset:         8
        .size:           8
        .value_kind:     global_buffer
      - .address_space:  global
        .offset:         16
        .size:           8
        .value_kind:     global_buffer
      - .address_space:  global
        .offset:         24
        .size:           8
        .value_kind:     global_buffer
      - .offset:         32
        .size:           4
        .value_kind:     by_value
      - .offset:         36
        .size:           4
        .value_kind:     by_value
      - .offset:         40
        .size:           4
        .value_kind:     by_value
      - .offset:         44
        .size:           4
        .value_kind:     by_value
      - .offset:         48
        .size:           4
        .value_kind:     by_value
      - .offset:         52
        .size:           4
        .value_kind:     by_value
      - .offset:         56
        .size:           4
        .value_kind:     by_value
      - .offset:         60
        .size:           4
        .value_kind:     by_value
    .group_segment_fixed_size: 61560
    .kernarg_segment_align: 8
    .kernarg_segment_size: 64
    .language:       OpenCL C
    .language_version:
      - 2
      - 0
    .max_flat_workgroup_size: 1024
    .name:           _Z19_skinny_gemm_kernelILi4ELi6ELi3ELi32ELi4EEvPKhS1_P6__halfPKfiiiiiiii
    .private_segment_fixed_size: 112
    .sgpr_count:     106
    .sgpr_spill_count: 77
    .symbol:         _Z19_skinny_gemm_kernelILi4ELi6ELi3ELi32ELi4EEvPKhS1_P6__halfPKfiiiiiiii.kd
    .uniform_work_group_size: 1
    .uses_dynamic_stack: false
    .vgpr_count:     128
    .vgpr_spill_count: 29
    .wavefront_size: 64
amdhsa.target:   amdgcn-amd-amdhsa--gfx950
amdhsa.version:
  - 1
  - 2
...

	.end_amdgpu_metadata
